;; amdgpu-corpus repo=pytorch/pytorch kind=compiled arch=gfx1100 opt=O3
	.text
	.amdgcn_target "amdgcn-amd-amdhsa--gfx1100"
	.amdhsa_code_object_version 6
	.section	.text._ZN12_GLOBAL__N_120softmax_warp_forwardIdddLi0ELb1ELb0ELi64EEEvPT0_PKT_iiiPKbib,"axG",@progbits,_ZN12_GLOBAL__N_120softmax_warp_forwardIdddLi0ELb1ELb0ELi64EEEvPT0_PKT_iiiPKbib,comdat
	.globl	_ZN12_GLOBAL__N_120softmax_warp_forwardIdddLi0ELb1ELb0ELi64EEEvPT0_PKT_iiiPKbib ; -- Begin function _ZN12_GLOBAL__N_120softmax_warp_forwardIdddLi0ELb1ELb0ELi64EEEvPT0_PKT_iiiPKbib
	.p2align	8
	.type	_ZN12_GLOBAL__N_120softmax_warp_forwardIdddLi0ELb1ELb0ELi64EEEvPT0_PKT_iiiPKbib,@function
_ZN12_GLOBAL__N_120softmax_warp_forwardIdddLi0ELb1ELb0ELi64EEEvPT0_PKT_iiiPKbib: ; @_ZN12_GLOBAL__N_120softmax_warp_forwardIdddLi0ELb1ELb0ELi64EEEvPT0_PKT_iiiPKbib
; %bb.0:
	s_clause 0x1
	s_load_b32 s2, s[0:1], 0x3c
	s_load_b256 s[4:11], s[0:1], 0x0
	v_bfe_u32 v1, v0, 10, 10
	v_and_b32_e32 v4, 0x3ff, v0
	s_waitcnt lgkmcnt(0)
	s_lshr_b32 s0, s2, 16
	s_delay_alu instid0(VALU_DEP_1) | instskip(SKIP_1) | instid1(SALU_CYCLE_1)
	v_cmp_gt_i32_e32 vcc_lo, s10, v4
	s_mul_i32 s15, s15, s0
	v_add_lshl_u32 v2, s15, v1, 1
	s_delay_alu instid0(VALU_DEP_1) | instskip(SKIP_3) | instid1(VALU_DEP_3)
	v_mad_u64_u32 v[0:1], null, v2, s9, v[4:5]
	v_sub_nc_u32_e32 v8, s8, v2
	v_mov_b32_e32 v2, 0
	v_mov_b32_e32 v3, 0xfff00000
	v_cmp_lt_i32_e64 s0, 0, v8
	v_ashrrev_i32_e32 v1, 31, v0
	s_delay_alu instid0(VALU_DEP_3) | instskip(NEXT) | instid1(VALU_DEP_3)
	v_dual_mov_b32 v5, v3 :: v_dual_mov_b32 v4, v2
	s_and_b32 s2, vcc_lo, s0
	s_delay_alu instid0(VALU_DEP_2) | instskip(NEXT) | instid1(VALU_DEP_1)
	v_lshlrev_b64 v[0:1], 3, v[0:1]
	v_add_co_u32 v6, s1, s6, v0
	s_delay_alu instid0(VALU_DEP_1)
	v_add_co_ci_u32_e64 v7, s1, s7, v1, s1
	s_and_saveexec_b32 s1, s2
	s_cbranch_execz .LBB0_2
; %bb.1:
	global_load_b64 v[4:5], v[6:7], off
.LBB0_2:
	s_or_b32 exec_lo, exec_lo, s1
	v_cmp_lt_i32_e64 s1, 1, v8
	s_delay_alu instid0(VALU_DEP_1) | instskip(NEXT) | instid1(SALU_CYCLE_1)
	s_and_b32 s1, vcc_lo, s1
	s_and_saveexec_b32 s2, s1
	s_cbranch_execz .LBB0_4
; %bb.3:
	s_mov_b32 s11, 0
	s_delay_alu instid0(SALU_CYCLE_1) | instskip(NEXT) | instid1(SALU_CYCLE_1)
	s_lshl_b64 s[6:7], s[10:11], 3
	v_add_co_u32 v2, s1, v6, s6
	s_delay_alu instid0(VALU_DEP_1)
	v_add_co_ci_u32_e64 v3, s1, s7, v7, s1
	global_load_b64 v[2:3], v[2:3], off
.LBB0_4:
	s_or_b32 exec_lo, exec_lo, s2
	s_and_saveexec_b32 s1, s0
	s_cbranch_execz .LBB0_10
; %bb.5:
	v_add_co_u32 v0, s0, s4, v0
	s_delay_alu instid0(VALU_DEP_1)
	v_add_co_ci_u32_e64 v1, s0, s5, v1, s0
	s_and_saveexec_b32 s8, vcc_lo
	s_cbranch_execz .LBB0_7
; %bb.6:
	s_waitcnt vmcnt(0)
	v_add_f64 v[4:5], v[4:5], -v[4:5]
	s_mov_b32 s0, 0x652b82fe
	s_mov_b32 s1, 0x3ff71547
	s_mov_b32 s5, 0xbfe62e42
	s_mov_b32 s4, 0xfefa39ef
	s_mov_b32 s7, 0xbc7abc9e
	s_mov_b32 s6, 0x3b39803f
	s_mov_b32 s2, 0x6a5dcb37
	s_mov_b32 s3, 0x3e5ade15
	s_mov_b32 s13, 0x3fe55555
	s_mov_b32 s12, 0x55555555
	s_mov_b32 s14, 0xbf559e2b
	s_mov_b32 s15, 0x3fc3ab76
	s_delay_alu instid0(VALU_DEP_1) | instskip(SKIP_2) | instid1(VALU_DEP_1)
	v_mul_f64 v[6:7], v[4:5], s[0:1]
	s_mov_b32 s0, 0xfca7ab0c
	s_mov_b32 s1, 0x3e928af3
	v_rndne_f64_e32 v[6:7], v[6:7]
	s_delay_alu instid0(VALU_DEP_1) | instskip(SKIP_2) | instid1(VALU_DEP_2)
	v_fma_f64 v[9:10], v[6:7], s[4:5], v[4:5]
	v_cvt_i32_f64_e32 v13, v[6:7]
	s_mov_b32 s5, 0x3fe62e42
	v_fma_f64 v[9:10], v[6:7], s[6:7], v[9:10]
	s_mov_b32 s7, 0x3c7abc9e
	s_delay_alu instid0(VALU_DEP_1)
	v_fma_f64 v[11:12], v[9:10], s[2:3], s[0:1]
	s_mov_b32 s0, 0x623fde64
	s_mov_b32 s1, 0x3ec71dee
	s_delay_alu instid0(VALU_DEP_1) | instid1(SALU_CYCLE_1)
	v_fma_f64 v[11:12], v[9:10], v[11:12], s[0:1]
	s_mov_b32 s0, 0x7c89e6b0
	s_mov_b32 s1, 0x3efa0199
	s_delay_alu instid0(VALU_DEP_1) | instid1(SALU_CYCLE_1)
	;; [unrolled: 4-line block ×8, first 2 shown]
	v_fma_f64 v[11:12], v[9:10], v[11:12], s[0:1]
	v_cmp_lt_f64_e64 s0, 0x40900000, v[4:5]
	v_cmp_ngt_f64_e64 s1, 0xc090cc00, v[4:5]
	s_delay_alu instid0(VALU_DEP_3) | instskip(NEXT) | instid1(VALU_DEP_1)
	v_fma_f64 v[11:12], v[9:10], v[11:12], 1.0
	v_fma_f64 v[6:7], v[9:10], v[11:12], 1.0
	s_delay_alu instid0(VALU_DEP_1) | instskip(SKIP_1) | instid1(VALU_DEP_2)
	v_ldexp_f64 v[6:7], v[6:7], v13
	v_mov_b32_e32 v13, 0
	v_add_f64 v[6:7], v[6:7], 0
	s_delay_alu instid0(VALU_DEP_1) | instskip(NEXT) | instid1(VALU_DEP_2)
	v_cndmask_b32_e64 v9, v6, 0, s0
	v_cndmask_b32_e64 v10, v7, 0x7ff00000, s0
	v_and_b32_e32 v7, 0x7fffffff, v7
	s_delay_alu instid0(VALU_DEP_3) | instskip(NEXT) | instid1(VALU_DEP_3)
	v_cndmask_b32_e64 v9, 0, v9, s1
	v_cndmask_b32_e64 v10, 0, v10, s1
	s_delay_alu instid0(VALU_DEP_1) | instskip(SKIP_1) | instid1(VALU_DEP_2)
	v_frexp_mant_f64_e32 v[11:12], v[9:10]
	v_frexp_exp_i32_f64_e32 v14, v[9:10]
	v_cmp_gt_f64_e64 s2, s[12:13], v[11:12]
	s_mov_b32 s12, 0x55555780
	s_delay_alu instid0(VALU_DEP_1) | instskip(SKIP_3) | instid1(VALU_DEP_1)
	v_subrev_co_ci_u32_e64 v25, s3, 0, v14, s2
	v_cndmask_b32_e64 v14, 0x3ff00000, 2.0, s2
	s_mov_b32 s2, 0x6b47b09a
	s_mov_b32 s3, 0x3fc38538
	v_mul_f64 v[11:12], v[11:12], v[13:14]
	s_delay_alu instid0(VALU_DEP_1) | instskip(SKIP_1) | instid1(VALU_DEP_2)
	v_add_f64 v[13:14], v[11:12], 1.0
	v_add_f64 v[19:20], v[11:12], -1.0
	v_rcp_f64_e32 v[15:16], v[13:14]
	v_add_f64 v[21:22], v[13:14], -1.0
	s_delay_alu instid0(VALU_DEP_1) | instskip(SKIP_2) | instid1(VALU_DEP_1)
	v_add_f64 v[11:12], v[11:12], -v[21:22]
	s_waitcnt_depctr 0xfff
	v_fma_f64 v[17:18], -v[13:14], v[15:16], 1.0
	v_fma_f64 v[15:16], v[17:18], v[15:16], v[15:16]
	s_delay_alu instid0(VALU_DEP_1) | instskip(NEXT) | instid1(VALU_DEP_1)
	v_fma_f64 v[17:18], -v[13:14], v[15:16], 1.0
	v_fma_f64 v[15:16], v[17:18], v[15:16], v[15:16]
	s_delay_alu instid0(VALU_DEP_1) | instskip(NEXT) | instid1(VALU_DEP_1)
	v_mul_f64 v[17:18], v[19:20], v[15:16]
	v_mul_f64 v[23:24], v[13:14], v[17:18]
	s_delay_alu instid0(VALU_DEP_1) | instskip(NEXT) | instid1(VALU_DEP_1)
	v_fma_f64 v[13:14], v[17:18], v[13:14], -v[23:24]
	v_fma_f64 v[11:12], v[17:18], v[11:12], v[13:14]
	s_delay_alu instid0(VALU_DEP_1) | instskip(NEXT) | instid1(VALU_DEP_1)
	v_add_f64 v[13:14], v[23:24], v[11:12]
	v_add_f64 v[21:22], v[19:20], -v[13:14]
	v_add_f64 v[23:24], v[13:14], -v[23:24]
	s_delay_alu instid0(VALU_DEP_2) | instskip(NEXT) | instid1(VALU_DEP_2)
	v_add_f64 v[19:20], v[19:20], -v[21:22]
	v_add_f64 v[11:12], v[23:24], -v[11:12]
	s_delay_alu instid0(VALU_DEP_2) | instskip(NEXT) | instid1(VALU_DEP_1)
	v_add_f64 v[13:14], v[19:20], -v[13:14]
	v_add_f64 v[11:12], v[11:12], v[13:14]
	s_delay_alu instid0(VALU_DEP_1) | instskip(NEXT) | instid1(VALU_DEP_1)
	v_add_f64 v[11:12], v[21:22], v[11:12]
	v_mul_f64 v[11:12], v[15:16], v[11:12]
	s_delay_alu instid0(VALU_DEP_1) | instskip(NEXT) | instid1(VALU_DEP_1)
	v_add_f64 v[13:14], v[17:18], v[11:12]
	v_mul_f64 v[15:16], v[13:14], v[13:14]
	s_delay_alu instid0(VALU_DEP_1) | instskip(SKIP_3) | instid1(VALU_DEP_2)
	v_fma_f64 v[19:20], v[15:16], s[14:15], s[2:3]
	s_mov_b32 s2, 0xd7f4df2e
	s_mov_b32 s3, 0x3fc7474d
	v_mul_f64 v[21:22], v[13:14], v[15:16]
	v_fma_f64 v[19:20], v[15:16], v[19:20], s[2:3]
	s_mov_b32 s2, 0x16291751
	s_mov_b32 s3, 0x3fcc71c0
	s_delay_alu instid0(VALU_DEP_1) | instid1(SALU_CYCLE_1)
	v_fma_f64 v[19:20], v[15:16], v[19:20], s[2:3]
	s_mov_b32 s2, 0x9b27acf1
	s_mov_b32 s3, 0x3fd24924
	s_delay_alu instid0(VALU_DEP_1) | instid1(SALU_CYCLE_1)
	;; [unrolled: 4-line block ×3, first 2 shown]
	v_fma_f64 v[19:20], v[15:16], v[19:20], s[2:3]
	v_cmp_eq_f64_e64 s2, 0x7ff00000, v[6:7]
	s_delay_alu instid0(VALU_DEP_2) | instskip(SKIP_2) | instid1(VALU_DEP_4)
	v_fma_f64 v[15:16], v[15:16], v[19:20], s[12:13]
	v_ldexp_f64 v[19:20], v[13:14], 1
	v_add_f64 v[13:14], v[13:14], -v[17:18]
	s_or_b32 s0, s0, s2
	s_delay_alu instid0(SALU_CYCLE_1) | instskip(NEXT) | instid1(VALU_DEP_3)
	s_and_b32 s0, s1, s0
	v_mul_f64 v[15:16], v[21:22], v[15:16]
	v_cvt_f64_i32_e32 v[21:22], v25
	s_delay_alu instid0(VALU_DEP_3) | instskip(NEXT) | instid1(VALU_DEP_3)
	v_add_f64 v[11:12], v[11:12], -v[13:14]
	v_add_f64 v[17:18], v[19:20], v[15:16]
	s_delay_alu instid0(VALU_DEP_3) | instskip(NEXT) | instid1(VALU_DEP_3)
	v_mul_f64 v[23:24], v[21:22], s[4:5]
	v_ldexp_f64 v[11:12], v[11:12], 1
	s_delay_alu instid0(VALU_DEP_3) | instskip(NEXT) | instid1(VALU_DEP_3)
	v_add_f64 v[13:14], v[17:18], -v[19:20]
	v_fma_f64 v[19:20], v[21:22], s[4:5], -v[23:24]
	s_delay_alu instid0(VALU_DEP_2) | instskip(NEXT) | instid1(VALU_DEP_2)
	v_add_f64 v[13:14], v[15:16], -v[13:14]
	v_fma_f64 v[15:16], v[21:22], s[6:7], v[19:20]
	s_delay_alu instid0(VALU_DEP_2) | instskip(NEXT) | instid1(VALU_DEP_2)
	v_add_f64 v[11:12], v[11:12], v[13:14]
	v_add_f64 v[13:14], v[23:24], v[15:16]
	s_delay_alu instid0(VALU_DEP_2) | instskip(NEXT) | instid1(VALU_DEP_2)
	v_add_f64 v[19:20], v[17:18], v[11:12]
	v_add_f64 v[23:24], v[13:14], -v[23:24]
	s_delay_alu instid0(VALU_DEP_2) | instskip(SKIP_1) | instid1(VALU_DEP_3)
	v_add_f64 v[21:22], v[13:14], v[19:20]
	v_add_f64 v[17:18], v[19:20], -v[17:18]
	v_add_f64 v[15:16], v[15:16], -v[23:24]
	s_delay_alu instid0(VALU_DEP_3) | instskip(NEXT) | instid1(VALU_DEP_3)
	v_add_f64 v[25:26], v[21:22], -v[13:14]
	v_add_f64 v[11:12], v[11:12], -v[17:18]
	s_delay_alu instid0(VALU_DEP_2) | instskip(SKIP_1) | instid1(VALU_DEP_3)
	v_add_f64 v[27:28], v[21:22], -v[25:26]
	v_add_f64 v[17:18], v[19:20], -v[25:26]
	v_add_f64 v[19:20], v[15:16], v[11:12]
	s_delay_alu instid0(VALU_DEP_3) | instskip(NEXT) | instid1(VALU_DEP_1)
	v_add_f64 v[13:14], v[13:14], -v[27:28]
	v_add_f64 v[13:14], v[17:18], v[13:14]
	s_delay_alu instid0(VALU_DEP_3) | instskip(NEXT) | instid1(VALU_DEP_2)
	v_add_f64 v[17:18], v[19:20], -v[15:16]
	v_add_f64 v[13:14], v[19:20], v[13:14]
	s_delay_alu instid0(VALU_DEP_2) | instskip(SKIP_1) | instid1(VALU_DEP_3)
	v_add_f64 v[19:20], v[19:20], -v[17:18]
	v_add_f64 v[11:12], v[11:12], -v[17:18]
	v_add_f64 v[23:24], v[21:22], v[13:14]
	s_delay_alu instid0(VALU_DEP_3) | instskip(NEXT) | instid1(VALU_DEP_2)
	v_add_f64 v[15:16], v[15:16], -v[19:20]
	v_add_f64 v[17:18], v[23:24], -v[21:22]
	s_delay_alu instid0(VALU_DEP_2) | instskip(NEXT) | instid1(VALU_DEP_2)
	v_add_f64 v[11:12], v[11:12], v[15:16]
	v_add_f64 v[13:14], v[13:14], -v[17:18]
	s_delay_alu instid0(VALU_DEP_1) | instskip(NEXT) | instid1(VALU_DEP_1)
	v_add_f64 v[11:12], v[11:12], v[13:14]
	v_add_f64 v[6:7], v[23:24], v[11:12]
	s_delay_alu instid0(VALU_DEP_1) | instskip(NEXT) | instid1(VALU_DEP_2)
	v_cndmask_b32_e64 v6, v6, v9, s0
	v_cndmask_b32_e64 v7, v7, v10, s0
	v_cmp_ngt_f64_e64 s0, 0, v[9:10]
	s_delay_alu instid0(VALU_DEP_1) | instskip(SKIP_1) | instid1(VALU_DEP_1)
	v_cndmask_b32_e64 v7, 0x7ff80000, v7, s0
	v_cmp_nge_f64_e64 s0, 0, v[9:10]
	v_cndmask_b32_e64 v6, 0, v6, s0
	v_cmp_neq_f64_e64 s0, 0, v[9:10]
	s_delay_alu instid0(VALU_DEP_1) | instskip(NEXT) | instid1(VALU_DEP_1)
	v_cndmask_b32_e64 v7, 0xfff00000, v7, s0
	v_add_f64 v[4:5], v[4:5], -v[6:7]
	global_store_b64 v[0:1], v[4:5], off
.LBB0_7:
	s_or_b32 exec_lo, exec_lo, s8
	v_cmp_ne_u32_e64 s0, 1, v8
	s_delay_alu instid0(VALU_DEP_1)
	s_and_b32 exec_lo, exec_lo, s0
	s_cbranch_execz .LBB0_10
; %bb.8:
	s_and_b32 exec_lo, exec_lo, vcc_lo
	s_cbranch_execz .LBB0_10
; %bb.9:
	s_waitcnt vmcnt(0)
	v_add_f64 v[2:3], v[2:3], -v[2:3]
	s_mov_b32 s0, 0x652b82fe
	s_mov_b32 s1, 0x3ff71547
	;; [unrolled: 1-line block ×13, first 2 shown]
	s_delay_alu instid0(VALU_DEP_1) | instskip(SKIP_3) | instid1(VALU_DEP_2)
	v_mul_f64 v[4:5], v[2:3], s[0:1]
	s_mov_b32 s0, 0xfca7ab0c
	s_mov_b32 s1, 0x3e928af3
	v_cmp_lt_f64_e32 vcc_lo, 0x40900000, v[2:3]
	v_rndne_f64_e32 v[4:5], v[4:5]
	s_delay_alu instid0(VALU_DEP_1) | instskip(SKIP_2) | instid1(VALU_DEP_2)
	v_fma_f64 v[6:7], v[4:5], s[4:5], v[2:3]
	v_cvt_i32_f64_e32 v10, v[4:5]
	s_mov_b32 s5, 0x3fe62e42
	v_fma_f64 v[6:7], v[4:5], s[6:7], v[6:7]
	s_mov_b32 s7, 0x3c7abc9e
	s_delay_alu instid0(VALU_DEP_1) | instskip(SKIP_4) | instid1(VALU_DEP_1)
	v_fma_f64 v[8:9], v[6:7], s[2:3], s[0:1]
	s_mov_b32 s0, 0x623fde64
	s_mov_b32 s1, 0x3ec71dee
	;; [unrolled: 1-line block ×4, first 2 shown]
	v_fma_f64 v[8:9], v[6:7], v[8:9], s[0:1]
	s_mov_b32 s0, 0x7c89e6b0
	s_mov_b32 s1, 0x3efa0199
	s_delay_alu instid0(VALU_DEP_1) | instid1(SALU_CYCLE_1)
	v_fma_f64 v[8:9], v[6:7], v[8:9], s[0:1]
	s_mov_b32 s0, 0x14761f6e
	s_mov_b32 s1, 0x3f2a01a0
	s_delay_alu instid0(VALU_DEP_1) | instid1(SALU_CYCLE_1)
	;; [unrolled: 4-line block ×7, first 2 shown]
	v_fma_f64 v[8:9], v[6:7], v[8:9], s[0:1]
	v_cmp_ngt_f64_e64 s0, 0xc090cc00, v[2:3]
	s_delay_alu instid0(VALU_DEP_2) | instskip(NEXT) | instid1(VALU_DEP_1)
	v_fma_f64 v[8:9], v[6:7], v[8:9], 1.0
	v_fma_f64 v[4:5], v[6:7], v[8:9], 1.0
	s_delay_alu instid0(VALU_DEP_1) | instskip(NEXT) | instid1(VALU_DEP_1)
	v_ldexp_f64 v[4:5], v[4:5], v10
	v_add_f64 v[4:5], v[4:5], 0
	v_mov_b32_e32 v10, 0
	s_delay_alu instid0(VALU_DEP_2) | instskip(NEXT) | instid1(VALU_DEP_3)
	v_cndmask_b32_e64 v6, v4, 0, vcc_lo
	v_cndmask_b32_e64 v7, v5, 0x7ff00000, vcc_lo
	v_and_b32_e32 v5, 0x7fffffff, v5
	s_delay_alu instid0(VALU_DEP_3) | instskip(NEXT) | instid1(VALU_DEP_3)
	v_cndmask_b32_e64 v6, 0, v6, s0
	v_cndmask_b32_e64 v7, 0, v7, s0
	s_delay_alu instid0(VALU_DEP_1) | instskip(SKIP_1) | instid1(VALU_DEP_2)
	v_frexp_mant_f64_e32 v[8:9], v[6:7]
	v_frexp_exp_i32_f64_e32 v11, v[6:7]
	v_cmp_gt_f64_e64 s1, s[2:3], v[8:9]
	s_delay_alu instid0(VALU_DEP_1) | instskip(SKIP_3) | instid1(VALU_DEP_2)
	v_subrev_co_ci_u32_e64 v22, s2, 0, v11, s1
	v_cndmask_b32_e64 v11, 0x3ff00000, 2.0, s1
	s_mov_b32 s2, 0x55555780
	v_cmp_eq_f64_e64 s1, 0x7ff00000, v[4:5]
	v_mul_f64 v[8:9], v[8:9], v[10:11]
	s_delay_alu instid0(VALU_DEP_2) | instskip(NEXT) | instid1(SALU_CYCLE_1)
	s_or_b32 s1, vcc_lo, s1
	s_and_b32 vcc_lo, s0, s1
	s_delay_alu instid0(VALU_DEP_1) | instskip(SKIP_2) | instid1(VALU_DEP_2)
	v_add_f64 v[10:11], v[8:9], 1.0
	v_add_f64 v[16:17], v[8:9], -1.0
	s_lshl_b64 s[0:1], s[10:11], 3
	v_rcp_f64_e32 v[12:13], v[10:11]
	v_add_f64 v[18:19], v[10:11], -1.0
	s_delay_alu instid0(VALU_DEP_1) | instskip(SKIP_2) | instid1(VALU_DEP_1)
	v_add_f64 v[8:9], v[8:9], -v[18:19]
	s_waitcnt_depctr 0xfff
	v_fma_f64 v[14:15], -v[10:11], v[12:13], 1.0
	v_fma_f64 v[12:13], v[14:15], v[12:13], v[12:13]
	s_delay_alu instid0(VALU_DEP_1) | instskip(NEXT) | instid1(VALU_DEP_1)
	v_fma_f64 v[14:15], -v[10:11], v[12:13], 1.0
	v_fma_f64 v[12:13], v[14:15], v[12:13], v[12:13]
	s_delay_alu instid0(VALU_DEP_1) | instskip(NEXT) | instid1(VALU_DEP_1)
	v_mul_f64 v[14:15], v[16:17], v[12:13]
	v_mul_f64 v[20:21], v[10:11], v[14:15]
	s_delay_alu instid0(VALU_DEP_1) | instskip(NEXT) | instid1(VALU_DEP_1)
	v_fma_f64 v[10:11], v[14:15], v[10:11], -v[20:21]
	v_fma_f64 v[8:9], v[14:15], v[8:9], v[10:11]
	s_delay_alu instid0(VALU_DEP_1) | instskip(NEXT) | instid1(VALU_DEP_1)
	v_add_f64 v[10:11], v[20:21], v[8:9]
	v_add_f64 v[18:19], v[16:17], -v[10:11]
	v_add_f64 v[20:21], v[10:11], -v[20:21]
	s_delay_alu instid0(VALU_DEP_2) | instskip(NEXT) | instid1(VALU_DEP_2)
	v_add_f64 v[16:17], v[16:17], -v[18:19]
	v_add_f64 v[8:9], v[20:21], -v[8:9]
	s_delay_alu instid0(VALU_DEP_2) | instskip(NEXT) | instid1(VALU_DEP_1)
	v_add_f64 v[10:11], v[16:17], -v[10:11]
	v_add_f64 v[8:9], v[8:9], v[10:11]
	s_delay_alu instid0(VALU_DEP_1) | instskip(NEXT) | instid1(VALU_DEP_1)
	v_add_f64 v[8:9], v[18:19], v[8:9]
	v_mul_f64 v[8:9], v[12:13], v[8:9]
	s_delay_alu instid0(VALU_DEP_1) | instskip(NEXT) | instid1(VALU_DEP_1)
	v_add_f64 v[10:11], v[14:15], v[8:9]
	v_mul_f64 v[12:13], v[10:11], v[10:11]
	s_delay_alu instid0(VALU_DEP_1) | instskip(SKIP_3) | instid1(VALU_DEP_2)
	v_fma_f64 v[16:17], v[12:13], s[12:13], s[8:9]
	s_mov_b32 s8, 0xd7f4df2e
	s_mov_b32 s9, 0x3fc7474d
	v_mul_f64 v[18:19], v[10:11], v[12:13]
	v_fma_f64 v[16:17], v[12:13], v[16:17], s[8:9]
	s_mov_b32 s8, 0x16291751
	s_mov_b32 s9, 0x3fcc71c0
	s_delay_alu instid0(VALU_DEP_1) | instid1(SALU_CYCLE_1)
	v_fma_f64 v[16:17], v[12:13], v[16:17], s[8:9]
	s_mov_b32 s8, 0x9b27acf1
	s_mov_b32 s9, 0x3fd24924
	s_delay_alu instid0(VALU_DEP_1) | instid1(SALU_CYCLE_1)
	;; [unrolled: 4-line block ×3, first 2 shown]
	v_fma_f64 v[16:17], v[12:13], v[16:17], s[8:9]
	s_delay_alu instid0(VALU_DEP_1) | instskip(SKIP_2) | instid1(VALU_DEP_3)
	v_fma_f64 v[12:13], v[12:13], v[16:17], s[2:3]
	v_ldexp_f64 v[16:17], v[10:11], 1
	v_add_f64 v[10:11], v[10:11], -v[14:15]
	v_mul_f64 v[12:13], v[18:19], v[12:13]
	v_cvt_f64_i32_e32 v[18:19], v22
	s_delay_alu instid0(VALU_DEP_3) | instskip(NEXT) | instid1(VALU_DEP_3)
	v_add_f64 v[8:9], v[8:9], -v[10:11]
	v_add_f64 v[14:15], v[16:17], v[12:13]
	s_delay_alu instid0(VALU_DEP_3) | instskip(NEXT) | instid1(VALU_DEP_3)
	v_mul_f64 v[20:21], v[18:19], s[4:5]
	v_ldexp_f64 v[8:9], v[8:9], 1
	s_delay_alu instid0(VALU_DEP_3) | instskip(NEXT) | instid1(VALU_DEP_3)
	v_add_f64 v[10:11], v[14:15], -v[16:17]
	v_fma_f64 v[16:17], v[18:19], s[4:5], -v[20:21]
	s_delay_alu instid0(VALU_DEP_2) | instskip(NEXT) | instid1(VALU_DEP_2)
	v_add_f64 v[10:11], v[12:13], -v[10:11]
	v_fma_f64 v[12:13], v[18:19], s[6:7], v[16:17]
	s_delay_alu instid0(VALU_DEP_2) | instskip(NEXT) | instid1(VALU_DEP_2)
	v_add_f64 v[8:9], v[8:9], v[10:11]
	v_add_f64 v[10:11], v[20:21], v[12:13]
	s_delay_alu instid0(VALU_DEP_2) | instskip(NEXT) | instid1(VALU_DEP_2)
	v_add_f64 v[16:17], v[14:15], v[8:9]
	v_add_f64 v[20:21], v[10:11], -v[20:21]
	s_delay_alu instid0(VALU_DEP_2) | instskip(SKIP_1) | instid1(VALU_DEP_3)
	v_add_f64 v[18:19], v[10:11], v[16:17]
	v_add_f64 v[14:15], v[16:17], -v[14:15]
	v_add_f64 v[12:13], v[12:13], -v[20:21]
	s_delay_alu instid0(VALU_DEP_3) | instskip(NEXT) | instid1(VALU_DEP_3)
	v_add_f64 v[22:23], v[18:19], -v[10:11]
	v_add_f64 v[8:9], v[8:9], -v[14:15]
	s_delay_alu instid0(VALU_DEP_2) | instskip(SKIP_1) | instid1(VALU_DEP_3)
	v_add_f64 v[24:25], v[18:19], -v[22:23]
	v_add_f64 v[14:15], v[16:17], -v[22:23]
	v_add_f64 v[16:17], v[12:13], v[8:9]
	s_delay_alu instid0(VALU_DEP_3) | instskip(NEXT) | instid1(VALU_DEP_1)
	v_add_f64 v[10:11], v[10:11], -v[24:25]
	v_add_f64 v[10:11], v[14:15], v[10:11]
	s_delay_alu instid0(VALU_DEP_3) | instskip(NEXT) | instid1(VALU_DEP_2)
	v_add_f64 v[14:15], v[16:17], -v[12:13]
	v_add_f64 v[10:11], v[16:17], v[10:11]
	s_delay_alu instid0(VALU_DEP_2) | instskip(SKIP_1) | instid1(VALU_DEP_3)
	v_add_f64 v[16:17], v[16:17], -v[14:15]
	v_add_f64 v[8:9], v[8:9], -v[14:15]
	v_add_f64 v[20:21], v[18:19], v[10:11]
	s_delay_alu instid0(VALU_DEP_3) | instskip(NEXT) | instid1(VALU_DEP_2)
	v_add_f64 v[12:13], v[12:13], -v[16:17]
	v_add_f64 v[14:15], v[20:21], -v[18:19]
	s_delay_alu instid0(VALU_DEP_2) | instskip(NEXT) | instid1(VALU_DEP_2)
	v_add_f64 v[8:9], v[8:9], v[12:13]
	v_add_f64 v[10:11], v[10:11], -v[14:15]
	s_delay_alu instid0(VALU_DEP_1) | instskip(NEXT) | instid1(VALU_DEP_1)
	v_add_f64 v[8:9], v[8:9], v[10:11]
	v_add_f64 v[4:5], v[20:21], v[8:9]
	s_delay_alu instid0(VALU_DEP_1) | instskip(SKIP_1) | instid1(VALU_DEP_2)
	v_dual_cndmask_b32 v4, v4, v6 :: v_dual_cndmask_b32 v5, v5, v7
	v_cmp_ngt_f64_e32 vcc_lo, 0, v[6:7]
	v_cndmask_b32_e32 v5, 0x7ff80000, v5, vcc_lo
	v_cmp_nge_f64_e32 vcc_lo, 0, v[6:7]
	s_delay_alu instid0(VALU_DEP_4) | instskip(SKIP_1) | instid1(VALU_DEP_4)
	v_cndmask_b32_e32 v4, 0, v4, vcc_lo
	v_cmp_neq_f64_e32 vcc_lo, 0, v[6:7]
	v_cndmask_b32_e32 v5, 0xfff00000, v5, vcc_lo
	v_add_co_u32 v0, vcc_lo, v0, s0
	v_add_co_ci_u32_e32 v1, vcc_lo, s1, v1, vcc_lo
	s_delay_alu instid0(VALU_DEP_3)
	v_add_f64 v[2:3], v[2:3], -v[4:5]
	global_store_b64 v[0:1], v[2:3], off
.LBB0_10:
	s_nop 0
	s_sendmsg sendmsg(MSG_DEALLOC_VGPRS)
	s_endpgm
	.section	.rodata,"a",@progbits
	.p2align	6, 0x0
	.amdhsa_kernel _ZN12_GLOBAL__N_120softmax_warp_forwardIdddLi0ELb1ELb0ELi64EEEvPT0_PKT_iiiPKbib
		.amdhsa_group_segment_fixed_size 0
		.amdhsa_private_segment_fixed_size 0
		.amdhsa_kernarg_size 304
		.amdhsa_user_sgpr_count 15
		.amdhsa_user_sgpr_dispatch_ptr 0
		.amdhsa_user_sgpr_queue_ptr 0
		.amdhsa_user_sgpr_kernarg_segment_ptr 1
		.amdhsa_user_sgpr_dispatch_id 0
		.amdhsa_user_sgpr_private_segment_size 0
		.amdhsa_wavefront_size32 1
		.amdhsa_uses_dynamic_stack 0
		.amdhsa_enable_private_segment 0
		.amdhsa_system_sgpr_workgroup_id_x 1
		.amdhsa_system_sgpr_workgroup_id_y 0
		.amdhsa_system_sgpr_workgroup_id_z 0
		.amdhsa_system_sgpr_workgroup_info 0
		.amdhsa_system_vgpr_workitem_id 1
		.amdhsa_next_free_vgpr 29
		.amdhsa_next_free_sgpr 16
		.amdhsa_reserve_vcc 1
		.amdhsa_float_round_mode_32 0
		.amdhsa_float_round_mode_16_64 0
		.amdhsa_float_denorm_mode_32 3
		.amdhsa_float_denorm_mode_16_64 3
		.amdhsa_dx10_clamp 1
		.amdhsa_ieee_mode 1
		.amdhsa_fp16_overflow 0
		.amdhsa_workgroup_processor_mode 1
		.amdhsa_memory_ordered 1
		.amdhsa_forward_progress 0
		.amdhsa_shared_vgpr_count 0
		.amdhsa_exception_fp_ieee_invalid_op 0
		.amdhsa_exception_fp_denorm_src 0
		.amdhsa_exception_fp_ieee_div_zero 0
		.amdhsa_exception_fp_ieee_overflow 0
		.amdhsa_exception_fp_ieee_underflow 0
		.amdhsa_exception_fp_ieee_inexact 0
		.amdhsa_exception_int_div_zero 0
	.end_amdhsa_kernel
	.section	.text._ZN12_GLOBAL__N_120softmax_warp_forwardIdddLi0ELb1ELb0ELi64EEEvPT0_PKT_iiiPKbib,"axG",@progbits,_ZN12_GLOBAL__N_120softmax_warp_forwardIdddLi0ELb1ELb0ELi64EEEvPT0_PKT_iiiPKbib,comdat
.Lfunc_end0:
	.size	_ZN12_GLOBAL__N_120softmax_warp_forwardIdddLi0ELb1ELb0ELi64EEEvPT0_PKT_iiiPKbib, .Lfunc_end0-_ZN12_GLOBAL__N_120softmax_warp_forwardIdddLi0ELb1ELb0ELi64EEEvPT0_PKT_iiiPKbib
                                        ; -- End function
	.section	.AMDGPU.csdata,"",@progbits
; Kernel info:
; codeLenInByte = 3212
; NumSgprs: 18
; NumVgprs: 29
; ScratchSize: 0
; MemoryBound: 0
; FloatMode: 240
; IeeeMode: 1
; LDSByteSize: 0 bytes/workgroup (compile time only)
; SGPRBlocks: 2
; VGPRBlocks: 3
; NumSGPRsForWavesPerEU: 18
; NumVGPRsForWavesPerEU: 29
; Occupancy: 16
; WaveLimiterHint : 0
; COMPUTE_PGM_RSRC2:SCRATCH_EN: 0
; COMPUTE_PGM_RSRC2:USER_SGPR: 15
; COMPUTE_PGM_RSRC2:TRAP_HANDLER: 0
; COMPUTE_PGM_RSRC2:TGID_X_EN: 1
; COMPUTE_PGM_RSRC2:TGID_Y_EN: 0
; COMPUTE_PGM_RSRC2:TGID_Z_EN: 0
; COMPUTE_PGM_RSRC2:TIDIG_COMP_CNT: 1
	.section	.text._ZN12_GLOBAL__N_120softmax_warp_forwardIdddLi0ELb1ELb0ELi32EEEvPT0_PKT_iiiPKbib,"axG",@progbits,_ZN12_GLOBAL__N_120softmax_warp_forwardIdddLi0ELb1ELb0ELi32EEEvPT0_PKT_iiiPKbib,comdat
	.globl	_ZN12_GLOBAL__N_120softmax_warp_forwardIdddLi0ELb1ELb0ELi32EEEvPT0_PKT_iiiPKbib ; -- Begin function _ZN12_GLOBAL__N_120softmax_warp_forwardIdddLi0ELb1ELb0ELi32EEEvPT0_PKT_iiiPKbib
	.p2align	8
	.type	_ZN12_GLOBAL__N_120softmax_warp_forwardIdddLi0ELb1ELb0ELi32EEEvPT0_PKT_iiiPKbib,@function
_ZN12_GLOBAL__N_120softmax_warp_forwardIdddLi0ELb1ELb0ELi32EEEvPT0_PKT_iiiPKbib: ; @_ZN12_GLOBAL__N_120softmax_warp_forwardIdddLi0ELb1ELb0ELi32EEEvPT0_PKT_iiiPKbib
; %bb.0:
	s_clause 0x1
	s_load_b32 s2, s[0:1], 0x3c
	s_load_b256 s[4:11], s[0:1], 0x0
	v_bfe_u32 v1, v0, 10, 10
	v_and_b32_e32 v4, 0x3ff, v0
	s_waitcnt lgkmcnt(0)
	s_lshr_b32 s0, s2, 16
	s_delay_alu instid0(VALU_DEP_1) | instskip(SKIP_1) | instid1(SALU_CYCLE_1)
	v_cmp_gt_i32_e32 vcc_lo, s10, v4
	s_mul_i32 s15, s15, s0
	v_add_lshl_u32 v2, s15, v1, 1
	s_delay_alu instid0(VALU_DEP_1) | instskip(SKIP_3) | instid1(VALU_DEP_3)
	v_mad_u64_u32 v[0:1], null, v2, s9, v[4:5]
	v_sub_nc_u32_e32 v8, s8, v2
	v_mov_b32_e32 v2, 0
	v_mov_b32_e32 v3, 0xfff00000
	v_cmp_lt_i32_e64 s0, 0, v8
	v_ashrrev_i32_e32 v1, 31, v0
	s_delay_alu instid0(VALU_DEP_3) | instskip(NEXT) | instid1(VALU_DEP_3)
	v_dual_mov_b32 v5, v3 :: v_dual_mov_b32 v4, v2
	s_and_b32 s2, vcc_lo, s0
	s_delay_alu instid0(VALU_DEP_2) | instskip(NEXT) | instid1(VALU_DEP_1)
	v_lshlrev_b64 v[0:1], 3, v[0:1]
	v_add_co_u32 v6, s1, s6, v0
	s_delay_alu instid0(VALU_DEP_1)
	v_add_co_ci_u32_e64 v7, s1, s7, v1, s1
	s_and_saveexec_b32 s1, s2
	s_cbranch_execz .LBB1_2
; %bb.1:
	global_load_b64 v[4:5], v[6:7], off
.LBB1_2:
	s_or_b32 exec_lo, exec_lo, s1
	v_cmp_lt_i32_e64 s1, 1, v8
	s_delay_alu instid0(VALU_DEP_1) | instskip(NEXT) | instid1(SALU_CYCLE_1)
	s_and_b32 s1, vcc_lo, s1
	s_and_saveexec_b32 s2, s1
	s_cbranch_execz .LBB1_4
; %bb.3:
	s_mov_b32 s11, 0
	s_delay_alu instid0(SALU_CYCLE_1) | instskip(NEXT) | instid1(SALU_CYCLE_1)
	s_lshl_b64 s[6:7], s[10:11], 3
	v_add_co_u32 v2, s1, v6, s6
	s_delay_alu instid0(VALU_DEP_1)
	v_add_co_ci_u32_e64 v3, s1, s7, v7, s1
	global_load_b64 v[2:3], v[2:3], off
.LBB1_4:
	s_or_b32 exec_lo, exec_lo, s2
	s_and_saveexec_b32 s1, s0
	s_cbranch_execz .LBB1_10
; %bb.5:
	v_add_co_u32 v0, s0, s4, v0
	s_delay_alu instid0(VALU_DEP_1)
	v_add_co_ci_u32_e64 v1, s0, s5, v1, s0
	s_and_saveexec_b32 s8, vcc_lo
	s_cbranch_execz .LBB1_7
; %bb.6:
	s_waitcnt vmcnt(0)
	v_add_f64 v[4:5], v[4:5], -v[4:5]
	s_mov_b32 s0, 0x652b82fe
	s_mov_b32 s1, 0x3ff71547
	;; [unrolled: 1-line block ×12, first 2 shown]
	s_delay_alu instid0(VALU_DEP_1) | instskip(SKIP_2) | instid1(VALU_DEP_1)
	v_mul_f64 v[6:7], v[4:5], s[0:1]
	s_mov_b32 s0, 0xfca7ab0c
	s_mov_b32 s1, 0x3e928af3
	v_rndne_f64_e32 v[6:7], v[6:7]
	s_delay_alu instid0(VALU_DEP_1) | instskip(SKIP_2) | instid1(VALU_DEP_2)
	v_fma_f64 v[9:10], v[6:7], s[4:5], v[4:5]
	v_cvt_i32_f64_e32 v13, v[6:7]
	s_mov_b32 s5, 0x3fe62e42
	v_fma_f64 v[9:10], v[6:7], s[6:7], v[9:10]
	s_mov_b32 s7, 0x3c7abc9e
	s_delay_alu instid0(VALU_DEP_1)
	v_fma_f64 v[11:12], v[9:10], s[2:3], s[0:1]
	s_mov_b32 s0, 0x623fde64
	s_mov_b32 s1, 0x3ec71dee
	s_delay_alu instid0(VALU_DEP_1) | instid1(SALU_CYCLE_1)
	v_fma_f64 v[11:12], v[9:10], v[11:12], s[0:1]
	s_mov_b32 s0, 0x7c89e6b0
	s_mov_b32 s1, 0x3efa0199
	s_delay_alu instid0(VALU_DEP_1) | instid1(SALU_CYCLE_1)
	;; [unrolled: 4-line block ×8, first 2 shown]
	v_fma_f64 v[11:12], v[9:10], v[11:12], s[0:1]
	v_cmp_lt_f64_e64 s0, 0x40900000, v[4:5]
	v_cmp_ngt_f64_e64 s1, 0xc090cc00, v[4:5]
	s_delay_alu instid0(VALU_DEP_3) | instskip(NEXT) | instid1(VALU_DEP_1)
	v_fma_f64 v[11:12], v[9:10], v[11:12], 1.0
	v_fma_f64 v[6:7], v[9:10], v[11:12], 1.0
	s_delay_alu instid0(VALU_DEP_1) | instskip(SKIP_1) | instid1(VALU_DEP_2)
	v_ldexp_f64 v[6:7], v[6:7], v13
	v_mov_b32_e32 v13, 0
	v_add_f64 v[6:7], v[6:7], 0
	s_delay_alu instid0(VALU_DEP_1) | instskip(NEXT) | instid1(VALU_DEP_2)
	v_cndmask_b32_e64 v9, v6, 0, s0
	v_cndmask_b32_e64 v10, v7, 0x7ff00000, s0
	v_and_b32_e32 v7, 0x7fffffff, v7
	s_delay_alu instid0(VALU_DEP_3) | instskip(NEXT) | instid1(VALU_DEP_3)
	v_cndmask_b32_e64 v9, 0, v9, s1
	v_cndmask_b32_e64 v10, 0, v10, s1
	s_delay_alu instid0(VALU_DEP_1) | instskip(SKIP_1) | instid1(VALU_DEP_2)
	v_frexp_mant_f64_e32 v[11:12], v[9:10]
	v_frexp_exp_i32_f64_e32 v14, v[9:10]
	v_cmp_gt_f64_e64 s2, s[12:13], v[11:12]
	s_mov_b32 s12, 0x55555780
	s_delay_alu instid0(VALU_DEP_1) | instskip(SKIP_3) | instid1(VALU_DEP_1)
	v_subrev_co_ci_u32_e64 v25, s3, 0, v14, s2
	v_cndmask_b32_e64 v14, 0x3ff00000, 2.0, s2
	s_mov_b32 s2, 0x6b47b09a
	s_mov_b32 s3, 0x3fc38538
	v_mul_f64 v[11:12], v[11:12], v[13:14]
	s_delay_alu instid0(VALU_DEP_1) | instskip(SKIP_1) | instid1(VALU_DEP_2)
	v_add_f64 v[13:14], v[11:12], 1.0
	v_add_f64 v[19:20], v[11:12], -1.0
	v_rcp_f64_e32 v[15:16], v[13:14]
	v_add_f64 v[21:22], v[13:14], -1.0
	s_delay_alu instid0(VALU_DEP_1) | instskip(SKIP_2) | instid1(VALU_DEP_1)
	v_add_f64 v[11:12], v[11:12], -v[21:22]
	s_waitcnt_depctr 0xfff
	v_fma_f64 v[17:18], -v[13:14], v[15:16], 1.0
	v_fma_f64 v[15:16], v[17:18], v[15:16], v[15:16]
	s_delay_alu instid0(VALU_DEP_1) | instskip(NEXT) | instid1(VALU_DEP_1)
	v_fma_f64 v[17:18], -v[13:14], v[15:16], 1.0
	v_fma_f64 v[15:16], v[17:18], v[15:16], v[15:16]
	s_delay_alu instid0(VALU_DEP_1) | instskip(NEXT) | instid1(VALU_DEP_1)
	v_mul_f64 v[17:18], v[19:20], v[15:16]
	v_mul_f64 v[23:24], v[13:14], v[17:18]
	s_delay_alu instid0(VALU_DEP_1) | instskip(NEXT) | instid1(VALU_DEP_1)
	v_fma_f64 v[13:14], v[17:18], v[13:14], -v[23:24]
	v_fma_f64 v[11:12], v[17:18], v[11:12], v[13:14]
	s_delay_alu instid0(VALU_DEP_1) | instskip(NEXT) | instid1(VALU_DEP_1)
	v_add_f64 v[13:14], v[23:24], v[11:12]
	v_add_f64 v[21:22], v[19:20], -v[13:14]
	v_add_f64 v[23:24], v[13:14], -v[23:24]
	s_delay_alu instid0(VALU_DEP_2) | instskip(NEXT) | instid1(VALU_DEP_2)
	v_add_f64 v[19:20], v[19:20], -v[21:22]
	v_add_f64 v[11:12], v[23:24], -v[11:12]
	s_delay_alu instid0(VALU_DEP_2) | instskip(NEXT) | instid1(VALU_DEP_1)
	v_add_f64 v[13:14], v[19:20], -v[13:14]
	v_add_f64 v[11:12], v[11:12], v[13:14]
	s_delay_alu instid0(VALU_DEP_1) | instskip(NEXT) | instid1(VALU_DEP_1)
	v_add_f64 v[11:12], v[21:22], v[11:12]
	v_mul_f64 v[11:12], v[15:16], v[11:12]
	s_delay_alu instid0(VALU_DEP_1) | instskip(NEXT) | instid1(VALU_DEP_1)
	v_add_f64 v[13:14], v[17:18], v[11:12]
	v_mul_f64 v[15:16], v[13:14], v[13:14]
	s_delay_alu instid0(VALU_DEP_1) | instskip(SKIP_3) | instid1(VALU_DEP_2)
	v_fma_f64 v[19:20], v[15:16], s[14:15], s[2:3]
	s_mov_b32 s2, 0xd7f4df2e
	s_mov_b32 s3, 0x3fc7474d
	v_mul_f64 v[21:22], v[13:14], v[15:16]
	v_fma_f64 v[19:20], v[15:16], v[19:20], s[2:3]
	s_mov_b32 s2, 0x16291751
	s_mov_b32 s3, 0x3fcc71c0
	s_delay_alu instid0(VALU_DEP_1) | instid1(SALU_CYCLE_1)
	v_fma_f64 v[19:20], v[15:16], v[19:20], s[2:3]
	s_mov_b32 s2, 0x9b27acf1
	s_mov_b32 s3, 0x3fd24924
	s_delay_alu instid0(VALU_DEP_1) | instid1(SALU_CYCLE_1)
	;; [unrolled: 4-line block ×3, first 2 shown]
	v_fma_f64 v[19:20], v[15:16], v[19:20], s[2:3]
	v_cmp_eq_f64_e64 s2, 0x7ff00000, v[6:7]
	s_delay_alu instid0(VALU_DEP_2) | instskip(SKIP_2) | instid1(VALU_DEP_4)
	v_fma_f64 v[15:16], v[15:16], v[19:20], s[12:13]
	v_ldexp_f64 v[19:20], v[13:14], 1
	v_add_f64 v[13:14], v[13:14], -v[17:18]
	s_or_b32 s0, s0, s2
	s_delay_alu instid0(SALU_CYCLE_1) | instskip(NEXT) | instid1(VALU_DEP_3)
	s_and_b32 s0, s1, s0
	v_mul_f64 v[15:16], v[21:22], v[15:16]
	v_cvt_f64_i32_e32 v[21:22], v25
	s_delay_alu instid0(VALU_DEP_3) | instskip(NEXT) | instid1(VALU_DEP_3)
	v_add_f64 v[11:12], v[11:12], -v[13:14]
	v_add_f64 v[17:18], v[19:20], v[15:16]
	s_delay_alu instid0(VALU_DEP_3) | instskip(NEXT) | instid1(VALU_DEP_3)
	v_mul_f64 v[23:24], v[21:22], s[4:5]
	v_ldexp_f64 v[11:12], v[11:12], 1
	s_delay_alu instid0(VALU_DEP_3) | instskip(NEXT) | instid1(VALU_DEP_3)
	v_add_f64 v[13:14], v[17:18], -v[19:20]
	v_fma_f64 v[19:20], v[21:22], s[4:5], -v[23:24]
	s_delay_alu instid0(VALU_DEP_2) | instskip(NEXT) | instid1(VALU_DEP_2)
	v_add_f64 v[13:14], v[15:16], -v[13:14]
	v_fma_f64 v[15:16], v[21:22], s[6:7], v[19:20]
	s_delay_alu instid0(VALU_DEP_2) | instskip(NEXT) | instid1(VALU_DEP_2)
	v_add_f64 v[11:12], v[11:12], v[13:14]
	v_add_f64 v[13:14], v[23:24], v[15:16]
	s_delay_alu instid0(VALU_DEP_2) | instskip(NEXT) | instid1(VALU_DEP_2)
	v_add_f64 v[19:20], v[17:18], v[11:12]
	v_add_f64 v[23:24], v[13:14], -v[23:24]
	s_delay_alu instid0(VALU_DEP_2) | instskip(SKIP_1) | instid1(VALU_DEP_3)
	v_add_f64 v[21:22], v[13:14], v[19:20]
	v_add_f64 v[17:18], v[19:20], -v[17:18]
	v_add_f64 v[15:16], v[15:16], -v[23:24]
	s_delay_alu instid0(VALU_DEP_3) | instskip(NEXT) | instid1(VALU_DEP_3)
	v_add_f64 v[25:26], v[21:22], -v[13:14]
	v_add_f64 v[11:12], v[11:12], -v[17:18]
	s_delay_alu instid0(VALU_DEP_2) | instskip(SKIP_1) | instid1(VALU_DEP_3)
	v_add_f64 v[27:28], v[21:22], -v[25:26]
	v_add_f64 v[17:18], v[19:20], -v[25:26]
	v_add_f64 v[19:20], v[15:16], v[11:12]
	s_delay_alu instid0(VALU_DEP_3) | instskip(NEXT) | instid1(VALU_DEP_1)
	v_add_f64 v[13:14], v[13:14], -v[27:28]
	v_add_f64 v[13:14], v[17:18], v[13:14]
	s_delay_alu instid0(VALU_DEP_3) | instskip(NEXT) | instid1(VALU_DEP_2)
	v_add_f64 v[17:18], v[19:20], -v[15:16]
	v_add_f64 v[13:14], v[19:20], v[13:14]
	s_delay_alu instid0(VALU_DEP_2) | instskip(SKIP_1) | instid1(VALU_DEP_3)
	v_add_f64 v[19:20], v[19:20], -v[17:18]
	v_add_f64 v[11:12], v[11:12], -v[17:18]
	v_add_f64 v[23:24], v[21:22], v[13:14]
	s_delay_alu instid0(VALU_DEP_3) | instskip(NEXT) | instid1(VALU_DEP_2)
	v_add_f64 v[15:16], v[15:16], -v[19:20]
	v_add_f64 v[17:18], v[23:24], -v[21:22]
	s_delay_alu instid0(VALU_DEP_2) | instskip(NEXT) | instid1(VALU_DEP_2)
	v_add_f64 v[11:12], v[11:12], v[15:16]
	v_add_f64 v[13:14], v[13:14], -v[17:18]
	s_delay_alu instid0(VALU_DEP_1) | instskip(NEXT) | instid1(VALU_DEP_1)
	v_add_f64 v[11:12], v[11:12], v[13:14]
	v_add_f64 v[6:7], v[23:24], v[11:12]
	s_delay_alu instid0(VALU_DEP_1) | instskip(NEXT) | instid1(VALU_DEP_2)
	v_cndmask_b32_e64 v6, v6, v9, s0
	v_cndmask_b32_e64 v7, v7, v10, s0
	v_cmp_ngt_f64_e64 s0, 0, v[9:10]
	s_delay_alu instid0(VALU_DEP_1) | instskip(SKIP_1) | instid1(VALU_DEP_1)
	v_cndmask_b32_e64 v7, 0x7ff80000, v7, s0
	v_cmp_nge_f64_e64 s0, 0, v[9:10]
	v_cndmask_b32_e64 v6, 0, v6, s0
	v_cmp_neq_f64_e64 s0, 0, v[9:10]
	s_delay_alu instid0(VALU_DEP_1) | instskip(NEXT) | instid1(VALU_DEP_1)
	v_cndmask_b32_e64 v7, 0xfff00000, v7, s0
	v_add_f64 v[4:5], v[4:5], -v[6:7]
	global_store_b64 v[0:1], v[4:5], off
.LBB1_7:
	s_or_b32 exec_lo, exec_lo, s8
	v_cmp_ne_u32_e64 s0, 1, v8
	s_delay_alu instid0(VALU_DEP_1)
	s_and_b32 exec_lo, exec_lo, s0
	s_cbranch_execz .LBB1_10
; %bb.8:
	s_and_b32 exec_lo, exec_lo, vcc_lo
	s_cbranch_execz .LBB1_10
; %bb.9:
	s_waitcnt vmcnt(0)
	v_add_f64 v[2:3], v[2:3], -v[2:3]
	s_mov_b32 s0, 0x652b82fe
	s_mov_b32 s1, 0x3ff71547
	;; [unrolled: 1-line block ×13, first 2 shown]
	s_delay_alu instid0(VALU_DEP_1) | instskip(SKIP_3) | instid1(VALU_DEP_2)
	v_mul_f64 v[4:5], v[2:3], s[0:1]
	s_mov_b32 s0, 0xfca7ab0c
	s_mov_b32 s1, 0x3e928af3
	v_cmp_lt_f64_e32 vcc_lo, 0x40900000, v[2:3]
	v_rndne_f64_e32 v[4:5], v[4:5]
	s_delay_alu instid0(VALU_DEP_1) | instskip(SKIP_2) | instid1(VALU_DEP_2)
	v_fma_f64 v[6:7], v[4:5], s[4:5], v[2:3]
	v_cvt_i32_f64_e32 v10, v[4:5]
	s_mov_b32 s5, 0x3fe62e42
	v_fma_f64 v[6:7], v[4:5], s[6:7], v[6:7]
	s_mov_b32 s7, 0x3c7abc9e
	s_delay_alu instid0(VALU_DEP_1) | instskip(SKIP_4) | instid1(VALU_DEP_1)
	v_fma_f64 v[8:9], v[6:7], s[2:3], s[0:1]
	s_mov_b32 s0, 0x623fde64
	s_mov_b32 s1, 0x3ec71dee
	;; [unrolled: 1-line block ×4, first 2 shown]
	v_fma_f64 v[8:9], v[6:7], v[8:9], s[0:1]
	s_mov_b32 s0, 0x7c89e6b0
	s_mov_b32 s1, 0x3efa0199
	s_delay_alu instid0(VALU_DEP_1) | instid1(SALU_CYCLE_1)
	v_fma_f64 v[8:9], v[6:7], v[8:9], s[0:1]
	s_mov_b32 s0, 0x14761f6e
	s_mov_b32 s1, 0x3f2a01a0
	s_delay_alu instid0(VALU_DEP_1) | instid1(SALU_CYCLE_1)
	;; [unrolled: 4-line block ×7, first 2 shown]
	v_fma_f64 v[8:9], v[6:7], v[8:9], s[0:1]
	v_cmp_ngt_f64_e64 s0, 0xc090cc00, v[2:3]
	s_delay_alu instid0(VALU_DEP_2) | instskip(NEXT) | instid1(VALU_DEP_1)
	v_fma_f64 v[8:9], v[6:7], v[8:9], 1.0
	v_fma_f64 v[4:5], v[6:7], v[8:9], 1.0
	s_delay_alu instid0(VALU_DEP_1) | instskip(NEXT) | instid1(VALU_DEP_1)
	v_ldexp_f64 v[4:5], v[4:5], v10
	v_add_f64 v[4:5], v[4:5], 0
	v_mov_b32_e32 v10, 0
	s_delay_alu instid0(VALU_DEP_2) | instskip(NEXT) | instid1(VALU_DEP_3)
	v_cndmask_b32_e64 v6, v4, 0, vcc_lo
	v_cndmask_b32_e64 v7, v5, 0x7ff00000, vcc_lo
	v_and_b32_e32 v5, 0x7fffffff, v5
	s_delay_alu instid0(VALU_DEP_3) | instskip(NEXT) | instid1(VALU_DEP_3)
	v_cndmask_b32_e64 v6, 0, v6, s0
	v_cndmask_b32_e64 v7, 0, v7, s0
	s_delay_alu instid0(VALU_DEP_1) | instskip(SKIP_1) | instid1(VALU_DEP_2)
	v_frexp_mant_f64_e32 v[8:9], v[6:7]
	v_frexp_exp_i32_f64_e32 v11, v[6:7]
	v_cmp_gt_f64_e64 s1, s[2:3], v[8:9]
	s_delay_alu instid0(VALU_DEP_1) | instskip(SKIP_3) | instid1(VALU_DEP_2)
	v_subrev_co_ci_u32_e64 v22, s2, 0, v11, s1
	v_cndmask_b32_e64 v11, 0x3ff00000, 2.0, s1
	s_mov_b32 s2, 0x55555780
	v_cmp_eq_f64_e64 s1, 0x7ff00000, v[4:5]
	v_mul_f64 v[8:9], v[8:9], v[10:11]
	s_delay_alu instid0(VALU_DEP_2) | instskip(NEXT) | instid1(SALU_CYCLE_1)
	s_or_b32 s1, vcc_lo, s1
	s_and_b32 vcc_lo, s0, s1
	s_delay_alu instid0(VALU_DEP_1) | instskip(SKIP_2) | instid1(VALU_DEP_2)
	v_add_f64 v[10:11], v[8:9], 1.0
	v_add_f64 v[16:17], v[8:9], -1.0
	s_lshl_b64 s[0:1], s[10:11], 3
	v_rcp_f64_e32 v[12:13], v[10:11]
	v_add_f64 v[18:19], v[10:11], -1.0
	s_delay_alu instid0(VALU_DEP_1) | instskip(SKIP_2) | instid1(VALU_DEP_1)
	v_add_f64 v[8:9], v[8:9], -v[18:19]
	s_waitcnt_depctr 0xfff
	v_fma_f64 v[14:15], -v[10:11], v[12:13], 1.0
	v_fma_f64 v[12:13], v[14:15], v[12:13], v[12:13]
	s_delay_alu instid0(VALU_DEP_1) | instskip(NEXT) | instid1(VALU_DEP_1)
	v_fma_f64 v[14:15], -v[10:11], v[12:13], 1.0
	v_fma_f64 v[12:13], v[14:15], v[12:13], v[12:13]
	s_delay_alu instid0(VALU_DEP_1) | instskip(NEXT) | instid1(VALU_DEP_1)
	v_mul_f64 v[14:15], v[16:17], v[12:13]
	v_mul_f64 v[20:21], v[10:11], v[14:15]
	s_delay_alu instid0(VALU_DEP_1) | instskip(NEXT) | instid1(VALU_DEP_1)
	v_fma_f64 v[10:11], v[14:15], v[10:11], -v[20:21]
	v_fma_f64 v[8:9], v[14:15], v[8:9], v[10:11]
	s_delay_alu instid0(VALU_DEP_1) | instskip(NEXT) | instid1(VALU_DEP_1)
	v_add_f64 v[10:11], v[20:21], v[8:9]
	v_add_f64 v[18:19], v[16:17], -v[10:11]
	v_add_f64 v[20:21], v[10:11], -v[20:21]
	s_delay_alu instid0(VALU_DEP_2) | instskip(NEXT) | instid1(VALU_DEP_2)
	v_add_f64 v[16:17], v[16:17], -v[18:19]
	v_add_f64 v[8:9], v[20:21], -v[8:9]
	s_delay_alu instid0(VALU_DEP_2) | instskip(NEXT) | instid1(VALU_DEP_1)
	v_add_f64 v[10:11], v[16:17], -v[10:11]
	v_add_f64 v[8:9], v[8:9], v[10:11]
	s_delay_alu instid0(VALU_DEP_1) | instskip(NEXT) | instid1(VALU_DEP_1)
	v_add_f64 v[8:9], v[18:19], v[8:9]
	v_mul_f64 v[8:9], v[12:13], v[8:9]
	s_delay_alu instid0(VALU_DEP_1) | instskip(NEXT) | instid1(VALU_DEP_1)
	v_add_f64 v[10:11], v[14:15], v[8:9]
	v_mul_f64 v[12:13], v[10:11], v[10:11]
	s_delay_alu instid0(VALU_DEP_1) | instskip(SKIP_3) | instid1(VALU_DEP_2)
	v_fma_f64 v[16:17], v[12:13], s[12:13], s[8:9]
	s_mov_b32 s8, 0xd7f4df2e
	s_mov_b32 s9, 0x3fc7474d
	v_mul_f64 v[18:19], v[10:11], v[12:13]
	v_fma_f64 v[16:17], v[12:13], v[16:17], s[8:9]
	s_mov_b32 s8, 0x16291751
	s_mov_b32 s9, 0x3fcc71c0
	s_delay_alu instid0(VALU_DEP_1) | instid1(SALU_CYCLE_1)
	v_fma_f64 v[16:17], v[12:13], v[16:17], s[8:9]
	s_mov_b32 s8, 0x9b27acf1
	s_mov_b32 s9, 0x3fd24924
	s_delay_alu instid0(VALU_DEP_1) | instid1(SALU_CYCLE_1)
	;; [unrolled: 4-line block ×3, first 2 shown]
	v_fma_f64 v[16:17], v[12:13], v[16:17], s[8:9]
	s_delay_alu instid0(VALU_DEP_1) | instskip(SKIP_2) | instid1(VALU_DEP_3)
	v_fma_f64 v[12:13], v[12:13], v[16:17], s[2:3]
	v_ldexp_f64 v[16:17], v[10:11], 1
	v_add_f64 v[10:11], v[10:11], -v[14:15]
	v_mul_f64 v[12:13], v[18:19], v[12:13]
	v_cvt_f64_i32_e32 v[18:19], v22
	s_delay_alu instid0(VALU_DEP_3) | instskip(NEXT) | instid1(VALU_DEP_3)
	v_add_f64 v[8:9], v[8:9], -v[10:11]
	v_add_f64 v[14:15], v[16:17], v[12:13]
	s_delay_alu instid0(VALU_DEP_3) | instskip(NEXT) | instid1(VALU_DEP_3)
	v_mul_f64 v[20:21], v[18:19], s[4:5]
	v_ldexp_f64 v[8:9], v[8:9], 1
	s_delay_alu instid0(VALU_DEP_3) | instskip(NEXT) | instid1(VALU_DEP_3)
	v_add_f64 v[10:11], v[14:15], -v[16:17]
	v_fma_f64 v[16:17], v[18:19], s[4:5], -v[20:21]
	s_delay_alu instid0(VALU_DEP_2) | instskip(NEXT) | instid1(VALU_DEP_2)
	v_add_f64 v[10:11], v[12:13], -v[10:11]
	v_fma_f64 v[12:13], v[18:19], s[6:7], v[16:17]
	s_delay_alu instid0(VALU_DEP_2) | instskip(NEXT) | instid1(VALU_DEP_2)
	v_add_f64 v[8:9], v[8:9], v[10:11]
	v_add_f64 v[10:11], v[20:21], v[12:13]
	s_delay_alu instid0(VALU_DEP_2) | instskip(NEXT) | instid1(VALU_DEP_2)
	v_add_f64 v[16:17], v[14:15], v[8:9]
	v_add_f64 v[20:21], v[10:11], -v[20:21]
	s_delay_alu instid0(VALU_DEP_2) | instskip(SKIP_1) | instid1(VALU_DEP_3)
	v_add_f64 v[18:19], v[10:11], v[16:17]
	v_add_f64 v[14:15], v[16:17], -v[14:15]
	v_add_f64 v[12:13], v[12:13], -v[20:21]
	s_delay_alu instid0(VALU_DEP_3) | instskip(NEXT) | instid1(VALU_DEP_3)
	v_add_f64 v[22:23], v[18:19], -v[10:11]
	v_add_f64 v[8:9], v[8:9], -v[14:15]
	s_delay_alu instid0(VALU_DEP_2) | instskip(SKIP_1) | instid1(VALU_DEP_3)
	v_add_f64 v[24:25], v[18:19], -v[22:23]
	v_add_f64 v[14:15], v[16:17], -v[22:23]
	v_add_f64 v[16:17], v[12:13], v[8:9]
	s_delay_alu instid0(VALU_DEP_3) | instskip(NEXT) | instid1(VALU_DEP_1)
	v_add_f64 v[10:11], v[10:11], -v[24:25]
	v_add_f64 v[10:11], v[14:15], v[10:11]
	s_delay_alu instid0(VALU_DEP_3) | instskip(NEXT) | instid1(VALU_DEP_2)
	v_add_f64 v[14:15], v[16:17], -v[12:13]
	v_add_f64 v[10:11], v[16:17], v[10:11]
	s_delay_alu instid0(VALU_DEP_2) | instskip(SKIP_1) | instid1(VALU_DEP_3)
	v_add_f64 v[16:17], v[16:17], -v[14:15]
	v_add_f64 v[8:9], v[8:9], -v[14:15]
	v_add_f64 v[20:21], v[18:19], v[10:11]
	s_delay_alu instid0(VALU_DEP_3) | instskip(NEXT) | instid1(VALU_DEP_2)
	v_add_f64 v[12:13], v[12:13], -v[16:17]
	v_add_f64 v[14:15], v[20:21], -v[18:19]
	s_delay_alu instid0(VALU_DEP_2) | instskip(NEXT) | instid1(VALU_DEP_2)
	v_add_f64 v[8:9], v[8:9], v[12:13]
	v_add_f64 v[10:11], v[10:11], -v[14:15]
	s_delay_alu instid0(VALU_DEP_1) | instskip(NEXT) | instid1(VALU_DEP_1)
	v_add_f64 v[8:9], v[8:9], v[10:11]
	v_add_f64 v[4:5], v[20:21], v[8:9]
	s_delay_alu instid0(VALU_DEP_1) | instskip(SKIP_1) | instid1(VALU_DEP_2)
	v_dual_cndmask_b32 v4, v4, v6 :: v_dual_cndmask_b32 v5, v5, v7
	v_cmp_ngt_f64_e32 vcc_lo, 0, v[6:7]
	v_cndmask_b32_e32 v5, 0x7ff80000, v5, vcc_lo
	v_cmp_nge_f64_e32 vcc_lo, 0, v[6:7]
	s_delay_alu instid0(VALU_DEP_4) | instskip(SKIP_1) | instid1(VALU_DEP_4)
	v_cndmask_b32_e32 v4, 0, v4, vcc_lo
	v_cmp_neq_f64_e32 vcc_lo, 0, v[6:7]
	v_cndmask_b32_e32 v5, 0xfff00000, v5, vcc_lo
	v_add_co_u32 v0, vcc_lo, v0, s0
	v_add_co_ci_u32_e32 v1, vcc_lo, s1, v1, vcc_lo
	s_delay_alu instid0(VALU_DEP_3)
	v_add_f64 v[2:3], v[2:3], -v[4:5]
	global_store_b64 v[0:1], v[2:3], off
.LBB1_10:
	s_nop 0
	s_sendmsg sendmsg(MSG_DEALLOC_VGPRS)
	s_endpgm
	.section	.rodata,"a",@progbits
	.p2align	6, 0x0
	.amdhsa_kernel _ZN12_GLOBAL__N_120softmax_warp_forwardIdddLi0ELb1ELb0ELi32EEEvPT0_PKT_iiiPKbib
		.amdhsa_group_segment_fixed_size 0
		.amdhsa_private_segment_fixed_size 0
		.amdhsa_kernarg_size 304
		.amdhsa_user_sgpr_count 15
		.amdhsa_user_sgpr_dispatch_ptr 0
		.amdhsa_user_sgpr_queue_ptr 0
		.amdhsa_user_sgpr_kernarg_segment_ptr 1
		.amdhsa_user_sgpr_dispatch_id 0
		.amdhsa_user_sgpr_private_segment_size 0
		.amdhsa_wavefront_size32 1
		.amdhsa_uses_dynamic_stack 0
		.amdhsa_enable_private_segment 0
		.amdhsa_system_sgpr_workgroup_id_x 1
		.amdhsa_system_sgpr_workgroup_id_y 0
		.amdhsa_system_sgpr_workgroup_id_z 0
		.amdhsa_system_sgpr_workgroup_info 0
		.amdhsa_system_vgpr_workitem_id 1
		.amdhsa_next_free_vgpr 29
		.amdhsa_next_free_sgpr 16
		.amdhsa_reserve_vcc 1
		.amdhsa_float_round_mode_32 0
		.amdhsa_float_round_mode_16_64 0
		.amdhsa_float_denorm_mode_32 3
		.amdhsa_float_denorm_mode_16_64 3
		.amdhsa_dx10_clamp 1
		.amdhsa_ieee_mode 1
		.amdhsa_fp16_overflow 0
		.amdhsa_workgroup_processor_mode 1
		.amdhsa_memory_ordered 1
		.amdhsa_forward_progress 0
		.amdhsa_shared_vgpr_count 0
		.amdhsa_exception_fp_ieee_invalid_op 0
		.amdhsa_exception_fp_denorm_src 0
		.amdhsa_exception_fp_ieee_div_zero 0
		.amdhsa_exception_fp_ieee_overflow 0
		.amdhsa_exception_fp_ieee_underflow 0
		.amdhsa_exception_fp_ieee_inexact 0
		.amdhsa_exception_int_div_zero 0
	.end_amdhsa_kernel
	.section	.text._ZN12_GLOBAL__N_120softmax_warp_forwardIdddLi0ELb1ELb0ELi32EEEvPT0_PKT_iiiPKbib,"axG",@progbits,_ZN12_GLOBAL__N_120softmax_warp_forwardIdddLi0ELb1ELb0ELi32EEEvPT0_PKT_iiiPKbib,comdat
.Lfunc_end1:
	.size	_ZN12_GLOBAL__N_120softmax_warp_forwardIdddLi0ELb1ELb0ELi32EEEvPT0_PKT_iiiPKbib, .Lfunc_end1-_ZN12_GLOBAL__N_120softmax_warp_forwardIdddLi0ELb1ELb0ELi32EEEvPT0_PKT_iiiPKbib
                                        ; -- End function
	.section	.AMDGPU.csdata,"",@progbits
; Kernel info:
; codeLenInByte = 3212
; NumSgprs: 18
; NumVgprs: 29
; ScratchSize: 0
; MemoryBound: 0
; FloatMode: 240
; IeeeMode: 1
; LDSByteSize: 0 bytes/workgroup (compile time only)
; SGPRBlocks: 2
; VGPRBlocks: 3
; NumSGPRsForWavesPerEU: 18
; NumVGPRsForWavesPerEU: 29
; Occupancy: 16
; WaveLimiterHint : 0
; COMPUTE_PGM_RSRC2:SCRATCH_EN: 0
; COMPUTE_PGM_RSRC2:USER_SGPR: 15
; COMPUTE_PGM_RSRC2:TRAP_HANDLER: 0
; COMPUTE_PGM_RSRC2:TGID_X_EN: 1
; COMPUTE_PGM_RSRC2:TGID_Y_EN: 0
; COMPUTE_PGM_RSRC2:TGID_Z_EN: 0
; COMPUTE_PGM_RSRC2:TIDIG_COMP_CNT: 1
	.section	.text._ZN12_GLOBAL__N_120softmax_warp_forwardIdddLi1ELb1ELb0ELi64EEEvPT0_PKT_iiiPKbib,"axG",@progbits,_ZN12_GLOBAL__N_120softmax_warp_forwardIdddLi1ELb1ELb0ELi64EEEvPT0_PKT_iiiPKbib,comdat
	.globl	_ZN12_GLOBAL__N_120softmax_warp_forwardIdddLi1ELb1ELb0ELi64EEEvPT0_PKT_iiiPKbib ; -- Begin function _ZN12_GLOBAL__N_120softmax_warp_forwardIdddLi1ELb1ELb0ELi64EEEvPT0_PKT_iiiPKbib
	.p2align	8
	.type	_ZN12_GLOBAL__N_120softmax_warp_forwardIdddLi1ELb1ELb0ELi64EEEvPT0_PKT_iiiPKbib,@function
_ZN12_GLOBAL__N_120softmax_warp_forwardIdddLi1ELb1ELb0ELi64EEEvPT0_PKT_iiiPKbib: ; @_ZN12_GLOBAL__N_120softmax_warp_forwardIdddLi1ELb1ELb0ELi64EEEvPT0_PKT_iiiPKbib
; %bb.0:
	s_clause 0x1
	s_load_b32 s2, s[0:1], 0x3c
	s_load_b256 s[16:23], s[0:1], 0x0
	v_bfe_u32 v1, v0, 10, 10
	v_and_b32_e32 v4, 0x3ff, v0
	s_waitcnt lgkmcnt(0)
	s_lshr_b32 s0, s2, 16
	s_delay_alu instid0(VALU_DEP_1) | instskip(SKIP_1) | instid1(SALU_CYCLE_1)
	v_cmp_gt_i32_e32 vcc_lo, s22, v4
	s_mul_i32 s15, s15, s0
	v_add_lshl_u32 v2, s15, v1, 1
	s_delay_alu instid0(VALU_DEP_1) | instskip(SKIP_1) | instid1(VALU_DEP_1)
	v_mad_u64_u32 v[0:1], null, v2, s21, v[4:5]
	v_sub_nc_u32_e32 v14, s20, v2
	v_cmp_lt_i32_e64 s0, 0, v14
	s_delay_alu instid0(VALU_DEP_3) | instskip(NEXT) | instid1(VALU_DEP_2)
	v_ashrrev_i32_e32 v1, 31, v0
	s_and_b32 s2, vcc_lo, s0
	s_delay_alu instid0(VALU_DEP_1) | instskip(SKIP_2) | instid1(VALU_DEP_3)
	v_lshlrev_b64 v[2:3], 3, v[0:1]
	v_mov_b32_e32 v0, 0
	v_mov_b32_e32 v1, 0xfff00000
	v_add_co_u32 v6, s1, s18, v2
	s_delay_alu instid0(VALU_DEP_1) | instskip(NEXT) | instid1(VALU_DEP_3)
	v_add_co_ci_u32_e64 v7, s1, s19, v3, s1
	v_dual_mov_b32 v5, v1 :: v_dual_mov_b32 v4, v0
	s_and_saveexec_b32 s1, s2
	s_cbranch_execz .LBB2_2
; %bb.1:
	global_load_b64 v[4:5], v[6:7], off
.LBB2_2:
	s_or_b32 exec_lo, exec_lo, s1
	v_cmp_lt_i32_e64 s1, 1, v14
	s_delay_alu instid0(VALU_DEP_1) | instskip(NEXT) | instid1(SALU_CYCLE_1)
	s_and_b32 s1, vcc_lo, s1
	s_and_saveexec_b32 s2, s1
	s_cbranch_execz .LBB2_4
; %bb.3:
	s_mov_b32 s23, 0
	s_delay_alu instid0(SALU_CYCLE_1) | instskip(NEXT) | instid1(SALU_CYCLE_1)
	s_lshl_b64 s[4:5], s[22:23], 3
	v_add_co_u32 v0, s1, v6, s4
	s_delay_alu instid0(VALU_DEP_1)
	v_add_co_ci_u32_e64 v1, s1, s5, v7, s1
	global_load_b64 v[0:1], v[0:1], off
.LBB2_4:
	s_or_b32 exec_lo, exec_lo, s2
	v_mbcnt_lo_u32_b32 v6, -1, 0
	s_mov_b32 s4, 0x6a5dcb37
	s_mov_b32 s5, 0x3e5ade15
	s_delay_alu instid0(VALU_DEP_1) | instskip(SKIP_1) | instid1(VALU_DEP_2)
	v_and_b32_e32 v7, 30, v6
	v_xor_b32_e32 v8, 1, v6
	v_add_nc_u32_e32 v7, 2, v7
	s_delay_alu instid0(VALU_DEP_1) | instskip(NEXT) | instid1(VALU_DEP_1)
	v_cmp_lt_i32_e64 s1, v8, v7
	v_cndmask_b32_e64 v6, v6, v8, s1
	s_delay_alu instid0(VALU_DEP_1)
	v_lshlrev_b32_e32 v19, 2, v6
	s_waitcnt vmcnt(0)
	ds_bpermute_b32 v6, v19, v4
	ds_bpermute_b32 v7, v19, v5
	;; [unrolled: 1-line block ×4, first 2 shown]
	s_waitcnt lgkmcnt(2)
	v_cmp_lt_f64_e64 s1, v[4:5], v[6:7]
	s_waitcnt lgkmcnt(0)
	v_cmp_lt_f64_e64 s2, v[0:1], v[8:9]
	s_delay_alu instid0(VALU_DEP_2) | instskip(SKIP_1) | instid1(VALU_DEP_3)
	v_cndmask_b32_e64 v7, v5, v7, s1
	v_cndmask_b32_e64 v6, v4, v6, s1
	;; [unrolled: 1-line block ×4, first 2 shown]
	s_mov_b32 s2, 0x652b82fe
	s_mov_b32 s3, 0x3ff71547
	v_add_f64 v[4:5], v[4:5], -v[6:7]
	s_delay_alu instid0(VALU_DEP_2) | instskip(NEXT) | instid1(VALU_DEP_2)
	v_add_f64 v[0:1], v[0:1], -v[8:9]
	v_mul_f64 v[6:7], v[4:5], s[2:3]
	v_cmp_nlt_f64_e64 s1, 0x40900000, v[4:5]
	s_delay_alu instid0(VALU_DEP_3) | instskip(SKIP_2) | instid1(VALU_DEP_3)
	v_mul_f64 v[8:9], v[0:1], s[2:3]
	s_mov_b32 s2, 0xfefa39ef
	s_mov_b32 s3, 0xbfe62e42
	v_rndne_f64_e32 v[6:7], v[6:7]
	s_delay_alu instid0(VALU_DEP_2) | instskip(NEXT) | instid1(VALU_DEP_2)
	v_rndne_f64_e32 v[8:9], v[8:9]
	v_fma_f64 v[10:11], v[6:7], s[2:3], v[4:5]
	v_cvt_i32_f64_e32 v20, v[6:7]
	s_delay_alu instid0(VALU_DEP_3)
	v_fma_f64 v[12:13], v[8:9], s[2:3], v[0:1]
	s_mov_b32 s2, 0x3b39803f
	s_mov_b32 s3, 0xbc7abc9e
	s_delay_alu instid0(VALU_DEP_3) | instid1(SALU_CYCLE_1)
	v_fma_f64 v[10:11], v[6:7], s[2:3], v[10:11]
	s_delay_alu instid0(VALU_DEP_2)
	v_fma_f64 v[12:13], v[8:9], s[2:3], v[12:13]
	s_mov_b32 s2, 0xfca7ab0c
	s_mov_b32 s3, 0x3e928af3
	s_delay_alu instid0(VALU_DEP_2) | instid1(SALU_CYCLE_1)
	v_fma_f64 v[15:16], v[10:11], s[4:5], s[2:3]
	s_delay_alu instid0(VALU_DEP_2) | instskip(SKIP_3) | instid1(VALU_DEP_3)
	v_fma_f64 v[17:18], v[12:13], s[4:5], s[2:3]
	s_mov_b32 s2, 0x623fde64
	s_mov_b32 s3, 0x3ec71dee
	v_cmp_ngt_f64_e64 s4, 0xc090cc00, v[0:1]
	v_fma_f64 v[15:16], v[10:11], v[15:16], s[2:3]
	s_delay_alu instid0(VALU_DEP_3)
	v_fma_f64 v[17:18], v[12:13], v[17:18], s[2:3]
	s_mov_b32 s2, 0x7c89e6b0
	s_mov_b32 s3, 0x3efa0199
	s_delay_alu instid0(VALU_DEP_2) | instid1(SALU_CYCLE_1)
	v_fma_f64 v[15:16], v[10:11], v[15:16], s[2:3]
	s_delay_alu instid0(VALU_DEP_2)
	v_fma_f64 v[17:18], v[12:13], v[17:18], s[2:3]
	s_mov_b32 s2, 0x14761f6e
	s_mov_b32 s3, 0x3f2a01a0
	s_delay_alu instid0(VALU_DEP_2) | instid1(SALU_CYCLE_1)
	v_fma_f64 v[15:16], v[10:11], v[15:16], s[2:3]
	s_delay_alu instid0(VALU_DEP_2)
	;; [unrolled: 6-line block ×6, first 2 shown]
	v_fma_f64 v[17:18], v[12:13], v[17:18], s[2:3]
	s_mov_b32 s2, 11
	s_mov_b32 s3, 0x3fe00000
	s_delay_alu instid0(VALU_DEP_2) | instid1(SALU_CYCLE_1)
	v_fma_f64 v[15:16], v[10:11], v[15:16], s[2:3]
	s_delay_alu instid0(VALU_DEP_2) | instskip(SKIP_2) | instid1(VALU_DEP_4)
	v_fma_f64 v[17:18], v[12:13], v[17:18], s[2:3]
	v_cmp_nlt_f64_e64 s3, 0x40900000, v[0:1]
	v_cmp_ngt_f64_e64 s2, 0xc090cc00, v[4:5]
	v_fma_f64 v[15:16], v[10:11], v[15:16], 1.0
	s_delay_alu instid0(VALU_DEP_4) | instskip(NEXT) | instid1(VALU_DEP_2)
	v_fma_f64 v[17:18], v[12:13], v[17:18], 1.0
	v_fma_f64 v[6:7], v[10:11], v[15:16], 1.0
	v_cvt_i32_f64_e32 v10, v[8:9]
	s_delay_alu instid0(VALU_DEP_3) | instskip(NEXT) | instid1(VALU_DEP_3)
	v_fma_f64 v[8:9], v[12:13], v[17:18], 1.0
	v_ldexp_f64 v[6:7], v[6:7], v20
	s_delay_alu instid0(VALU_DEP_2) | instskip(NEXT) | instid1(VALU_DEP_2)
	v_ldexp_f64 v[8:9], v[8:9], v10
	v_add_f64 v[6:7], v[6:7], 0
	s_delay_alu instid0(VALU_DEP_2) | instskip(NEXT) | instid1(VALU_DEP_2)
	v_add_f64 v[8:9], v[8:9], 0
	v_cndmask_b32_e64 v7, 0x7ff00000, v7, s1
	s_and_b32 s1, s2, s1
	s_delay_alu instid0(VALU_DEP_2) | instskip(NEXT) | instid1(VALU_DEP_4)
	v_cndmask_b32_e64 v9, 0x7ff00000, v9, s3
	v_cndmask_b32_e64 v10, 0, v6, s1
	s_and_b32 s1, s4, s3
	v_cndmask_b32_e64 v11, 0, v7, s2
	v_cndmask_b32_e64 v6, 0, v8, s1
	;; [unrolled: 1-line block ×3, first 2 shown]
	ds_bpermute_b32 v12, v19, v10
	ds_bpermute_b32 v13, v19, v11
	;; [unrolled: 1-line block ×4, first 2 shown]
	s_and_saveexec_b32 s1, s0
	s_cbranch_execz .LBB2_10
; %bb.5:
	v_add_co_u32 v2, s0, s16, v2
	s_delay_alu instid0(VALU_DEP_1)
	v_add_co_ci_u32_e64 v3, s0, s17, v3, s0
	s_and_saveexec_b32 s2, vcc_lo
	s_cbranch_execz .LBB2_7
; %bb.6:
	s_waitcnt lgkmcnt(2)
	v_add_f64 v[10:11], v[10:11], v[12:13]
	s_mov_b32 s5, 0x3fe55555
	s_mov_b32 s4, 0x55555555
	v_mov_b32_e32 v15, 0
	s_mov_b32 s6, 0xbf559e2b
	s_mov_b32 s7, 0x3fc3ab76
	s_delay_alu instid0(VALU_DEP_2) | instskip(SKIP_1) | instid1(VALU_DEP_2)
	v_frexp_mant_f64_e32 v[12:13], v[10:11]
	v_frexp_exp_i32_f64_e32 v16, v[10:11]
	v_cmp_gt_f64_e64 s0, s[4:5], v[12:13]
	s_mov_b32 s4, 0x55555780
	s_delay_alu instid0(VALU_DEP_1) | instskip(SKIP_3) | instid1(VALU_DEP_1)
	v_subrev_co_ci_u32_e64 v27, s1, 0, v16, s0
	v_cndmask_b32_e64 v16, 0x3ff00000, 2.0, s0
	s_mov_b32 s0, 0x6b47b09a
	s_mov_b32 s1, 0x3fc38538
	v_mul_f64 v[12:13], v[12:13], v[15:16]
	s_delay_alu instid0(VALU_DEP_1) | instskip(SKIP_1) | instid1(VALU_DEP_2)
	v_add_f64 v[15:16], v[12:13], 1.0
	v_add_f64 v[21:22], v[12:13], -1.0
	v_rcp_f64_e32 v[17:18], v[15:16]
	v_add_f64 v[23:24], v[15:16], -1.0
	s_delay_alu instid0(VALU_DEP_1) | instskip(SKIP_2) | instid1(VALU_DEP_1)
	v_add_f64 v[12:13], v[12:13], -v[23:24]
	s_waitcnt_depctr 0xfff
	v_fma_f64 v[19:20], -v[15:16], v[17:18], 1.0
	v_fma_f64 v[17:18], v[19:20], v[17:18], v[17:18]
	s_delay_alu instid0(VALU_DEP_1) | instskip(NEXT) | instid1(VALU_DEP_1)
	v_fma_f64 v[19:20], -v[15:16], v[17:18], 1.0
	v_fma_f64 v[17:18], v[19:20], v[17:18], v[17:18]
	s_delay_alu instid0(VALU_DEP_1) | instskip(NEXT) | instid1(VALU_DEP_1)
	v_mul_f64 v[19:20], v[21:22], v[17:18]
	v_mul_f64 v[25:26], v[15:16], v[19:20]
	s_delay_alu instid0(VALU_DEP_1) | instskip(NEXT) | instid1(VALU_DEP_1)
	v_fma_f64 v[15:16], v[19:20], v[15:16], -v[25:26]
	v_fma_f64 v[12:13], v[19:20], v[12:13], v[15:16]
	s_delay_alu instid0(VALU_DEP_1) | instskip(NEXT) | instid1(VALU_DEP_1)
	v_add_f64 v[15:16], v[25:26], v[12:13]
	v_add_f64 v[23:24], v[21:22], -v[15:16]
	v_add_f64 v[25:26], v[15:16], -v[25:26]
	s_delay_alu instid0(VALU_DEP_2) | instskip(NEXT) | instid1(VALU_DEP_2)
	v_add_f64 v[21:22], v[21:22], -v[23:24]
	v_add_f64 v[12:13], v[25:26], -v[12:13]
	s_delay_alu instid0(VALU_DEP_2) | instskip(NEXT) | instid1(VALU_DEP_1)
	v_add_f64 v[15:16], v[21:22], -v[15:16]
	v_add_f64 v[12:13], v[12:13], v[15:16]
	s_delay_alu instid0(VALU_DEP_1) | instskip(NEXT) | instid1(VALU_DEP_1)
	v_add_f64 v[12:13], v[23:24], v[12:13]
	v_mul_f64 v[12:13], v[17:18], v[12:13]
	s_delay_alu instid0(VALU_DEP_1) | instskip(NEXT) | instid1(VALU_DEP_1)
	v_add_f64 v[15:16], v[19:20], v[12:13]
	v_mul_f64 v[17:18], v[15:16], v[15:16]
	s_delay_alu instid0(VALU_DEP_1) | instskip(SKIP_3) | instid1(VALU_DEP_2)
	v_fma_f64 v[21:22], v[17:18], s[6:7], s[0:1]
	s_mov_b32 s0, 0xd7f4df2e
	s_mov_b32 s1, 0x3fc7474d
	v_mul_f64 v[23:24], v[15:16], v[17:18]
	v_fma_f64 v[21:22], v[17:18], v[21:22], s[0:1]
	s_mov_b32 s0, 0x16291751
	s_mov_b32 s1, 0x3fcc71c0
	s_delay_alu instid0(VALU_DEP_1) | instid1(SALU_CYCLE_1)
	v_fma_f64 v[21:22], v[17:18], v[21:22], s[0:1]
	s_mov_b32 s0, 0x9b27acf1
	s_mov_b32 s1, 0x3fd24924
	s_delay_alu instid0(VALU_DEP_1) | instid1(SALU_CYCLE_1)
	;; [unrolled: 4-line block ×3, first 2 shown]
	v_fma_f64 v[21:22], v[17:18], v[21:22], s[0:1]
	s_mov_b32 s0, 0xfefa39ef
	s_mov_b32 s1, 0x3fe62e42
	s_delay_alu instid0(VALU_DEP_1) | instskip(SKIP_2) | instid1(VALU_DEP_3)
	v_fma_f64 v[17:18], v[17:18], v[21:22], s[4:5]
	v_ldexp_f64 v[21:22], v[15:16], 1
	v_add_f64 v[15:16], v[15:16], -v[19:20]
	v_mul_f64 v[17:18], v[23:24], v[17:18]
	v_cvt_f64_i32_e32 v[23:24], v27
	s_delay_alu instid0(VALU_DEP_3) | instskip(NEXT) | instid1(VALU_DEP_3)
	v_add_f64 v[12:13], v[12:13], -v[15:16]
	v_add_f64 v[19:20], v[21:22], v[17:18]
	s_delay_alu instid0(VALU_DEP_3) | instskip(NEXT) | instid1(VALU_DEP_3)
	v_mul_f64 v[25:26], v[23:24], s[0:1]
	v_ldexp_f64 v[12:13], v[12:13], 1
	s_delay_alu instid0(VALU_DEP_3) | instskip(NEXT) | instid1(VALU_DEP_3)
	v_add_f64 v[15:16], v[19:20], -v[21:22]
	v_fma_f64 v[21:22], v[23:24], s[0:1], -v[25:26]
	s_mov_b32 s0, 0x3b39803f
	s_mov_b32 s1, 0x3c7abc9e
	s_delay_alu instid0(VALU_DEP_2) | instskip(NEXT) | instid1(VALU_DEP_2)
	v_add_f64 v[15:16], v[17:18], -v[15:16]
	v_fma_f64 v[17:18], v[23:24], s[0:1], v[21:22]
	v_cmp_class_f64_e64 s0, v[10:11], 0x204
	s_delay_alu instid0(VALU_DEP_3) | instskip(NEXT) | instid1(VALU_DEP_3)
	v_add_f64 v[12:13], v[12:13], v[15:16]
	v_add_f64 v[15:16], v[25:26], v[17:18]
	s_delay_alu instid0(VALU_DEP_2) | instskip(NEXT) | instid1(VALU_DEP_2)
	v_add_f64 v[21:22], v[19:20], v[12:13]
	v_add_f64 v[25:26], v[15:16], -v[25:26]
	s_delay_alu instid0(VALU_DEP_2) | instskip(SKIP_1) | instid1(VALU_DEP_3)
	v_add_f64 v[23:24], v[15:16], v[21:22]
	v_add_f64 v[19:20], v[21:22], -v[19:20]
	v_add_f64 v[17:18], v[17:18], -v[25:26]
	s_delay_alu instid0(VALU_DEP_3) | instskip(NEXT) | instid1(VALU_DEP_3)
	v_add_f64 v[27:28], v[23:24], -v[15:16]
	v_add_f64 v[12:13], v[12:13], -v[19:20]
	s_delay_alu instid0(VALU_DEP_2) | instskip(SKIP_1) | instid1(VALU_DEP_3)
	v_add_f64 v[29:30], v[23:24], -v[27:28]
	v_add_f64 v[19:20], v[21:22], -v[27:28]
	v_add_f64 v[21:22], v[17:18], v[12:13]
	s_delay_alu instid0(VALU_DEP_3) | instskip(NEXT) | instid1(VALU_DEP_1)
	v_add_f64 v[15:16], v[15:16], -v[29:30]
	v_add_f64 v[15:16], v[19:20], v[15:16]
	s_delay_alu instid0(VALU_DEP_3) | instskip(NEXT) | instid1(VALU_DEP_2)
	v_add_f64 v[19:20], v[21:22], -v[17:18]
	v_add_f64 v[15:16], v[21:22], v[15:16]
	s_delay_alu instid0(VALU_DEP_2) | instskip(SKIP_1) | instid1(VALU_DEP_3)
	v_add_f64 v[21:22], v[21:22], -v[19:20]
	v_add_f64 v[12:13], v[12:13], -v[19:20]
	v_add_f64 v[25:26], v[23:24], v[15:16]
	s_delay_alu instid0(VALU_DEP_3) | instskip(NEXT) | instid1(VALU_DEP_2)
	v_add_f64 v[17:18], v[17:18], -v[21:22]
	v_add_f64 v[19:20], v[25:26], -v[23:24]
	s_delay_alu instid0(VALU_DEP_2) | instskip(NEXT) | instid1(VALU_DEP_2)
	v_add_f64 v[12:13], v[12:13], v[17:18]
	v_add_f64 v[15:16], v[15:16], -v[19:20]
	s_delay_alu instid0(VALU_DEP_1) | instskip(NEXT) | instid1(VALU_DEP_1)
	v_add_f64 v[12:13], v[12:13], v[15:16]
	v_add_f64 v[12:13], v[25:26], v[12:13]
	s_delay_alu instid0(VALU_DEP_1) | instskip(NEXT) | instid1(VALU_DEP_2)
	v_cndmask_b32_e64 v12, v12, v10, s0
	v_cndmask_b32_e64 v13, v13, v11, s0
	v_cmp_ngt_f64_e64 s0, 0, v[10:11]
	s_delay_alu instid0(VALU_DEP_1) | instskip(SKIP_1) | instid1(VALU_DEP_1)
	v_cndmask_b32_e64 v13, 0x7ff80000, v13, s0
	v_cmp_nge_f64_e64 s0, 0, v[10:11]
	v_cndmask_b32_e64 v12, 0, v12, s0
	v_cmp_neq_f64_e64 s0, 0, v[10:11]
	s_delay_alu instid0(VALU_DEP_1) | instskip(NEXT) | instid1(VALU_DEP_1)
	v_cndmask_b32_e64 v13, 0xfff00000, v13, s0
	v_add_f64 v[4:5], v[4:5], -v[12:13]
	global_store_b64 v[2:3], v[4:5], off
.LBB2_7:
	s_or_b32 exec_lo, exec_lo, s2
	v_cmp_ne_u32_e64 s0, 1, v14
	s_delay_alu instid0(VALU_DEP_1)
	s_and_b32 exec_lo, exec_lo, s0
	s_cbranch_execz .LBB2_10
; %bb.8:
	s_and_b32 exec_lo, exec_lo, vcc_lo
	s_cbranch_execz .LBB2_10
; %bb.9:
	s_waitcnt lgkmcnt(0)
	v_add_f64 v[4:5], v[6:7], v[8:9]
	s_mov_b32 s1, 0x3fe55555
	s_mov_b32 s0, 0x55555555
	;; [unrolled: 1-line block ×7, first 2 shown]
	s_delay_alu instid0(VALU_DEP_1) | instskip(SKIP_1) | instid1(VALU_DEP_2)
	v_frexp_mant_f64_e32 v[6:7], v[4:5]
	v_frexp_exp_i32_f64_e32 v9, v[4:5]
	v_cmp_gt_f64_e32 vcc_lo, s[0:1], v[6:7]
	s_delay_alu instid0(VALU_DEP_2) | instskip(SKIP_4) | instid1(VALU_DEP_1)
	v_subrev_co_ci_u32_e64 v20, s0, 0, v9, vcc_lo
	v_cndmask_b32_e64 v9, 0x3ff00000, 2.0, vcc_lo
	v_cmp_class_f64_e64 vcc_lo, v[4:5], 0x204
	v_mov_b32_e32 v8, 0
	s_mov_b32 s0, 0x55555780
	v_mul_f64 v[6:7], v[6:7], v[8:9]
	s_delay_alu instid0(VALU_DEP_1) | instskip(SKIP_1) | instid1(VALU_DEP_2)
	v_add_f64 v[8:9], v[6:7], 1.0
	v_add_f64 v[14:15], v[6:7], -1.0
	v_rcp_f64_e32 v[10:11], v[8:9]
	v_add_f64 v[16:17], v[8:9], -1.0
	s_delay_alu instid0(VALU_DEP_1) | instskip(SKIP_2) | instid1(VALU_DEP_1)
	v_add_f64 v[6:7], v[6:7], -v[16:17]
	s_waitcnt_depctr 0xfff
	v_fma_f64 v[12:13], -v[8:9], v[10:11], 1.0
	v_fma_f64 v[10:11], v[12:13], v[10:11], v[10:11]
	s_delay_alu instid0(VALU_DEP_1) | instskip(NEXT) | instid1(VALU_DEP_1)
	v_fma_f64 v[12:13], -v[8:9], v[10:11], 1.0
	v_fma_f64 v[10:11], v[12:13], v[10:11], v[10:11]
	s_delay_alu instid0(VALU_DEP_1) | instskip(NEXT) | instid1(VALU_DEP_1)
	v_mul_f64 v[12:13], v[14:15], v[10:11]
	v_mul_f64 v[18:19], v[8:9], v[12:13]
	s_delay_alu instid0(VALU_DEP_1) | instskip(NEXT) | instid1(VALU_DEP_1)
	v_fma_f64 v[8:9], v[12:13], v[8:9], -v[18:19]
	v_fma_f64 v[6:7], v[12:13], v[6:7], v[8:9]
	s_delay_alu instid0(VALU_DEP_1) | instskip(NEXT) | instid1(VALU_DEP_1)
	v_add_f64 v[8:9], v[18:19], v[6:7]
	v_add_f64 v[16:17], v[14:15], -v[8:9]
	v_add_f64 v[18:19], v[8:9], -v[18:19]
	s_delay_alu instid0(VALU_DEP_2) | instskip(NEXT) | instid1(VALU_DEP_2)
	v_add_f64 v[14:15], v[14:15], -v[16:17]
	v_add_f64 v[6:7], v[18:19], -v[6:7]
	s_delay_alu instid0(VALU_DEP_2) | instskip(NEXT) | instid1(VALU_DEP_1)
	v_add_f64 v[8:9], v[14:15], -v[8:9]
	v_add_f64 v[6:7], v[6:7], v[8:9]
	s_delay_alu instid0(VALU_DEP_1) | instskip(NEXT) | instid1(VALU_DEP_1)
	v_add_f64 v[6:7], v[16:17], v[6:7]
	v_mul_f64 v[6:7], v[10:11], v[6:7]
	s_delay_alu instid0(VALU_DEP_1) | instskip(NEXT) | instid1(VALU_DEP_1)
	v_add_f64 v[8:9], v[12:13], v[6:7]
	v_mul_f64 v[10:11], v[8:9], v[8:9]
	s_delay_alu instid0(VALU_DEP_1) | instskip(SKIP_3) | instid1(VALU_DEP_2)
	v_fma_f64 v[14:15], v[10:11], s[4:5], s[2:3]
	s_mov_b32 s2, 0xd7f4df2e
	s_mov_b32 s3, 0x3fc7474d
	v_mul_f64 v[16:17], v[8:9], v[10:11]
	v_fma_f64 v[14:15], v[10:11], v[14:15], s[2:3]
	s_mov_b32 s2, 0x16291751
	s_mov_b32 s3, 0x3fcc71c0
	s_delay_alu instid0(VALU_DEP_1) | instid1(SALU_CYCLE_1)
	v_fma_f64 v[14:15], v[10:11], v[14:15], s[2:3]
	s_mov_b32 s2, 0x9b27acf1
	s_mov_b32 s3, 0x3fd24924
	s_delay_alu instid0(VALU_DEP_1) | instid1(SALU_CYCLE_1)
	;; [unrolled: 4-line block ×3, first 2 shown]
	v_fma_f64 v[14:15], v[10:11], v[14:15], s[2:3]
	s_delay_alu instid0(VALU_DEP_1) | instskip(SKIP_4) | instid1(VALU_DEP_3)
	v_fma_f64 v[10:11], v[10:11], v[14:15], s[0:1]
	v_ldexp_f64 v[14:15], v[8:9], 1
	v_add_f64 v[8:9], v[8:9], -v[12:13]
	s_mov_b32 s0, 0xfefa39ef
	s_mov_b32 s1, 0x3fe62e42
	v_mul_f64 v[10:11], v[16:17], v[10:11]
	v_cvt_f64_i32_e32 v[16:17], v20
	s_delay_alu instid0(VALU_DEP_3) | instskip(NEXT) | instid1(VALU_DEP_3)
	v_add_f64 v[6:7], v[6:7], -v[8:9]
	v_add_f64 v[12:13], v[14:15], v[10:11]
	s_delay_alu instid0(VALU_DEP_3) | instskip(NEXT) | instid1(VALU_DEP_3)
	v_mul_f64 v[18:19], v[16:17], s[0:1]
	v_ldexp_f64 v[6:7], v[6:7], 1
	s_delay_alu instid0(VALU_DEP_3) | instskip(NEXT) | instid1(VALU_DEP_3)
	v_add_f64 v[8:9], v[12:13], -v[14:15]
	v_fma_f64 v[14:15], v[16:17], s[0:1], -v[18:19]
	s_mov_b32 s0, 0x3b39803f
	s_mov_b32 s1, 0x3c7abc9e
	s_delay_alu instid0(VALU_DEP_2) | instskip(NEXT) | instid1(VALU_DEP_2)
	v_add_f64 v[8:9], v[10:11], -v[8:9]
	v_fma_f64 v[10:11], v[16:17], s[0:1], v[14:15]
	s_lshl_b64 s[0:1], s[22:23], 3
	s_delay_alu instid0(VALU_DEP_2) | instskip(NEXT) | instid1(VALU_DEP_2)
	v_add_f64 v[6:7], v[6:7], v[8:9]
	v_add_f64 v[8:9], v[18:19], v[10:11]
	s_delay_alu instid0(VALU_DEP_2) | instskip(NEXT) | instid1(VALU_DEP_2)
	v_add_f64 v[14:15], v[12:13], v[6:7]
	v_add_f64 v[18:19], v[8:9], -v[18:19]
	s_delay_alu instid0(VALU_DEP_2) | instskip(SKIP_1) | instid1(VALU_DEP_3)
	v_add_f64 v[16:17], v[8:9], v[14:15]
	v_add_f64 v[12:13], v[14:15], -v[12:13]
	v_add_f64 v[10:11], v[10:11], -v[18:19]
	s_delay_alu instid0(VALU_DEP_3) | instskip(NEXT) | instid1(VALU_DEP_3)
	v_add_f64 v[20:21], v[16:17], -v[8:9]
	v_add_f64 v[6:7], v[6:7], -v[12:13]
	s_delay_alu instid0(VALU_DEP_2) | instskip(SKIP_1) | instid1(VALU_DEP_3)
	v_add_f64 v[22:23], v[16:17], -v[20:21]
	v_add_f64 v[12:13], v[14:15], -v[20:21]
	v_add_f64 v[14:15], v[10:11], v[6:7]
	s_delay_alu instid0(VALU_DEP_3) | instskip(NEXT) | instid1(VALU_DEP_1)
	v_add_f64 v[8:9], v[8:9], -v[22:23]
	v_add_f64 v[8:9], v[12:13], v[8:9]
	s_delay_alu instid0(VALU_DEP_3) | instskip(NEXT) | instid1(VALU_DEP_2)
	v_add_f64 v[12:13], v[14:15], -v[10:11]
	v_add_f64 v[8:9], v[14:15], v[8:9]
	s_delay_alu instid0(VALU_DEP_2) | instskip(SKIP_1) | instid1(VALU_DEP_3)
	v_add_f64 v[14:15], v[14:15], -v[12:13]
	v_add_f64 v[6:7], v[6:7], -v[12:13]
	v_add_f64 v[18:19], v[16:17], v[8:9]
	s_delay_alu instid0(VALU_DEP_3) | instskip(NEXT) | instid1(VALU_DEP_2)
	v_add_f64 v[10:11], v[10:11], -v[14:15]
	v_add_f64 v[12:13], v[18:19], -v[16:17]
	s_delay_alu instid0(VALU_DEP_2) | instskip(NEXT) | instid1(VALU_DEP_2)
	v_add_f64 v[6:7], v[6:7], v[10:11]
	v_add_f64 v[8:9], v[8:9], -v[12:13]
	s_delay_alu instid0(VALU_DEP_1) | instskip(NEXT) | instid1(VALU_DEP_1)
	v_add_f64 v[6:7], v[6:7], v[8:9]
	v_add_f64 v[6:7], v[18:19], v[6:7]
	s_delay_alu instid0(VALU_DEP_1) | instskip(SKIP_1) | instid1(VALU_DEP_2)
	v_dual_cndmask_b32 v7, v7, v5 :: v_dual_cndmask_b32 v6, v6, v4
	v_cmp_ngt_f64_e32 vcc_lo, 0, v[4:5]
	v_cndmask_b32_e32 v7, 0x7ff80000, v7, vcc_lo
	v_cmp_nge_f64_e32 vcc_lo, 0, v[4:5]
	s_delay_alu instid0(VALU_DEP_4) | instskip(SKIP_1) | instid1(VALU_DEP_4)
	v_cndmask_b32_e32 v6, 0, v6, vcc_lo
	v_cmp_neq_f64_e32 vcc_lo, 0, v[4:5]
	v_cndmask_b32_e32 v7, 0xfff00000, v7, vcc_lo
	v_add_co_u32 v2, vcc_lo, v2, s0
	v_add_co_ci_u32_e32 v3, vcc_lo, s1, v3, vcc_lo
	s_delay_alu instid0(VALU_DEP_3)
	v_add_f64 v[0:1], v[0:1], -v[6:7]
	global_store_b64 v[2:3], v[0:1], off
.LBB2_10:
	s_nop 0
	s_sendmsg sendmsg(MSG_DEALLOC_VGPRS)
	s_endpgm
	.section	.rodata,"a",@progbits
	.p2align	6, 0x0
	.amdhsa_kernel _ZN12_GLOBAL__N_120softmax_warp_forwardIdddLi1ELb1ELb0ELi64EEEvPT0_PKT_iiiPKbib
		.amdhsa_group_segment_fixed_size 0
		.amdhsa_private_segment_fixed_size 0
		.amdhsa_kernarg_size 304
		.amdhsa_user_sgpr_count 15
		.amdhsa_user_sgpr_dispatch_ptr 0
		.amdhsa_user_sgpr_queue_ptr 0
		.amdhsa_user_sgpr_kernarg_segment_ptr 1
		.amdhsa_user_sgpr_dispatch_id 0
		.amdhsa_user_sgpr_private_segment_size 0
		.amdhsa_wavefront_size32 1
		.amdhsa_uses_dynamic_stack 0
		.amdhsa_enable_private_segment 0
		.amdhsa_system_sgpr_workgroup_id_x 1
		.amdhsa_system_sgpr_workgroup_id_y 0
		.amdhsa_system_sgpr_workgroup_id_z 0
		.amdhsa_system_sgpr_workgroup_info 0
		.amdhsa_system_vgpr_workitem_id 1
		.amdhsa_next_free_vgpr 31
		.amdhsa_next_free_sgpr 24
		.amdhsa_reserve_vcc 1
		.amdhsa_float_round_mode_32 0
		.amdhsa_float_round_mode_16_64 0
		.amdhsa_float_denorm_mode_32 3
		.amdhsa_float_denorm_mode_16_64 3
		.amdhsa_dx10_clamp 1
		.amdhsa_ieee_mode 1
		.amdhsa_fp16_overflow 0
		.amdhsa_workgroup_processor_mode 1
		.amdhsa_memory_ordered 1
		.amdhsa_forward_progress 0
		.amdhsa_shared_vgpr_count 0
		.amdhsa_exception_fp_ieee_invalid_op 0
		.amdhsa_exception_fp_denorm_src 0
		.amdhsa_exception_fp_ieee_div_zero 0
		.amdhsa_exception_fp_ieee_overflow 0
		.amdhsa_exception_fp_ieee_underflow 0
		.amdhsa_exception_fp_ieee_inexact 0
		.amdhsa_exception_int_div_zero 0
	.end_amdhsa_kernel
	.section	.text._ZN12_GLOBAL__N_120softmax_warp_forwardIdddLi1ELb1ELb0ELi64EEEvPT0_PKT_iiiPKbib,"axG",@progbits,_ZN12_GLOBAL__N_120softmax_warp_forwardIdddLi1ELb1ELb0ELi64EEEvPT0_PKT_iiiPKbib,comdat
.Lfunc_end2:
	.size	_ZN12_GLOBAL__N_120softmax_warp_forwardIdddLi1ELb1ELb0ELi64EEEvPT0_PKT_iiiPKbib, .Lfunc_end2-_ZN12_GLOBAL__N_120softmax_warp_forwardIdddLi1ELb1ELb0ELi64EEEvPT0_PKT_iiiPKbib
                                        ; -- End function
	.section	.AMDGPU.csdata,"",@progbits
; Kernel info:
; codeLenInByte = 3184
; NumSgprs: 26
; NumVgprs: 31
; ScratchSize: 0
; MemoryBound: 0
; FloatMode: 240
; IeeeMode: 1
; LDSByteSize: 0 bytes/workgroup (compile time only)
; SGPRBlocks: 3
; VGPRBlocks: 3
; NumSGPRsForWavesPerEU: 26
; NumVGPRsForWavesPerEU: 31
; Occupancy: 16
; WaveLimiterHint : 0
; COMPUTE_PGM_RSRC2:SCRATCH_EN: 0
; COMPUTE_PGM_RSRC2:USER_SGPR: 15
; COMPUTE_PGM_RSRC2:TRAP_HANDLER: 0
; COMPUTE_PGM_RSRC2:TGID_X_EN: 1
; COMPUTE_PGM_RSRC2:TGID_Y_EN: 0
; COMPUTE_PGM_RSRC2:TGID_Z_EN: 0
; COMPUTE_PGM_RSRC2:TIDIG_COMP_CNT: 1
	.section	.text._ZN12_GLOBAL__N_120softmax_warp_forwardIdddLi1ELb1ELb0ELi32EEEvPT0_PKT_iiiPKbib,"axG",@progbits,_ZN12_GLOBAL__N_120softmax_warp_forwardIdddLi1ELb1ELb0ELi32EEEvPT0_PKT_iiiPKbib,comdat
	.globl	_ZN12_GLOBAL__N_120softmax_warp_forwardIdddLi1ELb1ELb0ELi32EEEvPT0_PKT_iiiPKbib ; -- Begin function _ZN12_GLOBAL__N_120softmax_warp_forwardIdddLi1ELb1ELb0ELi32EEEvPT0_PKT_iiiPKbib
	.p2align	8
	.type	_ZN12_GLOBAL__N_120softmax_warp_forwardIdddLi1ELb1ELb0ELi32EEEvPT0_PKT_iiiPKbib,@function
_ZN12_GLOBAL__N_120softmax_warp_forwardIdddLi1ELb1ELb0ELi32EEEvPT0_PKT_iiiPKbib: ; @_ZN12_GLOBAL__N_120softmax_warp_forwardIdddLi1ELb1ELb0ELi32EEEvPT0_PKT_iiiPKbib
; %bb.0:
	s_clause 0x1
	s_load_b32 s2, s[0:1], 0x3c
	s_load_b256 s[16:23], s[0:1], 0x0
	v_bfe_u32 v1, v0, 10, 10
	v_and_b32_e32 v4, 0x3ff, v0
	s_waitcnt lgkmcnt(0)
	s_lshr_b32 s0, s2, 16
	s_delay_alu instid0(VALU_DEP_1) | instskip(SKIP_1) | instid1(SALU_CYCLE_1)
	v_cmp_gt_i32_e32 vcc_lo, s22, v4
	s_mul_i32 s15, s15, s0
	v_add_lshl_u32 v2, s15, v1, 1
	s_delay_alu instid0(VALU_DEP_1) | instskip(SKIP_1) | instid1(VALU_DEP_1)
	v_mad_u64_u32 v[0:1], null, v2, s21, v[4:5]
	v_sub_nc_u32_e32 v14, s20, v2
	v_cmp_lt_i32_e64 s0, 0, v14
	s_delay_alu instid0(VALU_DEP_3) | instskip(NEXT) | instid1(VALU_DEP_2)
	v_ashrrev_i32_e32 v1, 31, v0
	s_and_b32 s2, vcc_lo, s0
	s_delay_alu instid0(VALU_DEP_1) | instskip(SKIP_2) | instid1(VALU_DEP_3)
	v_lshlrev_b64 v[2:3], 3, v[0:1]
	v_mov_b32_e32 v0, 0
	v_mov_b32_e32 v1, 0xfff00000
	v_add_co_u32 v6, s1, s18, v2
	s_delay_alu instid0(VALU_DEP_1) | instskip(NEXT) | instid1(VALU_DEP_3)
	v_add_co_ci_u32_e64 v7, s1, s19, v3, s1
	v_dual_mov_b32 v5, v1 :: v_dual_mov_b32 v4, v0
	s_and_saveexec_b32 s1, s2
	s_cbranch_execz .LBB3_2
; %bb.1:
	global_load_b64 v[4:5], v[6:7], off
.LBB3_2:
	s_or_b32 exec_lo, exec_lo, s1
	v_cmp_lt_i32_e64 s1, 1, v14
	s_delay_alu instid0(VALU_DEP_1) | instskip(NEXT) | instid1(SALU_CYCLE_1)
	s_and_b32 s1, vcc_lo, s1
	s_and_saveexec_b32 s2, s1
	s_cbranch_execz .LBB3_4
; %bb.3:
	s_mov_b32 s23, 0
	s_delay_alu instid0(SALU_CYCLE_1) | instskip(NEXT) | instid1(SALU_CYCLE_1)
	s_lshl_b64 s[4:5], s[22:23], 3
	v_add_co_u32 v0, s1, v6, s4
	s_delay_alu instid0(VALU_DEP_1)
	v_add_co_ci_u32_e64 v1, s1, s5, v7, s1
	global_load_b64 v[0:1], v[0:1], off
.LBB3_4:
	s_or_b32 exec_lo, exec_lo, s2
	v_mbcnt_lo_u32_b32 v6, -1, 0
	s_mov_b32 s4, 0x6a5dcb37
	s_mov_b32 s5, 0x3e5ade15
	s_delay_alu instid0(VALU_DEP_1) | instskip(SKIP_1) | instid1(VALU_DEP_2)
	v_and_b32_e32 v7, 30, v6
	v_xor_b32_e32 v8, 1, v6
	v_add_nc_u32_e32 v7, 2, v7
	s_delay_alu instid0(VALU_DEP_1) | instskip(NEXT) | instid1(VALU_DEP_1)
	v_cmp_lt_i32_e64 s1, v8, v7
	v_cndmask_b32_e64 v6, v6, v8, s1
	s_delay_alu instid0(VALU_DEP_1)
	v_lshlrev_b32_e32 v19, 2, v6
	s_waitcnt vmcnt(0)
	ds_bpermute_b32 v6, v19, v4
	ds_bpermute_b32 v7, v19, v5
	;; [unrolled: 1-line block ×4, first 2 shown]
	s_waitcnt lgkmcnt(2)
	v_cmp_lt_f64_e64 s1, v[4:5], v[6:7]
	s_waitcnt lgkmcnt(0)
	v_cmp_lt_f64_e64 s2, v[0:1], v[8:9]
	s_delay_alu instid0(VALU_DEP_2) | instskip(SKIP_1) | instid1(VALU_DEP_3)
	v_cndmask_b32_e64 v7, v5, v7, s1
	v_cndmask_b32_e64 v6, v4, v6, s1
	;; [unrolled: 1-line block ×4, first 2 shown]
	s_mov_b32 s2, 0x652b82fe
	s_mov_b32 s3, 0x3ff71547
	v_add_f64 v[4:5], v[4:5], -v[6:7]
	s_delay_alu instid0(VALU_DEP_2) | instskip(NEXT) | instid1(VALU_DEP_2)
	v_add_f64 v[0:1], v[0:1], -v[8:9]
	v_mul_f64 v[6:7], v[4:5], s[2:3]
	v_cmp_nlt_f64_e64 s1, 0x40900000, v[4:5]
	s_delay_alu instid0(VALU_DEP_3) | instskip(SKIP_2) | instid1(VALU_DEP_3)
	v_mul_f64 v[8:9], v[0:1], s[2:3]
	s_mov_b32 s2, 0xfefa39ef
	s_mov_b32 s3, 0xbfe62e42
	v_rndne_f64_e32 v[6:7], v[6:7]
	s_delay_alu instid0(VALU_DEP_2) | instskip(NEXT) | instid1(VALU_DEP_2)
	v_rndne_f64_e32 v[8:9], v[8:9]
	v_fma_f64 v[10:11], v[6:7], s[2:3], v[4:5]
	v_cvt_i32_f64_e32 v20, v[6:7]
	s_delay_alu instid0(VALU_DEP_3)
	v_fma_f64 v[12:13], v[8:9], s[2:3], v[0:1]
	s_mov_b32 s2, 0x3b39803f
	s_mov_b32 s3, 0xbc7abc9e
	s_delay_alu instid0(VALU_DEP_3) | instid1(SALU_CYCLE_1)
	v_fma_f64 v[10:11], v[6:7], s[2:3], v[10:11]
	s_delay_alu instid0(VALU_DEP_2)
	v_fma_f64 v[12:13], v[8:9], s[2:3], v[12:13]
	s_mov_b32 s2, 0xfca7ab0c
	s_mov_b32 s3, 0x3e928af3
	s_delay_alu instid0(VALU_DEP_2) | instid1(SALU_CYCLE_1)
	v_fma_f64 v[15:16], v[10:11], s[4:5], s[2:3]
	s_delay_alu instid0(VALU_DEP_2) | instskip(SKIP_3) | instid1(VALU_DEP_3)
	v_fma_f64 v[17:18], v[12:13], s[4:5], s[2:3]
	s_mov_b32 s2, 0x623fde64
	s_mov_b32 s3, 0x3ec71dee
	v_cmp_ngt_f64_e64 s4, 0xc090cc00, v[0:1]
	v_fma_f64 v[15:16], v[10:11], v[15:16], s[2:3]
	s_delay_alu instid0(VALU_DEP_3)
	v_fma_f64 v[17:18], v[12:13], v[17:18], s[2:3]
	s_mov_b32 s2, 0x7c89e6b0
	s_mov_b32 s3, 0x3efa0199
	s_delay_alu instid0(VALU_DEP_2) | instid1(SALU_CYCLE_1)
	v_fma_f64 v[15:16], v[10:11], v[15:16], s[2:3]
	s_delay_alu instid0(VALU_DEP_2)
	v_fma_f64 v[17:18], v[12:13], v[17:18], s[2:3]
	s_mov_b32 s2, 0x14761f6e
	s_mov_b32 s3, 0x3f2a01a0
	s_delay_alu instid0(VALU_DEP_2) | instid1(SALU_CYCLE_1)
	v_fma_f64 v[15:16], v[10:11], v[15:16], s[2:3]
	s_delay_alu instid0(VALU_DEP_2)
	v_fma_f64 v[17:18], v[12:13], v[17:18], s[2:3]
	s_mov_b32 s2, 0x1852b7b0
	s_mov_b32 s3, 0x3f56c16c
	s_delay_alu instid0(VALU_DEP_2) | instid1(SALU_CYCLE_1)
	v_fma_f64 v[15:16], v[10:11], v[15:16], s[2:3]
	s_delay_alu instid0(VALU_DEP_2)
	v_fma_f64 v[17:18], v[12:13], v[17:18], s[2:3]
	s_mov_b32 s2, 0x11122322
	s_mov_b32 s3, 0x3f811111
	s_delay_alu instid0(VALU_DEP_2) | instid1(SALU_CYCLE_1)
	v_fma_f64 v[15:16], v[10:11], v[15:16], s[2:3]
	s_delay_alu instid0(VALU_DEP_2)
	v_fma_f64 v[17:18], v[12:13], v[17:18], s[2:3]
	s_mov_b32 s2, 0x555502a1
	s_mov_b32 s3, 0x3fa55555
	s_delay_alu instid0(VALU_DEP_2) | instid1(SALU_CYCLE_1)
	v_fma_f64 v[15:16], v[10:11], v[15:16], s[2:3]
	s_delay_alu instid0(VALU_DEP_2)
	v_fma_f64 v[17:18], v[12:13], v[17:18], s[2:3]
	s_mov_b32 s2, 0x55555511
	s_mov_b32 s3, 0x3fc55555
	s_delay_alu instid0(VALU_DEP_2) | instid1(SALU_CYCLE_1)
	v_fma_f64 v[15:16], v[10:11], v[15:16], s[2:3]
	s_delay_alu instid0(VALU_DEP_2)
	v_fma_f64 v[17:18], v[12:13], v[17:18], s[2:3]
	s_mov_b32 s2, 11
	s_mov_b32 s3, 0x3fe00000
	s_delay_alu instid0(VALU_DEP_2) | instid1(SALU_CYCLE_1)
	v_fma_f64 v[15:16], v[10:11], v[15:16], s[2:3]
	s_delay_alu instid0(VALU_DEP_2) | instskip(SKIP_2) | instid1(VALU_DEP_4)
	v_fma_f64 v[17:18], v[12:13], v[17:18], s[2:3]
	v_cmp_nlt_f64_e64 s3, 0x40900000, v[0:1]
	v_cmp_ngt_f64_e64 s2, 0xc090cc00, v[4:5]
	v_fma_f64 v[15:16], v[10:11], v[15:16], 1.0
	s_delay_alu instid0(VALU_DEP_4) | instskip(NEXT) | instid1(VALU_DEP_2)
	v_fma_f64 v[17:18], v[12:13], v[17:18], 1.0
	v_fma_f64 v[6:7], v[10:11], v[15:16], 1.0
	v_cvt_i32_f64_e32 v10, v[8:9]
	s_delay_alu instid0(VALU_DEP_3) | instskip(NEXT) | instid1(VALU_DEP_3)
	v_fma_f64 v[8:9], v[12:13], v[17:18], 1.0
	v_ldexp_f64 v[6:7], v[6:7], v20
	s_delay_alu instid0(VALU_DEP_2) | instskip(NEXT) | instid1(VALU_DEP_2)
	v_ldexp_f64 v[8:9], v[8:9], v10
	v_add_f64 v[6:7], v[6:7], 0
	s_delay_alu instid0(VALU_DEP_2) | instskip(NEXT) | instid1(VALU_DEP_2)
	v_add_f64 v[8:9], v[8:9], 0
	v_cndmask_b32_e64 v7, 0x7ff00000, v7, s1
	s_and_b32 s1, s2, s1
	s_delay_alu instid0(VALU_DEP_2) | instskip(NEXT) | instid1(VALU_DEP_4)
	v_cndmask_b32_e64 v9, 0x7ff00000, v9, s3
	v_cndmask_b32_e64 v10, 0, v6, s1
	s_and_b32 s1, s4, s3
	v_cndmask_b32_e64 v11, 0, v7, s2
	v_cndmask_b32_e64 v6, 0, v8, s1
	;; [unrolled: 1-line block ×3, first 2 shown]
	ds_bpermute_b32 v12, v19, v10
	ds_bpermute_b32 v13, v19, v11
	;; [unrolled: 1-line block ×4, first 2 shown]
	s_and_saveexec_b32 s1, s0
	s_cbranch_execz .LBB3_10
; %bb.5:
	v_add_co_u32 v2, s0, s16, v2
	s_delay_alu instid0(VALU_DEP_1)
	v_add_co_ci_u32_e64 v3, s0, s17, v3, s0
	s_and_saveexec_b32 s2, vcc_lo
	s_cbranch_execz .LBB3_7
; %bb.6:
	s_waitcnt lgkmcnt(2)
	v_add_f64 v[10:11], v[10:11], v[12:13]
	s_mov_b32 s5, 0x3fe55555
	s_mov_b32 s4, 0x55555555
	v_mov_b32_e32 v15, 0
	s_mov_b32 s6, 0xbf559e2b
	s_mov_b32 s7, 0x3fc3ab76
	s_delay_alu instid0(VALU_DEP_2) | instskip(SKIP_1) | instid1(VALU_DEP_2)
	v_frexp_mant_f64_e32 v[12:13], v[10:11]
	v_frexp_exp_i32_f64_e32 v16, v[10:11]
	v_cmp_gt_f64_e64 s0, s[4:5], v[12:13]
	s_mov_b32 s4, 0x55555780
	s_delay_alu instid0(VALU_DEP_1) | instskip(SKIP_3) | instid1(VALU_DEP_1)
	v_subrev_co_ci_u32_e64 v27, s1, 0, v16, s0
	v_cndmask_b32_e64 v16, 0x3ff00000, 2.0, s0
	s_mov_b32 s0, 0x6b47b09a
	s_mov_b32 s1, 0x3fc38538
	v_mul_f64 v[12:13], v[12:13], v[15:16]
	s_delay_alu instid0(VALU_DEP_1) | instskip(SKIP_1) | instid1(VALU_DEP_2)
	v_add_f64 v[15:16], v[12:13], 1.0
	v_add_f64 v[21:22], v[12:13], -1.0
	v_rcp_f64_e32 v[17:18], v[15:16]
	v_add_f64 v[23:24], v[15:16], -1.0
	s_delay_alu instid0(VALU_DEP_1) | instskip(SKIP_2) | instid1(VALU_DEP_1)
	v_add_f64 v[12:13], v[12:13], -v[23:24]
	s_waitcnt_depctr 0xfff
	v_fma_f64 v[19:20], -v[15:16], v[17:18], 1.0
	v_fma_f64 v[17:18], v[19:20], v[17:18], v[17:18]
	s_delay_alu instid0(VALU_DEP_1) | instskip(NEXT) | instid1(VALU_DEP_1)
	v_fma_f64 v[19:20], -v[15:16], v[17:18], 1.0
	v_fma_f64 v[17:18], v[19:20], v[17:18], v[17:18]
	s_delay_alu instid0(VALU_DEP_1) | instskip(NEXT) | instid1(VALU_DEP_1)
	v_mul_f64 v[19:20], v[21:22], v[17:18]
	v_mul_f64 v[25:26], v[15:16], v[19:20]
	s_delay_alu instid0(VALU_DEP_1) | instskip(NEXT) | instid1(VALU_DEP_1)
	v_fma_f64 v[15:16], v[19:20], v[15:16], -v[25:26]
	v_fma_f64 v[12:13], v[19:20], v[12:13], v[15:16]
	s_delay_alu instid0(VALU_DEP_1) | instskip(NEXT) | instid1(VALU_DEP_1)
	v_add_f64 v[15:16], v[25:26], v[12:13]
	v_add_f64 v[23:24], v[21:22], -v[15:16]
	v_add_f64 v[25:26], v[15:16], -v[25:26]
	s_delay_alu instid0(VALU_DEP_2) | instskip(NEXT) | instid1(VALU_DEP_2)
	v_add_f64 v[21:22], v[21:22], -v[23:24]
	v_add_f64 v[12:13], v[25:26], -v[12:13]
	s_delay_alu instid0(VALU_DEP_2) | instskip(NEXT) | instid1(VALU_DEP_1)
	v_add_f64 v[15:16], v[21:22], -v[15:16]
	v_add_f64 v[12:13], v[12:13], v[15:16]
	s_delay_alu instid0(VALU_DEP_1) | instskip(NEXT) | instid1(VALU_DEP_1)
	v_add_f64 v[12:13], v[23:24], v[12:13]
	v_mul_f64 v[12:13], v[17:18], v[12:13]
	s_delay_alu instid0(VALU_DEP_1) | instskip(NEXT) | instid1(VALU_DEP_1)
	v_add_f64 v[15:16], v[19:20], v[12:13]
	v_mul_f64 v[17:18], v[15:16], v[15:16]
	s_delay_alu instid0(VALU_DEP_1) | instskip(SKIP_3) | instid1(VALU_DEP_2)
	v_fma_f64 v[21:22], v[17:18], s[6:7], s[0:1]
	s_mov_b32 s0, 0xd7f4df2e
	s_mov_b32 s1, 0x3fc7474d
	v_mul_f64 v[23:24], v[15:16], v[17:18]
	v_fma_f64 v[21:22], v[17:18], v[21:22], s[0:1]
	s_mov_b32 s0, 0x16291751
	s_mov_b32 s1, 0x3fcc71c0
	s_delay_alu instid0(VALU_DEP_1) | instid1(SALU_CYCLE_1)
	v_fma_f64 v[21:22], v[17:18], v[21:22], s[0:1]
	s_mov_b32 s0, 0x9b27acf1
	s_mov_b32 s1, 0x3fd24924
	s_delay_alu instid0(VALU_DEP_1) | instid1(SALU_CYCLE_1)
	;; [unrolled: 4-line block ×3, first 2 shown]
	v_fma_f64 v[21:22], v[17:18], v[21:22], s[0:1]
	s_mov_b32 s0, 0xfefa39ef
	s_mov_b32 s1, 0x3fe62e42
	s_delay_alu instid0(VALU_DEP_1) | instskip(SKIP_2) | instid1(VALU_DEP_3)
	v_fma_f64 v[17:18], v[17:18], v[21:22], s[4:5]
	v_ldexp_f64 v[21:22], v[15:16], 1
	v_add_f64 v[15:16], v[15:16], -v[19:20]
	v_mul_f64 v[17:18], v[23:24], v[17:18]
	v_cvt_f64_i32_e32 v[23:24], v27
	s_delay_alu instid0(VALU_DEP_3) | instskip(NEXT) | instid1(VALU_DEP_3)
	v_add_f64 v[12:13], v[12:13], -v[15:16]
	v_add_f64 v[19:20], v[21:22], v[17:18]
	s_delay_alu instid0(VALU_DEP_3) | instskip(NEXT) | instid1(VALU_DEP_3)
	v_mul_f64 v[25:26], v[23:24], s[0:1]
	v_ldexp_f64 v[12:13], v[12:13], 1
	s_delay_alu instid0(VALU_DEP_3) | instskip(NEXT) | instid1(VALU_DEP_3)
	v_add_f64 v[15:16], v[19:20], -v[21:22]
	v_fma_f64 v[21:22], v[23:24], s[0:1], -v[25:26]
	s_mov_b32 s0, 0x3b39803f
	s_mov_b32 s1, 0x3c7abc9e
	s_delay_alu instid0(VALU_DEP_2) | instskip(NEXT) | instid1(VALU_DEP_2)
	v_add_f64 v[15:16], v[17:18], -v[15:16]
	v_fma_f64 v[17:18], v[23:24], s[0:1], v[21:22]
	v_cmp_class_f64_e64 s0, v[10:11], 0x204
	s_delay_alu instid0(VALU_DEP_3) | instskip(NEXT) | instid1(VALU_DEP_3)
	v_add_f64 v[12:13], v[12:13], v[15:16]
	v_add_f64 v[15:16], v[25:26], v[17:18]
	s_delay_alu instid0(VALU_DEP_2) | instskip(NEXT) | instid1(VALU_DEP_2)
	v_add_f64 v[21:22], v[19:20], v[12:13]
	v_add_f64 v[25:26], v[15:16], -v[25:26]
	s_delay_alu instid0(VALU_DEP_2) | instskip(SKIP_1) | instid1(VALU_DEP_3)
	v_add_f64 v[23:24], v[15:16], v[21:22]
	v_add_f64 v[19:20], v[21:22], -v[19:20]
	v_add_f64 v[17:18], v[17:18], -v[25:26]
	s_delay_alu instid0(VALU_DEP_3) | instskip(NEXT) | instid1(VALU_DEP_3)
	v_add_f64 v[27:28], v[23:24], -v[15:16]
	v_add_f64 v[12:13], v[12:13], -v[19:20]
	s_delay_alu instid0(VALU_DEP_2) | instskip(SKIP_1) | instid1(VALU_DEP_3)
	v_add_f64 v[29:30], v[23:24], -v[27:28]
	v_add_f64 v[19:20], v[21:22], -v[27:28]
	v_add_f64 v[21:22], v[17:18], v[12:13]
	s_delay_alu instid0(VALU_DEP_3) | instskip(NEXT) | instid1(VALU_DEP_1)
	v_add_f64 v[15:16], v[15:16], -v[29:30]
	v_add_f64 v[15:16], v[19:20], v[15:16]
	s_delay_alu instid0(VALU_DEP_3) | instskip(NEXT) | instid1(VALU_DEP_2)
	v_add_f64 v[19:20], v[21:22], -v[17:18]
	v_add_f64 v[15:16], v[21:22], v[15:16]
	s_delay_alu instid0(VALU_DEP_2) | instskip(SKIP_1) | instid1(VALU_DEP_3)
	v_add_f64 v[21:22], v[21:22], -v[19:20]
	v_add_f64 v[12:13], v[12:13], -v[19:20]
	v_add_f64 v[25:26], v[23:24], v[15:16]
	s_delay_alu instid0(VALU_DEP_3) | instskip(NEXT) | instid1(VALU_DEP_2)
	v_add_f64 v[17:18], v[17:18], -v[21:22]
	v_add_f64 v[19:20], v[25:26], -v[23:24]
	s_delay_alu instid0(VALU_DEP_2) | instskip(NEXT) | instid1(VALU_DEP_2)
	v_add_f64 v[12:13], v[12:13], v[17:18]
	v_add_f64 v[15:16], v[15:16], -v[19:20]
	s_delay_alu instid0(VALU_DEP_1) | instskip(NEXT) | instid1(VALU_DEP_1)
	v_add_f64 v[12:13], v[12:13], v[15:16]
	v_add_f64 v[12:13], v[25:26], v[12:13]
	s_delay_alu instid0(VALU_DEP_1) | instskip(NEXT) | instid1(VALU_DEP_2)
	v_cndmask_b32_e64 v12, v12, v10, s0
	v_cndmask_b32_e64 v13, v13, v11, s0
	v_cmp_ngt_f64_e64 s0, 0, v[10:11]
	s_delay_alu instid0(VALU_DEP_1) | instskip(SKIP_1) | instid1(VALU_DEP_1)
	v_cndmask_b32_e64 v13, 0x7ff80000, v13, s0
	v_cmp_nge_f64_e64 s0, 0, v[10:11]
	v_cndmask_b32_e64 v12, 0, v12, s0
	v_cmp_neq_f64_e64 s0, 0, v[10:11]
	s_delay_alu instid0(VALU_DEP_1) | instskip(NEXT) | instid1(VALU_DEP_1)
	v_cndmask_b32_e64 v13, 0xfff00000, v13, s0
	v_add_f64 v[4:5], v[4:5], -v[12:13]
	global_store_b64 v[2:3], v[4:5], off
.LBB3_7:
	s_or_b32 exec_lo, exec_lo, s2
	v_cmp_ne_u32_e64 s0, 1, v14
	s_delay_alu instid0(VALU_DEP_1)
	s_and_b32 exec_lo, exec_lo, s0
	s_cbranch_execz .LBB3_10
; %bb.8:
	s_and_b32 exec_lo, exec_lo, vcc_lo
	s_cbranch_execz .LBB3_10
; %bb.9:
	s_waitcnt lgkmcnt(0)
	v_add_f64 v[4:5], v[6:7], v[8:9]
	s_mov_b32 s1, 0x3fe55555
	s_mov_b32 s0, 0x55555555
	;; [unrolled: 1-line block ×7, first 2 shown]
	s_delay_alu instid0(VALU_DEP_1) | instskip(SKIP_1) | instid1(VALU_DEP_2)
	v_frexp_mant_f64_e32 v[6:7], v[4:5]
	v_frexp_exp_i32_f64_e32 v9, v[4:5]
	v_cmp_gt_f64_e32 vcc_lo, s[0:1], v[6:7]
	s_delay_alu instid0(VALU_DEP_2) | instskip(SKIP_4) | instid1(VALU_DEP_1)
	v_subrev_co_ci_u32_e64 v20, s0, 0, v9, vcc_lo
	v_cndmask_b32_e64 v9, 0x3ff00000, 2.0, vcc_lo
	v_cmp_class_f64_e64 vcc_lo, v[4:5], 0x204
	v_mov_b32_e32 v8, 0
	s_mov_b32 s0, 0x55555780
	v_mul_f64 v[6:7], v[6:7], v[8:9]
	s_delay_alu instid0(VALU_DEP_1) | instskip(SKIP_1) | instid1(VALU_DEP_2)
	v_add_f64 v[8:9], v[6:7], 1.0
	v_add_f64 v[14:15], v[6:7], -1.0
	v_rcp_f64_e32 v[10:11], v[8:9]
	v_add_f64 v[16:17], v[8:9], -1.0
	s_delay_alu instid0(VALU_DEP_1) | instskip(SKIP_2) | instid1(VALU_DEP_1)
	v_add_f64 v[6:7], v[6:7], -v[16:17]
	s_waitcnt_depctr 0xfff
	v_fma_f64 v[12:13], -v[8:9], v[10:11], 1.0
	v_fma_f64 v[10:11], v[12:13], v[10:11], v[10:11]
	s_delay_alu instid0(VALU_DEP_1) | instskip(NEXT) | instid1(VALU_DEP_1)
	v_fma_f64 v[12:13], -v[8:9], v[10:11], 1.0
	v_fma_f64 v[10:11], v[12:13], v[10:11], v[10:11]
	s_delay_alu instid0(VALU_DEP_1) | instskip(NEXT) | instid1(VALU_DEP_1)
	v_mul_f64 v[12:13], v[14:15], v[10:11]
	v_mul_f64 v[18:19], v[8:9], v[12:13]
	s_delay_alu instid0(VALU_DEP_1) | instskip(NEXT) | instid1(VALU_DEP_1)
	v_fma_f64 v[8:9], v[12:13], v[8:9], -v[18:19]
	v_fma_f64 v[6:7], v[12:13], v[6:7], v[8:9]
	s_delay_alu instid0(VALU_DEP_1) | instskip(NEXT) | instid1(VALU_DEP_1)
	v_add_f64 v[8:9], v[18:19], v[6:7]
	v_add_f64 v[16:17], v[14:15], -v[8:9]
	v_add_f64 v[18:19], v[8:9], -v[18:19]
	s_delay_alu instid0(VALU_DEP_2) | instskip(NEXT) | instid1(VALU_DEP_2)
	v_add_f64 v[14:15], v[14:15], -v[16:17]
	v_add_f64 v[6:7], v[18:19], -v[6:7]
	s_delay_alu instid0(VALU_DEP_2) | instskip(NEXT) | instid1(VALU_DEP_1)
	v_add_f64 v[8:9], v[14:15], -v[8:9]
	v_add_f64 v[6:7], v[6:7], v[8:9]
	s_delay_alu instid0(VALU_DEP_1) | instskip(NEXT) | instid1(VALU_DEP_1)
	v_add_f64 v[6:7], v[16:17], v[6:7]
	v_mul_f64 v[6:7], v[10:11], v[6:7]
	s_delay_alu instid0(VALU_DEP_1) | instskip(NEXT) | instid1(VALU_DEP_1)
	v_add_f64 v[8:9], v[12:13], v[6:7]
	v_mul_f64 v[10:11], v[8:9], v[8:9]
	s_delay_alu instid0(VALU_DEP_1) | instskip(SKIP_3) | instid1(VALU_DEP_2)
	v_fma_f64 v[14:15], v[10:11], s[4:5], s[2:3]
	s_mov_b32 s2, 0xd7f4df2e
	s_mov_b32 s3, 0x3fc7474d
	v_mul_f64 v[16:17], v[8:9], v[10:11]
	v_fma_f64 v[14:15], v[10:11], v[14:15], s[2:3]
	s_mov_b32 s2, 0x16291751
	s_mov_b32 s3, 0x3fcc71c0
	s_delay_alu instid0(VALU_DEP_1) | instid1(SALU_CYCLE_1)
	v_fma_f64 v[14:15], v[10:11], v[14:15], s[2:3]
	s_mov_b32 s2, 0x9b27acf1
	s_mov_b32 s3, 0x3fd24924
	s_delay_alu instid0(VALU_DEP_1) | instid1(SALU_CYCLE_1)
	;; [unrolled: 4-line block ×3, first 2 shown]
	v_fma_f64 v[14:15], v[10:11], v[14:15], s[2:3]
	s_delay_alu instid0(VALU_DEP_1) | instskip(SKIP_4) | instid1(VALU_DEP_3)
	v_fma_f64 v[10:11], v[10:11], v[14:15], s[0:1]
	v_ldexp_f64 v[14:15], v[8:9], 1
	v_add_f64 v[8:9], v[8:9], -v[12:13]
	s_mov_b32 s0, 0xfefa39ef
	s_mov_b32 s1, 0x3fe62e42
	v_mul_f64 v[10:11], v[16:17], v[10:11]
	v_cvt_f64_i32_e32 v[16:17], v20
	s_delay_alu instid0(VALU_DEP_3) | instskip(NEXT) | instid1(VALU_DEP_3)
	v_add_f64 v[6:7], v[6:7], -v[8:9]
	v_add_f64 v[12:13], v[14:15], v[10:11]
	s_delay_alu instid0(VALU_DEP_3) | instskip(NEXT) | instid1(VALU_DEP_3)
	v_mul_f64 v[18:19], v[16:17], s[0:1]
	v_ldexp_f64 v[6:7], v[6:7], 1
	s_delay_alu instid0(VALU_DEP_3) | instskip(NEXT) | instid1(VALU_DEP_3)
	v_add_f64 v[8:9], v[12:13], -v[14:15]
	v_fma_f64 v[14:15], v[16:17], s[0:1], -v[18:19]
	s_mov_b32 s0, 0x3b39803f
	s_mov_b32 s1, 0x3c7abc9e
	s_delay_alu instid0(VALU_DEP_2) | instskip(NEXT) | instid1(VALU_DEP_2)
	v_add_f64 v[8:9], v[10:11], -v[8:9]
	v_fma_f64 v[10:11], v[16:17], s[0:1], v[14:15]
	s_lshl_b64 s[0:1], s[22:23], 3
	s_delay_alu instid0(VALU_DEP_2) | instskip(NEXT) | instid1(VALU_DEP_2)
	v_add_f64 v[6:7], v[6:7], v[8:9]
	v_add_f64 v[8:9], v[18:19], v[10:11]
	s_delay_alu instid0(VALU_DEP_2) | instskip(NEXT) | instid1(VALU_DEP_2)
	v_add_f64 v[14:15], v[12:13], v[6:7]
	v_add_f64 v[18:19], v[8:9], -v[18:19]
	s_delay_alu instid0(VALU_DEP_2) | instskip(SKIP_1) | instid1(VALU_DEP_3)
	v_add_f64 v[16:17], v[8:9], v[14:15]
	v_add_f64 v[12:13], v[14:15], -v[12:13]
	v_add_f64 v[10:11], v[10:11], -v[18:19]
	s_delay_alu instid0(VALU_DEP_3) | instskip(NEXT) | instid1(VALU_DEP_3)
	v_add_f64 v[20:21], v[16:17], -v[8:9]
	v_add_f64 v[6:7], v[6:7], -v[12:13]
	s_delay_alu instid0(VALU_DEP_2) | instskip(SKIP_1) | instid1(VALU_DEP_3)
	v_add_f64 v[22:23], v[16:17], -v[20:21]
	v_add_f64 v[12:13], v[14:15], -v[20:21]
	v_add_f64 v[14:15], v[10:11], v[6:7]
	s_delay_alu instid0(VALU_DEP_3) | instskip(NEXT) | instid1(VALU_DEP_1)
	v_add_f64 v[8:9], v[8:9], -v[22:23]
	v_add_f64 v[8:9], v[12:13], v[8:9]
	s_delay_alu instid0(VALU_DEP_3) | instskip(NEXT) | instid1(VALU_DEP_2)
	v_add_f64 v[12:13], v[14:15], -v[10:11]
	v_add_f64 v[8:9], v[14:15], v[8:9]
	s_delay_alu instid0(VALU_DEP_2) | instskip(SKIP_1) | instid1(VALU_DEP_3)
	v_add_f64 v[14:15], v[14:15], -v[12:13]
	v_add_f64 v[6:7], v[6:7], -v[12:13]
	v_add_f64 v[18:19], v[16:17], v[8:9]
	s_delay_alu instid0(VALU_DEP_3) | instskip(NEXT) | instid1(VALU_DEP_2)
	v_add_f64 v[10:11], v[10:11], -v[14:15]
	v_add_f64 v[12:13], v[18:19], -v[16:17]
	s_delay_alu instid0(VALU_DEP_2) | instskip(NEXT) | instid1(VALU_DEP_2)
	v_add_f64 v[6:7], v[6:7], v[10:11]
	v_add_f64 v[8:9], v[8:9], -v[12:13]
	s_delay_alu instid0(VALU_DEP_1) | instskip(NEXT) | instid1(VALU_DEP_1)
	v_add_f64 v[6:7], v[6:7], v[8:9]
	v_add_f64 v[6:7], v[18:19], v[6:7]
	s_delay_alu instid0(VALU_DEP_1) | instskip(SKIP_1) | instid1(VALU_DEP_2)
	v_dual_cndmask_b32 v7, v7, v5 :: v_dual_cndmask_b32 v6, v6, v4
	v_cmp_ngt_f64_e32 vcc_lo, 0, v[4:5]
	v_cndmask_b32_e32 v7, 0x7ff80000, v7, vcc_lo
	v_cmp_nge_f64_e32 vcc_lo, 0, v[4:5]
	s_delay_alu instid0(VALU_DEP_4) | instskip(SKIP_1) | instid1(VALU_DEP_4)
	v_cndmask_b32_e32 v6, 0, v6, vcc_lo
	v_cmp_neq_f64_e32 vcc_lo, 0, v[4:5]
	v_cndmask_b32_e32 v7, 0xfff00000, v7, vcc_lo
	v_add_co_u32 v2, vcc_lo, v2, s0
	v_add_co_ci_u32_e32 v3, vcc_lo, s1, v3, vcc_lo
	s_delay_alu instid0(VALU_DEP_3)
	v_add_f64 v[0:1], v[0:1], -v[6:7]
	global_store_b64 v[2:3], v[0:1], off
.LBB3_10:
	s_nop 0
	s_sendmsg sendmsg(MSG_DEALLOC_VGPRS)
	s_endpgm
	.section	.rodata,"a",@progbits
	.p2align	6, 0x0
	.amdhsa_kernel _ZN12_GLOBAL__N_120softmax_warp_forwardIdddLi1ELb1ELb0ELi32EEEvPT0_PKT_iiiPKbib
		.amdhsa_group_segment_fixed_size 0
		.amdhsa_private_segment_fixed_size 0
		.amdhsa_kernarg_size 304
		.amdhsa_user_sgpr_count 15
		.amdhsa_user_sgpr_dispatch_ptr 0
		.amdhsa_user_sgpr_queue_ptr 0
		.amdhsa_user_sgpr_kernarg_segment_ptr 1
		.amdhsa_user_sgpr_dispatch_id 0
		.amdhsa_user_sgpr_private_segment_size 0
		.amdhsa_wavefront_size32 1
		.amdhsa_uses_dynamic_stack 0
		.amdhsa_enable_private_segment 0
		.amdhsa_system_sgpr_workgroup_id_x 1
		.amdhsa_system_sgpr_workgroup_id_y 0
		.amdhsa_system_sgpr_workgroup_id_z 0
		.amdhsa_system_sgpr_workgroup_info 0
		.amdhsa_system_vgpr_workitem_id 1
		.amdhsa_next_free_vgpr 31
		.amdhsa_next_free_sgpr 24
		.amdhsa_reserve_vcc 1
		.amdhsa_float_round_mode_32 0
		.amdhsa_float_round_mode_16_64 0
		.amdhsa_float_denorm_mode_32 3
		.amdhsa_float_denorm_mode_16_64 3
		.amdhsa_dx10_clamp 1
		.amdhsa_ieee_mode 1
		.amdhsa_fp16_overflow 0
		.amdhsa_workgroup_processor_mode 1
		.amdhsa_memory_ordered 1
		.amdhsa_forward_progress 0
		.amdhsa_shared_vgpr_count 0
		.amdhsa_exception_fp_ieee_invalid_op 0
		.amdhsa_exception_fp_denorm_src 0
		.amdhsa_exception_fp_ieee_div_zero 0
		.amdhsa_exception_fp_ieee_overflow 0
		.amdhsa_exception_fp_ieee_underflow 0
		.amdhsa_exception_fp_ieee_inexact 0
		.amdhsa_exception_int_div_zero 0
	.end_amdhsa_kernel
	.section	.text._ZN12_GLOBAL__N_120softmax_warp_forwardIdddLi1ELb1ELb0ELi32EEEvPT0_PKT_iiiPKbib,"axG",@progbits,_ZN12_GLOBAL__N_120softmax_warp_forwardIdddLi1ELb1ELb0ELi32EEEvPT0_PKT_iiiPKbib,comdat
.Lfunc_end3:
	.size	_ZN12_GLOBAL__N_120softmax_warp_forwardIdddLi1ELb1ELb0ELi32EEEvPT0_PKT_iiiPKbib, .Lfunc_end3-_ZN12_GLOBAL__N_120softmax_warp_forwardIdddLi1ELb1ELb0ELi32EEEvPT0_PKT_iiiPKbib
                                        ; -- End function
	.section	.AMDGPU.csdata,"",@progbits
; Kernel info:
; codeLenInByte = 3184
; NumSgprs: 26
; NumVgprs: 31
; ScratchSize: 0
; MemoryBound: 0
; FloatMode: 240
; IeeeMode: 1
; LDSByteSize: 0 bytes/workgroup (compile time only)
; SGPRBlocks: 3
; VGPRBlocks: 3
; NumSGPRsForWavesPerEU: 26
; NumVGPRsForWavesPerEU: 31
; Occupancy: 16
; WaveLimiterHint : 0
; COMPUTE_PGM_RSRC2:SCRATCH_EN: 0
; COMPUTE_PGM_RSRC2:USER_SGPR: 15
; COMPUTE_PGM_RSRC2:TRAP_HANDLER: 0
; COMPUTE_PGM_RSRC2:TGID_X_EN: 1
; COMPUTE_PGM_RSRC2:TGID_Y_EN: 0
; COMPUTE_PGM_RSRC2:TGID_Z_EN: 0
; COMPUTE_PGM_RSRC2:TIDIG_COMP_CNT: 1
	.section	.text._ZN12_GLOBAL__N_120softmax_warp_forwardIdddLi2ELb1ELb0ELi64EEEvPT0_PKT_iiiPKbib,"axG",@progbits,_ZN12_GLOBAL__N_120softmax_warp_forwardIdddLi2ELb1ELb0ELi64EEEvPT0_PKT_iiiPKbib,comdat
	.globl	_ZN12_GLOBAL__N_120softmax_warp_forwardIdddLi2ELb1ELb0ELi64EEEvPT0_PKT_iiiPKbib ; -- Begin function _ZN12_GLOBAL__N_120softmax_warp_forwardIdddLi2ELb1ELb0ELi64EEEvPT0_PKT_iiiPKbib
	.p2align	8
	.type	_ZN12_GLOBAL__N_120softmax_warp_forwardIdddLi2ELb1ELb0ELi64EEEvPT0_PKT_iiiPKbib,@function
_ZN12_GLOBAL__N_120softmax_warp_forwardIdddLi2ELb1ELb0ELi64EEEvPT0_PKT_iiiPKbib: ; @_ZN12_GLOBAL__N_120softmax_warp_forwardIdddLi2ELb1ELb0ELi64EEEvPT0_PKT_iiiPKbib
; %bb.0:
	s_clause 0x1
	s_load_b32 s2, s[0:1], 0x3c
	s_load_b256 s[16:23], s[0:1], 0x0
	v_bfe_u32 v1, v0, 10, 10
	v_and_b32_e32 v4, 0x3ff, v0
	s_waitcnt lgkmcnt(0)
	s_lshr_b32 s0, s2, 16
	s_delay_alu instid0(VALU_DEP_1) | instskip(SKIP_1) | instid1(SALU_CYCLE_1)
	v_cmp_gt_i32_e32 vcc_lo, s22, v4
	s_mul_i32 s15, s15, s0
	v_add_lshl_u32 v2, s15, v1, 1
	s_delay_alu instid0(VALU_DEP_1) | instskip(SKIP_1) | instid1(VALU_DEP_1)
	v_mad_u64_u32 v[0:1], null, v2, s21, v[4:5]
	v_sub_nc_u32_e32 v14, s20, v2
	v_cmp_lt_i32_e64 s0, 0, v14
	s_delay_alu instid0(VALU_DEP_3) | instskip(NEXT) | instid1(VALU_DEP_2)
	v_ashrrev_i32_e32 v1, 31, v0
	s_and_b32 s2, vcc_lo, s0
	s_delay_alu instid0(VALU_DEP_1) | instskip(SKIP_2) | instid1(VALU_DEP_3)
	v_lshlrev_b64 v[2:3], 3, v[0:1]
	v_mov_b32_e32 v0, 0
	v_mov_b32_e32 v1, 0xfff00000
	v_add_co_u32 v6, s1, s18, v2
	s_delay_alu instid0(VALU_DEP_1) | instskip(NEXT) | instid1(VALU_DEP_3)
	v_add_co_ci_u32_e64 v7, s1, s19, v3, s1
	v_dual_mov_b32 v5, v1 :: v_dual_mov_b32 v4, v0
	s_and_saveexec_b32 s1, s2
	s_cbranch_execz .LBB4_2
; %bb.1:
	global_load_b64 v[4:5], v[6:7], off
.LBB4_2:
	s_or_b32 exec_lo, exec_lo, s1
	v_cmp_lt_i32_e64 s1, 1, v14
	s_delay_alu instid0(VALU_DEP_1) | instskip(NEXT) | instid1(SALU_CYCLE_1)
	s_and_b32 s1, vcc_lo, s1
	s_and_saveexec_b32 s2, s1
	s_cbranch_execz .LBB4_4
; %bb.3:
	s_mov_b32 s23, 0
	s_delay_alu instid0(SALU_CYCLE_1) | instskip(NEXT) | instid1(SALU_CYCLE_1)
	s_lshl_b64 s[4:5], s[22:23], 3
	v_add_co_u32 v0, s1, v6, s4
	s_delay_alu instid0(VALU_DEP_1)
	v_add_co_ci_u32_e64 v1, s1, s5, v7, s1
	global_load_b64 v[0:1], v[0:1], off
.LBB4_4:
	s_or_b32 exec_lo, exec_lo, s2
	v_mbcnt_lo_u32_b32 v10, -1, 0
	s_mov_b32 s4, 0x6a5dcb37
	s_mov_b32 s5, 0x3e5ade15
	s_delay_alu instid0(VALU_DEP_1) | instskip(SKIP_2) | instid1(VALU_DEP_3)
	v_and_b32_e32 v6, 28, v10
	v_xor_b32_e32 v7, 2, v10
	v_xor_b32_e32 v12, 1, v10
	v_add_nc_u32_e32 v11, 4, v6
	s_delay_alu instid0(VALU_DEP_1) | instskip(NEXT) | instid1(VALU_DEP_3)
	v_cmp_lt_i32_e64 s1, v7, v11
	v_cmp_lt_i32_e64 s3, v12, v11
	s_delay_alu instid0(VALU_DEP_2) | instskip(NEXT) | instid1(VALU_DEP_2)
	v_cndmask_b32_e64 v6, v10, v7, s1
	v_cndmask_b32_e64 v10, v10, v12, s3
	s_delay_alu instid0(VALU_DEP_2) | instskip(NEXT) | instid1(VALU_DEP_2)
	v_lshlrev_b32_e32 v19, 2, v6
	v_lshlrev_b32_e32 v20, 2, v10
	s_waitcnt vmcnt(0)
	ds_bpermute_b32 v6, v19, v4
	ds_bpermute_b32 v7, v19, v5
	;; [unrolled: 1-line block ×4, first 2 shown]
	s_waitcnt lgkmcnt(2)
	v_cmp_lt_f64_e64 s1, v[4:5], v[6:7]
	s_waitcnt lgkmcnt(0)
	v_cmp_lt_f64_e64 s2, v[0:1], v[8:9]
	s_delay_alu instid0(VALU_DEP_2) | instskip(SKIP_1) | instid1(VALU_DEP_3)
	v_cndmask_b32_e64 v7, v5, v7, s1
	v_cndmask_b32_e64 v6, v4, v6, s1
	v_cndmask_b32_e64 v9, v1, v9, s2
	v_cndmask_b32_e64 v8, v0, v8, s2
	ds_bpermute_b32 v11, v20, v7
	ds_bpermute_b32 v10, v20, v6
	;; [unrolled: 1-line block ×4, first 2 shown]
	s_waitcnt lgkmcnt(2)
	v_cmp_lt_f64_e64 s1, v[6:7], v[10:11]
	s_waitcnt lgkmcnt(0)
	v_cmp_lt_f64_e64 s2, v[8:9], v[12:13]
	s_delay_alu instid0(VALU_DEP_2) | instskip(SKIP_1) | instid1(VALU_DEP_3)
	v_cndmask_b32_e64 v7, v7, v11, s1
	v_cndmask_b32_e64 v6, v6, v10, s1
	;; [unrolled: 1-line block ×4, first 2 shown]
	s_mov_b32 s2, 0x652b82fe
	s_mov_b32 s3, 0x3ff71547
	v_add_f64 v[4:5], v[4:5], -v[6:7]
	s_delay_alu instid0(VALU_DEP_2) | instskip(NEXT) | instid1(VALU_DEP_2)
	v_add_f64 v[0:1], v[0:1], -v[8:9]
	v_mul_f64 v[6:7], v[4:5], s[2:3]
	v_cmp_nlt_f64_e64 s1, 0x40900000, v[4:5]
	s_delay_alu instid0(VALU_DEP_3) | instskip(SKIP_2) | instid1(VALU_DEP_3)
	v_mul_f64 v[8:9], v[0:1], s[2:3]
	s_mov_b32 s2, 0xfefa39ef
	s_mov_b32 s3, 0xbfe62e42
	v_rndne_f64_e32 v[6:7], v[6:7]
	s_delay_alu instid0(VALU_DEP_2) | instskip(NEXT) | instid1(VALU_DEP_2)
	v_rndne_f64_e32 v[8:9], v[8:9]
	v_fma_f64 v[10:11], v[6:7], s[2:3], v[4:5]
	v_cvt_i32_f64_e32 v21, v[6:7]
	s_delay_alu instid0(VALU_DEP_3)
	v_fma_f64 v[12:13], v[8:9], s[2:3], v[0:1]
	s_mov_b32 s2, 0x3b39803f
	s_mov_b32 s3, 0xbc7abc9e
	s_delay_alu instid0(VALU_DEP_3) | instid1(SALU_CYCLE_1)
	v_fma_f64 v[10:11], v[6:7], s[2:3], v[10:11]
	s_delay_alu instid0(VALU_DEP_2)
	v_fma_f64 v[12:13], v[8:9], s[2:3], v[12:13]
	s_mov_b32 s2, 0xfca7ab0c
	s_mov_b32 s3, 0x3e928af3
	s_delay_alu instid0(VALU_DEP_2) | instid1(SALU_CYCLE_1)
	v_fma_f64 v[15:16], v[10:11], s[4:5], s[2:3]
	s_delay_alu instid0(VALU_DEP_2) | instskip(SKIP_3) | instid1(VALU_DEP_3)
	v_fma_f64 v[17:18], v[12:13], s[4:5], s[2:3]
	s_mov_b32 s2, 0x623fde64
	s_mov_b32 s3, 0x3ec71dee
	v_cmp_ngt_f64_e64 s4, 0xc090cc00, v[0:1]
	v_fma_f64 v[15:16], v[10:11], v[15:16], s[2:3]
	s_delay_alu instid0(VALU_DEP_3)
	v_fma_f64 v[17:18], v[12:13], v[17:18], s[2:3]
	s_mov_b32 s2, 0x7c89e6b0
	s_mov_b32 s3, 0x3efa0199
	s_delay_alu instid0(VALU_DEP_2) | instid1(SALU_CYCLE_1)
	v_fma_f64 v[15:16], v[10:11], v[15:16], s[2:3]
	s_delay_alu instid0(VALU_DEP_2)
	v_fma_f64 v[17:18], v[12:13], v[17:18], s[2:3]
	s_mov_b32 s2, 0x14761f6e
	s_mov_b32 s3, 0x3f2a01a0
	s_delay_alu instid0(VALU_DEP_2) | instid1(SALU_CYCLE_1)
	v_fma_f64 v[15:16], v[10:11], v[15:16], s[2:3]
	s_delay_alu instid0(VALU_DEP_2)
	;; [unrolled: 6-line block ×6, first 2 shown]
	v_fma_f64 v[17:18], v[12:13], v[17:18], s[2:3]
	s_mov_b32 s2, 11
	s_mov_b32 s3, 0x3fe00000
	s_delay_alu instid0(VALU_DEP_2) | instid1(SALU_CYCLE_1)
	v_fma_f64 v[15:16], v[10:11], v[15:16], s[2:3]
	s_delay_alu instid0(VALU_DEP_2) | instskip(SKIP_2) | instid1(VALU_DEP_4)
	v_fma_f64 v[17:18], v[12:13], v[17:18], s[2:3]
	v_cmp_nlt_f64_e64 s3, 0x40900000, v[0:1]
	v_cmp_ngt_f64_e64 s2, 0xc090cc00, v[4:5]
	v_fma_f64 v[15:16], v[10:11], v[15:16], 1.0
	s_delay_alu instid0(VALU_DEP_4) | instskip(NEXT) | instid1(VALU_DEP_2)
	v_fma_f64 v[17:18], v[12:13], v[17:18], 1.0
	v_fma_f64 v[6:7], v[10:11], v[15:16], 1.0
	v_cvt_i32_f64_e32 v10, v[8:9]
	s_delay_alu instid0(VALU_DEP_3) | instskip(NEXT) | instid1(VALU_DEP_3)
	v_fma_f64 v[8:9], v[12:13], v[17:18], 1.0
	v_ldexp_f64 v[6:7], v[6:7], v21
	s_delay_alu instid0(VALU_DEP_2) | instskip(NEXT) | instid1(VALU_DEP_2)
	v_ldexp_f64 v[8:9], v[8:9], v10
	v_add_f64 v[6:7], v[6:7], 0
	s_delay_alu instid0(VALU_DEP_2) | instskip(NEXT) | instid1(VALU_DEP_2)
	v_add_f64 v[8:9], v[8:9], 0
	v_cndmask_b32_e64 v7, 0x7ff00000, v7, s1
	s_and_b32 s1, s2, s1
	s_delay_alu instid0(VALU_DEP_2) | instskip(NEXT) | instid1(VALU_DEP_4)
	v_cndmask_b32_e64 v9, 0x7ff00000, v9, s3
	v_cndmask_b32_e64 v6, 0, v6, s1
	s_and_b32 s1, s4, s3
	v_cndmask_b32_e64 v7, 0, v7, s2
	v_cndmask_b32_e64 v8, 0, v8, s1
	;; [unrolled: 1-line block ×3, first 2 shown]
	ds_bpermute_b32 v10, v19, v6
	ds_bpermute_b32 v11, v19, v7
	ds_bpermute_b32 v12, v19, v8
	ds_bpermute_b32 v13, v19, v9
	s_waitcnt lgkmcnt(2)
	v_add_f64 v[10:11], v[6:7], v[10:11]
	s_waitcnt lgkmcnt(0)
	v_add_f64 v[6:7], v[8:9], v[12:13]
	ds_bpermute_b32 v12, v20, v10
	ds_bpermute_b32 v13, v20, v11
	;; [unrolled: 1-line block ×4, first 2 shown]
	s_and_saveexec_b32 s1, s0
	s_cbranch_execz .LBB4_10
; %bb.5:
	v_add_co_u32 v2, s0, s16, v2
	s_delay_alu instid0(VALU_DEP_1)
	v_add_co_ci_u32_e64 v3, s0, s17, v3, s0
	s_and_saveexec_b32 s2, vcc_lo
	s_cbranch_execz .LBB4_7
; %bb.6:
	s_waitcnt lgkmcnt(2)
	v_add_f64 v[10:11], v[10:11], v[12:13]
	s_mov_b32 s5, 0x3fe55555
	s_mov_b32 s4, 0x55555555
	v_mov_b32_e32 v15, 0
	s_mov_b32 s6, 0xbf559e2b
	s_mov_b32 s7, 0x3fc3ab76
	s_delay_alu instid0(VALU_DEP_2) | instskip(SKIP_1) | instid1(VALU_DEP_2)
	v_frexp_mant_f64_e32 v[12:13], v[10:11]
	v_frexp_exp_i32_f64_e32 v16, v[10:11]
	v_cmp_gt_f64_e64 s0, s[4:5], v[12:13]
	s_mov_b32 s4, 0x55555780
	s_delay_alu instid0(VALU_DEP_1) | instskip(SKIP_3) | instid1(VALU_DEP_1)
	v_subrev_co_ci_u32_e64 v27, s1, 0, v16, s0
	v_cndmask_b32_e64 v16, 0x3ff00000, 2.0, s0
	s_mov_b32 s0, 0x6b47b09a
	s_mov_b32 s1, 0x3fc38538
	v_mul_f64 v[12:13], v[12:13], v[15:16]
	s_delay_alu instid0(VALU_DEP_1) | instskip(SKIP_1) | instid1(VALU_DEP_2)
	v_add_f64 v[15:16], v[12:13], 1.0
	v_add_f64 v[21:22], v[12:13], -1.0
	v_rcp_f64_e32 v[17:18], v[15:16]
	v_add_f64 v[23:24], v[15:16], -1.0
	s_delay_alu instid0(VALU_DEP_1) | instskip(SKIP_2) | instid1(VALU_DEP_1)
	v_add_f64 v[12:13], v[12:13], -v[23:24]
	s_waitcnt_depctr 0xfff
	v_fma_f64 v[19:20], -v[15:16], v[17:18], 1.0
	v_fma_f64 v[17:18], v[19:20], v[17:18], v[17:18]
	s_delay_alu instid0(VALU_DEP_1) | instskip(NEXT) | instid1(VALU_DEP_1)
	v_fma_f64 v[19:20], -v[15:16], v[17:18], 1.0
	v_fma_f64 v[17:18], v[19:20], v[17:18], v[17:18]
	s_delay_alu instid0(VALU_DEP_1) | instskip(NEXT) | instid1(VALU_DEP_1)
	v_mul_f64 v[19:20], v[21:22], v[17:18]
	v_mul_f64 v[25:26], v[15:16], v[19:20]
	s_delay_alu instid0(VALU_DEP_1) | instskip(NEXT) | instid1(VALU_DEP_1)
	v_fma_f64 v[15:16], v[19:20], v[15:16], -v[25:26]
	v_fma_f64 v[12:13], v[19:20], v[12:13], v[15:16]
	s_delay_alu instid0(VALU_DEP_1) | instskip(NEXT) | instid1(VALU_DEP_1)
	v_add_f64 v[15:16], v[25:26], v[12:13]
	v_add_f64 v[23:24], v[21:22], -v[15:16]
	v_add_f64 v[25:26], v[15:16], -v[25:26]
	s_delay_alu instid0(VALU_DEP_2) | instskip(NEXT) | instid1(VALU_DEP_2)
	v_add_f64 v[21:22], v[21:22], -v[23:24]
	v_add_f64 v[12:13], v[25:26], -v[12:13]
	s_delay_alu instid0(VALU_DEP_2) | instskip(NEXT) | instid1(VALU_DEP_1)
	v_add_f64 v[15:16], v[21:22], -v[15:16]
	v_add_f64 v[12:13], v[12:13], v[15:16]
	s_delay_alu instid0(VALU_DEP_1) | instskip(NEXT) | instid1(VALU_DEP_1)
	v_add_f64 v[12:13], v[23:24], v[12:13]
	v_mul_f64 v[12:13], v[17:18], v[12:13]
	s_delay_alu instid0(VALU_DEP_1) | instskip(NEXT) | instid1(VALU_DEP_1)
	v_add_f64 v[15:16], v[19:20], v[12:13]
	v_mul_f64 v[17:18], v[15:16], v[15:16]
	s_delay_alu instid0(VALU_DEP_1) | instskip(SKIP_3) | instid1(VALU_DEP_2)
	v_fma_f64 v[21:22], v[17:18], s[6:7], s[0:1]
	s_mov_b32 s0, 0xd7f4df2e
	s_mov_b32 s1, 0x3fc7474d
	v_mul_f64 v[23:24], v[15:16], v[17:18]
	v_fma_f64 v[21:22], v[17:18], v[21:22], s[0:1]
	s_mov_b32 s0, 0x16291751
	s_mov_b32 s1, 0x3fcc71c0
	s_delay_alu instid0(VALU_DEP_1) | instid1(SALU_CYCLE_1)
	v_fma_f64 v[21:22], v[17:18], v[21:22], s[0:1]
	s_mov_b32 s0, 0x9b27acf1
	s_mov_b32 s1, 0x3fd24924
	s_delay_alu instid0(VALU_DEP_1) | instid1(SALU_CYCLE_1)
	;; [unrolled: 4-line block ×3, first 2 shown]
	v_fma_f64 v[21:22], v[17:18], v[21:22], s[0:1]
	s_mov_b32 s0, 0xfefa39ef
	s_mov_b32 s1, 0x3fe62e42
	s_delay_alu instid0(VALU_DEP_1) | instskip(SKIP_2) | instid1(VALU_DEP_3)
	v_fma_f64 v[17:18], v[17:18], v[21:22], s[4:5]
	v_ldexp_f64 v[21:22], v[15:16], 1
	v_add_f64 v[15:16], v[15:16], -v[19:20]
	v_mul_f64 v[17:18], v[23:24], v[17:18]
	v_cvt_f64_i32_e32 v[23:24], v27
	s_delay_alu instid0(VALU_DEP_3) | instskip(NEXT) | instid1(VALU_DEP_3)
	v_add_f64 v[12:13], v[12:13], -v[15:16]
	v_add_f64 v[19:20], v[21:22], v[17:18]
	s_delay_alu instid0(VALU_DEP_3) | instskip(NEXT) | instid1(VALU_DEP_3)
	v_mul_f64 v[25:26], v[23:24], s[0:1]
	v_ldexp_f64 v[12:13], v[12:13], 1
	s_delay_alu instid0(VALU_DEP_3) | instskip(NEXT) | instid1(VALU_DEP_3)
	v_add_f64 v[15:16], v[19:20], -v[21:22]
	v_fma_f64 v[21:22], v[23:24], s[0:1], -v[25:26]
	s_mov_b32 s0, 0x3b39803f
	s_mov_b32 s1, 0x3c7abc9e
	s_delay_alu instid0(VALU_DEP_2) | instskip(NEXT) | instid1(VALU_DEP_2)
	v_add_f64 v[15:16], v[17:18], -v[15:16]
	v_fma_f64 v[17:18], v[23:24], s[0:1], v[21:22]
	v_cmp_class_f64_e64 s0, v[10:11], 0x204
	s_delay_alu instid0(VALU_DEP_3) | instskip(NEXT) | instid1(VALU_DEP_3)
	v_add_f64 v[12:13], v[12:13], v[15:16]
	v_add_f64 v[15:16], v[25:26], v[17:18]
	s_delay_alu instid0(VALU_DEP_2) | instskip(NEXT) | instid1(VALU_DEP_2)
	v_add_f64 v[21:22], v[19:20], v[12:13]
	v_add_f64 v[25:26], v[15:16], -v[25:26]
	s_delay_alu instid0(VALU_DEP_2) | instskip(SKIP_1) | instid1(VALU_DEP_3)
	v_add_f64 v[23:24], v[15:16], v[21:22]
	v_add_f64 v[19:20], v[21:22], -v[19:20]
	v_add_f64 v[17:18], v[17:18], -v[25:26]
	s_delay_alu instid0(VALU_DEP_3) | instskip(NEXT) | instid1(VALU_DEP_3)
	v_add_f64 v[27:28], v[23:24], -v[15:16]
	v_add_f64 v[12:13], v[12:13], -v[19:20]
	s_delay_alu instid0(VALU_DEP_2) | instskip(SKIP_1) | instid1(VALU_DEP_3)
	v_add_f64 v[29:30], v[23:24], -v[27:28]
	v_add_f64 v[19:20], v[21:22], -v[27:28]
	v_add_f64 v[21:22], v[17:18], v[12:13]
	s_delay_alu instid0(VALU_DEP_3) | instskip(NEXT) | instid1(VALU_DEP_1)
	v_add_f64 v[15:16], v[15:16], -v[29:30]
	v_add_f64 v[15:16], v[19:20], v[15:16]
	s_delay_alu instid0(VALU_DEP_3) | instskip(NEXT) | instid1(VALU_DEP_2)
	v_add_f64 v[19:20], v[21:22], -v[17:18]
	v_add_f64 v[15:16], v[21:22], v[15:16]
	s_delay_alu instid0(VALU_DEP_2) | instskip(SKIP_1) | instid1(VALU_DEP_3)
	v_add_f64 v[21:22], v[21:22], -v[19:20]
	v_add_f64 v[12:13], v[12:13], -v[19:20]
	v_add_f64 v[25:26], v[23:24], v[15:16]
	s_delay_alu instid0(VALU_DEP_3) | instskip(NEXT) | instid1(VALU_DEP_2)
	v_add_f64 v[17:18], v[17:18], -v[21:22]
	v_add_f64 v[19:20], v[25:26], -v[23:24]
	s_delay_alu instid0(VALU_DEP_2) | instskip(NEXT) | instid1(VALU_DEP_2)
	v_add_f64 v[12:13], v[12:13], v[17:18]
	v_add_f64 v[15:16], v[15:16], -v[19:20]
	s_delay_alu instid0(VALU_DEP_1) | instskip(NEXT) | instid1(VALU_DEP_1)
	v_add_f64 v[12:13], v[12:13], v[15:16]
	v_add_f64 v[12:13], v[25:26], v[12:13]
	s_delay_alu instid0(VALU_DEP_1) | instskip(NEXT) | instid1(VALU_DEP_2)
	v_cndmask_b32_e64 v12, v12, v10, s0
	v_cndmask_b32_e64 v13, v13, v11, s0
	v_cmp_ngt_f64_e64 s0, 0, v[10:11]
	s_delay_alu instid0(VALU_DEP_1) | instskip(SKIP_1) | instid1(VALU_DEP_1)
	v_cndmask_b32_e64 v13, 0x7ff80000, v13, s0
	v_cmp_nge_f64_e64 s0, 0, v[10:11]
	v_cndmask_b32_e64 v12, 0, v12, s0
	v_cmp_neq_f64_e64 s0, 0, v[10:11]
	s_delay_alu instid0(VALU_DEP_1) | instskip(NEXT) | instid1(VALU_DEP_1)
	v_cndmask_b32_e64 v13, 0xfff00000, v13, s0
	v_add_f64 v[4:5], v[4:5], -v[12:13]
	global_store_b64 v[2:3], v[4:5], off
.LBB4_7:
	s_or_b32 exec_lo, exec_lo, s2
	v_cmp_ne_u32_e64 s0, 1, v14
	s_delay_alu instid0(VALU_DEP_1)
	s_and_b32 exec_lo, exec_lo, s0
	s_cbranch_execz .LBB4_10
; %bb.8:
	s_and_b32 exec_lo, exec_lo, vcc_lo
	s_cbranch_execz .LBB4_10
; %bb.9:
	s_waitcnt lgkmcnt(0)
	v_add_f64 v[4:5], v[6:7], v[8:9]
	s_mov_b32 s1, 0x3fe55555
	s_mov_b32 s0, 0x55555555
	;; [unrolled: 1-line block ×7, first 2 shown]
	s_delay_alu instid0(VALU_DEP_1) | instskip(SKIP_1) | instid1(VALU_DEP_2)
	v_frexp_mant_f64_e32 v[6:7], v[4:5]
	v_frexp_exp_i32_f64_e32 v9, v[4:5]
	v_cmp_gt_f64_e32 vcc_lo, s[0:1], v[6:7]
	s_delay_alu instid0(VALU_DEP_2) | instskip(SKIP_4) | instid1(VALU_DEP_1)
	v_subrev_co_ci_u32_e64 v20, s0, 0, v9, vcc_lo
	v_cndmask_b32_e64 v9, 0x3ff00000, 2.0, vcc_lo
	v_cmp_class_f64_e64 vcc_lo, v[4:5], 0x204
	v_mov_b32_e32 v8, 0
	s_mov_b32 s0, 0x55555780
	v_mul_f64 v[6:7], v[6:7], v[8:9]
	s_delay_alu instid0(VALU_DEP_1) | instskip(SKIP_1) | instid1(VALU_DEP_2)
	v_add_f64 v[8:9], v[6:7], 1.0
	v_add_f64 v[14:15], v[6:7], -1.0
	v_rcp_f64_e32 v[10:11], v[8:9]
	v_add_f64 v[16:17], v[8:9], -1.0
	s_delay_alu instid0(VALU_DEP_1) | instskip(SKIP_2) | instid1(VALU_DEP_1)
	v_add_f64 v[6:7], v[6:7], -v[16:17]
	s_waitcnt_depctr 0xfff
	v_fma_f64 v[12:13], -v[8:9], v[10:11], 1.0
	v_fma_f64 v[10:11], v[12:13], v[10:11], v[10:11]
	s_delay_alu instid0(VALU_DEP_1) | instskip(NEXT) | instid1(VALU_DEP_1)
	v_fma_f64 v[12:13], -v[8:9], v[10:11], 1.0
	v_fma_f64 v[10:11], v[12:13], v[10:11], v[10:11]
	s_delay_alu instid0(VALU_DEP_1) | instskip(NEXT) | instid1(VALU_DEP_1)
	v_mul_f64 v[12:13], v[14:15], v[10:11]
	v_mul_f64 v[18:19], v[8:9], v[12:13]
	s_delay_alu instid0(VALU_DEP_1) | instskip(NEXT) | instid1(VALU_DEP_1)
	v_fma_f64 v[8:9], v[12:13], v[8:9], -v[18:19]
	v_fma_f64 v[6:7], v[12:13], v[6:7], v[8:9]
	s_delay_alu instid0(VALU_DEP_1) | instskip(NEXT) | instid1(VALU_DEP_1)
	v_add_f64 v[8:9], v[18:19], v[6:7]
	v_add_f64 v[16:17], v[14:15], -v[8:9]
	v_add_f64 v[18:19], v[8:9], -v[18:19]
	s_delay_alu instid0(VALU_DEP_2) | instskip(NEXT) | instid1(VALU_DEP_2)
	v_add_f64 v[14:15], v[14:15], -v[16:17]
	v_add_f64 v[6:7], v[18:19], -v[6:7]
	s_delay_alu instid0(VALU_DEP_2) | instskip(NEXT) | instid1(VALU_DEP_1)
	v_add_f64 v[8:9], v[14:15], -v[8:9]
	v_add_f64 v[6:7], v[6:7], v[8:9]
	s_delay_alu instid0(VALU_DEP_1) | instskip(NEXT) | instid1(VALU_DEP_1)
	v_add_f64 v[6:7], v[16:17], v[6:7]
	v_mul_f64 v[6:7], v[10:11], v[6:7]
	s_delay_alu instid0(VALU_DEP_1) | instskip(NEXT) | instid1(VALU_DEP_1)
	v_add_f64 v[8:9], v[12:13], v[6:7]
	v_mul_f64 v[10:11], v[8:9], v[8:9]
	s_delay_alu instid0(VALU_DEP_1) | instskip(SKIP_3) | instid1(VALU_DEP_2)
	v_fma_f64 v[14:15], v[10:11], s[4:5], s[2:3]
	s_mov_b32 s2, 0xd7f4df2e
	s_mov_b32 s3, 0x3fc7474d
	v_mul_f64 v[16:17], v[8:9], v[10:11]
	v_fma_f64 v[14:15], v[10:11], v[14:15], s[2:3]
	s_mov_b32 s2, 0x16291751
	s_mov_b32 s3, 0x3fcc71c0
	s_delay_alu instid0(VALU_DEP_1) | instid1(SALU_CYCLE_1)
	v_fma_f64 v[14:15], v[10:11], v[14:15], s[2:3]
	s_mov_b32 s2, 0x9b27acf1
	s_mov_b32 s3, 0x3fd24924
	s_delay_alu instid0(VALU_DEP_1) | instid1(SALU_CYCLE_1)
	;; [unrolled: 4-line block ×3, first 2 shown]
	v_fma_f64 v[14:15], v[10:11], v[14:15], s[2:3]
	s_delay_alu instid0(VALU_DEP_1) | instskip(SKIP_4) | instid1(VALU_DEP_3)
	v_fma_f64 v[10:11], v[10:11], v[14:15], s[0:1]
	v_ldexp_f64 v[14:15], v[8:9], 1
	v_add_f64 v[8:9], v[8:9], -v[12:13]
	s_mov_b32 s0, 0xfefa39ef
	s_mov_b32 s1, 0x3fe62e42
	v_mul_f64 v[10:11], v[16:17], v[10:11]
	v_cvt_f64_i32_e32 v[16:17], v20
	s_delay_alu instid0(VALU_DEP_3) | instskip(NEXT) | instid1(VALU_DEP_3)
	v_add_f64 v[6:7], v[6:7], -v[8:9]
	v_add_f64 v[12:13], v[14:15], v[10:11]
	s_delay_alu instid0(VALU_DEP_3) | instskip(NEXT) | instid1(VALU_DEP_3)
	v_mul_f64 v[18:19], v[16:17], s[0:1]
	v_ldexp_f64 v[6:7], v[6:7], 1
	s_delay_alu instid0(VALU_DEP_3) | instskip(NEXT) | instid1(VALU_DEP_3)
	v_add_f64 v[8:9], v[12:13], -v[14:15]
	v_fma_f64 v[14:15], v[16:17], s[0:1], -v[18:19]
	s_mov_b32 s0, 0x3b39803f
	s_mov_b32 s1, 0x3c7abc9e
	s_delay_alu instid0(VALU_DEP_2) | instskip(NEXT) | instid1(VALU_DEP_2)
	v_add_f64 v[8:9], v[10:11], -v[8:9]
	v_fma_f64 v[10:11], v[16:17], s[0:1], v[14:15]
	s_lshl_b64 s[0:1], s[22:23], 3
	s_delay_alu instid0(VALU_DEP_2) | instskip(NEXT) | instid1(VALU_DEP_2)
	v_add_f64 v[6:7], v[6:7], v[8:9]
	v_add_f64 v[8:9], v[18:19], v[10:11]
	s_delay_alu instid0(VALU_DEP_2) | instskip(NEXT) | instid1(VALU_DEP_2)
	v_add_f64 v[14:15], v[12:13], v[6:7]
	v_add_f64 v[18:19], v[8:9], -v[18:19]
	s_delay_alu instid0(VALU_DEP_2) | instskip(SKIP_1) | instid1(VALU_DEP_3)
	v_add_f64 v[16:17], v[8:9], v[14:15]
	v_add_f64 v[12:13], v[14:15], -v[12:13]
	v_add_f64 v[10:11], v[10:11], -v[18:19]
	s_delay_alu instid0(VALU_DEP_3) | instskip(NEXT) | instid1(VALU_DEP_3)
	v_add_f64 v[20:21], v[16:17], -v[8:9]
	v_add_f64 v[6:7], v[6:7], -v[12:13]
	s_delay_alu instid0(VALU_DEP_2) | instskip(SKIP_1) | instid1(VALU_DEP_3)
	v_add_f64 v[22:23], v[16:17], -v[20:21]
	v_add_f64 v[12:13], v[14:15], -v[20:21]
	v_add_f64 v[14:15], v[10:11], v[6:7]
	s_delay_alu instid0(VALU_DEP_3) | instskip(NEXT) | instid1(VALU_DEP_1)
	v_add_f64 v[8:9], v[8:9], -v[22:23]
	v_add_f64 v[8:9], v[12:13], v[8:9]
	s_delay_alu instid0(VALU_DEP_3) | instskip(NEXT) | instid1(VALU_DEP_2)
	v_add_f64 v[12:13], v[14:15], -v[10:11]
	v_add_f64 v[8:9], v[14:15], v[8:9]
	s_delay_alu instid0(VALU_DEP_2) | instskip(SKIP_1) | instid1(VALU_DEP_3)
	v_add_f64 v[14:15], v[14:15], -v[12:13]
	v_add_f64 v[6:7], v[6:7], -v[12:13]
	v_add_f64 v[18:19], v[16:17], v[8:9]
	s_delay_alu instid0(VALU_DEP_3) | instskip(NEXT) | instid1(VALU_DEP_2)
	v_add_f64 v[10:11], v[10:11], -v[14:15]
	v_add_f64 v[12:13], v[18:19], -v[16:17]
	s_delay_alu instid0(VALU_DEP_2) | instskip(NEXT) | instid1(VALU_DEP_2)
	v_add_f64 v[6:7], v[6:7], v[10:11]
	v_add_f64 v[8:9], v[8:9], -v[12:13]
	s_delay_alu instid0(VALU_DEP_1) | instskip(NEXT) | instid1(VALU_DEP_1)
	v_add_f64 v[6:7], v[6:7], v[8:9]
	v_add_f64 v[6:7], v[18:19], v[6:7]
	s_delay_alu instid0(VALU_DEP_1) | instskip(SKIP_1) | instid1(VALU_DEP_2)
	v_dual_cndmask_b32 v7, v7, v5 :: v_dual_cndmask_b32 v6, v6, v4
	v_cmp_ngt_f64_e32 vcc_lo, 0, v[4:5]
	v_cndmask_b32_e32 v7, 0x7ff80000, v7, vcc_lo
	v_cmp_nge_f64_e32 vcc_lo, 0, v[4:5]
	s_delay_alu instid0(VALU_DEP_4) | instskip(SKIP_1) | instid1(VALU_DEP_4)
	v_cndmask_b32_e32 v6, 0, v6, vcc_lo
	v_cmp_neq_f64_e32 vcc_lo, 0, v[4:5]
	v_cndmask_b32_e32 v7, 0xfff00000, v7, vcc_lo
	v_add_co_u32 v2, vcc_lo, v2, s0
	v_add_co_ci_u32_e32 v3, vcc_lo, s1, v3, vcc_lo
	s_delay_alu instid0(VALU_DEP_3)
	v_add_f64 v[0:1], v[0:1], -v[6:7]
	global_store_b64 v[2:3], v[0:1], off
.LBB4_10:
	s_nop 0
	s_sendmsg sendmsg(MSG_DEALLOC_VGPRS)
	s_endpgm
	.section	.rodata,"a",@progbits
	.p2align	6, 0x0
	.amdhsa_kernel _ZN12_GLOBAL__N_120softmax_warp_forwardIdddLi2ELb1ELb0ELi64EEEvPT0_PKT_iiiPKbib
		.amdhsa_group_segment_fixed_size 0
		.amdhsa_private_segment_fixed_size 0
		.amdhsa_kernarg_size 304
		.amdhsa_user_sgpr_count 15
		.amdhsa_user_sgpr_dispatch_ptr 0
		.amdhsa_user_sgpr_queue_ptr 0
		.amdhsa_user_sgpr_kernarg_segment_ptr 1
		.amdhsa_user_sgpr_dispatch_id 0
		.amdhsa_user_sgpr_private_segment_size 0
		.amdhsa_wavefront_size32 1
		.amdhsa_uses_dynamic_stack 0
		.amdhsa_enable_private_segment 0
		.amdhsa_system_sgpr_workgroup_id_x 1
		.amdhsa_system_sgpr_workgroup_id_y 0
		.amdhsa_system_sgpr_workgroup_id_z 0
		.amdhsa_system_sgpr_workgroup_info 0
		.amdhsa_system_vgpr_workitem_id 1
		.amdhsa_next_free_vgpr 31
		.amdhsa_next_free_sgpr 24
		.amdhsa_reserve_vcc 1
		.amdhsa_float_round_mode_32 0
		.amdhsa_float_round_mode_16_64 0
		.amdhsa_float_denorm_mode_32 3
		.amdhsa_float_denorm_mode_16_64 3
		.amdhsa_dx10_clamp 1
		.amdhsa_ieee_mode 1
		.amdhsa_fp16_overflow 0
		.amdhsa_workgroup_processor_mode 1
		.amdhsa_memory_ordered 1
		.amdhsa_forward_progress 0
		.amdhsa_shared_vgpr_count 0
		.amdhsa_exception_fp_ieee_invalid_op 0
		.amdhsa_exception_fp_denorm_src 0
		.amdhsa_exception_fp_ieee_div_zero 0
		.amdhsa_exception_fp_ieee_overflow 0
		.amdhsa_exception_fp_ieee_underflow 0
		.amdhsa_exception_fp_ieee_inexact 0
		.amdhsa_exception_int_div_zero 0
	.end_amdhsa_kernel
	.section	.text._ZN12_GLOBAL__N_120softmax_warp_forwardIdddLi2ELb1ELb0ELi64EEEvPT0_PKT_iiiPKbib,"axG",@progbits,_ZN12_GLOBAL__N_120softmax_warp_forwardIdddLi2ELb1ELb0ELi64EEEvPT0_PKT_iiiPKbib,comdat
.Lfunc_end4:
	.size	_ZN12_GLOBAL__N_120softmax_warp_forwardIdddLi2ELb1ELb0ELi64EEEvPT0_PKT_iiiPKbib, .Lfunc_end4-_ZN12_GLOBAL__N_120softmax_warp_forwardIdddLi2ELb1ELb0ELi64EEEvPT0_PKT_iiiPKbib
                                        ; -- End function
	.section	.AMDGPU.csdata,"",@progbits
; Kernel info:
; codeLenInByte = 3360
; NumSgprs: 26
; NumVgprs: 31
; ScratchSize: 0
; MemoryBound: 0
; FloatMode: 240
; IeeeMode: 1
; LDSByteSize: 0 bytes/workgroup (compile time only)
; SGPRBlocks: 3
; VGPRBlocks: 3
; NumSGPRsForWavesPerEU: 26
; NumVGPRsForWavesPerEU: 31
; Occupancy: 16
; WaveLimiterHint : 0
; COMPUTE_PGM_RSRC2:SCRATCH_EN: 0
; COMPUTE_PGM_RSRC2:USER_SGPR: 15
; COMPUTE_PGM_RSRC2:TRAP_HANDLER: 0
; COMPUTE_PGM_RSRC2:TGID_X_EN: 1
; COMPUTE_PGM_RSRC2:TGID_Y_EN: 0
; COMPUTE_PGM_RSRC2:TGID_Z_EN: 0
; COMPUTE_PGM_RSRC2:TIDIG_COMP_CNT: 1
	.section	.text._ZN12_GLOBAL__N_120softmax_warp_forwardIdddLi2ELb1ELb0ELi32EEEvPT0_PKT_iiiPKbib,"axG",@progbits,_ZN12_GLOBAL__N_120softmax_warp_forwardIdddLi2ELb1ELb0ELi32EEEvPT0_PKT_iiiPKbib,comdat
	.globl	_ZN12_GLOBAL__N_120softmax_warp_forwardIdddLi2ELb1ELb0ELi32EEEvPT0_PKT_iiiPKbib ; -- Begin function _ZN12_GLOBAL__N_120softmax_warp_forwardIdddLi2ELb1ELb0ELi32EEEvPT0_PKT_iiiPKbib
	.p2align	8
	.type	_ZN12_GLOBAL__N_120softmax_warp_forwardIdddLi2ELb1ELb0ELi32EEEvPT0_PKT_iiiPKbib,@function
_ZN12_GLOBAL__N_120softmax_warp_forwardIdddLi2ELb1ELb0ELi32EEEvPT0_PKT_iiiPKbib: ; @_ZN12_GLOBAL__N_120softmax_warp_forwardIdddLi2ELb1ELb0ELi32EEEvPT0_PKT_iiiPKbib
; %bb.0:
	s_clause 0x1
	s_load_b32 s2, s[0:1], 0x3c
	s_load_b256 s[16:23], s[0:1], 0x0
	v_bfe_u32 v1, v0, 10, 10
	v_and_b32_e32 v4, 0x3ff, v0
	s_waitcnt lgkmcnt(0)
	s_lshr_b32 s0, s2, 16
	s_delay_alu instid0(VALU_DEP_1) | instskip(SKIP_1) | instid1(SALU_CYCLE_1)
	v_cmp_gt_i32_e32 vcc_lo, s22, v4
	s_mul_i32 s15, s15, s0
	v_add_lshl_u32 v2, s15, v1, 1
	s_delay_alu instid0(VALU_DEP_1) | instskip(SKIP_1) | instid1(VALU_DEP_1)
	v_mad_u64_u32 v[0:1], null, v2, s21, v[4:5]
	v_sub_nc_u32_e32 v14, s20, v2
	v_cmp_lt_i32_e64 s0, 0, v14
	s_delay_alu instid0(VALU_DEP_3) | instskip(NEXT) | instid1(VALU_DEP_2)
	v_ashrrev_i32_e32 v1, 31, v0
	s_and_b32 s2, vcc_lo, s0
	s_delay_alu instid0(VALU_DEP_1) | instskip(SKIP_2) | instid1(VALU_DEP_3)
	v_lshlrev_b64 v[2:3], 3, v[0:1]
	v_mov_b32_e32 v0, 0
	v_mov_b32_e32 v1, 0xfff00000
	v_add_co_u32 v6, s1, s18, v2
	s_delay_alu instid0(VALU_DEP_1) | instskip(NEXT) | instid1(VALU_DEP_3)
	v_add_co_ci_u32_e64 v7, s1, s19, v3, s1
	v_dual_mov_b32 v5, v1 :: v_dual_mov_b32 v4, v0
	s_and_saveexec_b32 s1, s2
	s_cbranch_execz .LBB5_2
; %bb.1:
	global_load_b64 v[4:5], v[6:7], off
.LBB5_2:
	s_or_b32 exec_lo, exec_lo, s1
	v_cmp_lt_i32_e64 s1, 1, v14
	s_delay_alu instid0(VALU_DEP_1) | instskip(NEXT) | instid1(SALU_CYCLE_1)
	s_and_b32 s1, vcc_lo, s1
	s_and_saveexec_b32 s2, s1
	s_cbranch_execz .LBB5_4
; %bb.3:
	s_mov_b32 s23, 0
	s_delay_alu instid0(SALU_CYCLE_1) | instskip(NEXT) | instid1(SALU_CYCLE_1)
	s_lshl_b64 s[4:5], s[22:23], 3
	v_add_co_u32 v0, s1, v6, s4
	s_delay_alu instid0(VALU_DEP_1)
	v_add_co_ci_u32_e64 v1, s1, s5, v7, s1
	global_load_b64 v[0:1], v[0:1], off
.LBB5_4:
	s_or_b32 exec_lo, exec_lo, s2
	v_mbcnt_lo_u32_b32 v10, -1, 0
	s_mov_b32 s4, 0x6a5dcb37
	s_mov_b32 s5, 0x3e5ade15
	s_delay_alu instid0(VALU_DEP_1) | instskip(SKIP_2) | instid1(VALU_DEP_3)
	v_and_b32_e32 v6, 28, v10
	v_xor_b32_e32 v7, 2, v10
	v_xor_b32_e32 v12, 1, v10
	v_add_nc_u32_e32 v11, 4, v6
	s_delay_alu instid0(VALU_DEP_1) | instskip(NEXT) | instid1(VALU_DEP_3)
	v_cmp_lt_i32_e64 s1, v7, v11
	v_cmp_lt_i32_e64 s3, v12, v11
	s_delay_alu instid0(VALU_DEP_2) | instskip(NEXT) | instid1(VALU_DEP_2)
	v_cndmask_b32_e64 v6, v10, v7, s1
	v_cndmask_b32_e64 v10, v10, v12, s3
	s_delay_alu instid0(VALU_DEP_2) | instskip(NEXT) | instid1(VALU_DEP_2)
	v_lshlrev_b32_e32 v19, 2, v6
	v_lshlrev_b32_e32 v20, 2, v10
	s_waitcnt vmcnt(0)
	ds_bpermute_b32 v6, v19, v4
	ds_bpermute_b32 v7, v19, v5
	;; [unrolled: 1-line block ×4, first 2 shown]
	s_waitcnt lgkmcnt(2)
	v_cmp_lt_f64_e64 s1, v[4:5], v[6:7]
	s_waitcnt lgkmcnt(0)
	v_cmp_lt_f64_e64 s2, v[0:1], v[8:9]
	s_delay_alu instid0(VALU_DEP_2) | instskip(SKIP_1) | instid1(VALU_DEP_3)
	v_cndmask_b32_e64 v7, v5, v7, s1
	v_cndmask_b32_e64 v6, v4, v6, s1
	;; [unrolled: 1-line block ×4, first 2 shown]
	ds_bpermute_b32 v11, v20, v7
	ds_bpermute_b32 v10, v20, v6
	;; [unrolled: 1-line block ×4, first 2 shown]
	s_waitcnt lgkmcnt(2)
	v_cmp_lt_f64_e64 s1, v[6:7], v[10:11]
	s_waitcnt lgkmcnt(0)
	v_cmp_lt_f64_e64 s2, v[8:9], v[12:13]
	s_delay_alu instid0(VALU_DEP_2) | instskip(SKIP_1) | instid1(VALU_DEP_3)
	v_cndmask_b32_e64 v7, v7, v11, s1
	v_cndmask_b32_e64 v6, v6, v10, s1
	v_cndmask_b32_e64 v9, v9, v13, s2
	v_cndmask_b32_e64 v8, v8, v12, s2
	s_mov_b32 s2, 0x652b82fe
	s_mov_b32 s3, 0x3ff71547
	v_add_f64 v[4:5], v[4:5], -v[6:7]
	s_delay_alu instid0(VALU_DEP_2) | instskip(NEXT) | instid1(VALU_DEP_2)
	v_add_f64 v[0:1], v[0:1], -v[8:9]
	v_mul_f64 v[6:7], v[4:5], s[2:3]
	v_cmp_nlt_f64_e64 s1, 0x40900000, v[4:5]
	s_delay_alu instid0(VALU_DEP_3) | instskip(SKIP_2) | instid1(VALU_DEP_3)
	v_mul_f64 v[8:9], v[0:1], s[2:3]
	s_mov_b32 s2, 0xfefa39ef
	s_mov_b32 s3, 0xbfe62e42
	v_rndne_f64_e32 v[6:7], v[6:7]
	s_delay_alu instid0(VALU_DEP_2) | instskip(NEXT) | instid1(VALU_DEP_2)
	v_rndne_f64_e32 v[8:9], v[8:9]
	v_fma_f64 v[10:11], v[6:7], s[2:3], v[4:5]
	v_cvt_i32_f64_e32 v21, v[6:7]
	s_delay_alu instid0(VALU_DEP_3)
	v_fma_f64 v[12:13], v[8:9], s[2:3], v[0:1]
	s_mov_b32 s2, 0x3b39803f
	s_mov_b32 s3, 0xbc7abc9e
	s_delay_alu instid0(VALU_DEP_3) | instid1(SALU_CYCLE_1)
	v_fma_f64 v[10:11], v[6:7], s[2:3], v[10:11]
	s_delay_alu instid0(VALU_DEP_2)
	v_fma_f64 v[12:13], v[8:9], s[2:3], v[12:13]
	s_mov_b32 s2, 0xfca7ab0c
	s_mov_b32 s3, 0x3e928af3
	s_delay_alu instid0(VALU_DEP_2) | instid1(SALU_CYCLE_1)
	v_fma_f64 v[15:16], v[10:11], s[4:5], s[2:3]
	s_delay_alu instid0(VALU_DEP_2) | instskip(SKIP_3) | instid1(VALU_DEP_3)
	v_fma_f64 v[17:18], v[12:13], s[4:5], s[2:3]
	s_mov_b32 s2, 0x623fde64
	s_mov_b32 s3, 0x3ec71dee
	v_cmp_ngt_f64_e64 s4, 0xc090cc00, v[0:1]
	v_fma_f64 v[15:16], v[10:11], v[15:16], s[2:3]
	s_delay_alu instid0(VALU_DEP_3)
	v_fma_f64 v[17:18], v[12:13], v[17:18], s[2:3]
	s_mov_b32 s2, 0x7c89e6b0
	s_mov_b32 s3, 0x3efa0199
	s_delay_alu instid0(VALU_DEP_2) | instid1(SALU_CYCLE_1)
	v_fma_f64 v[15:16], v[10:11], v[15:16], s[2:3]
	s_delay_alu instid0(VALU_DEP_2)
	v_fma_f64 v[17:18], v[12:13], v[17:18], s[2:3]
	s_mov_b32 s2, 0x14761f6e
	s_mov_b32 s3, 0x3f2a01a0
	s_delay_alu instid0(VALU_DEP_2) | instid1(SALU_CYCLE_1)
	v_fma_f64 v[15:16], v[10:11], v[15:16], s[2:3]
	s_delay_alu instid0(VALU_DEP_2)
	;; [unrolled: 6-line block ×6, first 2 shown]
	v_fma_f64 v[17:18], v[12:13], v[17:18], s[2:3]
	s_mov_b32 s2, 11
	s_mov_b32 s3, 0x3fe00000
	s_delay_alu instid0(VALU_DEP_2) | instid1(SALU_CYCLE_1)
	v_fma_f64 v[15:16], v[10:11], v[15:16], s[2:3]
	s_delay_alu instid0(VALU_DEP_2) | instskip(SKIP_2) | instid1(VALU_DEP_4)
	v_fma_f64 v[17:18], v[12:13], v[17:18], s[2:3]
	v_cmp_nlt_f64_e64 s3, 0x40900000, v[0:1]
	v_cmp_ngt_f64_e64 s2, 0xc090cc00, v[4:5]
	v_fma_f64 v[15:16], v[10:11], v[15:16], 1.0
	s_delay_alu instid0(VALU_DEP_4) | instskip(NEXT) | instid1(VALU_DEP_2)
	v_fma_f64 v[17:18], v[12:13], v[17:18], 1.0
	v_fma_f64 v[6:7], v[10:11], v[15:16], 1.0
	v_cvt_i32_f64_e32 v10, v[8:9]
	s_delay_alu instid0(VALU_DEP_3) | instskip(NEXT) | instid1(VALU_DEP_3)
	v_fma_f64 v[8:9], v[12:13], v[17:18], 1.0
	v_ldexp_f64 v[6:7], v[6:7], v21
	s_delay_alu instid0(VALU_DEP_2) | instskip(NEXT) | instid1(VALU_DEP_2)
	v_ldexp_f64 v[8:9], v[8:9], v10
	v_add_f64 v[6:7], v[6:7], 0
	s_delay_alu instid0(VALU_DEP_2) | instskip(NEXT) | instid1(VALU_DEP_2)
	v_add_f64 v[8:9], v[8:9], 0
	v_cndmask_b32_e64 v7, 0x7ff00000, v7, s1
	s_and_b32 s1, s2, s1
	s_delay_alu instid0(VALU_DEP_2) | instskip(NEXT) | instid1(VALU_DEP_4)
	v_cndmask_b32_e64 v9, 0x7ff00000, v9, s3
	v_cndmask_b32_e64 v6, 0, v6, s1
	s_and_b32 s1, s4, s3
	v_cndmask_b32_e64 v7, 0, v7, s2
	v_cndmask_b32_e64 v8, 0, v8, s1
	;; [unrolled: 1-line block ×3, first 2 shown]
	ds_bpermute_b32 v10, v19, v6
	ds_bpermute_b32 v11, v19, v7
	;; [unrolled: 1-line block ×4, first 2 shown]
	s_waitcnt lgkmcnt(2)
	v_add_f64 v[10:11], v[6:7], v[10:11]
	s_waitcnt lgkmcnt(0)
	v_add_f64 v[6:7], v[8:9], v[12:13]
	ds_bpermute_b32 v12, v20, v10
	ds_bpermute_b32 v13, v20, v11
	;; [unrolled: 1-line block ×4, first 2 shown]
	s_and_saveexec_b32 s1, s0
	s_cbranch_execz .LBB5_10
; %bb.5:
	v_add_co_u32 v2, s0, s16, v2
	s_delay_alu instid0(VALU_DEP_1)
	v_add_co_ci_u32_e64 v3, s0, s17, v3, s0
	s_and_saveexec_b32 s2, vcc_lo
	s_cbranch_execz .LBB5_7
; %bb.6:
	s_waitcnt lgkmcnt(2)
	v_add_f64 v[10:11], v[10:11], v[12:13]
	s_mov_b32 s5, 0x3fe55555
	s_mov_b32 s4, 0x55555555
	v_mov_b32_e32 v15, 0
	s_mov_b32 s6, 0xbf559e2b
	s_mov_b32 s7, 0x3fc3ab76
	s_delay_alu instid0(VALU_DEP_2) | instskip(SKIP_1) | instid1(VALU_DEP_2)
	v_frexp_mant_f64_e32 v[12:13], v[10:11]
	v_frexp_exp_i32_f64_e32 v16, v[10:11]
	v_cmp_gt_f64_e64 s0, s[4:5], v[12:13]
	s_mov_b32 s4, 0x55555780
	s_delay_alu instid0(VALU_DEP_1) | instskip(SKIP_3) | instid1(VALU_DEP_1)
	v_subrev_co_ci_u32_e64 v27, s1, 0, v16, s0
	v_cndmask_b32_e64 v16, 0x3ff00000, 2.0, s0
	s_mov_b32 s0, 0x6b47b09a
	s_mov_b32 s1, 0x3fc38538
	v_mul_f64 v[12:13], v[12:13], v[15:16]
	s_delay_alu instid0(VALU_DEP_1) | instskip(SKIP_1) | instid1(VALU_DEP_2)
	v_add_f64 v[15:16], v[12:13], 1.0
	v_add_f64 v[21:22], v[12:13], -1.0
	v_rcp_f64_e32 v[17:18], v[15:16]
	v_add_f64 v[23:24], v[15:16], -1.0
	s_delay_alu instid0(VALU_DEP_1) | instskip(SKIP_2) | instid1(VALU_DEP_1)
	v_add_f64 v[12:13], v[12:13], -v[23:24]
	s_waitcnt_depctr 0xfff
	v_fma_f64 v[19:20], -v[15:16], v[17:18], 1.0
	v_fma_f64 v[17:18], v[19:20], v[17:18], v[17:18]
	s_delay_alu instid0(VALU_DEP_1) | instskip(NEXT) | instid1(VALU_DEP_1)
	v_fma_f64 v[19:20], -v[15:16], v[17:18], 1.0
	v_fma_f64 v[17:18], v[19:20], v[17:18], v[17:18]
	s_delay_alu instid0(VALU_DEP_1) | instskip(NEXT) | instid1(VALU_DEP_1)
	v_mul_f64 v[19:20], v[21:22], v[17:18]
	v_mul_f64 v[25:26], v[15:16], v[19:20]
	s_delay_alu instid0(VALU_DEP_1) | instskip(NEXT) | instid1(VALU_DEP_1)
	v_fma_f64 v[15:16], v[19:20], v[15:16], -v[25:26]
	v_fma_f64 v[12:13], v[19:20], v[12:13], v[15:16]
	s_delay_alu instid0(VALU_DEP_1) | instskip(NEXT) | instid1(VALU_DEP_1)
	v_add_f64 v[15:16], v[25:26], v[12:13]
	v_add_f64 v[23:24], v[21:22], -v[15:16]
	v_add_f64 v[25:26], v[15:16], -v[25:26]
	s_delay_alu instid0(VALU_DEP_2) | instskip(NEXT) | instid1(VALU_DEP_2)
	v_add_f64 v[21:22], v[21:22], -v[23:24]
	v_add_f64 v[12:13], v[25:26], -v[12:13]
	s_delay_alu instid0(VALU_DEP_2) | instskip(NEXT) | instid1(VALU_DEP_1)
	v_add_f64 v[15:16], v[21:22], -v[15:16]
	v_add_f64 v[12:13], v[12:13], v[15:16]
	s_delay_alu instid0(VALU_DEP_1) | instskip(NEXT) | instid1(VALU_DEP_1)
	v_add_f64 v[12:13], v[23:24], v[12:13]
	v_mul_f64 v[12:13], v[17:18], v[12:13]
	s_delay_alu instid0(VALU_DEP_1) | instskip(NEXT) | instid1(VALU_DEP_1)
	v_add_f64 v[15:16], v[19:20], v[12:13]
	v_mul_f64 v[17:18], v[15:16], v[15:16]
	s_delay_alu instid0(VALU_DEP_1) | instskip(SKIP_3) | instid1(VALU_DEP_2)
	v_fma_f64 v[21:22], v[17:18], s[6:7], s[0:1]
	s_mov_b32 s0, 0xd7f4df2e
	s_mov_b32 s1, 0x3fc7474d
	v_mul_f64 v[23:24], v[15:16], v[17:18]
	v_fma_f64 v[21:22], v[17:18], v[21:22], s[0:1]
	s_mov_b32 s0, 0x16291751
	s_mov_b32 s1, 0x3fcc71c0
	s_delay_alu instid0(VALU_DEP_1) | instid1(SALU_CYCLE_1)
	v_fma_f64 v[21:22], v[17:18], v[21:22], s[0:1]
	s_mov_b32 s0, 0x9b27acf1
	s_mov_b32 s1, 0x3fd24924
	s_delay_alu instid0(VALU_DEP_1) | instid1(SALU_CYCLE_1)
	;; [unrolled: 4-line block ×3, first 2 shown]
	v_fma_f64 v[21:22], v[17:18], v[21:22], s[0:1]
	s_mov_b32 s0, 0xfefa39ef
	s_mov_b32 s1, 0x3fe62e42
	s_delay_alu instid0(VALU_DEP_1) | instskip(SKIP_2) | instid1(VALU_DEP_3)
	v_fma_f64 v[17:18], v[17:18], v[21:22], s[4:5]
	v_ldexp_f64 v[21:22], v[15:16], 1
	v_add_f64 v[15:16], v[15:16], -v[19:20]
	v_mul_f64 v[17:18], v[23:24], v[17:18]
	v_cvt_f64_i32_e32 v[23:24], v27
	s_delay_alu instid0(VALU_DEP_3) | instskip(NEXT) | instid1(VALU_DEP_3)
	v_add_f64 v[12:13], v[12:13], -v[15:16]
	v_add_f64 v[19:20], v[21:22], v[17:18]
	s_delay_alu instid0(VALU_DEP_3) | instskip(NEXT) | instid1(VALU_DEP_3)
	v_mul_f64 v[25:26], v[23:24], s[0:1]
	v_ldexp_f64 v[12:13], v[12:13], 1
	s_delay_alu instid0(VALU_DEP_3) | instskip(NEXT) | instid1(VALU_DEP_3)
	v_add_f64 v[15:16], v[19:20], -v[21:22]
	v_fma_f64 v[21:22], v[23:24], s[0:1], -v[25:26]
	s_mov_b32 s0, 0x3b39803f
	s_mov_b32 s1, 0x3c7abc9e
	s_delay_alu instid0(VALU_DEP_2) | instskip(NEXT) | instid1(VALU_DEP_2)
	v_add_f64 v[15:16], v[17:18], -v[15:16]
	v_fma_f64 v[17:18], v[23:24], s[0:1], v[21:22]
	v_cmp_class_f64_e64 s0, v[10:11], 0x204
	s_delay_alu instid0(VALU_DEP_3) | instskip(NEXT) | instid1(VALU_DEP_3)
	v_add_f64 v[12:13], v[12:13], v[15:16]
	v_add_f64 v[15:16], v[25:26], v[17:18]
	s_delay_alu instid0(VALU_DEP_2) | instskip(NEXT) | instid1(VALU_DEP_2)
	v_add_f64 v[21:22], v[19:20], v[12:13]
	v_add_f64 v[25:26], v[15:16], -v[25:26]
	s_delay_alu instid0(VALU_DEP_2) | instskip(SKIP_1) | instid1(VALU_DEP_3)
	v_add_f64 v[23:24], v[15:16], v[21:22]
	v_add_f64 v[19:20], v[21:22], -v[19:20]
	v_add_f64 v[17:18], v[17:18], -v[25:26]
	s_delay_alu instid0(VALU_DEP_3) | instskip(NEXT) | instid1(VALU_DEP_3)
	v_add_f64 v[27:28], v[23:24], -v[15:16]
	v_add_f64 v[12:13], v[12:13], -v[19:20]
	s_delay_alu instid0(VALU_DEP_2) | instskip(SKIP_1) | instid1(VALU_DEP_3)
	v_add_f64 v[29:30], v[23:24], -v[27:28]
	v_add_f64 v[19:20], v[21:22], -v[27:28]
	v_add_f64 v[21:22], v[17:18], v[12:13]
	s_delay_alu instid0(VALU_DEP_3) | instskip(NEXT) | instid1(VALU_DEP_1)
	v_add_f64 v[15:16], v[15:16], -v[29:30]
	v_add_f64 v[15:16], v[19:20], v[15:16]
	s_delay_alu instid0(VALU_DEP_3) | instskip(NEXT) | instid1(VALU_DEP_2)
	v_add_f64 v[19:20], v[21:22], -v[17:18]
	v_add_f64 v[15:16], v[21:22], v[15:16]
	s_delay_alu instid0(VALU_DEP_2) | instskip(SKIP_1) | instid1(VALU_DEP_3)
	v_add_f64 v[21:22], v[21:22], -v[19:20]
	v_add_f64 v[12:13], v[12:13], -v[19:20]
	v_add_f64 v[25:26], v[23:24], v[15:16]
	s_delay_alu instid0(VALU_DEP_3) | instskip(NEXT) | instid1(VALU_DEP_2)
	v_add_f64 v[17:18], v[17:18], -v[21:22]
	v_add_f64 v[19:20], v[25:26], -v[23:24]
	s_delay_alu instid0(VALU_DEP_2) | instskip(NEXT) | instid1(VALU_DEP_2)
	v_add_f64 v[12:13], v[12:13], v[17:18]
	v_add_f64 v[15:16], v[15:16], -v[19:20]
	s_delay_alu instid0(VALU_DEP_1) | instskip(NEXT) | instid1(VALU_DEP_1)
	v_add_f64 v[12:13], v[12:13], v[15:16]
	v_add_f64 v[12:13], v[25:26], v[12:13]
	s_delay_alu instid0(VALU_DEP_1) | instskip(NEXT) | instid1(VALU_DEP_2)
	v_cndmask_b32_e64 v12, v12, v10, s0
	v_cndmask_b32_e64 v13, v13, v11, s0
	v_cmp_ngt_f64_e64 s0, 0, v[10:11]
	s_delay_alu instid0(VALU_DEP_1) | instskip(SKIP_1) | instid1(VALU_DEP_1)
	v_cndmask_b32_e64 v13, 0x7ff80000, v13, s0
	v_cmp_nge_f64_e64 s0, 0, v[10:11]
	v_cndmask_b32_e64 v12, 0, v12, s0
	v_cmp_neq_f64_e64 s0, 0, v[10:11]
	s_delay_alu instid0(VALU_DEP_1) | instskip(NEXT) | instid1(VALU_DEP_1)
	v_cndmask_b32_e64 v13, 0xfff00000, v13, s0
	v_add_f64 v[4:5], v[4:5], -v[12:13]
	global_store_b64 v[2:3], v[4:5], off
.LBB5_7:
	s_or_b32 exec_lo, exec_lo, s2
	v_cmp_ne_u32_e64 s0, 1, v14
	s_delay_alu instid0(VALU_DEP_1)
	s_and_b32 exec_lo, exec_lo, s0
	s_cbranch_execz .LBB5_10
; %bb.8:
	s_and_b32 exec_lo, exec_lo, vcc_lo
	s_cbranch_execz .LBB5_10
; %bb.9:
	s_waitcnt lgkmcnt(0)
	v_add_f64 v[4:5], v[6:7], v[8:9]
	s_mov_b32 s1, 0x3fe55555
	s_mov_b32 s0, 0x55555555
	;; [unrolled: 1-line block ×7, first 2 shown]
	s_delay_alu instid0(VALU_DEP_1) | instskip(SKIP_1) | instid1(VALU_DEP_2)
	v_frexp_mant_f64_e32 v[6:7], v[4:5]
	v_frexp_exp_i32_f64_e32 v9, v[4:5]
	v_cmp_gt_f64_e32 vcc_lo, s[0:1], v[6:7]
	s_delay_alu instid0(VALU_DEP_2) | instskip(SKIP_4) | instid1(VALU_DEP_1)
	v_subrev_co_ci_u32_e64 v20, s0, 0, v9, vcc_lo
	v_cndmask_b32_e64 v9, 0x3ff00000, 2.0, vcc_lo
	v_cmp_class_f64_e64 vcc_lo, v[4:5], 0x204
	v_mov_b32_e32 v8, 0
	s_mov_b32 s0, 0x55555780
	v_mul_f64 v[6:7], v[6:7], v[8:9]
	s_delay_alu instid0(VALU_DEP_1) | instskip(SKIP_1) | instid1(VALU_DEP_2)
	v_add_f64 v[8:9], v[6:7], 1.0
	v_add_f64 v[14:15], v[6:7], -1.0
	v_rcp_f64_e32 v[10:11], v[8:9]
	v_add_f64 v[16:17], v[8:9], -1.0
	s_delay_alu instid0(VALU_DEP_1) | instskip(SKIP_2) | instid1(VALU_DEP_1)
	v_add_f64 v[6:7], v[6:7], -v[16:17]
	s_waitcnt_depctr 0xfff
	v_fma_f64 v[12:13], -v[8:9], v[10:11], 1.0
	v_fma_f64 v[10:11], v[12:13], v[10:11], v[10:11]
	s_delay_alu instid0(VALU_DEP_1) | instskip(NEXT) | instid1(VALU_DEP_1)
	v_fma_f64 v[12:13], -v[8:9], v[10:11], 1.0
	v_fma_f64 v[10:11], v[12:13], v[10:11], v[10:11]
	s_delay_alu instid0(VALU_DEP_1) | instskip(NEXT) | instid1(VALU_DEP_1)
	v_mul_f64 v[12:13], v[14:15], v[10:11]
	v_mul_f64 v[18:19], v[8:9], v[12:13]
	s_delay_alu instid0(VALU_DEP_1) | instskip(NEXT) | instid1(VALU_DEP_1)
	v_fma_f64 v[8:9], v[12:13], v[8:9], -v[18:19]
	v_fma_f64 v[6:7], v[12:13], v[6:7], v[8:9]
	s_delay_alu instid0(VALU_DEP_1) | instskip(NEXT) | instid1(VALU_DEP_1)
	v_add_f64 v[8:9], v[18:19], v[6:7]
	v_add_f64 v[16:17], v[14:15], -v[8:9]
	v_add_f64 v[18:19], v[8:9], -v[18:19]
	s_delay_alu instid0(VALU_DEP_2) | instskip(NEXT) | instid1(VALU_DEP_2)
	v_add_f64 v[14:15], v[14:15], -v[16:17]
	v_add_f64 v[6:7], v[18:19], -v[6:7]
	s_delay_alu instid0(VALU_DEP_2) | instskip(NEXT) | instid1(VALU_DEP_1)
	v_add_f64 v[8:9], v[14:15], -v[8:9]
	v_add_f64 v[6:7], v[6:7], v[8:9]
	s_delay_alu instid0(VALU_DEP_1) | instskip(NEXT) | instid1(VALU_DEP_1)
	v_add_f64 v[6:7], v[16:17], v[6:7]
	v_mul_f64 v[6:7], v[10:11], v[6:7]
	s_delay_alu instid0(VALU_DEP_1) | instskip(NEXT) | instid1(VALU_DEP_1)
	v_add_f64 v[8:9], v[12:13], v[6:7]
	v_mul_f64 v[10:11], v[8:9], v[8:9]
	s_delay_alu instid0(VALU_DEP_1) | instskip(SKIP_3) | instid1(VALU_DEP_2)
	v_fma_f64 v[14:15], v[10:11], s[4:5], s[2:3]
	s_mov_b32 s2, 0xd7f4df2e
	s_mov_b32 s3, 0x3fc7474d
	v_mul_f64 v[16:17], v[8:9], v[10:11]
	v_fma_f64 v[14:15], v[10:11], v[14:15], s[2:3]
	s_mov_b32 s2, 0x16291751
	s_mov_b32 s3, 0x3fcc71c0
	s_delay_alu instid0(VALU_DEP_1) | instid1(SALU_CYCLE_1)
	v_fma_f64 v[14:15], v[10:11], v[14:15], s[2:3]
	s_mov_b32 s2, 0x9b27acf1
	s_mov_b32 s3, 0x3fd24924
	s_delay_alu instid0(VALU_DEP_1) | instid1(SALU_CYCLE_1)
	;; [unrolled: 4-line block ×3, first 2 shown]
	v_fma_f64 v[14:15], v[10:11], v[14:15], s[2:3]
	s_delay_alu instid0(VALU_DEP_1) | instskip(SKIP_4) | instid1(VALU_DEP_3)
	v_fma_f64 v[10:11], v[10:11], v[14:15], s[0:1]
	v_ldexp_f64 v[14:15], v[8:9], 1
	v_add_f64 v[8:9], v[8:9], -v[12:13]
	s_mov_b32 s0, 0xfefa39ef
	s_mov_b32 s1, 0x3fe62e42
	v_mul_f64 v[10:11], v[16:17], v[10:11]
	v_cvt_f64_i32_e32 v[16:17], v20
	s_delay_alu instid0(VALU_DEP_3) | instskip(NEXT) | instid1(VALU_DEP_3)
	v_add_f64 v[6:7], v[6:7], -v[8:9]
	v_add_f64 v[12:13], v[14:15], v[10:11]
	s_delay_alu instid0(VALU_DEP_3) | instskip(NEXT) | instid1(VALU_DEP_3)
	v_mul_f64 v[18:19], v[16:17], s[0:1]
	v_ldexp_f64 v[6:7], v[6:7], 1
	s_delay_alu instid0(VALU_DEP_3) | instskip(NEXT) | instid1(VALU_DEP_3)
	v_add_f64 v[8:9], v[12:13], -v[14:15]
	v_fma_f64 v[14:15], v[16:17], s[0:1], -v[18:19]
	s_mov_b32 s0, 0x3b39803f
	s_mov_b32 s1, 0x3c7abc9e
	s_delay_alu instid0(VALU_DEP_2) | instskip(NEXT) | instid1(VALU_DEP_2)
	v_add_f64 v[8:9], v[10:11], -v[8:9]
	v_fma_f64 v[10:11], v[16:17], s[0:1], v[14:15]
	s_lshl_b64 s[0:1], s[22:23], 3
	s_delay_alu instid0(VALU_DEP_2) | instskip(NEXT) | instid1(VALU_DEP_2)
	v_add_f64 v[6:7], v[6:7], v[8:9]
	v_add_f64 v[8:9], v[18:19], v[10:11]
	s_delay_alu instid0(VALU_DEP_2) | instskip(NEXT) | instid1(VALU_DEP_2)
	v_add_f64 v[14:15], v[12:13], v[6:7]
	v_add_f64 v[18:19], v[8:9], -v[18:19]
	s_delay_alu instid0(VALU_DEP_2) | instskip(SKIP_1) | instid1(VALU_DEP_3)
	v_add_f64 v[16:17], v[8:9], v[14:15]
	v_add_f64 v[12:13], v[14:15], -v[12:13]
	v_add_f64 v[10:11], v[10:11], -v[18:19]
	s_delay_alu instid0(VALU_DEP_3) | instskip(NEXT) | instid1(VALU_DEP_3)
	v_add_f64 v[20:21], v[16:17], -v[8:9]
	v_add_f64 v[6:7], v[6:7], -v[12:13]
	s_delay_alu instid0(VALU_DEP_2) | instskip(SKIP_1) | instid1(VALU_DEP_3)
	v_add_f64 v[22:23], v[16:17], -v[20:21]
	v_add_f64 v[12:13], v[14:15], -v[20:21]
	v_add_f64 v[14:15], v[10:11], v[6:7]
	s_delay_alu instid0(VALU_DEP_3) | instskip(NEXT) | instid1(VALU_DEP_1)
	v_add_f64 v[8:9], v[8:9], -v[22:23]
	v_add_f64 v[8:9], v[12:13], v[8:9]
	s_delay_alu instid0(VALU_DEP_3) | instskip(NEXT) | instid1(VALU_DEP_2)
	v_add_f64 v[12:13], v[14:15], -v[10:11]
	v_add_f64 v[8:9], v[14:15], v[8:9]
	s_delay_alu instid0(VALU_DEP_2) | instskip(SKIP_1) | instid1(VALU_DEP_3)
	v_add_f64 v[14:15], v[14:15], -v[12:13]
	v_add_f64 v[6:7], v[6:7], -v[12:13]
	v_add_f64 v[18:19], v[16:17], v[8:9]
	s_delay_alu instid0(VALU_DEP_3) | instskip(NEXT) | instid1(VALU_DEP_2)
	v_add_f64 v[10:11], v[10:11], -v[14:15]
	v_add_f64 v[12:13], v[18:19], -v[16:17]
	s_delay_alu instid0(VALU_DEP_2) | instskip(NEXT) | instid1(VALU_DEP_2)
	v_add_f64 v[6:7], v[6:7], v[10:11]
	v_add_f64 v[8:9], v[8:9], -v[12:13]
	s_delay_alu instid0(VALU_DEP_1) | instskip(NEXT) | instid1(VALU_DEP_1)
	v_add_f64 v[6:7], v[6:7], v[8:9]
	v_add_f64 v[6:7], v[18:19], v[6:7]
	s_delay_alu instid0(VALU_DEP_1) | instskip(SKIP_1) | instid1(VALU_DEP_2)
	v_dual_cndmask_b32 v7, v7, v5 :: v_dual_cndmask_b32 v6, v6, v4
	v_cmp_ngt_f64_e32 vcc_lo, 0, v[4:5]
	v_cndmask_b32_e32 v7, 0x7ff80000, v7, vcc_lo
	v_cmp_nge_f64_e32 vcc_lo, 0, v[4:5]
	s_delay_alu instid0(VALU_DEP_4) | instskip(SKIP_1) | instid1(VALU_DEP_4)
	v_cndmask_b32_e32 v6, 0, v6, vcc_lo
	v_cmp_neq_f64_e32 vcc_lo, 0, v[4:5]
	v_cndmask_b32_e32 v7, 0xfff00000, v7, vcc_lo
	v_add_co_u32 v2, vcc_lo, v2, s0
	v_add_co_ci_u32_e32 v3, vcc_lo, s1, v3, vcc_lo
	s_delay_alu instid0(VALU_DEP_3)
	v_add_f64 v[0:1], v[0:1], -v[6:7]
	global_store_b64 v[2:3], v[0:1], off
.LBB5_10:
	s_nop 0
	s_sendmsg sendmsg(MSG_DEALLOC_VGPRS)
	s_endpgm
	.section	.rodata,"a",@progbits
	.p2align	6, 0x0
	.amdhsa_kernel _ZN12_GLOBAL__N_120softmax_warp_forwardIdddLi2ELb1ELb0ELi32EEEvPT0_PKT_iiiPKbib
		.amdhsa_group_segment_fixed_size 0
		.amdhsa_private_segment_fixed_size 0
		.amdhsa_kernarg_size 304
		.amdhsa_user_sgpr_count 15
		.amdhsa_user_sgpr_dispatch_ptr 0
		.amdhsa_user_sgpr_queue_ptr 0
		.amdhsa_user_sgpr_kernarg_segment_ptr 1
		.amdhsa_user_sgpr_dispatch_id 0
		.amdhsa_user_sgpr_private_segment_size 0
		.amdhsa_wavefront_size32 1
		.amdhsa_uses_dynamic_stack 0
		.amdhsa_enable_private_segment 0
		.amdhsa_system_sgpr_workgroup_id_x 1
		.amdhsa_system_sgpr_workgroup_id_y 0
		.amdhsa_system_sgpr_workgroup_id_z 0
		.amdhsa_system_sgpr_workgroup_info 0
		.amdhsa_system_vgpr_workitem_id 1
		.amdhsa_next_free_vgpr 31
		.amdhsa_next_free_sgpr 24
		.amdhsa_reserve_vcc 1
		.amdhsa_float_round_mode_32 0
		.amdhsa_float_round_mode_16_64 0
		.amdhsa_float_denorm_mode_32 3
		.amdhsa_float_denorm_mode_16_64 3
		.amdhsa_dx10_clamp 1
		.amdhsa_ieee_mode 1
		.amdhsa_fp16_overflow 0
		.amdhsa_workgroup_processor_mode 1
		.amdhsa_memory_ordered 1
		.amdhsa_forward_progress 0
		.amdhsa_shared_vgpr_count 0
		.amdhsa_exception_fp_ieee_invalid_op 0
		.amdhsa_exception_fp_denorm_src 0
		.amdhsa_exception_fp_ieee_div_zero 0
		.amdhsa_exception_fp_ieee_overflow 0
		.amdhsa_exception_fp_ieee_underflow 0
		.amdhsa_exception_fp_ieee_inexact 0
		.amdhsa_exception_int_div_zero 0
	.end_amdhsa_kernel
	.section	.text._ZN12_GLOBAL__N_120softmax_warp_forwardIdddLi2ELb1ELb0ELi32EEEvPT0_PKT_iiiPKbib,"axG",@progbits,_ZN12_GLOBAL__N_120softmax_warp_forwardIdddLi2ELb1ELb0ELi32EEEvPT0_PKT_iiiPKbib,comdat
.Lfunc_end5:
	.size	_ZN12_GLOBAL__N_120softmax_warp_forwardIdddLi2ELb1ELb0ELi32EEEvPT0_PKT_iiiPKbib, .Lfunc_end5-_ZN12_GLOBAL__N_120softmax_warp_forwardIdddLi2ELb1ELb0ELi32EEEvPT0_PKT_iiiPKbib
                                        ; -- End function
	.section	.AMDGPU.csdata,"",@progbits
; Kernel info:
; codeLenInByte = 3360
; NumSgprs: 26
; NumVgprs: 31
; ScratchSize: 0
; MemoryBound: 0
; FloatMode: 240
; IeeeMode: 1
; LDSByteSize: 0 bytes/workgroup (compile time only)
; SGPRBlocks: 3
; VGPRBlocks: 3
; NumSGPRsForWavesPerEU: 26
; NumVGPRsForWavesPerEU: 31
; Occupancy: 16
; WaveLimiterHint : 0
; COMPUTE_PGM_RSRC2:SCRATCH_EN: 0
; COMPUTE_PGM_RSRC2:USER_SGPR: 15
; COMPUTE_PGM_RSRC2:TRAP_HANDLER: 0
; COMPUTE_PGM_RSRC2:TGID_X_EN: 1
; COMPUTE_PGM_RSRC2:TGID_Y_EN: 0
; COMPUTE_PGM_RSRC2:TGID_Z_EN: 0
; COMPUTE_PGM_RSRC2:TIDIG_COMP_CNT: 1
	.section	.text._ZN12_GLOBAL__N_120softmax_warp_forwardIdddLi3ELb1ELb0ELi64EEEvPT0_PKT_iiiPKbib,"axG",@progbits,_ZN12_GLOBAL__N_120softmax_warp_forwardIdddLi3ELb1ELb0ELi64EEEvPT0_PKT_iiiPKbib,comdat
	.globl	_ZN12_GLOBAL__N_120softmax_warp_forwardIdddLi3ELb1ELb0ELi64EEEvPT0_PKT_iiiPKbib ; -- Begin function _ZN12_GLOBAL__N_120softmax_warp_forwardIdddLi3ELb1ELb0ELi64EEEvPT0_PKT_iiiPKbib
	.p2align	8
	.type	_ZN12_GLOBAL__N_120softmax_warp_forwardIdddLi3ELb1ELb0ELi64EEEvPT0_PKT_iiiPKbib,@function
_ZN12_GLOBAL__N_120softmax_warp_forwardIdddLi3ELb1ELb0ELi64EEEvPT0_PKT_iiiPKbib: ; @_ZN12_GLOBAL__N_120softmax_warp_forwardIdddLi3ELb1ELb0ELi64EEEvPT0_PKT_iiiPKbib
; %bb.0:
	s_clause 0x1
	s_load_b32 s2, s[0:1], 0x3c
	s_load_b256 s[16:23], s[0:1], 0x0
	v_bfe_u32 v1, v0, 10, 10
	v_and_b32_e32 v2, 0x3ff, v0
	s_waitcnt lgkmcnt(0)
	s_lshr_b32 s0, s2, 16
	s_delay_alu instid0(VALU_DEP_1) | instskip(SKIP_1) | instid1(SALU_CYCLE_1)
	v_cmp_gt_i32_e32 vcc_lo, s22, v2
	s_mul_i32 s15, s15, s0
	v_add_lshl_u32 v3, s15, v1, 1
	s_delay_alu instid0(VALU_DEP_1) | instskip(SKIP_1) | instid1(VALU_DEP_1)
	v_mad_u64_u32 v[0:1], null, v3, s21, v[2:3]
	v_sub_nc_u32_e32 v14, s20, v3
	v_cmp_lt_i32_e64 s0, 0, v14
	s_delay_alu instid0(VALU_DEP_3) | instskip(NEXT) | instid1(VALU_DEP_2)
	v_ashrrev_i32_e32 v1, 31, v0
	s_and_b32 s2, vcc_lo, s0
	s_delay_alu instid0(VALU_DEP_1) | instskip(SKIP_2) | instid1(VALU_DEP_3)
	v_lshlrev_b64 v[4:5], 3, v[0:1]
	v_mov_b32_e32 v0, 0
	v_mov_b32_e32 v1, 0xfff00000
	v_add_co_u32 v6, s1, s18, v4
	s_delay_alu instid0(VALU_DEP_1) | instskip(NEXT) | instid1(VALU_DEP_3)
	v_add_co_ci_u32_e64 v7, s1, s19, v5, s1
	v_dual_mov_b32 v3, v1 :: v_dual_mov_b32 v2, v0
	s_and_saveexec_b32 s1, s2
	s_cbranch_execz .LBB6_2
; %bb.1:
	global_load_b64 v[2:3], v[6:7], off
.LBB6_2:
	s_or_b32 exec_lo, exec_lo, s1
	v_cmp_lt_i32_e64 s1, 1, v14
	s_delay_alu instid0(VALU_DEP_1) | instskip(NEXT) | instid1(SALU_CYCLE_1)
	s_and_b32 s1, vcc_lo, s1
	s_and_saveexec_b32 s2, s1
	s_cbranch_execz .LBB6_4
; %bb.3:
	s_mov_b32 s23, 0
	s_delay_alu instid0(SALU_CYCLE_1) | instskip(NEXT) | instid1(SALU_CYCLE_1)
	s_lshl_b64 s[4:5], s[22:23], 3
	v_add_co_u32 v0, s1, v6, s4
	s_delay_alu instid0(VALU_DEP_1)
	v_add_co_ci_u32_e64 v1, s1, s5, v7, s1
	global_load_b64 v[0:1], v[0:1], off
.LBB6_4:
	s_or_b32 exec_lo, exec_lo, s2
	v_mbcnt_lo_u32_b32 v15, -1, 0
	s_mov_b32 s4, 0x6a5dcb37
	s_mov_b32 s5, 0x3e5ade15
	s_delay_alu instid0(VALU_DEP_1) | instskip(SKIP_3) | instid1(VALU_DEP_4)
	v_and_b32_e32 v6, 24, v15
	v_xor_b32_e32 v7, 4, v15
	v_xor_b32_e32 v10, 2, v15
	;; [unrolled: 1-line block ×3, first 2 shown]
	v_add_nc_u32_e32 v16, 8, v6
	s_delay_alu instid0(VALU_DEP_1) | instskip(NEXT) | instid1(VALU_DEP_4)
	v_cmp_lt_i32_e64 s1, v7, v16
	v_cmp_lt_i32_e64 s3, v10, v16
	s_delay_alu instid0(VALU_DEP_2) | instskip(NEXT) | instid1(VALU_DEP_2)
	v_cndmask_b32_e64 v6, v15, v7, s1
	v_cndmask_b32_e64 v10, v15, v10, s3
	v_cmp_lt_i32_e64 s3, v17, v16
	s_delay_alu instid0(VALU_DEP_3) | instskip(NEXT) | instid1(VALU_DEP_3)
	v_lshlrev_b32_e32 v19, 2, v6
	v_lshlrev_b32_e32 v20, 2, v10
	s_delay_alu instid0(VALU_DEP_3)
	v_cndmask_b32_e64 v15, v15, v17, s3
	s_waitcnt vmcnt(0)
	ds_bpermute_b32 v6, v19, v2
	ds_bpermute_b32 v7, v19, v3
	;; [unrolled: 1-line block ×4, first 2 shown]
	v_lshlrev_b32_e32 v21, 2, v15
	s_waitcnt lgkmcnt(2)
	v_cmp_lt_f64_e64 s1, v[2:3], v[6:7]
	s_waitcnt lgkmcnt(0)
	v_cmp_lt_f64_e64 s2, v[0:1], v[8:9]
	s_delay_alu instid0(VALU_DEP_2) | instskip(SKIP_1) | instid1(VALU_DEP_3)
	v_cndmask_b32_e64 v7, v3, v7, s1
	v_cndmask_b32_e64 v6, v2, v6, s1
	;; [unrolled: 1-line block ×4, first 2 shown]
	ds_bpermute_b32 v11, v20, v7
	ds_bpermute_b32 v10, v20, v6
	;; [unrolled: 1-line block ×4, first 2 shown]
	s_waitcnt lgkmcnt(2)
	v_cmp_lt_f64_e64 s1, v[6:7], v[10:11]
	s_waitcnt lgkmcnt(0)
	v_cmp_lt_f64_e64 s2, v[8:9], v[12:13]
	s_delay_alu instid0(VALU_DEP_2) | instskip(SKIP_1) | instid1(VALU_DEP_3)
	v_cndmask_b32_e64 v7, v7, v11, s1
	v_cndmask_b32_e64 v6, v6, v10, s1
	v_cndmask_b32_e64 v9, v9, v13, s2
	v_cndmask_b32_e64 v8, v8, v12, s2
	ds_bpermute_b32 v11, v21, v7
	ds_bpermute_b32 v10, v21, v6
	;; [unrolled: 1-line block ×4, first 2 shown]
	s_waitcnt lgkmcnt(2)
	v_cmp_lt_f64_e64 s1, v[6:7], v[10:11]
	s_waitcnt lgkmcnt(0)
	v_cmp_lt_f64_e64 s2, v[8:9], v[12:13]
	s_delay_alu instid0(VALU_DEP_2) | instskip(SKIP_1) | instid1(VALU_DEP_3)
	v_cndmask_b32_e64 v7, v7, v11, s1
	v_cndmask_b32_e64 v6, v6, v10, s1
	;; [unrolled: 1-line block ×4, first 2 shown]
	s_mov_b32 s2, 0x652b82fe
	s_mov_b32 s3, 0x3ff71547
	v_add_f64 v[2:3], v[2:3], -v[6:7]
	s_delay_alu instid0(VALU_DEP_2) | instskip(NEXT) | instid1(VALU_DEP_2)
	v_add_f64 v[0:1], v[0:1], -v[8:9]
	v_mul_f64 v[6:7], v[2:3], s[2:3]
	v_cmp_nlt_f64_e64 s1, 0x40900000, v[2:3]
	s_delay_alu instid0(VALU_DEP_3) | instskip(SKIP_2) | instid1(VALU_DEP_3)
	v_mul_f64 v[8:9], v[0:1], s[2:3]
	s_mov_b32 s2, 0xfefa39ef
	s_mov_b32 s3, 0xbfe62e42
	v_rndne_f64_e32 v[6:7], v[6:7]
	s_delay_alu instid0(VALU_DEP_2) | instskip(NEXT) | instid1(VALU_DEP_2)
	v_rndne_f64_e32 v[8:9], v[8:9]
	v_fma_f64 v[10:11], v[6:7], s[2:3], v[2:3]
	v_cvt_i32_f64_e32 v22, v[6:7]
	s_delay_alu instid0(VALU_DEP_3)
	v_fma_f64 v[12:13], v[8:9], s[2:3], v[0:1]
	s_mov_b32 s2, 0x3b39803f
	s_mov_b32 s3, 0xbc7abc9e
	s_delay_alu instid0(VALU_DEP_3) | instid1(SALU_CYCLE_1)
	v_fma_f64 v[10:11], v[6:7], s[2:3], v[10:11]
	s_delay_alu instid0(VALU_DEP_2)
	v_fma_f64 v[12:13], v[8:9], s[2:3], v[12:13]
	s_mov_b32 s2, 0xfca7ab0c
	s_mov_b32 s3, 0x3e928af3
	s_delay_alu instid0(VALU_DEP_2) | instid1(SALU_CYCLE_1)
	v_fma_f64 v[15:16], v[10:11], s[4:5], s[2:3]
	s_delay_alu instid0(VALU_DEP_2) | instskip(SKIP_3) | instid1(VALU_DEP_3)
	v_fma_f64 v[17:18], v[12:13], s[4:5], s[2:3]
	s_mov_b32 s2, 0x623fde64
	s_mov_b32 s3, 0x3ec71dee
	v_cmp_ngt_f64_e64 s4, 0xc090cc00, v[0:1]
	v_fma_f64 v[15:16], v[10:11], v[15:16], s[2:3]
	s_delay_alu instid0(VALU_DEP_3)
	v_fma_f64 v[17:18], v[12:13], v[17:18], s[2:3]
	s_mov_b32 s2, 0x7c89e6b0
	s_mov_b32 s3, 0x3efa0199
	s_delay_alu instid0(VALU_DEP_2) | instid1(SALU_CYCLE_1)
	v_fma_f64 v[15:16], v[10:11], v[15:16], s[2:3]
	s_delay_alu instid0(VALU_DEP_2)
	v_fma_f64 v[17:18], v[12:13], v[17:18], s[2:3]
	s_mov_b32 s2, 0x14761f6e
	s_mov_b32 s3, 0x3f2a01a0
	s_delay_alu instid0(VALU_DEP_2) | instid1(SALU_CYCLE_1)
	v_fma_f64 v[15:16], v[10:11], v[15:16], s[2:3]
	s_delay_alu instid0(VALU_DEP_2)
	;; [unrolled: 6-line block ×6, first 2 shown]
	v_fma_f64 v[17:18], v[12:13], v[17:18], s[2:3]
	s_mov_b32 s2, 11
	s_mov_b32 s3, 0x3fe00000
	s_delay_alu instid0(VALU_DEP_2) | instid1(SALU_CYCLE_1)
	v_fma_f64 v[15:16], v[10:11], v[15:16], s[2:3]
	s_delay_alu instid0(VALU_DEP_2) | instskip(SKIP_2) | instid1(VALU_DEP_4)
	v_fma_f64 v[17:18], v[12:13], v[17:18], s[2:3]
	v_cmp_nlt_f64_e64 s3, 0x40900000, v[0:1]
	v_cmp_ngt_f64_e64 s2, 0xc090cc00, v[2:3]
	v_fma_f64 v[15:16], v[10:11], v[15:16], 1.0
	s_delay_alu instid0(VALU_DEP_4) | instskip(NEXT) | instid1(VALU_DEP_2)
	v_fma_f64 v[17:18], v[12:13], v[17:18], 1.0
	v_fma_f64 v[6:7], v[10:11], v[15:16], 1.0
	v_cvt_i32_f64_e32 v10, v[8:9]
	s_delay_alu instid0(VALU_DEP_3) | instskip(NEXT) | instid1(VALU_DEP_3)
	v_fma_f64 v[8:9], v[12:13], v[17:18], 1.0
	v_ldexp_f64 v[6:7], v[6:7], v22
	s_delay_alu instid0(VALU_DEP_2) | instskip(NEXT) | instid1(VALU_DEP_2)
	v_ldexp_f64 v[8:9], v[8:9], v10
	v_add_f64 v[6:7], v[6:7], 0
	s_delay_alu instid0(VALU_DEP_2) | instskip(NEXT) | instid1(VALU_DEP_2)
	v_add_f64 v[8:9], v[8:9], 0
	v_cndmask_b32_e64 v7, 0x7ff00000, v7, s1
	s_and_b32 s1, s2, s1
	s_delay_alu instid0(VALU_DEP_2) | instskip(NEXT) | instid1(VALU_DEP_4)
	v_cndmask_b32_e64 v9, 0x7ff00000, v9, s3
	v_cndmask_b32_e64 v6, 0, v6, s1
	s_and_b32 s1, s4, s3
	v_cndmask_b32_e64 v7, 0, v7, s2
	v_cndmask_b32_e64 v8, 0, v8, s1
	;; [unrolled: 1-line block ×3, first 2 shown]
	ds_bpermute_b32 v10, v19, v6
	ds_bpermute_b32 v11, v19, v7
	;; [unrolled: 1-line block ×4, first 2 shown]
	s_waitcnt lgkmcnt(2)
	v_add_f64 v[6:7], v[6:7], v[10:11]
	s_waitcnt lgkmcnt(0)
	v_add_f64 v[8:9], v[8:9], v[12:13]
	ds_bpermute_b32 v10, v20, v6
	ds_bpermute_b32 v11, v20, v7
	;; [unrolled: 1-line block ×4, first 2 shown]
	s_waitcnt lgkmcnt(2)
	v_add_f64 v[10:11], v[6:7], v[10:11]
	s_waitcnt lgkmcnt(0)
	v_add_f64 v[6:7], v[8:9], v[12:13]
	ds_bpermute_b32 v12, v21, v10
	ds_bpermute_b32 v13, v21, v11
	;; [unrolled: 1-line block ×4, first 2 shown]
	s_and_saveexec_b32 s1, s0
	s_cbranch_execz .LBB6_10
; %bb.5:
	v_add_co_u32 v4, s0, s16, v4
	s_delay_alu instid0(VALU_DEP_1)
	v_add_co_ci_u32_e64 v5, s0, s17, v5, s0
	s_and_saveexec_b32 s2, vcc_lo
	s_cbranch_execz .LBB6_7
; %bb.6:
	s_waitcnt lgkmcnt(2)
	v_add_f64 v[10:11], v[10:11], v[12:13]
	s_mov_b32 s5, 0x3fe55555
	s_mov_b32 s4, 0x55555555
	v_mov_b32_e32 v15, 0
	s_mov_b32 s6, 0xbf559e2b
	s_mov_b32 s7, 0x3fc3ab76
	s_delay_alu instid0(VALU_DEP_2) | instskip(SKIP_1) | instid1(VALU_DEP_2)
	v_frexp_mant_f64_e32 v[12:13], v[10:11]
	v_frexp_exp_i32_f64_e32 v16, v[10:11]
	v_cmp_gt_f64_e64 s0, s[4:5], v[12:13]
	s_mov_b32 s4, 0x55555780
	s_delay_alu instid0(VALU_DEP_1) | instskip(SKIP_3) | instid1(VALU_DEP_1)
	v_subrev_co_ci_u32_e64 v27, s1, 0, v16, s0
	v_cndmask_b32_e64 v16, 0x3ff00000, 2.0, s0
	s_mov_b32 s0, 0x6b47b09a
	s_mov_b32 s1, 0x3fc38538
	v_mul_f64 v[12:13], v[12:13], v[15:16]
	s_delay_alu instid0(VALU_DEP_1) | instskip(SKIP_1) | instid1(VALU_DEP_2)
	v_add_f64 v[15:16], v[12:13], 1.0
	v_add_f64 v[21:22], v[12:13], -1.0
	v_rcp_f64_e32 v[17:18], v[15:16]
	v_add_f64 v[23:24], v[15:16], -1.0
	s_delay_alu instid0(VALU_DEP_1) | instskip(SKIP_2) | instid1(VALU_DEP_1)
	v_add_f64 v[12:13], v[12:13], -v[23:24]
	s_waitcnt_depctr 0xfff
	v_fma_f64 v[19:20], -v[15:16], v[17:18], 1.0
	v_fma_f64 v[17:18], v[19:20], v[17:18], v[17:18]
	s_delay_alu instid0(VALU_DEP_1) | instskip(NEXT) | instid1(VALU_DEP_1)
	v_fma_f64 v[19:20], -v[15:16], v[17:18], 1.0
	v_fma_f64 v[17:18], v[19:20], v[17:18], v[17:18]
	s_delay_alu instid0(VALU_DEP_1) | instskip(NEXT) | instid1(VALU_DEP_1)
	v_mul_f64 v[19:20], v[21:22], v[17:18]
	v_mul_f64 v[25:26], v[15:16], v[19:20]
	s_delay_alu instid0(VALU_DEP_1) | instskip(NEXT) | instid1(VALU_DEP_1)
	v_fma_f64 v[15:16], v[19:20], v[15:16], -v[25:26]
	v_fma_f64 v[12:13], v[19:20], v[12:13], v[15:16]
	s_delay_alu instid0(VALU_DEP_1) | instskip(NEXT) | instid1(VALU_DEP_1)
	v_add_f64 v[15:16], v[25:26], v[12:13]
	v_add_f64 v[23:24], v[21:22], -v[15:16]
	v_add_f64 v[25:26], v[15:16], -v[25:26]
	s_delay_alu instid0(VALU_DEP_2) | instskip(NEXT) | instid1(VALU_DEP_2)
	v_add_f64 v[21:22], v[21:22], -v[23:24]
	v_add_f64 v[12:13], v[25:26], -v[12:13]
	s_delay_alu instid0(VALU_DEP_2) | instskip(NEXT) | instid1(VALU_DEP_1)
	v_add_f64 v[15:16], v[21:22], -v[15:16]
	v_add_f64 v[12:13], v[12:13], v[15:16]
	s_delay_alu instid0(VALU_DEP_1) | instskip(NEXT) | instid1(VALU_DEP_1)
	v_add_f64 v[12:13], v[23:24], v[12:13]
	v_mul_f64 v[12:13], v[17:18], v[12:13]
	s_delay_alu instid0(VALU_DEP_1) | instskip(NEXT) | instid1(VALU_DEP_1)
	v_add_f64 v[15:16], v[19:20], v[12:13]
	v_mul_f64 v[17:18], v[15:16], v[15:16]
	s_delay_alu instid0(VALU_DEP_1) | instskip(SKIP_3) | instid1(VALU_DEP_2)
	v_fma_f64 v[21:22], v[17:18], s[6:7], s[0:1]
	s_mov_b32 s0, 0xd7f4df2e
	s_mov_b32 s1, 0x3fc7474d
	v_mul_f64 v[23:24], v[15:16], v[17:18]
	v_fma_f64 v[21:22], v[17:18], v[21:22], s[0:1]
	s_mov_b32 s0, 0x16291751
	s_mov_b32 s1, 0x3fcc71c0
	s_delay_alu instid0(VALU_DEP_1) | instid1(SALU_CYCLE_1)
	v_fma_f64 v[21:22], v[17:18], v[21:22], s[0:1]
	s_mov_b32 s0, 0x9b27acf1
	s_mov_b32 s1, 0x3fd24924
	s_delay_alu instid0(VALU_DEP_1) | instid1(SALU_CYCLE_1)
	;; [unrolled: 4-line block ×3, first 2 shown]
	v_fma_f64 v[21:22], v[17:18], v[21:22], s[0:1]
	s_mov_b32 s0, 0xfefa39ef
	s_mov_b32 s1, 0x3fe62e42
	s_delay_alu instid0(VALU_DEP_1) | instskip(SKIP_2) | instid1(VALU_DEP_3)
	v_fma_f64 v[17:18], v[17:18], v[21:22], s[4:5]
	v_ldexp_f64 v[21:22], v[15:16], 1
	v_add_f64 v[15:16], v[15:16], -v[19:20]
	v_mul_f64 v[17:18], v[23:24], v[17:18]
	v_cvt_f64_i32_e32 v[23:24], v27
	s_delay_alu instid0(VALU_DEP_3) | instskip(NEXT) | instid1(VALU_DEP_3)
	v_add_f64 v[12:13], v[12:13], -v[15:16]
	v_add_f64 v[19:20], v[21:22], v[17:18]
	s_delay_alu instid0(VALU_DEP_3) | instskip(NEXT) | instid1(VALU_DEP_3)
	v_mul_f64 v[25:26], v[23:24], s[0:1]
	v_ldexp_f64 v[12:13], v[12:13], 1
	s_delay_alu instid0(VALU_DEP_3) | instskip(NEXT) | instid1(VALU_DEP_3)
	v_add_f64 v[15:16], v[19:20], -v[21:22]
	v_fma_f64 v[21:22], v[23:24], s[0:1], -v[25:26]
	s_mov_b32 s0, 0x3b39803f
	s_mov_b32 s1, 0x3c7abc9e
	s_delay_alu instid0(VALU_DEP_2) | instskip(NEXT) | instid1(VALU_DEP_2)
	v_add_f64 v[15:16], v[17:18], -v[15:16]
	v_fma_f64 v[17:18], v[23:24], s[0:1], v[21:22]
	v_cmp_class_f64_e64 s0, v[10:11], 0x204
	s_delay_alu instid0(VALU_DEP_3) | instskip(NEXT) | instid1(VALU_DEP_3)
	v_add_f64 v[12:13], v[12:13], v[15:16]
	v_add_f64 v[15:16], v[25:26], v[17:18]
	s_delay_alu instid0(VALU_DEP_2) | instskip(NEXT) | instid1(VALU_DEP_2)
	v_add_f64 v[21:22], v[19:20], v[12:13]
	v_add_f64 v[25:26], v[15:16], -v[25:26]
	s_delay_alu instid0(VALU_DEP_2) | instskip(SKIP_1) | instid1(VALU_DEP_3)
	v_add_f64 v[23:24], v[15:16], v[21:22]
	v_add_f64 v[19:20], v[21:22], -v[19:20]
	v_add_f64 v[17:18], v[17:18], -v[25:26]
	s_delay_alu instid0(VALU_DEP_3) | instskip(NEXT) | instid1(VALU_DEP_3)
	v_add_f64 v[27:28], v[23:24], -v[15:16]
	v_add_f64 v[12:13], v[12:13], -v[19:20]
	s_delay_alu instid0(VALU_DEP_2) | instskip(SKIP_1) | instid1(VALU_DEP_3)
	v_add_f64 v[29:30], v[23:24], -v[27:28]
	v_add_f64 v[19:20], v[21:22], -v[27:28]
	v_add_f64 v[21:22], v[17:18], v[12:13]
	s_delay_alu instid0(VALU_DEP_3) | instskip(NEXT) | instid1(VALU_DEP_1)
	v_add_f64 v[15:16], v[15:16], -v[29:30]
	v_add_f64 v[15:16], v[19:20], v[15:16]
	s_delay_alu instid0(VALU_DEP_3) | instskip(NEXT) | instid1(VALU_DEP_2)
	v_add_f64 v[19:20], v[21:22], -v[17:18]
	v_add_f64 v[15:16], v[21:22], v[15:16]
	s_delay_alu instid0(VALU_DEP_2) | instskip(SKIP_1) | instid1(VALU_DEP_3)
	v_add_f64 v[21:22], v[21:22], -v[19:20]
	v_add_f64 v[12:13], v[12:13], -v[19:20]
	v_add_f64 v[25:26], v[23:24], v[15:16]
	s_delay_alu instid0(VALU_DEP_3) | instskip(NEXT) | instid1(VALU_DEP_2)
	v_add_f64 v[17:18], v[17:18], -v[21:22]
	v_add_f64 v[19:20], v[25:26], -v[23:24]
	s_delay_alu instid0(VALU_DEP_2) | instskip(NEXT) | instid1(VALU_DEP_2)
	v_add_f64 v[12:13], v[12:13], v[17:18]
	v_add_f64 v[15:16], v[15:16], -v[19:20]
	s_delay_alu instid0(VALU_DEP_1) | instskip(NEXT) | instid1(VALU_DEP_1)
	v_add_f64 v[12:13], v[12:13], v[15:16]
	v_add_f64 v[12:13], v[25:26], v[12:13]
	s_delay_alu instid0(VALU_DEP_1) | instskip(NEXT) | instid1(VALU_DEP_2)
	v_cndmask_b32_e64 v12, v12, v10, s0
	v_cndmask_b32_e64 v13, v13, v11, s0
	v_cmp_ngt_f64_e64 s0, 0, v[10:11]
	s_delay_alu instid0(VALU_DEP_1) | instskip(SKIP_1) | instid1(VALU_DEP_1)
	v_cndmask_b32_e64 v13, 0x7ff80000, v13, s0
	v_cmp_nge_f64_e64 s0, 0, v[10:11]
	v_cndmask_b32_e64 v12, 0, v12, s0
	v_cmp_neq_f64_e64 s0, 0, v[10:11]
	s_delay_alu instid0(VALU_DEP_1) | instskip(NEXT) | instid1(VALU_DEP_1)
	v_cndmask_b32_e64 v13, 0xfff00000, v13, s0
	v_add_f64 v[2:3], v[2:3], -v[12:13]
	global_store_b64 v[4:5], v[2:3], off
.LBB6_7:
	s_or_b32 exec_lo, exec_lo, s2
	v_cmp_ne_u32_e64 s0, 1, v14
	s_delay_alu instid0(VALU_DEP_1)
	s_and_b32 exec_lo, exec_lo, s0
	s_cbranch_execz .LBB6_10
; %bb.8:
	s_and_b32 exec_lo, exec_lo, vcc_lo
	s_cbranch_execz .LBB6_10
; %bb.9:
	s_waitcnt lgkmcnt(0)
	v_add_f64 v[2:3], v[6:7], v[8:9]
	s_mov_b32 s1, 0x3fe55555
	s_mov_b32 s0, 0x55555555
	;; [unrolled: 1-line block ×7, first 2 shown]
	s_delay_alu instid0(VALU_DEP_1) | instskip(SKIP_1) | instid1(VALU_DEP_2)
	v_frexp_mant_f64_e32 v[6:7], v[2:3]
	v_frexp_exp_i32_f64_e32 v9, v[2:3]
	v_cmp_gt_f64_e32 vcc_lo, s[0:1], v[6:7]
	s_delay_alu instid0(VALU_DEP_2) | instskip(SKIP_4) | instid1(VALU_DEP_1)
	v_subrev_co_ci_u32_e64 v20, s0, 0, v9, vcc_lo
	v_cndmask_b32_e64 v9, 0x3ff00000, 2.0, vcc_lo
	v_cmp_class_f64_e64 vcc_lo, v[2:3], 0x204
	v_mov_b32_e32 v8, 0
	s_mov_b32 s0, 0x55555780
	v_mul_f64 v[6:7], v[6:7], v[8:9]
	s_delay_alu instid0(VALU_DEP_1) | instskip(SKIP_1) | instid1(VALU_DEP_2)
	v_add_f64 v[8:9], v[6:7], 1.0
	v_add_f64 v[14:15], v[6:7], -1.0
	v_rcp_f64_e32 v[10:11], v[8:9]
	v_add_f64 v[16:17], v[8:9], -1.0
	s_delay_alu instid0(VALU_DEP_1) | instskip(SKIP_2) | instid1(VALU_DEP_1)
	v_add_f64 v[6:7], v[6:7], -v[16:17]
	s_waitcnt_depctr 0xfff
	v_fma_f64 v[12:13], -v[8:9], v[10:11], 1.0
	v_fma_f64 v[10:11], v[12:13], v[10:11], v[10:11]
	s_delay_alu instid0(VALU_DEP_1) | instskip(NEXT) | instid1(VALU_DEP_1)
	v_fma_f64 v[12:13], -v[8:9], v[10:11], 1.0
	v_fma_f64 v[10:11], v[12:13], v[10:11], v[10:11]
	s_delay_alu instid0(VALU_DEP_1) | instskip(NEXT) | instid1(VALU_DEP_1)
	v_mul_f64 v[12:13], v[14:15], v[10:11]
	v_mul_f64 v[18:19], v[8:9], v[12:13]
	s_delay_alu instid0(VALU_DEP_1) | instskip(NEXT) | instid1(VALU_DEP_1)
	v_fma_f64 v[8:9], v[12:13], v[8:9], -v[18:19]
	v_fma_f64 v[6:7], v[12:13], v[6:7], v[8:9]
	s_delay_alu instid0(VALU_DEP_1) | instskip(NEXT) | instid1(VALU_DEP_1)
	v_add_f64 v[8:9], v[18:19], v[6:7]
	v_add_f64 v[16:17], v[14:15], -v[8:9]
	v_add_f64 v[18:19], v[8:9], -v[18:19]
	s_delay_alu instid0(VALU_DEP_2) | instskip(NEXT) | instid1(VALU_DEP_2)
	v_add_f64 v[14:15], v[14:15], -v[16:17]
	v_add_f64 v[6:7], v[18:19], -v[6:7]
	s_delay_alu instid0(VALU_DEP_2) | instskip(NEXT) | instid1(VALU_DEP_1)
	v_add_f64 v[8:9], v[14:15], -v[8:9]
	v_add_f64 v[6:7], v[6:7], v[8:9]
	s_delay_alu instid0(VALU_DEP_1) | instskip(NEXT) | instid1(VALU_DEP_1)
	v_add_f64 v[6:7], v[16:17], v[6:7]
	v_mul_f64 v[6:7], v[10:11], v[6:7]
	s_delay_alu instid0(VALU_DEP_1) | instskip(NEXT) | instid1(VALU_DEP_1)
	v_add_f64 v[8:9], v[12:13], v[6:7]
	v_mul_f64 v[10:11], v[8:9], v[8:9]
	s_delay_alu instid0(VALU_DEP_1) | instskip(SKIP_3) | instid1(VALU_DEP_2)
	v_fma_f64 v[14:15], v[10:11], s[4:5], s[2:3]
	s_mov_b32 s2, 0xd7f4df2e
	s_mov_b32 s3, 0x3fc7474d
	v_mul_f64 v[16:17], v[8:9], v[10:11]
	v_fma_f64 v[14:15], v[10:11], v[14:15], s[2:3]
	s_mov_b32 s2, 0x16291751
	s_mov_b32 s3, 0x3fcc71c0
	s_delay_alu instid0(VALU_DEP_1) | instid1(SALU_CYCLE_1)
	v_fma_f64 v[14:15], v[10:11], v[14:15], s[2:3]
	s_mov_b32 s2, 0x9b27acf1
	s_mov_b32 s3, 0x3fd24924
	s_delay_alu instid0(VALU_DEP_1) | instid1(SALU_CYCLE_1)
	;; [unrolled: 4-line block ×3, first 2 shown]
	v_fma_f64 v[14:15], v[10:11], v[14:15], s[2:3]
	s_delay_alu instid0(VALU_DEP_1) | instskip(SKIP_4) | instid1(VALU_DEP_3)
	v_fma_f64 v[10:11], v[10:11], v[14:15], s[0:1]
	v_ldexp_f64 v[14:15], v[8:9], 1
	v_add_f64 v[8:9], v[8:9], -v[12:13]
	s_mov_b32 s0, 0xfefa39ef
	s_mov_b32 s1, 0x3fe62e42
	v_mul_f64 v[10:11], v[16:17], v[10:11]
	v_cvt_f64_i32_e32 v[16:17], v20
	s_delay_alu instid0(VALU_DEP_3) | instskip(NEXT) | instid1(VALU_DEP_3)
	v_add_f64 v[6:7], v[6:7], -v[8:9]
	v_add_f64 v[12:13], v[14:15], v[10:11]
	s_delay_alu instid0(VALU_DEP_3) | instskip(NEXT) | instid1(VALU_DEP_3)
	v_mul_f64 v[18:19], v[16:17], s[0:1]
	v_ldexp_f64 v[6:7], v[6:7], 1
	s_delay_alu instid0(VALU_DEP_3) | instskip(NEXT) | instid1(VALU_DEP_3)
	v_add_f64 v[8:9], v[12:13], -v[14:15]
	v_fma_f64 v[14:15], v[16:17], s[0:1], -v[18:19]
	s_mov_b32 s0, 0x3b39803f
	s_mov_b32 s1, 0x3c7abc9e
	s_delay_alu instid0(VALU_DEP_2) | instskip(NEXT) | instid1(VALU_DEP_2)
	v_add_f64 v[8:9], v[10:11], -v[8:9]
	v_fma_f64 v[10:11], v[16:17], s[0:1], v[14:15]
	s_lshl_b64 s[0:1], s[22:23], 3
	s_delay_alu instid0(VALU_DEP_2) | instskip(NEXT) | instid1(VALU_DEP_2)
	v_add_f64 v[6:7], v[6:7], v[8:9]
	v_add_f64 v[8:9], v[18:19], v[10:11]
	s_delay_alu instid0(VALU_DEP_2) | instskip(NEXT) | instid1(VALU_DEP_2)
	v_add_f64 v[14:15], v[12:13], v[6:7]
	v_add_f64 v[18:19], v[8:9], -v[18:19]
	s_delay_alu instid0(VALU_DEP_2) | instskip(SKIP_1) | instid1(VALU_DEP_3)
	v_add_f64 v[16:17], v[8:9], v[14:15]
	v_add_f64 v[12:13], v[14:15], -v[12:13]
	v_add_f64 v[10:11], v[10:11], -v[18:19]
	s_delay_alu instid0(VALU_DEP_3) | instskip(NEXT) | instid1(VALU_DEP_3)
	v_add_f64 v[20:21], v[16:17], -v[8:9]
	v_add_f64 v[6:7], v[6:7], -v[12:13]
	s_delay_alu instid0(VALU_DEP_2) | instskip(SKIP_1) | instid1(VALU_DEP_3)
	v_add_f64 v[22:23], v[16:17], -v[20:21]
	v_add_f64 v[12:13], v[14:15], -v[20:21]
	v_add_f64 v[14:15], v[10:11], v[6:7]
	s_delay_alu instid0(VALU_DEP_3) | instskip(NEXT) | instid1(VALU_DEP_1)
	v_add_f64 v[8:9], v[8:9], -v[22:23]
	v_add_f64 v[8:9], v[12:13], v[8:9]
	s_delay_alu instid0(VALU_DEP_3) | instskip(NEXT) | instid1(VALU_DEP_2)
	v_add_f64 v[12:13], v[14:15], -v[10:11]
	v_add_f64 v[8:9], v[14:15], v[8:9]
	s_delay_alu instid0(VALU_DEP_2) | instskip(SKIP_1) | instid1(VALU_DEP_3)
	v_add_f64 v[14:15], v[14:15], -v[12:13]
	v_add_f64 v[6:7], v[6:7], -v[12:13]
	v_add_f64 v[18:19], v[16:17], v[8:9]
	s_delay_alu instid0(VALU_DEP_3) | instskip(NEXT) | instid1(VALU_DEP_2)
	v_add_f64 v[10:11], v[10:11], -v[14:15]
	v_add_f64 v[12:13], v[18:19], -v[16:17]
	s_delay_alu instid0(VALU_DEP_2) | instskip(NEXT) | instid1(VALU_DEP_2)
	v_add_f64 v[6:7], v[6:7], v[10:11]
	v_add_f64 v[8:9], v[8:9], -v[12:13]
	s_delay_alu instid0(VALU_DEP_1) | instskip(NEXT) | instid1(VALU_DEP_1)
	v_add_f64 v[6:7], v[6:7], v[8:9]
	v_add_f64 v[6:7], v[18:19], v[6:7]
	s_delay_alu instid0(VALU_DEP_1) | instskip(SKIP_1) | instid1(VALU_DEP_2)
	v_dual_cndmask_b32 v7, v7, v3 :: v_dual_cndmask_b32 v6, v6, v2
	v_cmp_ngt_f64_e32 vcc_lo, 0, v[2:3]
	v_cndmask_b32_e32 v7, 0x7ff80000, v7, vcc_lo
	v_cmp_nge_f64_e32 vcc_lo, 0, v[2:3]
	s_delay_alu instid0(VALU_DEP_4) | instskip(SKIP_1) | instid1(VALU_DEP_4)
	v_cndmask_b32_e32 v6, 0, v6, vcc_lo
	v_cmp_neq_f64_e32 vcc_lo, 0, v[2:3]
	v_cndmask_b32_e32 v7, 0xfff00000, v7, vcc_lo
	v_add_co_u32 v2, vcc_lo, v4, s0
	v_add_co_ci_u32_e32 v3, vcc_lo, s1, v5, vcc_lo
	s_delay_alu instid0(VALU_DEP_3)
	v_add_f64 v[0:1], v[0:1], -v[6:7]
	global_store_b64 v[2:3], v[0:1], off
.LBB6_10:
	s_nop 0
	s_sendmsg sendmsg(MSG_DEALLOC_VGPRS)
	s_endpgm
	.section	.rodata,"a",@progbits
	.p2align	6, 0x0
	.amdhsa_kernel _ZN12_GLOBAL__N_120softmax_warp_forwardIdddLi3ELb1ELb0ELi64EEEvPT0_PKT_iiiPKbib
		.amdhsa_group_segment_fixed_size 0
		.amdhsa_private_segment_fixed_size 0
		.amdhsa_kernarg_size 304
		.amdhsa_user_sgpr_count 15
		.amdhsa_user_sgpr_dispatch_ptr 0
		.amdhsa_user_sgpr_queue_ptr 0
		.amdhsa_user_sgpr_kernarg_segment_ptr 1
		.amdhsa_user_sgpr_dispatch_id 0
		.amdhsa_user_sgpr_private_segment_size 0
		.amdhsa_wavefront_size32 1
		.amdhsa_uses_dynamic_stack 0
		.amdhsa_enable_private_segment 0
		.amdhsa_system_sgpr_workgroup_id_x 1
		.amdhsa_system_sgpr_workgroup_id_y 0
		.amdhsa_system_sgpr_workgroup_id_z 0
		.amdhsa_system_sgpr_workgroup_info 0
		.amdhsa_system_vgpr_workitem_id 1
		.amdhsa_next_free_vgpr 31
		.amdhsa_next_free_sgpr 24
		.amdhsa_reserve_vcc 1
		.amdhsa_float_round_mode_32 0
		.amdhsa_float_round_mode_16_64 0
		.amdhsa_float_denorm_mode_32 3
		.amdhsa_float_denorm_mode_16_64 3
		.amdhsa_dx10_clamp 1
		.amdhsa_ieee_mode 1
		.amdhsa_fp16_overflow 0
		.amdhsa_workgroup_processor_mode 1
		.amdhsa_memory_ordered 1
		.amdhsa_forward_progress 0
		.amdhsa_shared_vgpr_count 0
		.amdhsa_exception_fp_ieee_invalid_op 0
		.amdhsa_exception_fp_denorm_src 0
		.amdhsa_exception_fp_ieee_div_zero 0
		.amdhsa_exception_fp_ieee_overflow 0
		.amdhsa_exception_fp_ieee_underflow 0
		.amdhsa_exception_fp_ieee_inexact 0
		.amdhsa_exception_int_div_zero 0
	.end_amdhsa_kernel
	.section	.text._ZN12_GLOBAL__N_120softmax_warp_forwardIdddLi3ELb1ELb0ELi64EEEvPT0_PKT_iiiPKbib,"axG",@progbits,_ZN12_GLOBAL__N_120softmax_warp_forwardIdddLi3ELb1ELb0ELi64EEEvPT0_PKT_iiiPKbib,comdat
.Lfunc_end6:
	.size	_ZN12_GLOBAL__N_120softmax_warp_forwardIdddLi3ELb1ELb0ELi64EEEvPT0_PKT_iiiPKbib, .Lfunc_end6-_ZN12_GLOBAL__N_120softmax_warp_forwardIdddLi3ELb1ELb0ELi64EEEvPT0_PKT_iiiPKbib
                                        ; -- End function
	.section	.AMDGPU.csdata,"",@progbits
; Kernel info:
; codeLenInByte = 3536
; NumSgprs: 26
; NumVgprs: 31
; ScratchSize: 0
; MemoryBound: 0
; FloatMode: 240
; IeeeMode: 1
; LDSByteSize: 0 bytes/workgroup (compile time only)
; SGPRBlocks: 3
; VGPRBlocks: 3
; NumSGPRsForWavesPerEU: 26
; NumVGPRsForWavesPerEU: 31
; Occupancy: 16
; WaveLimiterHint : 0
; COMPUTE_PGM_RSRC2:SCRATCH_EN: 0
; COMPUTE_PGM_RSRC2:USER_SGPR: 15
; COMPUTE_PGM_RSRC2:TRAP_HANDLER: 0
; COMPUTE_PGM_RSRC2:TGID_X_EN: 1
; COMPUTE_PGM_RSRC2:TGID_Y_EN: 0
; COMPUTE_PGM_RSRC2:TGID_Z_EN: 0
; COMPUTE_PGM_RSRC2:TIDIG_COMP_CNT: 1
	.section	.text._ZN12_GLOBAL__N_120softmax_warp_forwardIdddLi3ELb1ELb0ELi32EEEvPT0_PKT_iiiPKbib,"axG",@progbits,_ZN12_GLOBAL__N_120softmax_warp_forwardIdddLi3ELb1ELb0ELi32EEEvPT0_PKT_iiiPKbib,comdat
	.globl	_ZN12_GLOBAL__N_120softmax_warp_forwardIdddLi3ELb1ELb0ELi32EEEvPT0_PKT_iiiPKbib ; -- Begin function _ZN12_GLOBAL__N_120softmax_warp_forwardIdddLi3ELb1ELb0ELi32EEEvPT0_PKT_iiiPKbib
	.p2align	8
	.type	_ZN12_GLOBAL__N_120softmax_warp_forwardIdddLi3ELb1ELb0ELi32EEEvPT0_PKT_iiiPKbib,@function
_ZN12_GLOBAL__N_120softmax_warp_forwardIdddLi3ELb1ELb0ELi32EEEvPT0_PKT_iiiPKbib: ; @_ZN12_GLOBAL__N_120softmax_warp_forwardIdddLi3ELb1ELb0ELi32EEEvPT0_PKT_iiiPKbib
; %bb.0:
	s_clause 0x1
	s_load_b32 s2, s[0:1], 0x3c
	s_load_b256 s[16:23], s[0:1], 0x0
	v_bfe_u32 v1, v0, 10, 10
	v_and_b32_e32 v2, 0x3ff, v0
	s_waitcnt lgkmcnt(0)
	s_lshr_b32 s0, s2, 16
	s_delay_alu instid0(VALU_DEP_1) | instskip(SKIP_1) | instid1(SALU_CYCLE_1)
	v_cmp_gt_i32_e32 vcc_lo, s22, v2
	s_mul_i32 s15, s15, s0
	v_add_lshl_u32 v3, s15, v1, 1
	s_delay_alu instid0(VALU_DEP_1) | instskip(SKIP_1) | instid1(VALU_DEP_1)
	v_mad_u64_u32 v[0:1], null, v3, s21, v[2:3]
	v_sub_nc_u32_e32 v14, s20, v3
	v_cmp_lt_i32_e64 s0, 0, v14
	s_delay_alu instid0(VALU_DEP_3) | instskip(NEXT) | instid1(VALU_DEP_2)
	v_ashrrev_i32_e32 v1, 31, v0
	s_and_b32 s2, vcc_lo, s0
	s_delay_alu instid0(VALU_DEP_1) | instskip(SKIP_2) | instid1(VALU_DEP_3)
	v_lshlrev_b64 v[4:5], 3, v[0:1]
	v_mov_b32_e32 v0, 0
	v_mov_b32_e32 v1, 0xfff00000
	v_add_co_u32 v6, s1, s18, v4
	s_delay_alu instid0(VALU_DEP_1) | instskip(NEXT) | instid1(VALU_DEP_3)
	v_add_co_ci_u32_e64 v7, s1, s19, v5, s1
	v_dual_mov_b32 v3, v1 :: v_dual_mov_b32 v2, v0
	s_and_saveexec_b32 s1, s2
	s_cbranch_execz .LBB7_2
; %bb.1:
	global_load_b64 v[2:3], v[6:7], off
.LBB7_2:
	s_or_b32 exec_lo, exec_lo, s1
	v_cmp_lt_i32_e64 s1, 1, v14
	s_delay_alu instid0(VALU_DEP_1) | instskip(NEXT) | instid1(SALU_CYCLE_1)
	s_and_b32 s1, vcc_lo, s1
	s_and_saveexec_b32 s2, s1
	s_cbranch_execz .LBB7_4
; %bb.3:
	s_mov_b32 s23, 0
	s_delay_alu instid0(SALU_CYCLE_1) | instskip(NEXT) | instid1(SALU_CYCLE_1)
	s_lshl_b64 s[4:5], s[22:23], 3
	v_add_co_u32 v0, s1, v6, s4
	s_delay_alu instid0(VALU_DEP_1)
	v_add_co_ci_u32_e64 v1, s1, s5, v7, s1
	global_load_b64 v[0:1], v[0:1], off
.LBB7_4:
	s_or_b32 exec_lo, exec_lo, s2
	v_mbcnt_lo_u32_b32 v15, -1, 0
	s_mov_b32 s4, 0x6a5dcb37
	s_mov_b32 s5, 0x3e5ade15
	s_delay_alu instid0(VALU_DEP_1) | instskip(SKIP_3) | instid1(VALU_DEP_4)
	v_and_b32_e32 v6, 24, v15
	v_xor_b32_e32 v7, 4, v15
	v_xor_b32_e32 v10, 2, v15
	v_xor_b32_e32 v17, 1, v15
	v_add_nc_u32_e32 v16, 8, v6
	s_delay_alu instid0(VALU_DEP_1) | instskip(NEXT) | instid1(VALU_DEP_4)
	v_cmp_lt_i32_e64 s1, v7, v16
	v_cmp_lt_i32_e64 s3, v10, v16
	s_delay_alu instid0(VALU_DEP_2) | instskip(NEXT) | instid1(VALU_DEP_2)
	v_cndmask_b32_e64 v6, v15, v7, s1
	v_cndmask_b32_e64 v10, v15, v10, s3
	v_cmp_lt_i32_e64 s3, v17, v16
	s_delay_alu instid0(VALU_DEP_3) | instskip(NEXT) | instid1(VALU_DEP_3)
	v_lshlrev_b32_e32 v19, 2, v6
	v_lshlrev_b32_e32 v20, 2, v10
	s_delay_alu instid0(VALU_DEP_3)
	v_cndmask_b32_e64 v15, v15, v17, s3
	s_waitcnt vmcnt(0)
	ds_bpermute_b32 v6, v19, v2
	ds_bpermute_b32 v7, v19, v3
	;; [unrolled: 1-line block ×4, first 2 shown]
	v_lshlrev_b32_e32 v21, 2, v15
	s_waitcnt lgkmcnt(2)
	v_cmp_lt_f64_e64 s1, v[2:3], v[6:7]
	s_waitcnt lgkmcnt(0)
	v_cmp_lt_f64_e64 s2, v[0:1], v[8:9]
	s_delay_alu instid0(VALU_DEP_2) | instskip(SKIP_1) | instid1(VALU_DEP_3)
	v_cndmask_b32_e64 v7, v3, v7, s1
	v_cndmask_b32_e64 v6, v2, v6, s1
	;; [unrolled: 1-line block ×4, first 2 shown]
	ds_bpermute_b32 v11, v20, v7
	ds_bpermute_b32 v10, v20, v6
	;; [unrolled: 1-line block ×4, first 2 shown]
	s_waitcnt lgkmcnt(2)
	v_cmp_lt_f64_e64 s1, v[6:7], v[10:11]
	s_waitcnt lgkmcnt(0)
	v_cmp_lt_f64_e64 s2, v[8:9], v[12:13]
	s_delay_alu instid0(VALU_DEP_2) | instskip(SKIP_1) | instid1(VALU_DEP_3)
	v_cndmask_b32_e64 v7, v7, v11, s1
	v_cndmask_b32_e64 v6, v6, v10, s1
	;; [unrolled: 1-line block ×4, first 2 shown]
	ds_bpermute_b32 v11, v21, v7
	ds_bpermute_b32 v10, v21, v6
	;; [unrolled: 1-line block ×4, first 2 shown]
	s_waitcnt lgkmcnt(2)
	v_cmp_lt_f64_e64 s1, v[6:7], v[10:11]
	s_waitcnt lgkmcnt(0)
	v_cmp_lt_f64_e64 s2, v[8:9], v[12:13]
	s_delay_alu instid0(VALU_DEP_2) | instskip(SKIP_1) | instid1(VALU_DEP_3)
	v_cndmask_b32_e64 v7, v7, v11, s1
	v_cndmask_b32_e64 v6, v6, v10, s1
	;; [unrolled: 1-line block ×4, first 2 shown]
	s_mov_b32 s2, 0x652b82fe
	s_mov_b32 s3, 0x3ff71547
	v_add_f64 v[2:3], v[2:3], -v[6:7]
	s_delay_alu instid0(VALU_DEP_2) | instskip(NEXT) | instid1(VALU_DEP_2)
	v_add_f64 v[0:1], v[0:1], -v[8:9]
	v_mul_f64 v[6:7], v[2:3], s[2:3]
	v_cmp_nlt_f64_e64 s1, 0x40900000, v[2:3]
	s_delay_alu instid0(VALU_DEP_3) | instskip(SKIP_2) | instid1(VALU_DEP_3)
	v_mul_f64 v[8:9], v[0:1], s[2:3]
	s_mov_b32 s2, 0xfefa39ef
	s_mov_b32 s3, 0xbfe62e42
	v_rndne_f64_e32 v[6:7], v[6:7]
	s_delay_alu instid0(VALU_DEP_2) | instskip(NEXT) | instid1(VALU_DEP_2)
	v_rndne_f64_e32 v[8:9], v[8:9]
	v_fma_f64 v[10:11], v[6:7], s[2:3], v[2:3]
	v_cvt_i32_f64_e32 v22, v[6:7]
	s_delay_alu instid0(VALU_DEP_3)
	v_fma_f64 v[12:13], v[8:9], s[2:3], v[0:1]
	s_mov_b32 s2, 0x3b39803f
	s_mov_b32 s3, 0xbc7abc9e
	s_delay_alu instid0(VALU_DEP_3) | instid1(SALU_CYCLE_1)
	v_fma_f64 v[10:11], v[6:7], s[2:3], v[10:11]
	s_delay_alu instid0(VALU_DEP_2)
	v_fma_f64 v[12:13], v[8:9], s[2:3], v[12:13]
	s_mov_b32 s2, 0xfca7ab0c
	s_mov_b32 s3, 0x3e928af3
	s_delay_alu instid0(VALU_DEP_2) | instid1(SALU_CYCLE_1)
	v_fma_f64 v[15:16], v[10:11], s[4:5], s[2:3]
	s_delay_alu instid0(VALU_DEP_2) | instskip(SKIP_3) | instid1(VALU_DEP_3)
	v_fma_f64 v[17:18], v[12:13], s[4:5], s[2:3]
	s_mov_b32 s2, 0x623fde64
	s_mov_b32 s3, 0x3ec71dee
	v_cmp_ngt_f64_e64 s4, 0xc090cc00, v[0:1]
	v_fma_f64 v[15:16], v[10:11], v[15:16], s[2:3]
	s_delay_alu instid0(VALU_DEP_3)
	v_fma_f64 v[17:18], v[12:13], v[17:18], s[2:3]
	s_mov_b32 s2, 0x7c89e6b0
	s_mov_b32 s3, 0x3efa0199
	s_delay_alu instid0(VALU_DEP_2) | instid1(SALU_CYCLE_1)
	v_fma_f64 v[15:16], v[10:11], v[15:16], s[2:3]
	s_delay_alu instid0(VALU_DEP_2)
	v_fma_f64 v[17:18], v[12:13], v[17:18], s[2:3]
	s_mov_b32 s2, 0x14761f6e
	s_mov_b32 s3, 0x3f2a01a0
	s_delay_alu instid0(VALU_DEP_2) | instid1(SALU_CYCLE_1)
	v_fma_f64 v[15:16], v[10:11], v[15:16], s[2:3]
	s_delay_alu instid0(VALU_DEP_2)
	v_fma_f64 v[17:18], v[12:13], v[17:18], s[2:3]
	s_mov_b32 s2, 0x1852b7b0
	s_mov_b32 s3, 0x3f56c16c
	s_delay_alu instid0(VALU_DEP_2) | instid1(SALU_CYCLE_1)
	v_fma_f64 v[15:16], v[10:11], v[15:16], s[2:3]
	s_delay_alu instid0(VALU_DEP_2)
	v_fma_f64 v[17:18], v[12:13], v[17:18], s[2:3]
	s_mov_b32 s2, 0x11122322
	s_mov_b32 s3, 0x3f811111
	s_delay_alu instid0(VALU_DEP_2) | instid1(SALU_CYCLE_1)
	v_fma_f64 v[15:16], v[10:11], v[15:16], s[2:3]
	s_delay_alu instid0(VALU_DEP_2)
	v_fma_f64 v[17:18], v[12:13], v[17:18], s[2:3]
	s_mov_b32 s2, 0x555502a1
	s_mov_b32 s3, 0x3fa55555
	s_delay_alu instid0(VALU_DEP_2) | instid1(SALU_CYCLE_1)
	v_fma_f64 v[15:16], v[10:11], v[15:16], s[2:3]
	s_delay_alu instid0(VALU_DEP_2)
	v_fma_f64 v[17:18], v[12:13], v[17:18], s[2:3]
	s_mov_b32 s2, 0x55555511
	s_mov_b32 s3, 0x3fc55555
	s_delay_alu instid0(VALU_DEP_2) | instid1(SALU_CYCLE_1)
	v_fma_f64 v[15:16], v[10:11], v[15:16], s[2:3]
	s_delay_alu instid0(VALU_DEP_2)
	v_fma_f64 v[17:18], v[12:13], v[17:18], s[2:3]
	s_mov_b32 s2, 11
	s_mov_b32 s3, 0x3fe00000
	s_delay_alu instid0(VALU_DEP_2) | instid1(SALU_CYCLE_1)
	v_fma_f64 v[15:16], v[10:11], v[15:16], s[2:3]
	s_delay_alu instid0(VALU_DEP_2) | instskip(SKIP_2) | instid1(VALU_DEP_4)
	v_fma_f64 v[17:18], v[12:13], v[17:18], s[2:3]
	v_cmp_nlt_f64_e64 s3, 0x40900000, v[0:1]
	v_cmp_ngt_f64_e64 s2, 0xc090cc00, v[2:3]
	v_fma_f64 v[15:16], v[10:11], v[15:16], 1.0
	s_delay_alu instid0(VALU_DEP_4) | instskip(NEXT) | instid1(VALU_DEP_2)
	v_fma_f64 v[17:18], v[12:13], v[17:18], 1.0
	v_fma_f64 v[6:7], v[10:11], v[15:16], 1.0
	v_cvt_i32_f64_e32 v10, v[8:9]
	s_delay_alu instid0(VALU_DEP_3) | instskip(NEXT) | instid1(VALU_DEP_3)
	v_fma_f64 v[8:9], v[12:13], v[17:18], 1.0
	v_ldexp_f64 v[6:7], v[6:7], v22
	s_delay_alu instid0(VALU_DEP_2) | instskip(NEXT) | instid1(VALU_DEP_2)
	v_ldexp_f64 v[8:9], v[8:9], v10
	v_add_f64 v[6:7], v[6:7], 0
	s_delay_alu instid0(VALU_DEP_2) | instskip(NEXT) | instid1(VALU_DEP_2)
	v_add_f64 v[8:9], v[8:9], 0
	v_cndmask_b32_e64 v7, 0x7ff00000, v7, s1
	s_and_b32 s1, s2, s1
	s_delay_alu instid0(VALU_DEP_2) | instskip(NEXT) | instid1(VALU_DEP_4)
	v_cndmask_b32_e64 v9, 0x7ff00000, v9, s3
	v_cndmask_b32_e64 v6, 0, v6, s1
	s_and_b32 s1, s4, s3
	v_cndmask_b32_e64 v7, 0, v7, s2
	v_cndmask_b32_e64 v8, 0, v8, s1
	;; [unrolled: 1-line block ×3, first 2 shown]
	ds_bpermute_b32 v10, v19, v6
	ds_bpermute_b32 v11, v19, v7
	;; [unrolled: 1-line block ×4, first 2 shown]
	s_waitcnt lgkmcnt(2)
	v_add_f64 v[6:7], v[6:7], v[10:11]
	s_waitcnt lgkmcnt(0)
	v_add_f64 v[8:9], v[8:9], v[12:13]
	ds_bpermute_b32 v10, v20, v6
	ds_bpermute_b32 v11, v20, v7
	;; [unrolled: 1-line block ×4, first 2 shown]
	s_waitcnt lgkmcnt(2)
	v_add_f64 v[10:11], v[6:7], v[10:11]
	s_waitcnt lgkmcnt(0)
	v_add_f64 v[6:7], v[8:9], v[12:13]
	ds_bpermute_b32 v12, v21, v10
	ds_bpermute_b32 v13, v21, v11
	;; [unrolled: 1-line block ×4, first 2 shown]
	s_and_saveexec_b32 s1, s0
	s_cbranch_execz .LBB7_10
; %bb.5:
	v_add_co_u32 v4, s0, s16, v4
	s_delay_alu instid0(VALU_DEP_1)
	v_add_co_ci_u32_e64 v5, s0, s17, v5, s0
	s_and_saveexec_b32 s2, vcc_lo
	s_cbranch_execz .LBB7_7
; %bb.6:
	s_waitcnt lgkmcnt(2)
	v_add_f64 v[10:11], v[10:11], v[12:13]
	s_mov_b32 s5, 0x3fe55555
	s_mov_b32 s4, 0x55555555
	v_mov_b32_e32 v15, 0
	s_mov_b32 s6, 0xbf559e2b
	s_mov_b32 s7, 0x3fc3ab76
	s_delay_alu instid0(VALU_DEP_2) | instskip(SKIP_1) | instid1(VALU_DEP_2)
	v_frexp_mant_f64_e32 v[12:13], v[10:11]
	v_frexp_exp_i32_f64_e32 v16, v[10:11]
	v_cmp_gt_f64_e64 s0, s[4:5], v[12:13]
	s_mov_b32 s4, 0x55555780
	s_delay_alu instid0(VALU_DEP_1) | instskip(SKIP_3) | instid1(VALU_DEP_1)
	v_subrev_co_ci_u32_e64 v27, s1, 0, v16, s0
	v_cndmask_b32_e64 v16, 0x3ff00000, 2.0, s0
	s_mov_b32 s0, 0x6b47b09a
	s_mov_b32 s1, 0x3fc38538
	v_mul_f64 v[12:13], v[12:13], v[15:16]
	s_delay_alu instid0(VALU_DEP_1) | instskip(SKIP_1) | instid1(VALU_DEP_2)
	v_add_f64 v[15:16], v[12:13], 1.0
	v_add_f64 v[21:22], v[12:13], -1.0
	v_rcp_f64_e32 v[17:18], v[15:16]
	v_add_f64 v[23:24], v[15:16], -1.0
	s_delay_alu instid0(VALU_DEP_1) | instskip(SKIP_2) | instid1(VALU_DEP_1)
	v_add_f64 v[12:13], v[12:13], -v[23:24]
	s_waitcnt_depctr 0xfff
	v_fma_f64 v[19:20], -v[15:16], v[17:18], 1.0
	v_fma_f64 v[17:18], v[19:20], v[17:18], v[17:18]
	s_delay_alu instid0(VALU_DEP_1) | instskip(NEXT) | instid1(VALU_DEP_1)
	v_fma_f64 v[19:20], -v[15:16], v[17:18], 1.0
	v_fma_f64 v[17:18], v[19:20], v[17:18], v[17:18]
	s_delay_alu instid0(VALU_DEP_1) | instskip(NEXT) | instid1(VALU_DEP_1)
	v_mul_f64 v[19:20], v[21:22], v[17:18]
	v_mul_f64 v[25:26], v[15:16], v[19:20]
	s_delay_alu instid0(VALU_DEP_1) | instskip(NEXT) | instid1(VALU_DEP_1)
	v_fma_f64 v[15:16], v[19:20], v[15:16], -v[25:26]
	v_fma_f64 v[12:13], v[19:20], v[12:13], v[15:16]
	s_delay_alu instid0(VALU_DEP_1) | instskip(NEXT) | instid1(VALU_DEP_1)
	v_add_f64 v[15:16], v[25:26], v[12:13]
	v_add_f64 v[23:24], v[21:22], -v[15:16]
	v_add_f64 v[25:26], v[15:16], -v[25:26]
	s_delay_alu instid0(VALU_DEP_2) | instskip(NEXT) | instid1(VALU_DEP_2)
	v_add_f64 v[21:22], v[21:22], -v[23:24]
	v_add_f64 v[12:13], v[25:26], -v[12:13]
	s_delay_alu instid0(VALU_DEP_2) | instskip(NEXT) | instid1(VALU_DEP_1)
	v_add_f64 v[15:16], v[21:22], -v[15:16]
	v_add_f64 v[12:13], v[12:13], v[15:16]
	s_delay_alu instid0(VALU_DEP_1) | instskip(NEXT) | instid1(VALU_DEP_1)
	v_add_f64 v[12:13], v[23:24], v[12:13]
	v_mul_f64 v[12:13], v[17:18], v[12:13]
	s_delay_alu instid0(VALU_DEP_1) | instskip(NEXT) | instid1(VALU_DEP_1)
	v_add_f64 v[15:16], v[19:20], v[12:13]
	v_mul_f64 v[17:18], v[15:16], v[15:16]
	s_delay_alu instid0(VALU_DEP_1) | instskip(SKIP_3) | instid1(VALU_DEP_2)
	v_fma_f64 v[21:22], v[17:18], s[6:7], s[0:1]
	s_mov_b32 s0, 0xd7f4df2e
	s_mov_b32 s1, 0x3fc7474d
	v_mul_f64 v[23:24], v[15:16], v[17:18]
	v_fma_f64 v[21:22], v[17:18], v[21:22], s[0:1]
	s_mov_b32 s0, 0x16291751
	s_mov_b32 s1, 0x3fcc71c0
	s_delay_alu instid0(VALU_DEP_1) | instid1(SALU_CYCLE_1)
	v_fma_f64 v[21:22], v[17:18], v[21:22], s[0:1]
	s_mov_b32 s0, 0x9b27acf1
	s_mov_b32 s1, 0x3fd24924
	s_delay_alu instid0(VALU_DEP_1) | instid1(SALU_CYCLE_1)
	;; [unrolled: 4-line block ×3, first 2 shown]
	v_fma_f64 v[21:22], v[17:18], v[21:22], s[0:1]
	s_mov_b32 s0, 0xfefa39ef
	s_mov_b32 s1, 0x3fe62e42
	s_delay_alu instid0(VALU_DEP_1) | instskip(SKIP_2) | instid1(VALU_DEP_3)
	v_fma_f64 v[17:18], v[17:18], v[21:22], s[4:5]
	v_ldexp_f64 v[21:22], v[15:16], 1
	v_add_f64 v[15:16], v[15:16], -v[19:20]
	v_mul_f64 v[17:18], v[23:24], v[17:18]
	v_cvt_f64_i32_e32 v[23:24], v27
	s_delay_alu instid0(VALU_DEP_3) | instskip(NEXT) | instid1(VALU_DEP_3)
	v_add_f64 v[12:13], v[12:13], -v[15:16]
	v_add_f64 v[19:20], v[21:22], v[17:18]
	s_delay_alu instid0(VALU_DEP_3) | instskip(NEXT) | instid1(VALU_DEP_3)
	v_mul_f64 v[25:26], v[23:24], s[0:1]
	v_ldexp_f64 v[12:13], v[12:13], 1
	s_delay_alu instid0(VALU_DEP_3) | instskip(NEXT) | instid1(VALU_DEP_3)
	v_add_f64 v[15:16], v[19:20], -v[21:22]
	v_fma_f64 v[21:22], v[23:24], s[0:1], -v[25:26]
	s_mov_b32 s0, 0x3b39803f
	s_mov_b32 s1, 0x3c7abc9e
	s_delay_alu instid0(VALU_DEP_2) | instskip(NEXT) | instid1(VALU_DEP_2)
	v_add_f64 v[15:16], v[17:18], -v[15:16]
	v_fma_f64 v[17:18], v[23:24], s[0:1], v[21:22]
	v_cmp_class_f64_e64 s0, v[10:11], 0x204
	s_delay_alu instid0(VALU_DEP_3) | instskip(NEXT) | instid1(VALU_DEP_3)
	v_add_f64 v[12:13], v[12:13], v[15:16]
	v_add_f64 v[15:16], v[25:26], v[17:18]
	s_delay_alu instid0(VALU_DEP_2) | instskip(NEXT) | instid1(VALU_DEP_2)
	v_add_f64 v[21:22], v[19:20], v[12:13]
	v_add_f64 v[25:26], v[15:16], -v[25:26]
	s_delay_alu instid0(VALU_DEP_2) | instskip(SKIP_1) | instid1(VALU_DEP_3)
	v_add_f64 v[23:24], v[15:16], v[21:22]
	v_add_f64 v[19:20], v[21:22], -v[19:20]
	v_add_f64 v[17:18], v[17:18], -v[25:26]
	s_delay_alu instid0(VALU_DEP_3) | instskip(NEXT) | instid1(VALU_DEP_3)
	v_add_f64 v[27:28], v[23:24], -v[15:16]
	v_add_f64 v[12:13], v[12:13], -v[19:20]
	s_delay_alu instid0(VALU_DEP_2) | instskip(SKIP_1) | instid1(VALU_DEP_3)
	v_add_f64 v[29:30], v[23:24], -v[27:28]
	v_add_f64 v[19:20], v[21:22], -v[27:28]
	v_add_f64 v[21:22], v[17:18], v[12:13]
	s_delay_alu instid0(VALU_DEP_3) | instskip(NEXT) | instid1(VALU_DEP_1)
	v_add_f64 v[15:16], v[15:16], -v[29:30]
	v_add_f64 v[15:16], v[19:20], v[15:16]
	s_delay_alu instid0(VALU_DEP_3) | instskip(NEXT) | instid1(VALU_DEP_2)
	v_add_f64 v[19:20], v[21:22], -v[17:18]
	v_add_f64 v[15:16], v[21:22], v[15:16]
	s_delay_alu instid0(VALU_DEP_2) | instskip(SKIP_1) | instid1(VALU_DEP_3)
	v_add_f64 v[21:22], v[21:22], -v[19:20]
	v_add_f64 v[12:13], v[12:13], -v[19:20]
	v_add_f64 v[25:26], v[23:24], v[15:16]
	s_delay_alu instid0(VALU_DEP_3) | instskip(NEXT) | instid1(VALU_DEP_2)
	v_add_f64 v[17:18], v[17:18], -v[21:22]
	v_add_f64 v[19:20], v[25:26], -v[23:24]
	s_delay_alu instid0(VALU_DEP_2) | instskip(NEXT) | instid1(VALU_DEP_2)
	v_add_f64 v[12:13], v[12:13], v[17:18]
	v_add_f64 v[15:16], v[15:16], -v[19:20]
	s_delay_alu instid0(VALU_DEP_1) | instskip(NEXT) | instid1(VALU_DEP_1)
	v_add_f64 v[12:13], v[12:13], v[15:16]
	v_add_f64 v[12:13], v[25:26], v[12:13]
	s_delay_alu instid0(VALU_DEP_1) | instskip(NEXT) | instid1(VALU_DEP_2)
	v_cndmask_b32_e64 v12, v12, v10, s0
	v_cndmask_b32_e64 v13, v13, v11, s0
	v_cmp_ngt_f64_e64 s0, 0, v[10:11]
	s_delay_alu instid0(VALU_DEP_1) | instskip(SKIP_1) | instid1(VALU_DEP_1)
	v_cndmask_b32_e64 v13, 0x7ff80000, v13, s0
	v_cmp_nge_f64_e64 s0, 0, v[10:11]
	v_cndmask_b32_e64 v12, 0, v12, s0
	v_cmp_neq_f64_e64 s0, 0, v[10:11]
	s_delay_alu instid0(VALU_DEP_1) | instskip(NEXT) | instid1(VALU_DEP_1)
	v_cndmask_b32_e64 v13, 0xfff00000, v13, s0
	v_add_f64 v[2:3], v[2:3], -v[12:13]
	global_store_b64 v[4:5], v[2:3], off
.LBB7_7:
	s_or_b32 exec_lo, exec_lo, s2
	v_cmp_ne_u32_e64 s0, 1, v14
	s_delay_alu instid0(VALU_DEP_1)
	s_and_b32 exec_lo, exec_lo, s0
	s_cbranch_execz .LBB7_10
; %bb.8:
	s_and_b32 exec_lo, exec_lo, vcc_lo
	s_cbranch_execz .LBB7_10
; %bb.9:
	s_waitcnt lgkmcnt(0)
	v_add_f64 v[2:3], v[6:7], v[8:9]
	s_mov_b32 s1, 0x3fe55555
	s_mov_b32 s0, 0x55555555
	;; [unrolled: 1-line block ×7, first 2 shown]
	s_delay_alu instid0(VALU_DEP_1) | instskip(SKIP_1) | instid1(VALU_DEP_2)
	v_frexp_mant_f64_e32 v[6:7], v[2:3]
	v_frexp_exp_i32_f64_e32 v9, v[2:3]
	v_cmp_gt_f64_e32 vcc_lo, s[0:1], v[6:7]
	s_delay_alu instid0(VALU_DEP_2) | instskip(SKIP_4) | instid1(VALU_DEP_1)
	v_subrev_co_ci_u32_e64 v20, s0, 0, v9, vcc_lo
	v_cndmask_b32_e64 v9, 0x3ff00000, 2.0, vcc_lo
	v_cmp_class_f64_e64 vcc_lo, v[2:3], 0x204
	v_mov_b32_e32 v8, 0
	s_mov_b32 s0, 0x55555780
	v_mul_f64 v[6:7], v[6:7], v[8:9]
	s_delay_alu instid0(VALU_DEP_1) | instskip(SKIP_1) | instid1(VALU_DEP_2)
	v_add_f64 v[8:9], v[6:7], 1.0
	v_add_f64 v[14:15], v[6:7], -1.0
	v_rcp_f64_e32 v[10:11], v[8:9]
	v_add_f64 v[16:17], v[8:9], -1.0
	s_delay_alu instid0(VALU_DEP_1) | instskip(SKIP_2) | instid1(VALU_DEP_1)
	v_add_f64 v[6:7], v[6:7], -v[16:17]
	s_waitcnt_depctr 0xfff
	v_fma_f64 v[12:13], -v[8:9], v[10:11], 1.0
	v_fma_f64 v[10:11], v[12:13], v[10:11], v[10:11]
	s_delay_alu instid0(VALU_DEP_1) | instskip(NEXT) | instid1(VALU_DEP_1)
	v_fma_f64 v[12:13], -v[8:9], v[10:11], 1.0
	v_fma_f64 v[10:11], v[12:13], v[10:11], v[10:11]
	s_delay_alu instid0(VALU_DEP_1) | instskip(NEXT) | instid1(VALU_DEP_1)
	v_mul_f64 v[12:13], v[14:15], v[10:11]
	v_mul_f64 v[18:19], v[8:9], v[12:13]
	s_delay_alu instid0(VALU_DEP_1) | instskip(NEXT) | instid1(VALU_DEP_1)
	v_fma_f64 v[8:9], v[12:13], v[8:9], -v[18:19]
	v_fma_f64 v[6:7], v[12:13], v[6:7], v[8:9]
	s_delay_alu instid0(VALU_DEP_1) | instskip(NEXT) | instid1(VALU_DEP_1)
	v_add_f64 v[8:9], v[18:19], v[6:7]
	v_add_f64 v[16:17], v[14:15], -v[8:9]
	v_add_f64 v[18:19], v[8:9], -v[18:19]
	s_delay_alu instid0(VALU_DEP_2) | instskip(NEXT) | instid1(VALU_DEP_2)
	v_add_f64 v[14:15], v[14:15], -v[16:17]
	v_add_f64 v[6:7], v[18:19], -v[6:7]
	s_delay_alu instid0(VALU_DEP_2) | instskip(NEXT) | instid1(VALU_DEP_1)
	v_add_f64 v[8:9], v[14:15], -v[8:9]
	v_add_f64 v[6:7], v[6:7], v[8:9]
	s_delay_alu instid0(VALU_DEP_1) | instskip(NEXT) | instid1(VALU_DEP_1)
	v_add_f64 v[6:7], v[16:17], v[6:7]
	v_mul_f64 v[6:7], v[10:11], v[6:7]
	s_delay_alu instid0(VALU_DEP_1) | instskip(NEXT) | instid1(VALU_DEP_1)
	v_add_f64 v[8:9], v[12:13], v[6:7]
	v_mul_f64 v[10:11], v[8:9], v[8:9]
	s_delay_alu instid0(VALU_DEP_1) | instskip(SKIP_3) | instid1(VALU_DEP_2)
	v_fma_f64 v[14:15], v[10:11], s[4:5], s[2:3]
	s_mov_b32 s2, 0xd7f4df2e
	s_mov_b32 s3, 0x3fc7474d
	v_mul_f64 v[16:17], v[8:9], v[10:11]
	v_fma_f64 v[14:15], v[10:11], v[14:15], s[2:3]
	s_mov_b32 s2, 0x16291751
	s_mov_b32 s3, 0x3fcc71c0
	s_delay_alu instid0(VALU_DEP_1) | instid1(SALU_CYCLE_1)
	v_fma_f64 v[14:15], v[10:11], v[14:15], s[2:3]
	s_mov_b32 s2, 0x9b27acf1
	s_mov_b32 s3, 0x3fd24924
	s_delay_alu instid0(VALU_DEP_1) | instid1(SALU_CYCLE_1)
	v_fma_f64 v[14:15], v[10:11], v[14:15], s[2:3]
	s_mov_b32 s2, 0x998ef7b6
	s_mov_b32 s3, 0x3fd99999
	s_delay_alu instid0(VALU_DEP_1) | instid1(SALU_CYCLE_1)
	v_fma_f64 v[14:15], v[10:11], v[14:15], s[2:3]
	s_delay_alu instid0(VALU_DEP_1) | instskip(SKIP_4) | instid1(VALU_DEP_3)
	v_fma_f64 v[10:11], v[10:11], v[14:15], s[0:1]
	v_ldexp_f64 v[14:15], v[8:9], 1
	v_add_f64 v[8:9], v[8:9], -v[12:13]
	s_mov_b32 s0, 0xfefa39ef
	s_mov_b32 s1, 0x3fe62e42
	v_mul_f64 v[10:11], v[16:17], v[10:11]
	v_cvt_f64_i32_e32 v[16:17], v20
	s_delay_alu instid0(VALU_DEP_3) | instskip(NEXT) | instid1(VALU_DEP_3)
	v_add_f64 v[6:7], v[6:7], -v[8:9]
	v_add_f64 v[12:13], v[14:15], v[10:11]
	s_delay_alu instid0(VALU_DEP_3) | instskip(NEXT) | instid1(VALU_DEP_3)
	v_mul_f64 v[18:19], v[16:17], s[0:1]
	v_ldexp_f64 v[6:7], v[6:7], 1
	s_delay_alu instid0(VALU_DEP_3) | instskip(NEXT) | instid1(VALU_DEP_3)
	v_add_f64 v[8:9], v[12:13], -v[14:15]
	v_fma_f64 v[14:15], v[16:17], s[0:1], -v[18:19]
	s_mov_b32 s0, 0x3b39803f
	s_mov_b32 s1, 0x3c7abc9e
	s_delay_alu instid0(VALU_DEP_2) | instskip(NEXT) | instid1(VALU_DEP_2)
	v_add_f64 v[8:9], v[10:11], -v[8:9]
	v_fma_f64 v[10:11], v[16:17], s[0:1], v[14:15]
	s_lshl_b64 s[0:1], s[22:23], 3
	s_delay_alu instid0(VALU_DEP_2) | instskip(NEXT) | instid1(VALU_DEP_2)
	v_add_f64 v[6:7], v[6:7], v[8:9]
	v_add_f64 v[8:9], v[18:19], v[10:11]
	s_delay_alu instid0(VALU_DEP_2) | instskip(NEXT) | instid1(VALU_DEP_2)
	v_add_f64 v[14:15], v[12:13], v[6:7]
	v_add_f64 v[18:19], v[8:9], -v[18:19]
	s_delay_alu instid0(VALU_DEP_2) | instskip(SKIP_1) | instid1(VALU_DEP_3)
	v_add_f64 v[16:17], v[8:9], v[14:15]
	v_add_f64 v[12:13], v[14:15], -v[12:13]
	v_add_f64 v[10:11], v[10:11], -v[18:19]
	s_delay_alu instid0(VALU_DEP_3) | instskip(NEXT) | instid1(VALU_DEP_3)
	v_add_f64 v[20:21], v[16:17], -v[8:9]
	v_add_f64 v[6:7], v[6:7], -v[12:13]
	s_delay_alu instid0(VALU_DEP_2) | instskip(SKIP_1) | instid1(VALU_DEP_3)
	v_add_f64 v[22:23], v[16:17], -v[20:21]
	v_add_f64 v[12:13], v[14:15], -v[20:21]
	v_add_f64 v[14:15], v[10:11], v[6:7]
	s_delay_alu instid0(VALU_DEP_3) | instskip(NEXT) | instid1(VALU_DEP_1)
	v_add_f64 v[8:9], v[8:9], -v[22:23]
	v_add_f64 v[8:9], v[12:13], v[8:9]
	s_delay_alu instid0(VALU_DEP_3) | instskip(NEXT) | instid1(VALU_DEP_2)
	v_add_f64 v[12:13], v[14:15], -v[10:11]
	v_add_f64 v[8:9], v[14:15], v[8:9]
	s_delay_alu instid0(VALU_DEP_2) | instskip(SKIP_1) | instid1(VALU_DEP_3)
	v_add_f64 v[14:15], v[14:15], -v[12:13]
	v_add_f64 v[6:7], v[6:7], -v[12:13]
	v_add_f64 v[18:19], v[16:17], v[8:9]
	s_delay_alu instid0(VALU_DEP_3) | instskip(NEXT) | instid1(VALU_DEP_2)
	v_add_f64 v[10:11], v[10:11], -v[14:15]
	v_add_f64 v[12:13], v[18:19], -v[16:17]
	s_delay_alu instid0(VALU_DEP_2) | instskip(NEXT) | instid1(VALU_DEP_2)
	v_add_f64 v[6:7], v[6:7], v[10:11]
	v_add_f64 v[8:9], v[8:9], -v[12:13]
	s_delay_alu instid0(VALU_DEP_1) | instskip(NEXT) | instid1(VALU_DEP_1)
	v_add_f64 v[6:7], v[6:7], v[8:9]
	v_add_f64 v[6:7], v[18:19], v[6:7]
	s_delay_alu instid0(VALU_DEP_1) | instskip(SKIP_1) | instid1(VALU_DEP_2)
	v_dual_cndmask_b32 v7, v7, v3 :: v_dual_cndmask_b32 v6, v6, v2
	v_cmp_ngt_f64_e32 vcc_lo, 0, v[2:3]
	v_cndmask_b32_e32 v7, 0x7ff80000, v7, vcc_lo
	v_cmp_nge_f64_e32 vcc_lo, 0, v[2:3]
	s_delay_alu instid0(VALU_DEP_4) | instskip(SKIP_1) | instid1(VALU_DEP_4)
	v_cndmask_b32_e32 v6, 0, v6, vcc_lo
	v_cmp_neq_f64_e32 vcc_lo, 0, v[2:3]
	v_cndmask_b32_e32 v7, 0xfff00000, v7, vcc_lo
	v_add_co_u32 v2, vcc_lo, v4, s0
	v_add_co_ci_u32_e32 v3, vcc_lo, s1, v5, vcc_lo
	s_delay_alu instid0(VALU_DEP_3)
	v_add_f64 v[0:1], v[0:1], -v[6:7]
	global_store_b64 v[2:3], v[0:1], off
.LBB7_10:
	s_nop 0
	s_sendmsg sendmsg(MSG_DEALLOC_VGPRS)
	s_endpgm
	.section	.rodata,"a",@progbits
	.p2align	6, 0x0
	.amdhsa_kernel _ZN12_GLOBAL__N_120softmax_warp_forwardIdddLi3ELb1ELb0ELi32EEEvPT0_PKT_iiiPKbib
		.amdhsa_group_segment_fixed_size 0
		.amdhsa_private_segment_fixed_size 0
		.amdhsa_kernarg_size 304
		.amdhsa_user_sgpr_count 15
		.amdhsa_user_sgpr_dispatch_ptr 0
		.amdhsa_user_sgpr_queue_ptr 0
		.amdhsa_user_sgpr_kernarg_segment_ptr 1
		.amdhsa_user_sgpr_dispatch_id 0
		.amdhsa_user_sgpr_private_segment_size 0
		.amdhsa_wavefront_size32 1
		.amdhsa_uses_dynamic_stack 0
		.amdhsa_enable_private_segment 0
		.amdhsa_system_sgpr_workgroup_id_x 1
		.amdhsa_system_sgpr_workgroup_id_y 0
		.amdhsa_system_sgpr_workgroup_id_z 0
		.amdhsa_system_sgpr_workgroup_info 0
		.amdhsa_system_vgpr_workitem_id 1
		.amdhsa_next_free_vgpr 31
		.amdhsa_next_free_sgpr 24
		.amdhsa_reserve_vcc 1
		.amdhsa_float_round_mode_32 0
		.amdhsa_float_round_mode_16_64 0
		.amdhsa_float_denorm_mode_32 3
		.amdhsa_float_denorm_mode_16_64 3
		.amdhsa_dx10_clamp 1
		.amdhsa_ieee_mode 1
		.amdhsa_fp16_overflow 0
		.amdhsa_workgroup_processor_mode 1
		.amdhsa_memory_ordered 1
		.amdhsa_forward_progress 0
		.amdhsa_shared_vgpr_count 0
		.amdhsa_exception_fp_ieee_invalid_op 0
		.amdhsa_exception_fp_denorm_src 0
		.amdhsa_exception_fp_ieee_div_zero 0
		.amdhsa_exception_fp_ieee_overflow 0
		.amdhsa_exception_fp_ieee_underflow 0
		.amdhsa_exception_fp_ieee_inexact 0
		.amdhsa_exception_int_div_zero 0
	.end_amdhsa_kernel
	.section	.text._ZN12_GLOBAL__N_120softmax_warp_forwardIdddLi3ELb1ELb0ELi32EEEvPT0_PKT_iiiPKbib,"axG",@progbits,_ZN12_GLOBAL__N_120softmax_warp_forwardIdddLi3ELb1ELb0ELi32EEEvPT0_PKT_iiiPKbib,comdat
.Lfunc_end7:
	.size	_ZN12_GLOBAL__N_120softmax_warp_forwardIdddLi3ELb1ELb0ELi32EEEvPT0_PKT_iiiPKbib, .Lfunc_end7-_ZN12_GLOBAL__N_120softmax_warp_forwardIdddLi3ELb1ELb0ELi32EEEvPT0_PKT_iiiPKbib
                                        ; -- End function
	.section	.AMDGPU.csdata,"",@progbits
; Kernel info:
; codeLenInByte = 3536
; NumSgprs: 26
; NumVgprs: 31
; ScratchSize: 0
; MemoryBound: 0
; FloatMode: 240
; IeeeMode: 1
; LDSByteSize: 0 bytes/workgroup (compile time only)
; SGPRBlocks: 3
; VGPRBlocks: 3
; NumSGPRsForWavesPerEU: 26
; NumVGPRsForWavesPerEU: 31
; Occupancy: 16
; WaveLimiterHint : 0
; COMPUTE_PGM_RSRC2:SCRATCH_EN: 0
; COMPUTE_PGM_RSRC2:USER_SGPR: 15
; COMPUTE_PGM_RSRC2:TRAP_HANDLER: 0
; COMPUTE_PGM_RSRC2:TGID_X_EN: 1
; COMPUTE_PGM_RSRC2:TGID_Y_EN: 0
; COMPUTE_PGM_RSRC2:TGID_Z_EN: 0
; COMPUTE_PGM_RSRC2:TIDIG_COMP_CNT: 1
	.section	.text._ZN12_GLOBAL__N_120softmax_warp_forwardIdddLi4ELb1ELb0ELi64EEEvPT0_PKT_iiiPKbib,"axG",@progbits,_ZN12_GLOBAL__N_120softmax_warp_forwardIdddLi4ELb1ELb0ELi64EEEvPT0_PKT_iiiPKbib,comdat
	.globl	_ZN12_GLOBAL__N_120softmax_warp_forwardIdddLi4ELb1ELb0ELi64EEEvPT0_PKT_iiiPKbib ; -- Begin function _ZN12_GLOBAL__N_120softmax_warp_forwardIdddLi4ELb1ELb0ELi64EEEvPT0_PKT_iiiPKbib
	.p2align	8
	.type	_ZN12_GLOBAL__N_120softmax_warp_forwardIdddLi4ELb1ELb0ELi64EEEvPT0_PKT_iiiPKbib,@function
_ZN12_GLOBAL__N_120softmax_warp_forwardIdddLi4ELb1ELb0ELi64EEEvPT0_PKT_iiiPKbib: ; @_ZN12_GLOBAL__N_120softmax_warp_forwardIdddLi4ELb1ELb0ELi64EEEvPT0_PKT_iiiPKbib
; %bb.0:
	s_clause 0x1
	s_load_b32 s2, s[0:1], 0x3c
	s_load_b256 s[16:23], s[0:1], 0x0
	v_bfe_u32 v1, v0, 10, 10
	v_and_b32_e32 v2, 0x3ff, v0
	s_waitcnt lgkmcnt(0)
	s_lshr_b32 s0, s2, 16
	s_delay_alu instid0(VALU_DEP_1) | instskip(SKIP_1) | instid1(SALU_CYCLE_1)
	v_cmp_gt_i32_e32 vcc_lo, s22, v2
	s_mul_i32 s15, s15, s0
	v_add_lshl_u32 v3, s15, v1, 1
	s_delay_alu instid0(VALU_DEP_1) | instskip(SKIP_1) | instid1(VALU_DEP_1)
	v_mad_u64_u32 v[0:1], null, v3, s21, v[2:3]
	v_sub_nc_u32_e32 v14, s20, v3
	v_cmp_lt_i32_e64 s0, 0, v14
	s_delay_alu instid0(VALU_DEP_3) | instskip(NEXT) | instid1(VALU_DEP_2)
	v_ashrrev_i32_e32 v1, 31, v0
	s_and_b32 s2, vcc_lo, s0
	s_delay_alu instid0(VALU_DEP_1) | instskip(SKIP_2) | instid1(VALU_DEP_3)
	v_lshlrev_b64 v[4:5], 3, v[0:1]
	v_mov_b32_e32 v0, 0
	v_mov_b32_e32 v1, 0xfff00000
	v_add_co_u32 v6, s1, s18, v4
	s_delay_alu instid0(VALU_DEP_1) | instskip(NEXT) | instid1(VALU_DEP_3)
	v_add_co_ci_u32_e64 v7, s1, s19, v5, s1
	v_dual_mov_b32 v3, v1 :: v_dual_mov_b32 v2, v0
	s_and_saveexec_b32 s1, s2
	s_cbranch_execz .LBB8_2
; %bb.1:
	global_load_b64 v[2:3], v[6:7], off
.LBB8_2:
	s_or_b32 exec_lo, exec_lo, s1
	v_cmp_lt_i32_e64 s1, 1, v14
	s_delay_alu instid0(VALU_DEP_1) | instskip(NEXT) | instid1(SALU_CYCLE_1)
	s_and_b32 s1, vcc_lo, s1
	s_and_saveexec_b32 s2, s1
	s_cbranch_execz .LBB8_4
; %bb.3:
	s_mov_b32 s23, 0
	s_delay_alu instid0(SALU_CYCLE_1) | instskip(NEXT) | instid1(SALU_CYCLE_1)
	s_lshl_b64 s[4:5], s[22:23], 3
	v_add_co_u32 v0, s1, v6, s4
	s_delay_alu instid0(VALU_DEP_1)
	v_add_co_ci_u32_e64 v1, s1, s5, v7, s1
	global_load_b64 v[0:1], v[0:1], off
.LBB8_4:
	s_or_b32 exec_lo, exec_lo, s2
	v_mbcnt_lo_u32_b32 v15, -1, 0
	s_mov_b32 s4, 0x6a5dcb37
	s_mov_b32 s5, 0x3e5ade15
	s_delay_alu instid0(VALU_DEP_1) | instskip(SKIP_3) | instid1(VALU_DEP_4)
	v_and_b32_e32 v6, 16, v15
	v_xor_b32_e32 v7, 8, v15
	v_xor_b32_e32 v10, 4, v15
	;; [unrolled: 1-line block ×3, first 2 shown]
	v_add_nc_u32_e32 v16, 16, v6
	s_delay_alu instid0(VALU_DEP_1) | instskip(NEXT) | instid1(VALU_DEP_4)
	v_cmp_lt_i32_e64 s1, v7, v16
	v_cmp_lt_i32_e64 s3, v10, v16
	s_delay_alu instid0(VALU_DEP_2) | instskip(NEXT) | instid1(VALU_DEP_2)
	v_cndmask_b32_e64 v6, v15, v7, s1
	v_cndmask_b32_e64 v10, v15, v10, s3
	v_cmp_lt_i32_e64 s3, v17, v16
	s_delay_alu instid0(VALU_DEP_3) | instskip(NEXT) | instid1(VALU_DEP_3)
	v_lshlrev_b32_e32 v19, 2, v6
	v_lshlrev_b32_e32 v20, 2, v10
	s_delay_alu instid0(VALU_DEP_3)
	v_cndmask_b32_e64 v17, v15, v17, s3
	s_waitcnt vmcnt(0)
	ds_bpermute_b32 v6, v19, v2
	ds_bpermute_b32 v7, v19, v3
	;; [unrolled: 1-line block ×4, first 2 shown]
	v_lshlrev_b32_e32 v21, 2, v17
	v_xor_b32_e32 v17, 1, v15
	s_delay_alu instid0(VALU_DEP_1) | instskip(NEXT) | instid1(VALU_DEP_1)
	v_cmp_lt_i32_e64 s3, v17, v16
	v_cndmask_b32_e64 v15, v15, v17, s3
	s_delay_alu instid0(VALU_DEP_1) | instskip(SKIP_4) | instid1(VALU_DEP_2)
	v_lshlrev_b32_e32 v22, 2, v15
	s_waitcnt lgkmcnt(2)
	v_cmp_lt_f64_e64 s1, v[2:3], v[6:7]
	s_waitcnt lgkmcnt(0)
	v_cmp_lt_f64_e64 s2, v[0:1], v[8:9]
	v_cndmask_b32_e64 v7, v3, v7, s1
	v_cndmask_b32_e64 v6, v2, v6, s1
	s_delay_alu instid0(VALU_DEP_3)
	v_cndmask_b32_e64 v9, v1, v9, s2
	v_cndmask_b32_e64 v8, v0, v8, s2
	ds_bpermute_b32 v11, v20, v7
	ds_bpermute_b32 v10, v20, v6
	ds_bpermute_b32 v13, v20, v9
	ds_bpermute_b32 v12, v20, v8
	s_waitcnt lgkmcnt(2)
	v_cmp_lt_f64_e64 s1, v[6:7], v[10:11]
	s_waitcnt lgkmcnt(0)
	v_cmp_lt_f64_e64 s2, v[8:9], v[12:13]
	s_delay_alu instid0(VALU_DEP_2) | instskip(SKIP_1) | instid1(VALU_DEP_3)
	v_cndmask_b32_e64 v7, v7, v11, s1
	v_cndmask_b32_e64 v6, v6, v10, s1
	v_cndmask_b32_e64 v9, v9, v13, s2
	v_cndmask_b32_e64 v8, v8, v12, s2
	ds_bpermute_b32 v11, v21, v7
	ds_bpermute_b32 v10, v21, v6
	ds_bpermute_b32 v13, v21, v9
	ds_bpermute_b32 v12, v21, v8
	s_waitcnt lgkmcnt(2)
	v_cmp_lt_f64_e64 s1, v[6:7], v[10:11]
	s_waitcnt lgkmcnt(0)
	v_cmp_lt_f64_e64 s2, v[8:9], v[12:13]
	s_delay_alu instid0(VALU_DEP_2) | instskip(SKIP_1) | instid1(VALU_DEP_3)
	v_cndmask_b32_e64 v7, v7, v11, s1
	v_cndmask_b32_e64 v6, v6, v10, s1
	;; [unrolled: 13-line block ×3, first 2 shown]
	v_cndmask_b32_e64 v9, v9, v13, s2
	v_cndmask_b32_e64 v8, v8, v12, s2
	s_mov_b32 s2, 0x652b82fe
	s_mov_b32 s3, 0x3ff71547
	v_add_f64 v[2:3], v[2:3], -v[6:7]
	s_delay_alu instid0(VALU_DEP_2) | instskip(NEXT) | instid1(VALU_DEP_2)
	v_add_f64 v[0:1], v[0:1], -v[8:9]
	v_mul_f64 v[6:7], v[2:3], s[2:3]
	v_cmp_nlt_f64_e64 s1, 0x40900000, v[2:3]
	s_delay_alu instid0(VALU_DEP_3) | instskip(SKIP_2) | instid1(VALU_DEP_3)
	v_mul_f64 v[8:9], v[0:1], s[2:3]
	s_mov_b32 s2, 0xfefa39ef
	s_mov_b32 s3, 0xbfe62e42
	v_rndne_f64_e32 v[6:7], v[6:7]
	s_delay_alu instid0(VALU_DEP_2) | instskip(NEXT) | instid1(VALU_DEP_2)
	v_rndne_f64_e32 v[8:9], v[8:9]
	v_fma_f64 v[10:11], v[6:7], s[2:3], v[2:3]
	v_cvt_i32_f64_e32 v23, v[6:7]
	s_delay_alu instid0(VALU_DEP_3)
	v_fma_f64 v[12:13], v[8:9], s[2:3], v[0:1]
	s_mov_b32 s2, 0x3b39803f
	s_mov_b32 s3, 0xbc7abc9e
	s_delay_alu instid0(VALU_DEP_3) | instid1(SALU_CYCLE_1)
	v_fma_f64 v[10:11], v[6:7], s[2:3], v[10:11]
	s_delay_alu instid0(VALU_DEP_2)
	v_fma_f64 v[12:13], v[8:9], s[2:3], v[12:13]
	s_mov_b32 s2, 0xfca7ab0c
	s_mov_b32 s3, 0x3e928af3
	s_delay_alu instid0(VALU_DEP_2) | instid1(SALU_CYCLE_1)
	v_fma_f64 v[15:16], v[10:11], s[4:5], s[2:3]
	s_delay_alu instid0(VALU_DEP_2) | instskip(SKIP_3) | instid1(VALU_DEP_3)
	v_fma_f64 v[17:18], v[12:13], s[4:5], s[2:3]
	s_mov_b32 s2, 0x623fde64
	s_mov_b32 s3, 0x3ec71dee
	v_cmp_ngt_f64_e64 s4, 0xc090cc00, v[0:1]
	v_fma_f64 v[15:16], v[10:11], v[15:16], s[2:3]
	s_delay_alu instid0(VALU_DEP_3)
	v_fma_f64 v[17:18], v[12:13], v[17:18], s[2:3]
	s_mov_b32 s2, 0x7c89e6b0
	s_mov_b32 s3, 0x3efa0199
	s_delay_alu instid0(VALU_DEP_2) | instid1(SALU_CYCLE_1)
	v_fma_f64 v[15:16], v[10:11], v[15:16], s[2:3]
	s_delay_alu instid0(VALU_DEP_2)
	v_fma_f64 v[17:18], v[12:13], v[17:18], s[2:3]
	s_mov_b32 s2, 0x14761f6e
	s_mov_b32 s3, 0x3f2a01a0
	s_delay_alu instid0(VALU_DEP_2) | instid1(SALU_CYCLE_1)
	v_fma_f64 v[15:16], v[10:11], v[15:16], s[2:3]
	s_delay_alu instid0(VALU_DEP_2)
	;; [unrolled: 6-line block ×6, first 2 shown]
	v_fma_f64 v[17:18], v[12:13], v[17:18], s[2:3]
	s_mov_b32 s2, 11
	s_mov_b32 s3, 0x3fe00000
	s_delay_alu instid0(VALU_DEP_2) | instid1(SALU_CYCLE_1)
	v_fma_f64 v[15:16], v[10:11], v[15:16], s[2:3]
	s_delay_alu instid0(VALU_DEP_2) | instskip(SKIP_2) | instid1(VALU_DEP_4)
	v_fma_f64 v[17:18], v[12:13], v[17:18], s[2:3]
	v_cmp_nlt_f64_e64 s3, 0x40900000, v[0:1]
	v_cmp_ngt_f64_e64 s2, 0xc090cc00, v[2:3]
	v_fma_f64 v[15:16], v[10:11], v[15:16], 1.0
	s_delay_alu instid0(VALU_DEP_4) | instskip(NEXT) | instid1(VALU_DEP_2)
	v_fma_f64 v[17:18], v[12:13], v[17:18], 1.0
	v_fma_f64 v[6:7], v[10:11], v[15:16], 1.0
	v_cvt_i32_f64_e32 v10, v[8:9]
	s_delay_alu instid0(VALU_DEP_3) | instskip(NEXT) | instid1(VALU_DEP_3)
	v_fma_f64 v[8:9], v[12:13], v[17:18], 1.0
	v_ldexp_f64 v[6:7], v[6:7], v23
	s_delay_alu instid0(VALU_DEP_2) | instskip(NEXT) | instid1(VALU_DEP_2)
	v_ldexp_f64 v[8:9], v[8:9], v10
	v_add_f64 v[6:7], v[6:7], 0
	s_delay_alu instid0(VALU_DEP_2) | instskip(NEXT) | instid1(VALU_DEP_2)
	v_add_f64 v[8:9], v[8:9], 0
	v_cndmask_b32_e64 v7, 0x7ff00000, v7, s1
	s_and_b32 s1, s2, s1
	s_delay_alu instid0(VALU_DEP_2) | instskip(NEXT) | instid1(VALU_DEP_4)
	v_cndmask_b32_e64 v9, 0x7ff00000, v9, s3
	v_cndmask_b32_e64 v6, 0, v6, s1
	s_and_b32 s1, s4, s3
	v_cndmask_b32_e64 v7, 0, v7, s2
	v_cndmask_b32_e64 v8, 0, v8, s1
	;; [unrolled: 1-line block ×3, first 2 shown]
	ds_bpermute_b32 v10, v19, v6
	ds_bpermute_b32 v11, v19, v7
	ds_bpermute_b32 v12, v19, v8
	ds_bpermute_b32 v13, v19, v9
	s_waitcnt lgkmcnt(2)
	v_add_f64 v[6:7], v[6:7], v[10:11]
	s_waitcnt lgkmcnt(0)
	v_add_f64 v[8:9], v[8:9], v[12:13]
	ds_bpermute_b32 v10, v20, v6
	ds_bpermute_b32 v11, v20, v7
	ds_bpermute_b32 v12, v20, v8
	ds_bpermute_b32 v13, v20, v9
	s_waitcnt lgkmcnt(2)
	v_add_f64 v[6:7], v[6:7], v[10:11]
	s_waitcnt lgkmcnt(0)
	v_add_f64 v[8:9], v[8:9], v[12:13]
	;; [unrolled: 8-line block ×3, first 2 shown]
	ds_bpermute_b32 v12, v22, v10
	ds_bpermute_b32 v13, v22, v11
	;; [unrolled: 1-line block ×4, first 2 shown]
	s_and_saveexec_b32 s1, s0
	s_cbranch_execz .LBB8_10
; %bb.5:
	v_add_co_u32 v4, s0, s16, v4
	s_delay_alu instid0(VALU_DEP_1)
	v_add_co_ci_u32_e64 v5, s0, s17, v5, s0
	s_and_saveexec_b32 s2, vcc_lo
	s_cbranch_execz .LBB8_7
; %bb.6:
	s_waitcnt lgkmcnt(2)
	v_add_f64 v[10:11], v[10:11], v[12:13]
	s_mov_b32 s5, 0x3fe55555
	s_mov_b32 s4, 0x55555555
	v_mov_b32_e32 v15, 0
	s_mov_b32 s6, 0xbf559e2b
	s_mov_b32 s7, 0x3fc3ab76
	s_delay_alu instid0(VALU_DEP_2) | instskip(SKIP_1) | instid1(VALU_DEP_2)
	v_frexp_mant_f64_e32 v[12:13], v[10:11]
	v_frexp_exp_i32_f64_e32 v16, v[10:11]
	v_cmp_gt_f64_e64 s0, s[4:5], v[12:13]
	s_mov_b32 s4, 0x55555780
	s_delay_alu instid0(VALU_DEP_1) | instskip(SKIP_3) | instid1(VALU_DEP_1)
	v_subrev_co_ci_u32_e64 v27, s1, 0, v16, s0
	v_cndmask_b32_e64 v16, 0x3ff00000, 2.0, s0
	s_mov_b32 s0, 0x6b47b09a
	s_mov_b32 s1, 0x3fc38538
	v_mul_f64 v[12:13], v[12:13], v[15:16]
	s_delay_alu instid0(VALU_DEP_1) | instskip(SKIP_1) | instid1(VALU_DEP_2)
	v_add_f64 v[15:16], v[12:13], 1.0
	v_add_f64 v[21:22], v[12:13], -1.0
	v_rcp_f64_e32 v[17:18], v[15:16]
	v_add_f64 v[23:24], v[15:16], -1.0
	s_delay_alu instid0(VALU_DEP_1) | instskip(SKIP_2) | instid1(VALU_DEP_1)
	v_add_f64 v[12:13], v[12:13], -v[23:24]
	s_waitcnt_depctr 0xfff
	v_fma_f64 v[19:20], -v[15:16], v[17:18], 1.0
	v_fma_f64 v[17:18], v[19:20], v[17:18], v[17:18]
	s_delay_alu instid0(VALU_DEP_1) | instskip(NEXT) | instid1(VALU_DEP_1)
	v_fma_f64 v[19:20], -v[15:16], v[17:18], 1.0
	v_fma_f64 v[17:18], v[19:20], v[17:18], v[17:18]
	s_delay_alu instid0(VALU_DEP_1) | instskip(NEXT) | instid1(VALU_DEP_1)
	v_mul_f64 v[19:20], v[21:22], v[17:18]
	v_mul_f64 v[25:26], v[15:16], v[19:20]
	s_delay_alu instid0(VALU_DEP_1) | instskip(NEXT) | instid1(VALU_DEP_1)
	v_fma_f64 v[15:16], v[19:20], v[15:16], -v[25:26]
	v_fma_f64 v[12:13], v[19:20], v[12:13], v[15:16]
	s_delay_alu instid0(VALU_DEP_1) | instskip(NEXT) | instid1(VALU_DEP_1)
	v_add_f64 v[15:16], v[25:26], v[12:13]
	v_add_f64 v[23:24], v[21:22], -v[15:16]
	v_add_f64 v[25:26], v[15:16], -v[25:26]
	s_delay_alu instid0(VALU_DEP_2) | instskip(NEXT) | instid1(VALU_DEP_2)
	v_add_f64 v[21:22], v[21:22], -v[23:24]
	v_add_f64 v[12:13], v[25:26], -v[12:13]
	s_delay_alu instid0(VALU_DEP_2) | instskip(NEXT) | instid1(VALU_DEP_1)
	v_add_f64 v[15:16], v[21:22], -v[15:16]
	v_add_f64 v[12:13], v[12:13], v[15:16]
	s_delay_alu instid0(VALU_DEP_1) | instskip(NEXT) | instid1(VALU_DEP_1)
	v_add_f64 v[12:13], v[23:24], v[12:13]
	v_mul_f64 v[12:13], v[17:18], v[12:13]
	s_delay_alu instid0(VALU_DEP_1) | instskip(NEXT) | instid1(VALU_DEP_1)
	v_add_f64 v[15:16], v[19:20], v[12:13]
	v_mul_f64 v[17:18], v[15:16], v[15:16]
	s_delay_alu instid0(VALU_DEP_1) | instskip(SKIP_3) | instid1(VALU_DEP_2)
	v_fma_f64 v[21:22], v[17:18], s[6:7], s[0:1]
	s_mov_b32 s0, 0xd7f4df2e
	s_mov_b32 s1, 0x3fc7474d
	v_mul_f64 v[23:24], v[15:16], v[17:18]
	v_fma_f64 v[21:22], v[17:18], v[21:22], s[0:1]
	s_mov_b32 s0, 0x16291751
	s_mov_b32 s1, 0x3fcc71c0
	s_delay_alu instid0(VALU_DEP_1) | instid1(SALU_CYCLE_1)
	v_fma_f64 v[21:22], v[17:18], v[21:22], s[0:1]
	s_mov_b32 s0, 0x9b27acf1
	s_mov_b32 s1, 0x3fd24924
	s_delay_alu instid0(VALU_DEP_1) | instid1(SALU_CYCLE_1)
	v_fma_f64 v[21:22], v[17:18], v[21:22], s[0:1]
	s_mov_b32 s0, 0x998ef7b6
	s_mov_b32 s1, 0x3fd99999
	s_delay_alu instid0(VALU_DEP_1) | instid1(SALU_CYCLE_1)
	v_fma_f64 v[21:22], v[17:18], v[21:22], s[0:1]
	s_mov_b32 s0, 0xfefa39ef
	s_mov_b32 s1, 0x3fe62e42
	s_delay_alu instid0(VALU_DEP_1) | instskip(SKIP_2) | instid1(VALU_DEP_3)
	v_fma_f64 v[17:18], v[17:18], v[21:22], s[4:5]
	v_ldexp_f64 v[21:22], v[15:16], 1
	v_add_f64 v[15:16], v[15:16], -v[19:20]
	v_mul_f64 v[17:18], v[23:24], v[17:18]
	v_cvt_f64_i32_e32 v[23:24], v27
	s_delay_alu instid0(VALU_DEP_3) | instskip(NEXT) | instid1(VALU_DEP_3)
	v_add_f64 v[12:13], v[12:13], -v[15:16]
	v_add_f64 v[19:20], v[21:22], v[17:18]
	s_delay_alu instid0(VALU_DEP_3) | instskip(NEXT) | instid1(VALU_DEP_3)
	v_mul_f64 v[25:26], v[23:24], s[0:1]
	v_ldexp_f64 v[12:13], v[12:13], 1
	s_delay_alu instid0(VALU_DEP_3) | instskip(NEXT) | instid1(VALU_DEP_3)
	v_add_f64 v[15:16], v[19:20], -v[21:22]
	v_fma_f64 v[21:22], v[23:24], s[0:1], -v[25:26]
	s_mov_b32 s0, 0x3b39803f
	s_mov_b32 s1, 0x3c7abc9e
	s_delay_alu instid0(VALU_DEP_2) | instskip(NEXT) | instid1(VALU_DEP_2)
	v_add_f64 v[15:16], v[17:18], -v[15:16]
	v_fma_f64 v[17:18], v[23:24], s[0:1], v[21:22]
	v_cmp_class_f64_e64 s0, v[10:11], 0x204
	s_delay_alu instid0(VALU_DEP_3) | instskip(NEXT) | instid1(VALU_DEP_3)
	v_add_f64 v[12:13], v[12:13], v[15:16]
	v_add_f64 v[15:16], v[25:26], v[17:18]
	s_delay_alu instid0(VALU_DEP_2) | instskip(NEXT) | instid1(VALU_DEP_2)
	v_add_f64 v[21:22], v[19:20], v[12:13]
	v_add_f64 v[25:26], v[15:16], -v[25:26]
	s_delay_alu instid0(VALU_DEP_2) | instskip(SKIP_1) | instid1(VALU_DEP_3)
	v_add_f64 v[23:24], v[15:16], v[21:22]
	v_add_f64 v[19:20], v[21:22], -v[19:20]
	v_add_f64 v[17:18], v[17:18], -v[25:26]
	s_delay_alu instid0(VALU_DEP_3) | instskip(NEXT) | instid1(VALU_DEP_3)
	v_add_f64 v[27:28], v[23:24], -v[15:16]
	v_add_f64 v[12:13], v[12:13], -v[19:20]
	s_delay_alu instid0(VALU_DEP_2) | instskip(SKIP_1) | instid1(VALU_DEP_3)
	v_add_f64 v[29:30], v[23:24], -v[27:28]
	v_add_f64 v[19:20], v[21:22], -v[27:28]
	v_add_f64 v[21:22], v[17:18], v[12:13]
	s_delay_alu instid0(VALU_DEP_3) | instskip(NEXT) | instid1(VALU_DEP_1)
	v_add_f64 v[15:16], v[15:16], -v[29:30]
	v_add_f64 v[15:16], v[19:20], v[15:16]
	s_delay_alu instid0(VALU_DEP_3) | instskip(NEXT) | instid1(VALU_DEP_2)
	v_add_f64 v[19:20], v[21:22], -v[17:18]
	v_add_f64 v[15:16], v[21:22], v[15:16]
	s_delay_alu instid0(VALU_DEP_2) | instskip(SKIP_1) | instid1(VALU_DEP_3)
	v_add_f64 v[21:22], v[21:22], -v[19:20]
	v_add_f64 v[12:13], v[12:13], -v[19:20]
	v_add_f64 v[25:26], v[23:24], v[15:16]
	s_delay_alu instid0(VALU_DEP_3) | instskip(NEXT) | instid1(VALU_DEP_2)
	v_add_f64 v[17:18], v[17:18], -v[21:22]
	v_add_f64 v[19:20], v[25:26], -v[23:24]
	s_delay_alu instid0(VALU_DEP_2) | instskip(NEXT) | instid1(VALU_DEP_2)
	v_add_f64 v[12:13], v[12:13], v[17:18]
	v_add_f64 v[15:16], v[15:16], -v[19:20]
	s_delay_alu instid0(VALU_DEP_1) | instskip(NEXT) | instid1(VALU_DEP_1)
	v_add_f64 v[12:13], v[12:13], v[15:16]
	v_add_f64 v[12:13], v[25:26], v[12:13]
	s_delay_alu instid0(VALU_DEP_1) | instskip(NEXT) | instid1(VALU_DEP_2)
	v_cndmask_b32_e64 v12, v12, v10, s0
	v_cndmask_b32_e64 v13, v13, v11, s0
	v_cmp_ngt_f64_e64 s0, 0, v[10:11]
	s_delay_alu instid0(VALU_DEP_1) | instskip(SKIP_1) | instid1(VALU_DEP_1)
	v_cndmask_b32_e64 v13, 0x7ff80000, v13, s0
	v_cmp_nge_f64_e64 s0, 0, v[10:11]
	v_cndmask_b32_e64 v12, 0, v12, s0
	v_cmp_neq_f64_e64 s0, 0, v[10:11]
	s_delay_alu instid0(VALU_DEP_1) | instskip(NEXT) | instid1(VALU_DEP_1)
	v_cndmask_b32_e64 v13, 0xfff00000, v13, s0
	v_add_f64 v[2:3], v[2:3], -v[12:13]
	global_store_b64 v[4:5], v[2:3], off
.LBB8_7:
	s_or_b32 exec_lo, exec_lo, s2
	v_cmp_ne_u32_e64 s0, 1, v14
	s_delay_alu instid0(VALU_DEP_1)
	s_and_b32 exec_lo, exec_lo, s0
	s_cbranch_execz .LBB8_10
; %bb.8:
	s_and_b32 exec_lo, exec_lo, vcc_lo
	s_cbranch_execz .LBB8_10
; %bb.9:
	s_waitcnt lgkmcnt(0)
	v_add_f64 v[2:3], v[6:7], v[8:9]
	s_mov_b32 s1, 0x3fe55555
	s_mov_b32 s0, 0x55555555
	;; [unrolled: 1-line block ×7, first 2 shown]
	s_delay_alu instid0(VALU_DEP_1) | instskip(SKIP_1) | instid1(VALU_DEP_2)
	v_frexp_mant_f64_e32 v[6:7], v[2:3]
	v_frexp_exp_i32_f64_e32 v9, v[2:3]
	v_cmp_gt_f64_e32 vcc_lo, s[0:1], v[6:7]
	s_delay_alu instid0(VALU_DEP_2) | instskip(SKIP_4) | instid1(VALU_DEP_1)
	v_subrev_co_ci_u32_e64 v20, s0, 0, v9, vcc_lo
	v_cndmask_b32_e64 v9, 0x3ff00000, 2.0, vcc_lo
	v_cmp_class_f64_e64 vcc_lo, v[2:3], 0x204
	v_mov_b32_e32 v8, 0
	s_mov_b32 s0, 0x55555780
	v_mul_f64 v[6:7], v[6:7], v[8:9]
	s_delay_alu instid0(VALU_DEP_1) | instskip(SKIP_1) | instid1(VALU_DEP_2)
	v_add_f64 v[8:9], v[6:7], 1.0
	v_add_f64 v[14:15], v[6:7], -1.0
	v_rcp_f64_e32 v[10:11], v[8:9]
	v_add_f64 v[16:17], v[8:9], -1.0
	s_delay_alu instid0(VALU_DEP_1) | instskip(SKIP_2) | instid1(VALU_DEP_1)
	v_add_f64 v[6:7], v[6:7], -v[16:17]
	s_waitcnt_depctr 0xfff
	v_fma_f64 v[12:13], -v[8:9], v[10:11], 1.0
	v_fma_f64 v[10:11], v[12:13], v[10:11], v[10:11]
	s_delay_alu instid0(VALU_DEP_1) | instskip(NEXT) | instid1(VALU_DEP_1)
	v_fma_f64 v[12:13], -v[8:9], v[10:11], 1.0
	v_fma_f64 v[10:11], v[12:13], v[10:11], v[10:11]
	s_delay_alu instid0(VALU_DEP_1) | instskip(NEXT) | instid1(VALU_DEP_1)
	v_mul_f64 v[12:13], v[14:15], v[10:11]
	v_mul_f64 v[18:19], v[8:9], v[12:13]
	s_delay_alu instid0(VALU_DEP_1) | instskip(NEXT) | instid1(VALU_DEP_1)
	v_fma_f64 v[8:9], v[12:13], v[8:9], -v[18:19]
	v_fma_f64 v[6:7], v[12:13], v[6:7], v[8:9]
	s_delay_alu instid0(VALU_DEP_1) | instskip(NEXT) | instid1(VALU_DEP_1)
	v_add_f64 v[8:9], v[18:19], v[6:7]
	v_add_f64 v[16:17], v[14:15], -v[8:9]
	v_add_f64 v[18:19], v[8:9], -v[18:19]
	s_delay_alu instid0(VALU_DEP_2) | instskip(NEXT) | instid1(VALU_DEP_2)
	v_add_f64 v[14:15], v[14:15], -v[16:17]
	v_add_f64 v[6:7], v[18:19], -v[6:7]
	s_delay_alu instid0(VALU_DEP_2) | instskip(NEXT) | instid1(VALU_DEP_1)
	v_add_f64 v[8:9], v[14:15], -v[8:9]
	v_add_f64 v[6:7], v[6:7], v[8:9]
	s_delay_alu instid0(VALU_DEP_1) | instskip(NEXT) | instid1(VALU_DEP_1)
	v_add_f64 v[6:7], v[16:17], v[6:7]
	v_mul_f64 v[6:7], v[10:11], v[6:7]
	s_delay_alu instid0(VALU_DEP_1) | instskip(NEXT) | instid1(VALU_DEP_1)
	v_add_f64 v[8:9], v[12:13], v[6:7]
	v_mul_f64 v[10:11], v[8:9], v[8:9]
	s_delay_alu instid0(VALU_DEP_1) | instskip(SKIP_3) | instid1(VALU_DEP_2)
	v_fma_f64 v[14:15], v[10:11], s[4:5], s[2:3]
	s_mov_b32 s2, 0xd7f4df2e
	s_mov_b32 s3, 0x3fc7474d
	v_mul_f64 v[16:17], v[8:9], v[10:11]
	v_fma_f64 v[14:15], v[10:11], v[14:15], s[2:3]
	s_mov_b32 s2, 0x16291751
	s_mov_b32 s3, 0x3fcc71c0
	s_delay_alu instid0(VALU_DEP_1) | instid1(SALU_CYCLE_1)
	v_fma_f64 v[14:15], v[10:11], v[14:15], s[2:3]
	s_mov_b32 s2, 0x9b27acf1
	s_mov_b32 s3, 0x3fd24924
	s_delay_alu instid0(VALU_DEP_1) | instid1(SALU_CYCLE_1)
	;; [unrolled: 4-line block ×3, first 2 shown]
	v_fma_f64 v[14:15], v[10:11], v[14:15], s[2:3]
	s_delay_alu instid0(VALU_DEP_1) | instskip(SKIP_4) | instid1(VALU_DEP_3)
	v_fma_f64 v[10:11], v[10:11], v[14:15], s[0:1]
	v_ldexp_f64 v[14:15], v[8:9], 1
	v_add_f64 v[8:9], v[8:9], -v[12:13]
	s_mov_b32 s0, 0xfefa39ef
	s_mov_b32 s1, 0x3fe62e42
	v_mul_f64 v[10:11], v[16:17], v[10:11]
	v_cvt_f64_i32_e32 v[16:17], v20
	s_delay_alu instid0(VALU_DEP_3) | instskip(NEXT) | instid1(VALU_DEP_3)
	v_add_f64 v[6:7], v[6:7], -v[8:9]
	v_add_f64 v[12:13], v[14:15], v[10:11]
	s_delay_alu instid0(VALU_DEP_3) | instskip(NEXT) | instid1(VALU_DEP_3)
	v_mul_f64 v[18:19], v[16:17], s[0:1]
	v_ldexp_f64 v[6:7], v[6:7], 1
	s_delay_alu instid0(VALU_DEP_3) | instskip(NEXT) | instid1(VALU_DEP_3)
	v_add_f64 v[8:9], v[12:13], -v[14:15]
	v_fma_f64 v[14:15], v[16:17], s[0:1], -v[18:19]
	s_mov_b32 s0, 0x3b39803f
	s_mov_b32 s1, 0x3c7abc9e
	s_delay_alu instid0(VALU_DEP_2) | instskip(NEXT) | instid1(VALU_DEP_2)
	v_add_f64 v[8:9], v[10:11], -v[8:9]
	v_fma_f64 v[10:11], v[16:17], s[0:1], v[14:15]
	s_lshl_b64 s[0:1], s[22:23], 3
	s_delay_alu instid0(VALU_DEP_2) | instskip(NEXT) | instid1(VALU_DEP_2)
	v_add_f64 v[6:7], v[6:7], v[8:9]
	v_add_f64 v[8:9], v[18:19], v[10:11]
	s_delay_alu instid0(VALU_DEP_2) | instskip(NEXT) | instid1(VALU_DEP_2)
	v_add_f64 v[14:15], v[12:13], v[6:7]
	v_add_f64 v[18:19], v[8:9], -v[18:19]
	s_delay_alu instid0(VALU_DEP_2) | instskip(SKIP_1) | instid1(VALU_DEP_3)
	v_add_f64 v[16:17], v[8:9], v[14:15]
	v_add_f64 v[12:13], v[14:15], -v[12:13]
	v_add_f64 v[10:11], v[10:11], -v[18:19]
	s_delay_alu instid0(VALU_DEP_3) | instskip(NEXT) | instid1(VALU_DEP_3)
	v_add_f64 v[20:21], v[16:17], -v[8:9]
	v_add_f64 v[6:7], v[6:7], -v[12:13]
	s_delay_alu instid0(VALU_DEP_2) | instskip(SKIP_1) | instid1(VALU_DEP_3)
	v_add_f64 v[22:23], v[16:17], -v[20:21]
	v_add_f64 v[12:13], v[14:15], -v[20:21]
	v_add_f64 v[14:15], v[10:11], v[6:7]
	s_delay_alu instid0(VALU_DEP_3) | instskip(NEXT) | instid1(VALU_DEP_1)
	v_add_f64 v[8:9], v[8:9], -v[22:23]
	v_add_f64 v[8:9], v[12:13], v[8:9]
	s_delay_alu instid0(VALU_DEP_3) | instskip(NEXT) | instid1(VALU_DEP_2)
	v_add_f64 v[12:13], v[14:15], -v[10:11]
	v_add_f64 v[8:9], v[14:15], v[8:9]
	s_delay_alu instid0(VALU_DEP_2) | instskip(SKIP_1) | instid1(VALU_DEP_3)
	v_add_f64 v[14:15], v[14:15], -v[12:13]
	v_add_f64 v[6:7], v[6:7], -v[12:13]
	v_add_f64 v[18:19], v[16:17], v[8:9]
	s_delay_alu instid0(VALU_DEP_3) | instskip(NEXT) | instid1(VALU_DEP_2)
	v_add_f64 v[10:11], v[10:11], -v[14:15]
	v_add_f64 v[12:13], v[18:19], -v[16:17]
	s_delay_alu instid0(VALU_DEP_2) | instskip(NEXT) | instid1(VALU_DEP_2)
	v_add_f64 v[6:7], v[6:7], v[10:11]
	v_add_f64 v[8:9], v[8:9], -v[12:13]
	s_delay_alu instid0(VALU_DEP_1) | instskip(NEXT) | instid1(VALU_DEP_1)
	v_add_f64 v[6:7], v[6:7], v[8:9]
	v_add_f64 v[6:7], v[18:19], v[6:7]
	s_delay_alu instid0(VALU_DEP_1) | instskip(SKIP_1) | instid1(VALU_DEP_2)
	v_dual_cndmask_b32 v7, v7, v3 :: v_dual_cndmask_b32 v6, v6, v2
	v_cmp_ngt_f64_e32 vcc_lo, 0, v[2:3]
	v_cndmask_b32_e32 v7, 0x7ff80000, v7, vcc_lo
	v_cmp_nge_f64_e32 vcc_lo, 0, v[2:3]
	s_delay_alu instid0(VALU_DEP_4) | instskip(SKIP_1) | instid1(VALU_DEP_4)
	v_cndmask_b32_e32 v6, 0, v6, vcc_lo
	v_cmp_neq_f64_e32 vcc_lo, 0, v[2:3]
	v_cndmask_b32_e32 v7, 0xfff00000, v7, vcc_lo
	v_add_co_u32 v2, vcc_lo, v4, s0
	v_add_co_ci_u32_e32 v3, vcc_lo, s1, v5, vcc_lo
	s_delay_alu instid0(VALU_DEP_3)
	v_add_f64 v[0:1], v[0:1], -v[6:7]
	global_store_b64 v[2:3], v[0:1], off
.LBB8_10:
	s_nop 0
	s_sendmsg sendmsg(MSG_DEALLOC_VGPRS)
	s_endpgm
	.section	.rodata,"a",@progbits
	.p2align	6, 0x0
	.amdhsa_kernel _ZN12_GLOBAL__N_120softmax_warp_forwardIdddLi4ELb1ELb0ELi64EEEvPT0_PKT_iiiPKbib
		.amdhsa_group_segment_fixed_size 0
		.amdhsa_private_segment_fixed_size 0
		.amdhsa_kernarg_size 304
		.amdhsa_user_sgpr_count 15
		.amdhsa_user_sgpr_dispatch_ptr 0
		.amdhsa_user_sgpr_queue_ptr 0
		.amdhsa_user_sgpr_kernarg_segment_ptr 1
		.amdhsa_user_sgpr_dispatch_id 0
		.amdhsa_user_sgpr_private_segment_size 0
		.amdhsa_wavefront_size32 1
		.amdhsa_uses_dynamic_stack 0
		.amdhsa_enable_private_segment 0
		.amdhsa_system_sgpr_workgroup_id_x 1
		.amdhsa_system_sgpr_workgroup_id_y 0
		.amdhsa_system_sgpr_workgroup_id_z 0
		.amdhsa_system_sgpr_workgroup_info 0
		.amdhsa_system_vgpr_workitem_id 1
		.amdhsa_next_free_vgpr 31
		.amdhsa_next_free_sgpr 24
		.amdhsa_reserve_vcc 1
		.amdhsa_float_round_mode_32 0
		.amdhsa_float_round_mode_16_64 0
		.amdhsa_float_denorm_mode_32 3
		.amdhsa_float_denorm_mode_16_64 3
		.amdhsa_dx10_clamp 1
		.amdhsa_ieee_mode 1
		.amdhsa_fp16_overflow 0
		.amdhsa_workgroup_processor_mode 1
		.amdhsa_memory_ordered 1
		.amdhsa_forward_progress 0
		.amdhsa_shared_vgpr_count 0
		.amdhsa_exception_fp_ieee_invalid_op 0
		.amdhsa_exception_fp_denorm_src 0
		.amdhsa_exception_fp_ieee_div_zero 0
		.amdhsa_exception_fp_ieee_overflow 0
		.amdhsa_exception_fp_ieee_underflow 0
		.amdhsa_exception_fp_ieee_inexact 0
		.amdhsa_exception_int_div_zero 0
	.end_amdhsa_kernel
	.section	.text._ZN12_GLOBAL__N_120softmax_warp_forwardIdddLi4ELb1ELb0ELi64EEEvPT0_PKT_iiiPKbib,"axG",@progbits,_ZN12_GLOBAL__N_120softmax_warp_forwardIdddLi4ELb1ELb0ELi64EEEvPT0_PKT_iiiPKbib,comdat
.Lfunc_end8:
	.size	_ZN12_GLOBAL__N_120softmax_warp_forwardIdddLi4ELb1ELb0ELi64EEEvPT0_PKT_iiiPKbib, .Lfunc_end8-_ZN12_GLOBAL__N_120softmax_warp_forwardIdddLi4ELb1ELb0ELi64EEEvPT0_PKT_iiiPKbib
                                        ; -- End function
	.section	.AMDGPU.csdata,"",@progbits
; Kernel info:
; codeLenInByte = 3716
; NumSgprs: 26
; NumVgprs: 31
; ScratchSize: 0
; MemoryBound: 0
; FloatMode: 240
; IeeeMode: 1
; LDSByteSize: 0 bytes/workgroup (compile time only)
; SGPRBlocks: 3
; VGPRBlocks: 3
; NumSGPRsForWavesPerEU: 26
; NumVGPRsForWavesPerEU: 31
; Occupancy: 16
; WaveLimiterHint : 0
; COMPUTE_PGM_RSRC2:SCRATCH_EN: 0
; COMPUTE_PGM_RSRC2:USER_SGPR: 15
; COMPUTE_PGM_RSRC2:TRAP_HANDLER: 0
; COMPUTE_PGM_RSRC2:TGID_X_EN: 1
; COMPUTE_PGM_RSRC2:TGID_Y_EN: 0
; COMPUTE_PGM_RSRC2:TGID_Z_EN: 0
; COMPUTE_PGM_RSRC2:TIDIG_COMP_CNT: 1
	.section	.text._ZN12_GLOBAL__N_120softmax_warp_forwardIdddLi4ELb1ELb0ELi32EEEvPT0_PKT_iiiPKbib,"axG",@progbits,_ZN12_GLOBAL__N_120softmax_warp_forwardIdddLi4ELb1ELb0ELi32EEEvPT0_PKT_iiiPKbib,comdat
	.globl	_ZN12_GLOBAL__N_120softmax_warp_forwardIdddLi4ELb1ELb0ELi32EEEvPT0_PKT_iiiPKbib ; -- Begin function _ZN12_GLOBAL__N_120softmax_warp_forwardIdddLi4ELb1ELb0ELi32EEEvPT0_PKT_iiiPKbib
	.p2align	8
	.type	_ZN12_GLOBAL__N_120softmax_warp_forwardIdddLi4ELb1ELb0ELi32EEEvPT0_PKT_iiiPKbib,@function
_ZN12_GLOBAL__N_120softmax_warp_forwardIdddLi4ELb1ELb0ELi32EEEvPT0_PKT_iiiPKbib: ; @_ZN12_GLOBAL__N_120softmax_warp_forwardIdddLi4ELb1ELb0ELi32EEEvPT0_PKT_iiiPKbib
; %bb.0:
	s_clause 0x1
	s_load_b32 s2, s[0:1], 0x3c
	s_load_b256 s[16:23], s[0:1], 0x0
	v_bfe_u32 v1, v0, 10, 10
	v_and_b32_e32 v2, 0x3ff, v0
	s_waitcnt lgkmcnt(0)
	s_lshr_b32 s0, s2, 16
	s_delay_alu instid0(VALU_DEP_1) | instskip(SKIP_1) | instid1(SALU_CYCLE_1)
	v_cmp_gt_i32_e32 vcc_lo, s22, v2
	s_mul_i32 s15, s15, s0
	v_add_lshl_u32 v3, s15, v1, 1
	s_delay_alu instid0(VALU_DEP_1) | instskip(SKIP_1) | instid1(VALU_DEP_1)
	v_mad_u64_u32 v[0:1], null, v3, s21, v[2:3]
	v_sub_nc_u32_e32 v14, s20, v3
	v_cmp_lt_i32_e64 s0, 0, v14
	s_delay_alu instid0(VALU_DEP_3) | instskip(NEXT) | instid1(VALU_DEP_2)
	v_ashrrev_i32_e32 v1, 31, v0
	s_and_b32 s2, vcc_lo, s0
	s_delay_alu instid0(VALU_DEP_1) | instskip(SKIP_2) | instid1(VALU_DEP_3)
	v_lshlrev_b64 v[4:5], 3, v[0:1]
	v_mov_b32_e32 v0, 0
	v_mov_b32_e32 v1, 0xfff00000
	v_add_co_u32 v6, s1, s18, v4
	s_delay_alu instid0(VALU_DEP_1) | instskip(NEXT) | instid1(VALU_DEP_3)
	v_add_co_ci_u32_e64 v7, s1, s19, v5, s1
	v_dual_mov_b32 v3, v1 :: v_dual_mov_b32 v2, v0
	s_and_saveexec_b32 s1, s2
	s_cbranch_execz .LBB9_2
; %bb.1:
	global_load_b64 v[2:3], v[6:7], off
.LBB9_2:
	s_or_b32 exec_lo, exec_lo, s1
	v_cmp_lt_i32_e64 s1, 1, v14
	s_delay_alu instid0(VALU_DEP_1) | instskip(NEXT) | instid1(SALU_CYCLE_1)
	s_and_b32 s1, vcc_lo, s1
	s_and_saveexec_b32 s2, s1
	s_cbranch_execz .LBB9_4
; %bb.3:
	s_mov_b32 s23, 0
	s_delay_alu instid0(SALU_CYCLE_1) | instskip(NEXT) | instid1(SALU_CYCLE_1)
	s_lshl_b64 s[4:5], s[22:23], 3
	v_add_co_u32 v0, s1, v6, s4
	s_delay_alu instid0(VALU_DEP_1)
	v_add_co_ci_u32_e64 v1, s1, s5, v7, s1
	global_load_b64 v[0:1], v[0:1], off
.LBB9_4:
	s_or_b32 exec_lo, exec_lo, s2
	v_mbcnt_lo_u32_b32 v15, -1, 0
	s_mov_b32 s4, 0x6a5dcb37
	s_mov_b32 s5, 0x3e5ade15
	s_delay_alu instid0(VALU_DEP_1) | instskip(SKIP_3) | instid1(VALU_DEP_4)
	v_and_b32_e32 v6, 16, v15
	v_xor_b32_e32 v7, 8, v15
	v_xor_b32_e32 v10, 4, v15
	;; [unrolled: 1-line block ×3, first 2 shown]
	v_add_nc_u32_e32 v16, 16, v6
	s_delay_alu instid0(VALU_DEP_1) | instskip(NEXT) | instid1(VALU_DEP_4)
	v_cmp_lt_i32_e64 s1, v7, v16
	v_cmp_lt_i32_e64 s3, v10, v16
	s_delay_alu instid0(VALU_DEP_2) | instskip(NEXT) | instid1(VALU_DEP_2)
	v_cndmask_b32_e64 v6, v15, v7, s1
	v_cndmask_b32_e64 v10, v15, v10, s3
	v_cmp_lt_i32_e64 s3, v17, v16
	s_delay_alu instid0(VALU_DEP_3) | instskip(NEXT) | instid1(VALU_DEP_3)
	v_lshlrev_b32_e32 v19, 2, v6
	v_lshlrev_b32_e32 v20, 2, v10
	s_delay_alu instid0(VALU_DEP_3)
	v_cndmask_b32_e64 v17, v15, v17, s3
	s_waitcnt vmcnt(0)
	ds_bpermute_b32 v6, v19, v2
	ds_bpermute_b32 v7, v19, v3
	;; [unrolled: 1-line block ×4, first 2 shown]
	v_lshlrev_b32_e32 v21, 2, v17
	v_xor_b32_e32 v17, 1, v15
	s_delay_alu instid0(VALU_DEP_1) | instskip(NEXT) | instid1(VALU_DEP_1)
	v_cmp_lt_i32_e64 s3, v17, v16
	v_cndmask_b32_e64 v15, v15, v17, s3
	s_delay_alu instid0(VALU_DEP_1) | instskip(SKIP_4) | instid1(VALU_DEP_2)
	v_lshlrev_b32_e32 v22, 2, v15
	s_waitcnt lgkmcnt(2)
	v_cmp_lt_f64_e64 s1, v[2:3], v[6:7]
	s_waitcnt lgkmcnt(0)
	v_cmp_lt_f64_e64 s2, v[0:1], v[8:9]
	v_cndmask_b32_e64 v7, v3, v7, s1
	v_cndmask_b32_e64 v6, v2, v6, s1
	s_delay_alu instid0(VALU_DEP_3)
	v_cndmask_b32_e64 v9, v1, v9, s2
	v_cndmask_b32_e64 v8, v0, v8, s2
	ds_bpermute_b32 v11, v20, v7
	ds_bpermute_b32 v10, v20, v6
	ds_bpermute_b32 v13, v20, v9
	ds_bpermute_b32 v12, v20, v8
	s_waitcnt lgkmcnt(2)
	v_cmp_lt_f64_e64 s1, v[6:7], v[10:11]
	s_waitcnt lgkmcnt(0)
	v_cmp_lt_f64_e64 s2, v[8:9], v[12:13]
	s_delay_alu instid0(VALU_DEP_2) | instskip(SKIP_1) | instid1(VALU_DEP_3)
	v_cndmask_b32_e64 v7, v7, v11, s1
	v_cndmask_b32_e64 v6, v6, v10, s1
	v_cndmask_b32_e64 v9, v9, v13, s2
	v_cndmask_b32_e64 v8, v8, v12, s2
	ds_bpermute_b32 v11, v21, v7
	ds_bpermute_b32 v10, v21, v6
	ds_bpermute_b32 v13, v21, v9
	ds_bpermute_b32 v12, v21, v8
	s_waitcnt lgkmcnt(2)
	v_cmp_lt_f64_e64 s1, v[6:7], v[10:11]
	s_waitcnt lgkmcnt(0)
	v_cmp_lt_f64_e64 s2, v[8:9], v[12:13]
	s_delay_alu instid0(VALU_DEP_2) | instskip(SKIP_1) | instid1(VALU_DEP_3)
	v_cndmask_b32_e64 v7, v7, v11, s1
	v_cndmask_b32_e64 v6, v6, v10, s1
	;; [unrolled: 13-line block ×3, first 2 shown]
	v_cndmask_b32_e64 v9, v9, v13, s2
	v_cndmask_b32_e64 v8, v8, v12, s2
	s_mov_b32 s2, 0x652b82fe
	s_mov_b32 s3, 0x3ff71547
	v_add_f64 v[2:3], v[2:3], -v[6:7]
	s_delay_alu instid0(VALU_DEP_2) | instskip(NEXT) | instid1(VALU_DEP_2)
	v_add_f64 v[0:1], v[0:1], -v[8:9]
	v_mul_f64 v[6:7], v[2:3], s[2:3]
	v_cmp_nlt_f64_e64 s1, 0x40900000, v[2:3]
	s_delay_alu instid0(VALU_DEP_3) | instskip(SKIP_2) | instid1(VALU_DEP_3)
	v_mul_f64 v[8:9], v[0:1], s[2:3]
	s_mov_b32 s2, 0xfefa39ef
	s_mov_b32 s3, 0xbfe62e42
	v_rndne_f64_e32 v[6:7], v[6:7]
	s_delay_alu instid0(VALU_DEP_2) | instskip(NEXT) | instid1(VALU_DEP_2)
	v_rndne_f64_e32 v[8:9], v[8:9]
	v_fma_f64 v[10:11], v[6:7], s[2:3], v[2:3]
	v_cvt_i32_f64_e32 v23, v[6:7]
	s_delay_alu instid0(VALU_DEP_3)
	v_fma_f64 v[12:13], v[8:9], s[2:3], v[0:1]
	s_mov_b32 s2, 0x3b39803f
	s_mov_b32 s3, 0xbc7abc9e
	s_delay_alu instid0(VALU_DEP_3) | instid1(SALU_CYCLE_1)
	v_fma_f64 v[10:11], v[6:7], s[2:3], v[10:11]
	s_delay_alu instid0(VALU_DEP_2)
	v_fma_f64 v[12:13], v[8:9], s[2:3], v[12:13]
	s_mov_b32 s2, 0xfca7ab0c
	s_mov_b32 s3, 0x3e928af3
	s_delay_alu instid0(VALU_DEP_2) | instid1(SALU_CYCLE_1)
	v_fma_f64 v[15:16], v[10:11], s[4:5], s[2:3]
	s_delay_alu instid0(VALU_DEP_2) | instskip(SKIP_3) | instid1(VALU_DEP_3)
	v_fma_f64 v[17:18], v[12:13], s[4:5], s[2:3]
	s_mov_b32 s2, 0x623fde64
	s_mov_b32 s3, 0x3ec71dee
	v_cmp_ngt_f64_e64 s4, 0xc090cc00, v[0:1]
	v_fma_f64 v[15:16], v[10:11], v[15:16], s[2:3]
	s_delay_alu instid0(VALU_DEP_3)
	v_fma_f64 v[17:18], v[12:13], v[17:18], s[2:3]
	s_mov_b32 s2, 0x7c89e6b0
	s_mov_b32 s3, 0x3efa0199
	s_delay_alu instid0(VALU_DEP_2) | instid1(SALU_CYCLE_1)
	v_fma_f64 v[15:16], v[10:11], v[15:16], s[2:3]
	s_delay_alu instid0(VALU_DEP_2)
	v_fma_f64 v[17:18], v[12:13], v[17:18], s[2:3]
	s_mov_b32 s2, 0x14761f6e
	s_mov_b32 s3, 0x3f2a01a0
	s_delay_alu instid0(VALU_DEP_2) | instid1(SALU_CYCLE_1)
	v_fma_f64 v[15:16], v[10:11], v[15:16], s[2:3]
	s_delay_alu instid0(VALU_DEP_2)
	;; [unrolled: 6-line block ×6, first 2 shown]
	v_fma_f64 v[17:18], v[12:13], v[17:18], s[2:3]
	s_mov_b32 s2, 11
	s_mov_b32 s3, 0x3fe00000
	s_delay_alu instid0(VALU_DEP_2) | instid1(SALU_CYCLE_1)
	v_fma_f64 v[15:16], v[10:11], v[15:16], s[2:3]
	s_delay_alu instid0(VALU_DEP_2) | instskip(SKIP_2) | instid1(VALU_DEP_4)
	v_fma_f64 v[17:18], v[12:13], v[17:18], s[2:3]
	v_cmp_nlt_f64_e64 s3, 0x40900000, v[0:1]
	v_cmp_ngt_f64_e64 s2, 0xc090cc00, v[2:3]
	v_fma_f64 v[15:16], v[10:11], v[15:16], 1.0
	s_delay_alu instid0(VALU_DEP_4) | instskip(NEXT) | instid1(VALU_DEP_2)
	v_fma_f64 v[17:18], v[12:13], v[17:18], 1.0
	v_fma_f64 v[6:7], v[10:11], v[15:16], 1.0
	v_cvt_i32_f64_e32 v10, v[8:9]
	s_delay_alu instid0(VALU_DEP_3) | instskip(NEXT) | instid1(VALU_DEP_3)
	v_fma_f64 v[8:9], v[12:13], v[17:18], 1.0
	v_ldexp_f64 v[6:7], v[6:7], v23
	s_delay_alu instid0(VALU_DEP_2) | instskip(NEXT) | instid1(VALU_DEP_2)
	v_ldexp_f64 v[8:9], v[8:9], v10
	v_add_f64 v[6:7], v[6:7], 0
	s_delay_alu instid0(VALU_DEP_2) | instskip(NEXT) | instid1(VALU_DEP_2)
	v_add_f64 v[8:9], v[8:9], 0
	v_cndmask_b32_e64 v7, 0x7ff00000, v7, s1
	s_and_b32 s1, s2, s1
	s_delay_alu instid0(VALU_DEP_2) | instskip(NEXT) | instid1(VALU_DEP_4)
	v_cndmask_b32_e64 v9, 0x7ff00000, v9, s3
	v_cndmask_b32_e64 v6, 0, v6, s1
	s_and_b32 s1, s4, s3
	v_cndmask_b32_e64 v7, 0, v7, s2
	v_cndmask_b32_e64 v8, 0, v8, s1
	;; [unrolled: 1-line block ×3, first 2 shown]
	ds_bpermute_b32 v10, v19, v6
	ds_bpermute_b32 v11, v19, v7
	ds_bpermute_b32 v12, v19, v8
	ds_bpermute_b32 v13, v19, v9
	s_waitcnt lgkmcnt(2)
	v_add_f64 v[6:7], v[6:7], v[10:11]
	s_waitcnt lgkmcnt(0)
	v_add_f64 v[8:9], v[8:9], v[12:13]
	ds_bpermute_b32 v10, v20, v6
	ds_bpermute_b32 v11, v20, v7
	ds_bpermute_b32 v12, v20, v8
	ds_bpermute_b32 v13, v20, v9
	s_waitcnt lgkmcnt(2)
	v_add_f64 v[6:7], v[6:7], v[10:11]
	s_waitcnt lgkmcnt(0)
	v_add_f64 v[8:9], v[8:9], v[12:13]
	;; [unrolled: 8-line block ×3, first 2 shown]
	ds_bpermute_b32 v12, v22, v10
	ds_bpermute_b32 v13, v22, v11
	ds_bpermute_b32 v8, v22, v6
	ds_bpermute_b32 v9, v22, v7
	s_and_saveexec_b32 s1, s0
	s_cbranch_execz .LBB9_10
; %bb.5:
	v_add_co_u32 v4, s0, s16, v4
	s_delay_alu instid0(VALU_DEP_1)
	v_add_co_ci_u32_e64 v5, s0, s17, v5, s0
	s_and_saveexec_b32 s2, vcc_lo
	s_cbranch_execz .LBB9_7
; %bb.6:
	s_waitcnt lgkmcnt(2)
	v_add_f64 v[10:11], v[10:11], v[12:13]
	s_mov_b32 s5, 0x3fe55555
	s_mov_b32 s4, 0x55555555
	v_mov_b32_e32 v15, 0
	s_mov_b32 s6, 0xbf559e2b
	s_mov_b32 s7, 0x3fc3ab76
	s_delay_alu instid0(VALU_DEP_2) | instskip(SKIP_1) | instid1(VALU_DEP_2)
	v_frexp_mant_f64_e32 v[12:13], v[10:11]
	v_frexp_exp_i32_f64_e32 v16, v[10:11]
	v_cmp_gt_f64_e64 s0, s[4:5], v[12:13]
	s_mov_b32 s4, 0x55555780
	s_delay_alu instid0(VALU_DEP_1) | instskip(SKIP_3) | instid1(VALU_DEP_1)
	v_subrev_co_ci_u32_e64 v27, s1, 0, v16, s0
	v_cndmask_b32_e64 v16, 0x3ff00000, 2.0, s0
	s_mov_b32 s0, 0x6b47b09a
	s_mov_b32 s1, 0x3fc38538
	v_mul_f64 v[12:13], v[12:13], v[15:16]
	s_delay_alu instid0(VALU_DEP_1) | instskip(SKIP_1) | instid1(VALU_DEP_2)
	v_add_f64 v[15:16], v[12:13], 1.0
	v_add_f64 v[21:22], v[12:13], -1.0
	v_rcp_f64_e32 v[17:18], v[15:16]
	v_add_f64 v[23:24], v[15:16], -1.0
	s_delay_alu instid0(VALU_DEP_1) | instskip(SKIP_2) | instid1(VALU_DEP_1)
	v_add_f64 v[12:13], v[12:13], -v[23:24]
	s_waitcnt_depctr 0xfff
	v_fma_f64 v[19:20], -v[15:16], v[17:18], 1.0
	v_fma_f64 v[17:18], v[19:20], v[17:18], v[17:18]
	s_delay_alu instid0(VALU_DEP_1) | instskip(NEXT) | instid1(VALU_DEP_1)
	v_fma_f64 v[19:20], -v[15:16], v[17:18], 1.0
	v_fma_f64 v[17:18], v[19:20], v[17:18], v[17:18]
	s_delay_alu instid0(VALU_DEP_1) | instskip(NEXT) | instid1(VALU_DEP_1)
	v_mul_f64 v[19:20], v[21:22], v[17:18]
	v_mul_f64 v[25:26], v[15:16], v[19:20]
	s_delay_alu instid0(VALU_DEP_1) | instskip(NEXT) | instid1(VALU_DEP_1)
	v_fma_f64 v[15:16], v[19:20], v[15:16], -v[25:26]
	v_fma_f64 v[12:13], v[19:20], v[12:13], v[15:16]
	s_delay_alu instid0(VALU_DEP_1) | instskip(NEXT) | instid1(VALU_DEP_1)
	v_add_f64 v[15:16], v[25:26], v[12:13]
	v_add_f64 v[23:24], v[21:22], -v[15:16]
	v_add_f64 v[25:26], v[15:16], -v[25:26]
	s_delay_alu instid0(VALU_DEP_2) | instskip(NEXT) | instid1(VALU_DEP_2)
	v_add_f64 v[21:22], v[21:22], -v[23:24]
	v_add_f64 v[12:13], v[25:26], -v[12:13]
	s_delay_alu instid0(VALU_DEP_2) | instskip(NEXT) | instid1(VALU_DEP_1)
	v_add_f64 v[15:16], v[21:22], -v[15:16]
	v_add_f64 v[12:13], v[12:13], v[15:16]
	s_delay_alu instid0(VALU_DEP_1) | instskip(NEXT) | instid1(VALU_DEP_1)
	v_add_f64 v[12:13], v[23:24], v[12:13]
	v_mul_f64 v[12:13], v[17:18], v[12:13]
	s_delay_alu instid0(VALU_DEP_1) | instskip(NEXT) | instid1(VALU_DEP_1)
	v_add_f64 v[15:16], v[19:20], v[12:13]
	v_mul_f64 v[17:18], v[15:16], v[15:16]
	s_delay_alu instid0(VALU_DEP_1) | instskip(SKIP_3) | instid1(VALU_DEP_2)
	v_fma_f64 v[21:22], v[17:18], s[6:7], s[0:1]
	s_mov_b32 s0, 0xd7f4df2e
	s_mov_b32 s1, 0x3fc7474d
	v_mul_f64 v[23:24], v[15:16], v[17:18]
	v_fma_f64 v[21:22], v[17:18], v[21:22], s[0:1]
	s_mov_b32 s0, 0x16291751
	s_mov_b32 s1, 0x3fcc71c0
	s_delay_alu instid0(VALU_DEP_1) | instid1(SALU_CYCLE_1)
	v_fma_f64 v[21:22], v[17:18], v[21:22], s[0:1]
	s_mov_b32 s0, 0x9b27acf1
	s_mov_b32 s1, 0x3fd24924
	s_delay_alu instid0(VALU_DEP_1) | instid1(SALU_CYCLE_1)
	;; [unrolled: 4-line block ×3, first 2 shown]
	v_fma_f64 v[21:22], v[17:18], v[21:22], s[0:1]
	s_mov_b32 s0, 0xfefa39ef
	s_mov_b32 s1, 0x3fe62e42
	s_delay_alu instid0(VALU_DEP_1) | instskip(SKIP_2) | instid1(VALU_DEP_3)
	v_fma_f64 v[17:18], v[17:18], v[21:22], s[4:5]
	v_ldexp_f64 v[21:22], v[15:16], 1
	v_add_f64 v[15:16], v[15:16], -v[19:20]
	v_mul_f64 v[17:18], v[23:24], v[17:18]
	v_cvt_f64_i32_e32 v[23:24], v27
	s_delay_alu instid0(VALU_DEP_3) | instskip(NEXT) | instid1(VALU_DEP_3)
	v_add_f64 v[12:13], v[12:13], -v[15:16]
	v_add_f64 v[19:20], v[21:22], v[17:18]
	s_delay_alu instid0(VALU_DEP_3) | instskip(NEXT) | instid1(VALU_DEP_3)
	v_mul_f64 v[25:26], v[23:24], s[0:1]
	v_ldexp_f64 v[12:13], v[12:13], 1
	s_delay_alu instid0(VALU_DEP_3) | instskip(NEXT) | instid1(VALU_DEP_3)
	v_add_f64 v[15:16], v[19:20], -v[21:22]
	v_fma_f64 v[21:22], v[23:24], s[0:1], -v[25:26]
	s_mov_b32 s0, 0x3b39803f
	s_mov_b32 s1, 0x3c7abc9e
	s_delay_alu instid0(VALU_DEP_2) | instskip(NEXT) | instid1(VALU_DEP_2)
	v_add_f64 v[15:16], v[17:18], -v[15:16]
	v_fma_f64 v[17:18], v[23:24], s[0:1], v[21:22]
	v_cmp_class_f64_e64 s0, v[10:11], 0x204
	s_delay_alu instid0(VALU_DEP_3) | instskip(NEXT) | instid1(VALU_DEP_3)
	v_add_f64 v[12:13], v[12:13], v[15:16]
	v_add_f64 v[15:16], v[25:26], v[17:18]
	s_delay_alu instid0(VALU_DEP_2) | instskip(NEXT) | instid1(VALU_DEP_2)
	v_add_f64 v[21:22], v[19:20], v[12:13]
	v_add_f64 v[25:26], v[15:16], -v[25:26]
	s_delay_alu instid0(VALU_DEP_2) | instskip(SKIP_1) | instid1(VALU_DEP_3)
	v_add_f64 v[23:24], v[15:16], v[21:22]
	v_add_f64 v[19:20], v[21:22], -v[19:20]
	v_add_f64 v[17:18], v[17:18], -v[25:26]
	s_delay_alu instid0(VALU_DEP_3) | instskip(NEXT) | instid1(VALU_DEP_3)
	v_add_f64 v[27:28], v[23:24], -v[15:16]
	v_add_f64 v[12:13], v[12:13], -v[19:20]
	s_delay_alu instid0(VALU_DEP_2) | instskip(SKIP_1) | instid1(VALU_DEP_3)
	v_add_f64 v[29:30], v[23:24], -v[27:28]
	v_add_f64 v[19:20], v[21:22], -v[27:28]
	v_add_f64 v[21:22], v[17:18], v[12:13]
	s_delay_alu instid0(VALU_DEP_3) | instskip(NEXT) | instid1(VALU_DEP_1)
	v_add_f64 v[15:16], v[15:16], -v[29:30]
	v_add_f64 v[15:16], v[19:20], v[15:16]
	s_delay_alu instid0(VALU_DEP_3) | instskip(NEXT) | instid1(VALU_DEP_2)
	v_add_f64 v[19:20], v[21:22], -v[17:18]
	v_add_f64 v[15:16], v[21:22], v[15:16]
	s_delay_alu instid0(VALU_DEP_2) | instskip(SKIP_1) | instid1(VALU_DEP_3)
	v_add_f64 v[21:22], v[21:22], -v[19:20]
	v_add_f64 v[12:13], v[12:13], -v[19:20]
	v_add_f64 v[25:26], v[23:24], v[15:16]
	s_delay_alu instid0(VALU_DEP_3) | instskip(NEXT) | instid1(VALU_DEP_2)
	v_add_f64 v[17:18], v[17:18], -v[21:22]
	v_add_f64 v[19:20], v[25:26], -v[23:24]
	s_delay_alu instid0(VALU_DEP_2) | instskip(NEXT) | instid1(VALU_DEP_2)
	v_add_f64 v[12:13], v[12:13], v[17:18]
	v_add_f64 v[15:16], v[15:16], -v[19:20]
	s_delay_alu instid0(VALU_DEP_1) | instskip(NEXT) | instid1(VALU_DEP_1)
	v_add_f64 v[12:13], v[12:13], v[15:16]
	v_add_f64 v[12:13], v[25:26], v[12:13]
	s_delay_alu instid0(VALU_DEP_1) | instskip(NEXT) | instid1(VALU_DEP_2)
	v_cndmask_b32_e64 v12, v12, v10, s0
	v_cndmask_b32_e64 v13, v13, v11, s0
	v_cmp_ngt_f64_e64 s0, 0, v[10:11]
	s_delay_alu instid0(VALU_DEP_1) | instskip(SKIP_1) | instid1(VALU_DEP_1)
	v_cndmask_b32_e64 v13, 0x7ff80000, v13, s0
	v_cmp_nge_f64_e64 s0, 0, v[10:11]
	v_cndmask_b32_e64 v12, 0, v12, s0
	v_cmp_neq_f64_e64 s0, 0, v[10:11]
	s_delay_alu instid0(VALU_DEP_1) | instskip(NEXT) | instid1(VALU_DEP_1)
	v_cndmask_b32_e64 v13, 0xfff00000, v13, s0
	v_add_f64 v[2:3], v[2:3], -v[12:13]
	global_store_b64 v[4:5], v[2:3], off
.LBB9_7:
	s_or_b32 exec_lo, exec_lo, s2
	v_cmp_ne_u32_e64 s0, 1, v14
	s_delay_alu instid0(VALU_DEP_1)
	s_and_b32 exec_lo, exec_lo, s0
	s_cbranch_execz .LBB9_10
; %bb.8:
	s_and_b32 exec_lo, exec_lo, vcc_lo
	s_cbranch_execz .LBB9_10
; %bb.9:
	s_waitcnt lgkmcnt(0)
	v_add_f64 v[2:3], v[6:7], v[8:9]
	s_mov_b32 s1, 0x3fe55555
	s_mov_b32 s0, 0x55555555
	;; [unrolled: 1-line block ×7, first 2 shown]
	s_delay_alu instid0(VALU_DEP_1) | instskip(SKIP_1) | instid1(VALU_DEP_2)
	v_frexp_mant_f64_e32 v[6:7], v[2:3]
	v_frexp_exp_i32_f64_e32 v9, v[2:3]
	v_cmp_gt_f64_e32 vcc_lo, s[0:1], v[6:7]
	s_delay_alu instid0(VALU_DEP_2) | instskip(SKIP_4) | instid1(VALU_DEP_1)
	v_subrev_co_ci_u32_e64 v20, s0, 0, v9, vcc_lo
	v_cndmask_b32_e64 v9, 0x3ff00000, 2.0, vcc_lo
	v_cmp_class_f64_e64 vcc_lo, v[2:3], 0x204
	v_mov_b32_e32 v8, 0
	s_mov_b32 s0, 0x55555780
	v_mul_f64 v[6:7], v[6:7], v[8:9]
	s_delay_alu instid0(VALU_DEP_1) | instskip(SKIP_1) | instid1(VALU_DEP_2)
	v_add_f64 v[8:9], v[6:7], 1.0
	v_add_f64 v[14:15], v[6:7], -1.0
	v_rcp_f64_e32 v[10:11], v[8:9]
	v_add_f64 v[16:17], v[8:9], -1.0
	s_delay_alu instid0(VALU_DEP_1) | instskip(SKIP_2) | instid1(VALU_DEP_1)
	v_add_f64 v[6:7], v[6:7], -v[16:17]
	s_waitcnt_depctr 0xfff
	v_fma_f64 v[12:13], -v[8:9], v[10:11], 1.0
	v_fma_f64 v[10:11], v[12:13], v[10:11], v[10:11]
	s_delay_alu instid0(VALU_DEP_1) | instskip(NEXT) | instid1(VALU_DEP_1)
	v_fma_f64 v[12:13], -v[8:9], v[10:11], 1.0
	v_fma_f64 v[10:11], v[12:13], v[10:11], v[10:11]
	s_delay_alu instid0(VALU_DEP_1) | instskip(NEXT) | instid1(VALU_DEP_1)
	v_mul_f64 v[12:13], v[14:15], v[10:11]
	v_mul_f64 v[18:19], v[8:9], v[12:13]
	s_delay_alu instid0(VALU_DEP_1) | instskip(NEXT) | instid1(VALU_DEP_1)
	v_fma_f64 v[8:9], v[12:13], v[8:9], -v[18:19]
	v_fma_f64 v[6:7], v[12:13], v[6:7], v[8:9]
	s_delay_alu instid0(VALU_DEP_1) | instskip(NEXT) | instid1(VALU_DEP_1)
	v_add_f64 v[8:9], v[18:19], v[6:7]
	v_add_f64 v[16:17], v[14:15], -v[8:9]
	v_add_f64 v[18:19], v[8:9], -v[18:19]
	s_delay_alu instid0(VALU_DEP_2) | instskip(NEXT) | instid1(VALU_DEP_2)
	v_add_f64 v[14:15], v[14:15], -v[16:17]
	v_add_f64 v[6:7], v[18:19], -v[6:7]
	s_delay_alu instid0(VALU_DEP_2) | instskip(NEXT) | instid1(VALU_DEP_1)
	v_add_f64 v[8:9], v[14:15], -v[8:9]
	v_add_f64 v[6:7], v[6:7], v[8:9]
	s_delay_alu instid0(VALU_DEP_1) | instskip(NEXT) | instid1(VALU_DEP_1)
	v_add_f64 v[6:7], v[16:17], v[6:7]
	v_mul_f64 v[6:7], v[10:11], v[6:7]
	s_delay_alu instid0(VALU_DEP_1) | instskip(NEXT) | instid1(VALU_DEP_1)
	v_add_f64 v[8:9], v[12:13], v[6:7]
	v_mul_f64 v[10:11], v[8:9], v[8:9]
	s_delay_alu instid0(VALU_DEP_1) | instskip(SKIP_3) | instid1(VALU_DEP_2)
	v_fma_f64 v[14:15], v[10:11], s[4:5], s[2:3]
	s_mov_b32 s2, 0xd7f4df2e
	s_mov_b32 s3, 0x3fc7474d
	v_mul_f64 v[16:17], v[8:9], v[10:11]
	v_fma_f64 v[14:15], v[10:11], v[14:15], s[2:3]
	s_mov_b32 s2, 0x16291751
	s_mov_b32 s3, 0x3fcc71c0
	s_delay_alu instid0(VALU_DEP_1) | instid1(SALU_CYCLE_1)
	v_fma_f64 v[14:15], v[10:11], v[14:15], s[2:3]
	s_mov_b32 s2, 0x9b27acf1
	s_mov_b32 s3, 0x3fd24924
	s_delay_alu instid0(VALU_DEP_1) | instid1(SALU_CYCLE_1)
	;; [unrolled: 4-line block ×3, first 2 shown]
	v_fma_f64 v[14:15], v[10:11], v[14:15], s[2:3]
	s_delay_alu instid0(VALU_DEP_1) | instskip(SKIP_4) | instid1(VALU_DEP_3)
	v_fma_f64 v[10:11], v[10:11], v[14:15], s[0:1]
	v_ldexp_f64 v[14:15], v[8:9], 1
	v_add_f64 v[8:9], v[8:9], -v[12:13]
	s_mov_b32 s0, 0xfefa39ef
	s_mov_b32 s1, 0x3fe62e42
	v_mul_f64 v[10:11], v[16:17], v[10:11]
	v_cvt_f64_i32_e32 v[16:17], v20
	s_delay_alu instid0(VALU_DEP_3) | instskip(NEXT) | instid1(VALU_DEP_3)
	v_add_f64 v[6:7], v[6:7], -v[8:9]
	v_add_f64 v[12:13], v[14:15], v[10:11]
	s_delay_alu instid0(VALU_DEP_3) | instskip(NEXT) | instid1(VALU_DEP_3)
	v_mul_f64 v[18:19], v[16:17], s[0:1]
	v_ldexp_f64 v[6:7], v[6:7], 1
	s_delay_alu instid0(VALU_DEP_3) | instskip(NEXT) | instid1(VALU_DEP_3)
	v_add_f64 v[8:9], v[12:13], -v[14:15]
	v_fma_f64 v[14:15], v[16:17], s[0:1], -v[18:19]
	s_mov_b32 s0, 0x3b39803f
	s_mov_b32 s1, 0x3c7abc9e
	s_delay_alu instid0(VALU_DEP_2) | instskip(NEXT) | instid1(VALU_DEP_2)
	v_add_f64 v[8:9], v[10:11], -v[8:9]
	v_fma_f64 v[10:11], v[16:17], s[0:1], v[14:15]
	s_lshl_b64 s[0:1], s[22:23], 3
	s_delay_alu instid0(VALU_DEP_2) | instskip(NEXT) | instid1(VALU_DEP_2)
	v_add_f64 v[6:7], v[6:7], v[8:9]
	v_add_f64 v[8:9], v[18:19], v[10:11]
	s_delay_alu instid0(VALU_DEP_2) | instskip(NEXT) | instid1(VALU_DEP_2)
	v_add_f64 v[14:15], v[12:13], v[6:7]
	v_add_f64 v[18:19], v[8:9], -v[18:19]
	s_delay_alu instid0(VALU_DEP_2) | instskip(SKIP_1) | instid1(VALU_DEP_3)
	v_add_f64 v[16:17], v[8:9], v[14:15]
	v_add_f64 v[12:13], v[14:15], -v[12:13]
	v_add_f64 v[10:11], v[10:11], -v[18:19]
	s_delay_alu instid0(VALU_DEP_3) | instskip(NEXT) | instid1(VALU_DEP_3)
	v_add_f64 v[20:21], v[16:17], -v[8:9]
	v_add_f64 v[6:7], v[6:7], -v[12:13]
	s_delay_alu instid0(VALU_DEP_2) | instskip(SKIP_1) | instid1(VALU_DEP_3)
	v_add_f64 v[22:23], v[16:17], -v[20:21]
	v_add_f64 v[12:13], v[14:15], -v[20:21]
	v_add_f64 v[14:15], v[10:11], v[6:7]
	s_delay_alu instid0(VALU_DEP_3) | instskip(NEXT) | instid1(VALU_DEP_1)
	v_add_f64 v[8:9], v[8:9], -v[22:23]
	v_add_f64 v[8:9], v[12:13], v[8:9]
	s_delay_alu instid0(VALU_DEP_3) | instskip(NEXT) | instid1(VALU_DEP_2)
	v_add_f64 v[12:13], v[14:15], -v[10:11]
	v_add_f64 v[8:9], v[14:15], v[8:9]
	s_delay_alu instid0(VALU_DEP_2) | instskip(SKIP_1) | instid1(VALU_DEP_3)
	v_add_f64 v[14:15], v[14:15], -v[12:13]
	v_add_f64 v[6:7], v[6:7], -v[12:13]
	v_add_f64 v[18:19], v[16:17], v[8:9]
	s_delay_alu instid0(VALU_DEP_3) | instskip(NEXT) | instid1(VALU_DEP_2)
	v_add_f64 v[10:11], v[10:11], -v[14:15]
	v_add_f64 v[12:13], v[18:19], -v[16:17]
	s_delay_alu instid0(VALU_DEP_2) | instskip(NEXT) | instid1(VALU_DEP_2)
	v_add_f64 v[6:7], v[6:7], v[10:11]
	v_add_f64 v[8:9], v[8:9], -v[12:13]
	s_delay_alu instid0(VALU_DEP_1) | instskip(NEXT) | instid1(VALU_DEP_1)
	v_add_f64 v[6:7], v[6:7], v[8:9]
	v_add_f64 v[6:7], v[18:19], v[6:7]
	s_delay_alu instid0(VALU_DEP_1) | instskip(SKIP_1) | instid1(VALU_DEP_2)
	v_dual_cndmask_b32 v7, v7, v3 :: v_dual_cndmask_b32 v6, v6, v2
	v_cmp_ngt_f64_e32 vcc_lo, 0, v[2:3]
	v_cndmask_b32_e32 v7, 0x7ff80000, v7, vcc_lo
	v_cmp_nge_f64_e32 vcc_lo, 0, v[2:3]
	s_delay_alu instid0(VALU_DEP_4) | instskip(SKIP_1) | instid1(VALU_DEP_4)
	v_cndmask_b32_e32 v6, 0, v6, vcc_lo
	v_cmp_neq_f64_e32 vcc_lo, 0, v[2:3]
	v_cndmask_b32_e32 v7, 0xfff00000, v7, vcc_lo
	v_add_co_u32 v2, vcc_lo, v4, s0
	v_add_co_ci_u32_e32 v3, vcc_lo, s1, v5, vcc_lo
	s_delay_alu instid0(VALU_DEP_3)
	v_add_f64 v[0:1], v[0:1], -v[6:7]
	global_store_b64 v[2:3], v[0:1], off
.LBB9_10:
	s_nop 0
	s_sendmsg sendmsg(MSG_DEALLOC_VGPRS)
	s_endpgm
	.section	.rodata,"a",@progbits
	.p2align	6, 0x0
	.amdhsa_kernel _ZN12_GLOBAL__N_120softmax_warp_forwardIdddLi4ELb1ELb0ELi32EEEvPT0_PKT_iiiPKbib
		.amdhsa_group_segment_fixed_size 0
		.amdhsa_private_segment_fixed_size 0
		.amdhsa_kernarg_size 304
		.amdhsa_user_sgpr_count 15
		.amdhsa_user_sgpr_dispatch_ptr 0
		.amdhsa_user_sgpr_queue_ptr 0
		.amdhsa_user_sgpr_kernarg_segment_ptr 1
		.amdhsa_user_sgpr_dispatch_id 0
		.amdhsa_user_sgpr_private_segment_size 0
		.amdhsa_wavefront_size32 1
		.amdhsa_uses_dynamic_stack 0
		.amdhsa_enable_private_segment 0
		.amdhsa_system_sgpr_workgroup_id_x 1
		.amdhsa_system_sgpr_workgroup_id_y 0
		.amdhsa_system_sgpr_workgroup_id_z 0
		.amdhsa_system_sgpr_workgroup_info 0
		.amdhsa_system_vgpr_workitem_id 1
		.amdhsa_next_free_vgpr 31
		.amdhsa_next_free_sgpr 24
		.amdhsa_reserve_vcc 1
		.amdhsa_float_round_mode_32 0
		.amdhsa_float_round_mode_16_64 0
		.amdhsa_float_denorm_mode_32 3
		.amdhsa_float_denorm_mode_16_64 3
		.amdhsa_dx10_clamp 1
		.amdhsa_ieee_mode 1
		.amdhsa_fp16_overflow 0
		.amdhsa_workgroup_processor_mode 1
		.amdhsa_memory_ordered 1
		.amdhsa_forward_progress 0
		.amdhsa_shared_vgpr_count 0
		.amdhsa_exception_fp_ieee_invalid_op 0
		.amdhsa_exception_fp_denorm_src 0
		.amdhsa_exception_fp_ieee_div_zero 0
		.amdhsa_exception_fp_ieee_overflow 0
		.amdhsa_exception_fp_ieee_underflow 0
		.amdhsa_exception_fp_ieee_inexact 0
		.amdhsa_exception_int_div_zero 0
	.end_amdhsa_kernel
	.section	.text._ZN12_GLOBAL__N_120softmax_warp_forwardIdddLi4ELb1ELb0ELi32EEEvPT0_PKT_iiiPKbib,"axG",@progbits,_ZN12_GLOBAL__N_120softmax_warp_forwardIdddLi4ELb1ELb0ELi32EEEvPT0_PKT_iiiPKbib,comdat
.Lfunc_end9:
	.size	_ZN12_GLOBAL__N_120softmax_warp_forwardIdddLi4ELb1ELb0ELi32EEEvPT0_PKT_iiiPKbib, .Lfunc_end9-_ZN12_GLOBAL__N_120softmax_warp_forwardIdddLi4ELb1ELb0ELi32EEEvPT0_PKT_iiiPKbib
                                        ; -- End function
	.section	.AMDGPU.csdata,"",@progbits
; Kernel info:
; codeLenInByte = 3716
; NumSgprs: 26
; NumVgprs: 31
; ScratchSize: 0
; MemoryBound: 0
; FloatMode: 240
; IeeeMode: 1
; LDSByteSize: 0 bytes/workgroup (compile time only)
; SGPRBlocks: 3
; VGPRBlocks: 3
; NumSGPRsForWavesPerEU: 26
; NumVGPRsForWavesPerEU: 31
; Occupancy: 16
; WaveLimiterHint : 0
; COMPUTE_PGM_RSRC2:SCRATCH_EN: 0
; COMPUTE_PGM_RSRC2:USER_SGPR: 15
; COMPUTE_PGM_RSRC2:TRAP_HANDLER: 0
; COMPUTE_PGM_RSRC2:TGID_X_EN: 1
; COMPUTE_PGM_RSRC2:TGID_Y_EN: 0
; COMPUTE_PGM_RSRC2:TGID_Z_EN: 0
; COMPUTE_PGM_RSRC2:TIDIG_COMP_CNT: 1
	.section	.text._ZN12_GLOBAL__N_120softmax_warp_forwardIdddLi5ELb1ELb0ELi64EEEvPT0_PKT_iiiPKbib,"axG",@progbits,_ZN12_GLOBAL__N_120softmax_warp_forwardIdddLi5ELb1ELb0ELi64EEEvPT0_PKT_iiiPKbib,comdat
	.globl	_ZN12_GLOBAL__N_120softmax_warp_forwardIdddLi5ELb1ELb0ELi64EEEvPT0_PKT_iiiPKbib ; -- Begin function _ZN12_GLOBAL__N_120softmax_warp_forwardIdddLi5ELb1ELb0ELi64EEEvPT0_PKT_iiiPKbib
	.p2align	8
	.type	_ZN12_GLOBAL__N_120softmax_warp_forwardIdddLi5ELb1ELb0ELi64EEEvPT0_PKT_iiiPKbib,@function
_ZN12_GLOBAL__N_120softmax_warp_forwardIdddLi5ELb1ELb0ELi64EEEvPT0_PKT_iiiPKbib: ; @_ZN12_GLOBAL__N_120softmax_warp_forwardIdddLi5ELb1ELb0ELi64EEEvPT0_PKT_iiiPKbib
; %bb.0:
	s_clause 0x1
	s_load_b32 s2, s[0:1], 0x3c
	s_load_b256 s[16:23], s[0:1], 0x0
	v_bfe_u32 v1, v0, 10, 10
	v_and_b32_e32 v4, 0x3ff, v0
	s_waitcnt lgkmcnt(0)
	s_lshr_b32 s0, s2, 16
	s_delay_alu instid0(VALU_DEP_1) | instskip(SKIP_1) | instid1(SALU_CYCLE_1)
	v_cmp_gt_i32_e32 vcc_lo, s22, v4
	s_mul_i32 s15, s15, s0
	v_add_lshl_u32 v2, s15, v1, 1
	s_delay_alu instid0(VALU_DEP_1) | instskip(SKIP_1) | instid1(VALU_DEP_1)
	v_mad_u64_u32 v[0:1], null, v2, s21, v[4:5]
	v_sub_nc_u32_e32 v14, s20, v2
	v_cmp_lt_i32_e64 s0, 0, v14
	s_delay_alu instid0(VALU_DEP_3) | instskip(NEXT) | instid1(VALU_DEP_2)
	v_ashrrev_i32_e32 v1, 31, v0
	s_and_b32 s2, vcc_lo, s0
	s_delay_alu instid0(VALU_DEP_1) | instskip(SKIP_2) | instid1(VALU_DEP_3)
	v_lshlrev_b64 v[2:3], 3, v[0:1]
	v_mov_b32_e32 v0, 0
	v_mov_b32_e32 v1, 0xfff00000
	v_add_co_u32 v6, s1, s18, v2
	s_delay_alu instid0(VALU_DEP_1) | instskip(NEXT) | instid1(VALU_DEP_3)
	v_add_co_ci_u32_e64 v7, s1, s19, v3, s1
	v_dual_mov_b32 v5, v1 :: v_dual_mov_b32 v4, v0
	s_and_saveexec_b32 s1, s2
	s_cbranch_execz .LBB10_2
; %bb.1:
	global_load_b64 v[4:5], v[6:7], off
.LBB10_2:
	s_or_b32 exec_lo, exec_lo, s1
	v_cmp_lt_i32_e64 s1, 1, v14
	s_delay_alu instid0(VALU_DEP_1) | instskip(NEXT) | instid1(SALU_CYCLE_1)
	s_and_b32 s1, vcc_lo, s1
	s_and_saveexec_b32 s2, s1
	s_cbranch_execz .LBB10_4
; %bb.3:
	s_mov_b32 s23, 0
	s_delay_alu instid0(SALU_CYCLE_1) | instskip(NEXT) | instid1(SALU_CYCLE_1)
	s_lshl_b64 s[4:5], s[22:23], 3
	v_add_co_u32 v0, s1, v6, s4
	s_delay_alu instid0(VALU_DEP_1)
	v_add_co_ci_u32_e64 v1, s1, s5, v7, s1
	global_load_b64 v[0:1], v[0:1], off
.LBB10_4:
	s_or_b32 exec_lo, exec_lo, s2
	v_mbcnt_lo_u32_b32 v15, -1, 0
	s_mov_b32 s4, 0x6a5dcb37
	s_mov_b32 s5, 0x3e5ade15
	s_delay_alu instid0(VALU_DEP_1) | instskip(SKIP_2) | instid1(VALU_DEP_3)
	v_xor_b32_e32 v6, 16, v15
	v_xor_b32_e32 v10, 8, v15
	;; [unrolled: 1-line block ×3, first 2 shown]
	v_cmp_gt_i32_e64 s1, 32, v6
	s_delay_alu instid0(VALU_DEP_3) | instskip(NEXT) | instid1(VALU_DEP_2)
	v_cmp_gt_i32_e64 s3, 32, v10
	v_cndmask_b32_e64 v6, v15, v6, s1
	s_delay_alu instid0(VALU_DEP_2) | instskip(SKIP_1) | instid1(VALU_DEP_3)
	v_cndmask_b32_e64 v10, v15, v10, s3
	v_cmp_gt_i32_e64 s3, 32, v16
	v_lshlrev_b32_e32 v19, 2, v6
	s_delay_alu instid0(VALU_DEP_3) | instskip(NEXT) | instid1(VALU_DEP_3)
	v_lshlrev_b32_e32 v20, 2, v10
	v_cndmask_b32_e64 v16, v15, v16, s3
	s_waitcnt vmcnt(0)
	ds_bpermute_b32 v6, v19, v4
	ds_bpermute_b32 v7, v19, v5
	;; [unrolled: 1-line block ×4, first 2 shown]
	v_lshlrev_b32_e32 v21, 2, v16
	v_xor_b32_e32 v16, 2, v15
	s_delay_alu instid0(VALU_DEP_1) | instskip(NEXT) | instid1(VALU_DEP_1)
	v_cmp_gt_i32_e64 s3, 32, v16
	v_cndmask_b32_e64 v16, v15, v16, s3
	s_delay_alu instid0(VALU_DEP_1)
	v_lshlrev_b32_e32 v22, 2, v16
	s_waitcnt lgkmcnt(2)
	v_cmp_lt_f64_e64 s1, v[4:5], v[6:7]
	v_xor_b32_e32 v16, 1, v15
	s_waitcnt lgkmcnt(0)
	v_cmp_lt_f64_e64 s2, v[0:1], v[8:9]
	s_delay_alu instid0(VALU_DEP_2) | instskip(NEXT) | instid1(VALU_DEP_1)
	v_cmp_gt_i32_e64 s3, 32, v16
	v_cndmask_b32_e64 v15, v15, v16, s3
	s_delay_alu instid0(VALU_DEP_1)
	v_lshlrev_b32_e32 v23, 2, v15
	v_cndmask_b32_e64 v7, v5, v7, s1
	v_cndmask_b32_e64 v6, v4, v6, s1
	v_cndmask_b32_e64 v9, v1, v9, s2
	v_cndmask_b32_e64 v8, v0, v8, s2
	ds_bpermute_b32 v11, v20, v7
	ds_bpermute_b32 v10, v20, v6
	ds_bpermute_b32 v13, v20, v9
	ds_bpermute_b32 v12, v20, v8
	s_waitcnt lgkmcnt(2)
	v_cmp_lt_f64_e64 s1, v[6:7], v[10:11]
	s_waitcnt lgkmcnt(0)
	v_cmp_lt_f64_e64 s2, v[8:9], v[12:13]
	s_delay_alu instid0(VALU_DEP_2) | instskip(SKIP_1) | instid1(VALU_DEP_3)
	v_cndmask_b32_e64 v7, v7, v11, s1
	v_cndmask_b32_e64 v6, v6, v10, s1
	v_cndmask_b32_e64 v9, v9, v13, s2
	v_cndmask_b32_e64 v8, v8, v12, s2
	ds_bpermute_b32 v11, v21, v7
	ds_bpermute_b32 v10, v21, v6
	ds_bpermute_b32 v13, v21, v9
	ds_bpermute_b32 v12, v21, v8
	s_waitcnt lgkmcnt(2)
	v_cmp_lt_f64_e64 s1, v[6:7], v[10:11]
	s_waitcnt lgkmcnt(0)
	v_cmp_lt_f64_e64 s2, v[8:9], v[12:13]
	s_delay_alu instid0(VALU_DEP_2) | instskip(SKIP_1) | instid1(VALU_DEP_3)
	;; [unrolled: 13-line block ×4, first 2 shown]
	v_cndmask_b32_e64 v7, v7, v11, s1
	v_cndmask_b32_e64 v6, v6, v10, s1
	;; [unrolled: 1-line block ×4, first 2 shown]
	s_mov_b32 s2, 0x652b82fe
	s_mov_b32 s3, 0x3ff71547
	v_add_f64 v[4:5], v[4:5], -v[6:7]
	s_delay_alu instid0(VALU_DEP_2) | instskip(NEXT) | instid1(VALU_DEP_2)
	v_add_f64 v[0:1], v[0:1], -v[8:9]
	v_mul_f64 v[6:7], v[4:5], s[2:3]
	v_cmp_nlt_f64_e64 s1, 0x40900000, v[4:5]
	s_delay_alu instid0(VALU_DEP_3) | instskip(SKIP_2) | instid1(VALU_DEP_3)
	v_mul_f64 v[8:9], v[0:1], s[2:3]
	s_mov_b32 s2, 0xfefa39ef
	s_mov_b32 s3, 0xbfe62e42
	v_rndne_f64_e32 v[6:7], v[6:7]
	s_delay_alu instid0(VALU_DEP_2) | instskip(NEXT) | instid1(VALU_DEP_2)
	v_rndne_f64_e32 v[8:9], v[8:9]
	v_fma_f64 v[10:11], v[6:7], s[2:3], v[4:5]
	v_cvt_i32_f64_e32 v24, v[6:7]
	s_delay_alu instid0(VALU_DEP_3)
	v_fma_f64 v[12:13], v[8:9], s[2:3], v[0:1]
	s_mov_b32 s2, 0x3b39803f
	s_mov_b32 s3, 0xbc7abc9e
	s_delay_alu instid0(VALU_DEP_3) | instid1(SALU_CYCLE_1)
	v_fma_f64 v[10:11], v[6:7], s[2:3], v[10:11]
	s_delay_alu instid0(VALU_DEP_2)
	v_fma_f64 v[12:13], v[8:9], s[2:3], v[12:13]
	s_mov_b32 s2, 0xfca7ab0c
	s_mov_b32 s3, 0x3e928af3
	s_delay_alu instid0(VALU_DEP_2) | instid1(SALU_CYCLE_1)
	v_fma_f64 v[15:16], v[10:11], s[4:5], s[2:3]
	s_delay_alu instid0(VALU_DEP_2) | instskip(SKIP_3) | instid1(VALU_DEP_3)
	v_fma_f64 v[17:18], v[12:13], s[4:5], s[2:3]
	s_mov_b32 s2, 0x623fde64
	s_mov_b32 s3, 0x3ec71dee
	v_cmp_ngt_f64_e64 s4, 0xc090cc00, v[0:1]
	v_fma_f64 v[15:16], v[10:11], v[15:16], s[2:3]
	s_delay_alu instid0(VALU_DEP_3)
	v_fma_f64 v[17:18], v[12:13], v[17:18], s[2:3]
	s_mov_b32 s2, 0x7c89e6b0
	s_mov_b32 s3, 0x3efa0199
	s_delay_alu instid0(VALU_DEP_2) | instid1(SALU_CYCLE_1)
	v_fma_f64 v[15:16], v[10:11], v[15:16], s[2:3]
	s_delay_alu instid0(VALU_DEP_2)
	v_fma_f64 v[17:18], v[12:13], v[17:18], s[2:3]
	s_mov_b32 s2, 0x14761f6e
	s_mov_b32 s3, 0x3f2a01a0
	s_delay_alu instid0(VALU_DEP_2) | instid1(SALU_CYCLE_1)
	v_fma_f64 v[15:16], v[10:11], v[15:16], s[2:3]
	s_delay_alu instid0(VALU_DEP_2)
	;; [unrolled: 6-line block ×6, first 2 shown]
	v_fma_f64 v[17:18], v[12:13], v[17:18], s[2:3]
	s_mov_b32 s2, 11
	s_mov_b32 s3, 0x3fe00000
	s_delay_alu instid0(VALU_DEP_2) | instid1(SALU_CYCLE_1)
	v_fma_f64 v[15:16], v[10:11], v[15:16], s[2:3]
	s_delay_alu instid0(VALU_DEP_2) | instskip(SKIP_2) | instid1(VALU_DEP_4)
	v_fma_f64 v[17:18], v[12:13], v[17:18], s[2:3]
	v_cmp_nlt_f64_e64 s3, 0x40900000, v[0:1]
	v_cmp_ngt_f64_e64 s2, 0xc090cc00, v[4:5]
	v_fma_f64 v[15:16], v[10:11], v[15:16], 1.0
	s_delay_alu instid0(VALU_DEP_4) | instskip(NEXT) | instid1(VALU_DEP_2)
	v_fma_f64 v[17:18], v[12:13], v[17:18], 1.0
	v_fma_f64 v[6:7], v[10:11], v[15:16], 1.0
	v_cvt_i32_f64_e32 v10, v[8:9]
	s_delay_alu instid0(VALU_DEP_3) | instskip(NEXT) | instid1(VALU_DEP_3)
	v_fma_f64 v[8:9], v[12:13], v[17:18], 1.0
	v_ldexp_f64 v[6:7], v[6:7], v24
	s_delay_alu instid0(VALU_DEP_2) | instskip(NEXT) | instid1(VALU_DEP_2)
	v_ldexp_f64 v[8:9], v[8:9], v10
	v_add_f64 v[6:7], v[6:7], 0
	s_delay_alu instid0(VALU_DEP_2) | instskip(NEXT) | instid1(VALU_DEP_2)
	v_add_f64 v[8:9], v[8:9], 0
	v_cndmask_b32_e64 v7, 0x7ff00000, v7, s1
	s_and_b32 s1, s2, s1
	s_delay_alu instid0(VALU_DEP_2) | instskip(NEXT) | instid1(VALU_DEP_4)
	v_cndmask_b32_e64 v9, 0x7ff00000, v9, s3
	v_cndmask_b32_e64 v6, 0, v6, s1
	s_and_b32 s1, s4, s3
	v_cndmask_b32_e64 v7, 0, v7, s2
	v_cndmask_b32_e64 v8, 0, v8, s1
	;; [unrolled: 1-line block ×3, first 2 shown]
	ds_bpermute_b32 v10, v19, v6
	ds_bpermute_b32 v11, v19, v7
	ds_bpermute_b32 v12, v19, v8
	ds_bpermute_b32 v13, v19, v9
	s_waitcnt lgkmcnt(2)
	v_add_f64 v[6:7], v[6:7], v[10:11]
	s_waitcnt lgkmcnt(0)
	v_add_f64 v[8:9], v[8:9], v[12:13]
	ds_bpermute_b32 v10, v20, v6
	ds_bpermute_b32 v11, v20, v7
	ds_bpermute_b32 v12, v20, v8
	ds_bpermute_b32 v13, v20, v9
	s_waitcnt lgkmcnt(2)
	v_add_f64 v[6:7], v[6:7], v[10:11]
	s_waitcnt lgkmcnt(0)
	v_add_f64 v[8:9], v[8:9], v[12:13]
	;; [unrolled: 8-line block ×4, first 2 shown]
	ds_bpermute_b32 v12, v23, v10
	ds_bpermute_b32 v13, v23, v11
	;; [unrolled: 1-line block ×4, first 2 shown]
	s_and_saveexec_b32 s1, s0
	s_cbranch_execz .LBB10_10
; %bb.5:
	v_add_co_u32 v2, s0, s16, v2
	s_delay_alu instid0(VALU_DEP_1)
	v_add_co_ci_u32_e64 v3, s0, s17, v3, s0
	s_and_saveexec_b32 s2, vcc_lo
	s_cbranch_execz .LBB10_7
; %bb.6:
	s_waitcnt lgkmcnt(2)
	v_add_f64 v[10:11], v[10:11], v[12:13]
	s_mov_b32 s5, 0x3fe55555
	s_mov_b32 s4, 0x55555555
	v_mov_b32_e32 v15, 0
	s_mov_b32 s6, 0xbf559e2b
	s_mov_b32 s7, 0x3fc3ab76
	s_delay_alu instid0(VALU_DEP_2) | instskip(SKIP_1) | instid1(VALU_DEP_2)
	v_frexp_mant_f64_e32 v[12:13], v[10:11]
	v_frexp_exp_i32_f64_e32 v16, v[10:11]
	v_cmp_gt_f64_e64 s0, s[4:5], v[12:13]
	s_mov_b32 s4, 0x55555780
	s_delay_alu instid0(VALU_DEP_1) | instskip(SKIP_3) | instid1(VALU_DEP_1)
	v_subrev_co_ci_u32_e64 v27, s1, 0, v16, s0
	v_cndmask_b32_e64 v16, 0x3ff00000, 2.0, s0
	s_mov_b32 s0, 0x6b47b09a
	s_mov_b32 s1, 0x3fc38538
	v_mul_f64 v[12:13], v[12:13], v[15:16]
	s_delay_alu instid0(VALU_DEP_1) | instskip(SKIP_1) | instid1(VALU_DEP_2)
	v_add_f64 v[15:16], v[12:13], 1.0
	v_add_f64 v[21:22], v[12:13], -1.0
	v_rcp_f64_e32 v[17:18], v[15:16]
	v_add_f64 v[23:24], v[15:16], -1.0
	s_delay_alu instid0(VALU_DEP_1) | instskip(SKIP_2) | instid1(VALU_DEP_1)
	v_add_f64 v[12:13], v[12:13], -v[23:24]
	s_waitcnt_depctr 0xfff
	v_fma_f64 v[19:20], -v[15:16], v[17:18], 1.0
	v_fma_f64 v[17:18], v[19:20], v[17:18], v[17:18]
	s_delay_alu instid0(VALU_DEP_1) | instskip(NEXT) | instid1(VALU_DEP_1)
	v_fma_f64 v[19:20], -v[15:16], v[17:18], 1.0
	v_fma_f64 v[17:18], v[19:20], v[17:18], v[17:18]
	s_delay_alu instid0(VALU_DEP_1) | instskip(NEXT) | instid1(VALU_DEP_1)
	v_mul_f64 v[19:20], v[21:22], v[17:18]
	v_mul_f64 v[25:26], v[15:16], v[19:20]
	s_delay_alu instid0(VALU_DEP_1) | instskip(NEXT) | instid1(VALU_DEP_1)
	v_fma_f64 v[15:16], v[19:20], v[15:16], -v[25:26]
	v_fma_f64 v[12:13], v[19:20], v[12:13], v[15:16]
	s_delay_alu instid0(VALU_DEP_1) | instskip(NEXT) | instid1(VALU_DEP_1)
	v_add_f64 v[15:16], v[25:26], v[12:13]
	v_add_f64 v[23:24], v[21:22], -v[15:16]
	v_add_f64 v[25:26], v[15:16], -v[25:26]
	s_delay_alu instid0(VALU_DEP_2) | instskip(NEXT) | instid1(VALU_DEP_2)
	v_add_f64 v[21:22], v[21:22], -v[23:24]
	v_add_f64 v[12:13], v[25:26], -v[12:13]
	s_delay_alu instid0(VALU_DEP_2) | instskip(NEXT) | instid1(VALU_DEP_1)
	v_add_f64 v[15:16], v[21:22], -v[15:16]
	v_add_f64 v[12:13], v[12:13], v[15:16]
	s_delay_alu instid0(VALU_DEP_1) | instskip(NEXT) | instid1(VALU_DEP_1)
	v_add_f64 v[12:13], v[23:24], v[12:13]
	v_mul_f64 v[12:13], v[17:18], v[12:13]
	s_delay_alu instid0(VALU_DEP_1) | instskip(NEXT) | instid1(VALU_DEP_1)
	v_add_f64 v[15:16], v[19:20], v[12:13]
	v_mul_f64 v[17:18], v[15:16], v[15:16]
	s_delay_alu instid0(VALU_DEP_1) | instskip(SKIP_3) | instid1(VALU_DEP_2)
	v_fma_f64 v[21:22], v[17:18], s[6:7], s[0:1]
	s_mov_b32 s0, 0xd7f4df2e
	s_mov_b32 s1, 0x3fc7474d
	v_mul_f64 v[23:24], v[15:16], v[17:18]
	v_fma_f64 v[21:22], v[17:18], v[21:22], s[0:1]
	s_mov_b32 s0, 0x16291751
	s_mov_b32 s1, 0x3fcc71c0
	s_delay_alu instid0(VALU_DEP_1) | instid1(SALU_CYCLE_1)
	v_fma_f64 v[21:22], v[17:18], v[21:22], s[0:1]
	s_mov_b32 s0, 0x9b27acf1
	s_mov_b32 s1, 0x3fd24924
	s_delay_alu instid0(VALU_DEP_1) | instid1(SALU_CYCLE_1)
	;; [unrolled: 4-line block ×3, first 2 shown]
	v_fma_f64 v[21:22], v[17:18], v[21:22], s[0:1]
	s_mov_b32 s0, 0xfefa39ef
	s_mov_b32 s1, 0x3fe62e42
	s_delay_alu instid0(VALU_DEP_1) | instskip(SKIP_2) | instid1(VALU_DEP_3)
	v_fma_f64 v[17:18], v[17:18], v[21:22], s[4:5]
	v_ldexp_f64 v[21:22], v[15:16], 1
	v_add_f64 v[15:16], v[15:16], -v[19:20]
	v_mul_f64 v[17:18], v[23:24], v[17:18]
	v_cvt_f64_i32_e32 v[23:24], v27
	s_delay_alu instid0(VALU_DEP_3) | instskip(NEXT) | instid1(VALU_DEP_3)
	v_add_f64 v[12:13], v[12:13], -v[15:16]
	v_add_f64 v[19:20], v[21:22], v[17:18]
	s_delay_alu instid0(VALU_DEP_3) | instskip(NEXT) | instid1(VALU_DEP_3)
	v_mul_f64 v[25:26], v[23:24], s[0:1]
	v_ldexp_f64 v[12:13], v[12:13], 1
	s_delay_alu instid0(VALU_DEP_3) | instskip(NEXT) | instid1(VALU_DEP_3)
	v_add_f64 v[15:16], v[19:20], -v[21:22]
	v_fma_f64 v[21:22], v[23:24], s[0:1], -v[25:26]
	s_mov_b32 s0, 0x3b39803f
	s_mov_b32 s1, 0x3c7abc9e
	s_delay_alu instid0(VALU_DEP_2) | instskip(NEXT) | instid1(VALU_DEP_2)
	v_add_f64 v[15:16], v[17:18], -v[15:16]
	v_fma_f64 v[17:18], v[23:24], s[0:1], v[21:22]
	v_cmp_class_f64_e64 s0, v[10:11], 0x204
	s_delay_alu instid0(VALU_DEP_3) | instskip(NEXT) | instid1(VALU_DEP_3)
	v_add_f64 v[12:13], v[12:13], v[15:16]
	v_add_f64 v[15:16], v[25:26], v[17:18]
	s_delay_alu instid0(VALU_DEP_2) | instskip(NEXT) | instid1(VALU_DEP_2)
	v_add_f64 v[21:22], v[19:20], v[12:13]
	v_add_f64 v[25:26], v[15:16], -v[25:26]
	s_delay_alu instid0(VALU_DEP_2) | instskip(SKIP_1) | instid1(VALU_DEP_3)
	v_add_f64 v[23:24], v[15:16], v[21:22]
	v_add_f64 v[19:20], v[21:22], -v[19:20]
	v_add_f64 v[17:18], v[17:18], -v[25:26]
	s_delay_alu instid0(VALU_DEP_3) | instskip(NEXT) | instid1(VALU_DEP_3)
	v_add_f64 v[27:28], v[23:24], -v[15:16]
	v_add_f64 v[12:13], v[12:13], -v[19:20]
	s_delay_alu instid0(VALU_DEP_2) | instskip(SKIP_1) | instid1(VALU_DEP_3)
	v_add_f64 v[29:30], v[23:24], -v[27:28]
	v_add_f64 v[19:20], v[21:22], -v[27:28]
	v_add_f64 v[21:22], v[17:18], v[12:13]
	s_delay_alu instid0(VALU_DEP_3) | instskip(NEXT) | instid1(VALU_DEP_1)
	v_add_f64 v[15:16], v[15:16], -v[29:30]
	v_add_f64 v[15:16], v[19:20], v[15:16]
	s_delay_alu instid0(VALU_DEP_3) | instskip(NEXT) | instid1(VALU_DEP_2)
	v_add_f64 v[19:20], v[21:22], -v[17:18]
	v_add_f64 v[15:16], v[21:22], v[15:16]
	s_delay_alu instid0(VALU_DEP_2) | instskip(SKIP_1) | instid1(VALU_DEP_3)
	v_add_f64 v[21:22], v[21:22], -v[19:20]
	v_add_f64 v[12:13], v[12:13], -v[19:20]
	v_add_f64 v[25:26], v[23:24], v[15:16]
	s_delay_alu instid0(VALU_DEP_3) | instskip(NEXT) | instid1(VALU_DEP_2)
	v_add_f64 v[17:18], v[17:18], -v[21:22]
	v_add_f64 v[19:20], v[25:26], -v[23:24]
	s_delay_alu instid0(VALU_DEP_2) | instskip(NEXT) | instid1(VALU_DEP_2)
	v_add_f64 v[12:13], v[12:13], v[17:18]
	v_add_f64 v[15:16], v[15:16], -v[19:20]
	s_delay_alu instid0(VALU_DEP_1) | instskip(NEXT) | instid1(VALU_DEP_1)
	v_add_f64 v[12:13], v[12:13], v[15:16]
	v_add_f64 v[12:13], v[25:26], v[12:13]
	s_delay_alu instid0(VALU_DEP_1) | instskip(NEXT) | instid1(VALU_DEP_2)
	v_cndmask_b32_e64 v12, v12, v10, s0
	v_cndmask_b32_e64 v13, v13, v11, s0
	v_cmp_ngt_f64_e64 s0, 0, v[10:11]
	s_delay_alu instid0(VALU_DEP_1) | instskip(SKIP_1) | instid1(VALU_DEP_1)
	v_cndmask_b32_e64 v13, 0x7ff80000, v13, s0
	v_cmp_nge_f64_e64 s0, 0, v[10:11]
	v_cndmask_b32_e64 v12, 0, v12, s0
	v_cmp_neq_f64_e64 s0, 0, v[10:11]
	s_delay_alu instid0(VALU_DEP_1) | instskip(NEXT) | instid1(VALU_DEP_1)
	v_cndmask_b32_e64 v13, 0xfff00000, v13, s0
	v_add_f64 v[4:5], v[4:5], -v[12:13]
	global_store_b64 v[2:3], v[4:5], off
.LBB10_7:
	s_or_b32 exec_lo, exec_lo, s2
	v_cmp_ne_u32_e64 s0, 1, v14
	s_delay_alu instid0(VALU_DEP_1)
	s_and_b32 exec_lo, exec_lo, s0
	s_cbranch_execz .LBB10_10
; %bb.8:
	s_and_b32 exec_lo, exec_lo, vcc_lo
	s_cbranch_execz .LBB10_10
; %bb.9:
	s_waitcnt lgkmcnt(0)
	v_add_f64 v[4:5], v[6:7], v[8:9]
	s_mov_b32 s1, 0x3fe55555
	s_mov_b32 s0, 0x55555555
	;; [unrolled: 1-line block ×7, first 2 shown]
	s_delay_alu instid0(VALU_DEP_1) | instskip(SKIP_1) | instid1(VALU_DEP_2)
	v_frexp_mant_f64_e32 v[6:7], v[4:5]
	v_frexp_exp_i32_f64_e32 v9, v[4:5]
	v_cmp_gt_f64_e32 vcc_lo, s[0:1], v[6:7]
	s_delay_alu instid0(VALU_DEP_2) | instskip(SKIP_4) | instid1(VALU_DEP_1)
	v_subrev_co_ci_u32_e64 v20, s0, 0, v9, vcc_lo
	v_cndmask_b32_e64 v9, 0x3ff00000, 2.0, vcc_lo
	v_cmp_class_f64_e64 vcc_lo, v[4:5], 0x204
	v_mov_b32_e32 v8, 0
	s_mov_b32 s0, 0x55555780
	v_mul_f64 v[6:7], v[6:7], v[8:9]
	s_delay_alu instid0(VALU_DEP_1) | instskip(SKIP_1) | instid1(VALU_DEP_2)
	v_add_f64 v[8:9], v[6:7], 1.0
	v_add_f64 v[14:15], v[6:7], -1.0
	v_rcp_f64_e32 v[10:11], v[8:9]
	v_add_f64 v[16:17], v[8:9], -1.0
	s_delay_alu instid0(VALU_DEP_1) | instskip(SKIP_2) | instid1(VALU_DEP_1)
	v_add_f64 v[6:7], v[6:7], -v[16:17]
	s_waitcnt_depctr 0xfff
	v_fma_f64 v[12:13], -v[8:9], v[10:11], 1.0
	v_fma_f64 v[10:11], v[12:13], v[10:11], v[10:11]
	s_delay_alu instid0(VALU_DEP_1) | instskip(NEXT) | instid1(VALU_DEP_1)
	v_fma_f64 v[12:13], -v[8:9], v[10:11], 1.0
	v_fma_f64 v[10:11], v[12:13], v[10:11], v[10:11]
	s_delay_alu instid0(VALU_DEP_1) | instskip(NEXT) | instid1(VALU_DEP_1)
	v_mul_f64 v[12:13], v[14:15], v[10:11]
	v_mul_f64 v[18:19], v[8:9], v[12:13]
	s_delay_alu instid0(VALU_DEP_1) | instskip(NEXT) | instid1(VALU_DEP_1)
	v_fma_f64 v[8:9], v[12:13], v[8:9], -v[18:19]
	v_fma_f64 v[6:7], v[12:13], v[6:7], v[8:9]
	s_delay_alu instid0(VALU_DEP_1) | instskip(NEXT) | instid1(VALU_DEP_1)
	v_add_f64 v[8:9], v[18:19], v[6:7]
	v_add_f64 v[16:17], v[14:15], -v[8:9]
	v_add_f64 v[18:19], v[8:9], -v[18:19]
	s_delay_alu instid0(VALU_DEP_2) | instskip(NEXT) | instid1(VALU_DEP_2)
	v_add_f64 v[14:15], v[14:15], -v[16:17]
	v_add_f64 v[6:7], v[18:19], -v[6:7]
	s_delay_alu instid0(VALU_DEP_2) | instskip(NEXT) | instid1(VALU_DEP_1)
	v_add_f64 v[8:9], v[14:15], -v[8:9]
	v_add_f64 v[6:7], v[6:7], v[8:9]
	s_delay_alu instid0(VALU_DEP_1) | instskip(NEXT) | instid1(VALU_DEP_1)
	v_add_f64 v[6:7], v[16:17], v[6:7]
	v_mul_f64 v[6:7], v[10:11], v[6:7]
	s_delay_alu instid0(VALU_DEP_1) | instskip(NEXT) | instid1(VALU_DEP_1)
	v_add_f64 v[8:9], v[12:13], v[6:7]
	v_mul_f64 v[10:11], v[8:9], v[8:9]
	s_delay_alu instid0(VALU_DEP_1) | instskip(SKIP_3) | instid1(VALU_DEP_2)
	v_fma_f64 v[14:15], v[10:11], s[4:5], s[2:3]
	s_mov_b32 s2, 0xd7f4df2e
	s_mov_b32 s3, 0x3fc7474d
	v_mul_f64 v[16:17], v[8:9], v[10:11]
	v_fma_f64 v[14:15], v[10:11], v[14:15], s[2:3]
	s_mov_b32 s2, 0x16291751
	s_mov_b32 s3, 0x3fcc71c0
	s_delay_alu instid0(VALU_DEP_1) | instid1(SALU_CYCLE_1)
	v_fma_f64 v[14:15], v[10:11], v[14:15], s[2:3]
	s_mov_b32 s2, 0x9b27acf1
	s_mov_b32 s3, 0x3fd24924
	s_delay_alu instid0(VALU_DEP_1) | instid1(SALU_CYCLE_1)
	;; [unrolled: 4-line block ×3, first 2 shown]
	v_fma_f64 v[14:15], v[10:11], v[14:15], s[2:3]
	s_delay_alu instid0(VALU_DEP_1) | instskip(SKIP_4) | instid1(VALU_DEP_3)
	v_fma_f64 v[10:11], v[10:11], v[14:15], s[0:1]
	v_ldexp_f64 v[14:15], v[8:9], 1
	v_add_f64 v[8:9], v[8:9], -v[12:13]
	s_mov_b32 s0, 0xfefa39ef
	s_mov_b32 s1, 0x3fe62e42
	v_mul_f64 v[10:11], v[16:17], v[10:11]
	v_cvt_f64_i32_e32 v[16:17], v20
	s_delay_alu instid0(VALU_DEP_3) | instskip(NEXT) | instid1(VALU_DEP_3)
	v_add_f64 v[6:7], v[6:7], -v[8:9]
	v_add_f64 v[12:13], v[14:15], v[10:11]
	s_delay_alu instid0(VALU_DEP_3) | instskip(NEXT) | instid1(VALU_DEP_3)
	v_mul_f64 v[18:19], v[16:17], s[0:1]
	v_ldexp_f64 v[6:7], v[6:7], 1
	s_delay_alu instid0(VALU_DEP_3) | instskip(NEXT) | instid1(VALU_DEP_3)
	v_add_f64 v[8:9], v[12:13], -v[14:15]
	v_fma_f64 v[14:15], v[16:17], s[0:1], -v[18:19]
	s_mov_b32 s0, 0x3b39803f
	s_mov_b32 s1, 0x3c7abc9e
	s_delay_alu instid0(VALU_DEP_2) | instskip(NEXT) | instid1(VALU_DEP_2)
	v_add_f64 v[8:9], v[10:11], -v[8:9]
	v_fma_f64 v[10:11], v[16:17], s[0:1], v[14:15]
	s_lshl_b64 s[0:1], s[22:23], 3
	s_delay_alu instid0(VALU_DEP_2) | instskip(NEXT) | instid1(VALU_DEP_2)
	v_add_f64 v[6:7], v[6:7], v[8:9]
	v_add_f64 v[8:9], v[18:19], v[10:11]
	s_delay_alu instid0(VALU_DEP_2) | instskip(NEXT) | instid1(VALU_DEP_2)
	v_add_f64 v[14:15], v[12:13], v[6:7]
	v_add_f64 v[18:19], v[8:9], -v[18:19]
	s_delay_alu instid0(VALU_DEP_2) | instskip(SKIP_1) | instid1(VALU_DEP_3)
	v_add_f64 v[16:17], v[8:9], v[14:15]
	v_add_f64 v[12:13], v[14:15], -v[12:13]
	v_add_f64 v[10:11], v[10:11], -v[18:19]
	s_delay_alu instid0(VALU_DEP_3) | instskip(NEXT) | instid1(VALU_DEP_3)
	v_add_f64 v[20:21], v[16:17], -v[8:9]
	v_add_f64 v[6:7], v[6:7], -v[12:13]
	s_delay_alu instid0(VALU_DEP_2) | instskip(SKIP_1) | instid1(VALU_DEP_3)
	v_add_f64 v[22:23], v[16:17], -v[20:21]
	v_add_f64 v[12:13], v[14:15], -v[20:21]
	v_add_f64 v[14:15], v[10:11], v[6:7]
	s_delay_alu instid0(VALU_DEP_3) | instskip(NEXT) | instid1(VALU_DEP_1)
	v_add_f64 v[8:9], v[8:9], -v[22:23]
	v_add_f64 v[8:9], v[12:13], v[8:9]
	s_delay_alu instid0(VALU_DEP_3) | instskip(NEXT) | instid1(VALU_DEP_2)
	v_add_f64 v[12:13], v[14:15], -v[10:11]
	v_add_f64 v[8:9], v[14:15], v[8:9]
	s_delay_alu instid0(VALU_DEP_2) | instskip(SKIP_1) | instid1(VALU_DEP_3)
	v_add_f64 v[14:15], v[14:15], -v[12:13]
	v_add_f64 v[6:7], v[6:7], -v[12:13]
	v_add_f64 v[18:19], v[16:17], v[8:9]
	s_delay_alu instid0(VALU_DEP_3) | instskip(NEXT) | instid1(VALU_DEP_2)
	v_add_f64 v[10:11], v[10:11], -v[14:15]
	v_add_f64 v[12:13], v[18:19], -v[16:17]
	s_delay_alu instid0(VALU_DEP_2) | instskip(NEXT) | instid1(VALU_DEP_2)
	v_add_f64 v[6:7], v[6:7], v[10:11]
	v_add_f64 v[8:9], v[8:9], -v[12:13]
	s_delay_alu instid0(VALU_DEP_1) | instskip(NEXT) | instid1(VALU_DEP_1)
	v_add_f64 v[6:7], v[6:7], v[8:9]
	v_add_f64 v[6:7], v[18:19], v[6:7]
	s_delay_alu instid0(VALU_DEP_1) | instskip(SKIP_1) | instid1(VALU_DEP_2)
	v_dual_cndmask_b32 v7, v7, v5 :: v_dual_cndmask_b32 v6, v6, v4
	v_cmp_ngt_f64_e32 vcc_lo, 0, v[4:5]
	v_cndmask_b32_e32 v7, 0x7ff80000, v7, vcc_lo
	v_cmp_nge_f64_e32 vcc_lo, 0, v[4:5]
	s_delay_alu instid0(VALU_DEP_4) | instskip(SKIP_1) | instid1(VALU_DEP_4)
	v_cndmask_b32_e32 v6, 0, v6, vcc_lo
	v_cmp_neq_f64_e32 vcc_lo, 0, v[4:5]
	v_cndmask_b32_e32 v7, 0xfff00000, v7, vcc_lo
	v_add_co_u32 v2, vcc_lo, v2, s0
	v_add_co_ci_u32_e32 v3, vcc_lo, s1, v3, vcc_lo
	s_delay_alu instid0(VALU_DEP_3)
	v_add_f64 v[0:1], v[0:1], -v[6:7]
	global_store_b64 v[2:3], v[0:1], off
.LBB10_10:
	s_nop 0
	s_sendmsg sendmsg(MSG_DEALLOC_VGPRS)
	s_endpgm
	.section	.rodata,"a",@progbits
	.p2align	6, 0x0
	.amdhsa_kernel _ZN12_GLOBAL__N_120softmax_warp_forwardIdddLi5ELb1ELb0ELi64EEEvPT0_PKT_iiiPKbib
		.amdhsa_group_segment_fixed_size 0
		.amdhsa_private_segment_fixed_size 0
		.amdhsa_kernarg_size 304
		.amdhsa_user_sgpr_count 15
		.amdhsa_user_sgpr_dispatch_ptr 0
		.amdhsa_user_sgpr_queue_ptr 0
		.amdhsa_user_sgpr_kernarg_segment_ptr 1
		.amdhsa_user_sgpr_dispatch_id 0
		.amdhsa_user_sgpr_private_segment_size 0
		.amdhsa_wavefront_size32 1
		.amdhsa_uses_dynamic_stack 0
		.amdhsa_enable_private_segment 0
		.amdhsa_system_sgpr_workgroup_id_x 1
		.amdhsa_system_sgpr_workgroup_id_y 0
		.amdhsa_system_sgpr_workgroup_id_z 0
		.amdhsa_system_sgpr_workgroup_info 0
		.amdhsa_system_vgpr_workitem_id 1
		.amdhsa_next_free_vgpr 31
		.amdhsa_next_free_sgpr 24
		.amdhsa_reserve_vcc 1
		.amdhsa_float_round_mode_32 0
		.amdhsa_float_round_mode_16_64 0
		.amdhsa_float_denorm_mode_32 3
		.amdhsa_float_denorm_mode_16_64 3
		.amdhsa_dx10_clamp 1
		.amdhsa_ieee_mode 1
		.amdhsa_fp16_overflow 0
		.amdhsa_workgroup_processor_mode 1
		.amdhsa_memory_ordered 1
		.amdhsa_forward_progress 0
		.amdhsa_shared_vgpr_count 0
		.amdhsa_exception_fp_ieee_invalid_op 0
		.amdhsa_exception_fp_denorm_src 0
		.amdhsa_exception_fp_ieee_div_zero 0
		.amdhsa_exception_fp_ieee_overflow 0
		.amdhsa_exception_fp_ieee_underflow 0
		.amdhsa_exception_fp_ieee_inexact 0
		.amdhsa_exception_int_div_zero 0
	.end_amdhsa_kernel
	.section	.text._ZN12_GLOBAL__N_120softmax_warp_forwardIdddLi5ELb1ELb0ELi64EEEvPT0_PKT_iiiPKbib,"axG",@progbits,_ZN12_GLOBAL__N_120softmax_warp_forwardIdddLi5ELb1ELb0ELi64EEEvPT0_PKT_iiiPKbib,comdat
.Lfunc_end10:
	.size	_ZN12_GLOBAL__N_120softmax_warp_forwardIdddLi5ELb1ELb0ELi64EEEvPT0_PKT_iiiPKbib, .Lfunc_end10-_ZN12_GLOBAL__N_120softmax_warp_forwardIdddLi5ELb1ELb0ELi64EEEvPT0_PKT_iiiPKbib
                                        ; -- End function
	.section	.AMDGPU.csdata,"",@progbits
; Kernel info:
; codeLenInByte = 3880
; NumSgprs: 26
; NumVgprs: 31
; ScratchSize: 0
; MemoryBound: 0
; FloatMode: 240
; IeeeMode: 1
; LDSByteSize: 0 bytes/workgroup (compile time only)
; SGPRBlocks: 3
; VGPRBlocks: 3
; NumSGPRsForWavesPerEU: 26
; NumVGPRsForWavesPerEU: 31
; Occupancy: 16
; WaveLimiterHint : 0
; COMPUTE_PGM_RSRC2:SCRATCH_EN: 0
; COMPUTE_PGM_RSRC2:USER_SGPR: 15
; COMPUTE_PGM_RSRC2:TRAP_HANDLER: 0
; COMPUTE_PGM_RSRC2:TGID_X_EN: 1
; COMPUTE_PGM_RSRC2:TGID_Y_EN: 0
; COMPUTE_PGM_RSRC2:TGID_Z_EN: 0
; COMPUTE_PGM_RSRC2:TIDIG_COMP_CNT: 1
	.section	.text._ZN12_GLOBAL__N_120softmax_warp_forwardIdddLi5ELb1ELb0ELi32EEEvPT0_PKT_iiiPKbib,"axG",@progbits,_ZN12_GLOBAL__N_120softmax_warp_forwardIdddLi5ELb1ELb0ELi32EEEvPT0_PKT_iiiPKbib,comdat
	.globl	_ZN12_GLOBAL__N_120softmax_warp_forwardIdddLi5ELb1ELb0ELi32EEEvPT0_PKT_iiiPKbib ; -- Begin function _ZN12_GLOBAL__N_120softmax_warp_forwardIdddLi5ELb1ELb0ELi32EEEvPT0_PKT_iiiPKbib
	.p2align	8
	.type	_ZN12_GLOBAL__N_120softmax_warp_forwardIdddLi5ELb1ELb0ELi32EEEvPT0_PKT_iiiPKbib,@function
_ZN12_GLOBAL__N_120softmax_warp_forwardIdddLi5ELb1ELb0ELi32EEEvPT0_PKT_iiiPKbib: ; @_ZN12_GLOBAL__N_120softmax_warp_forwardIdddLi5ELb1ELb0ELi32EEEvPT0_PKT_iiiPKbib
; %bb.0:
	s_clause 0x1
	s_load_b32 s2, s[0:1], 0x3c
	s_load_b256 s[16:23], s[0:1], 0x0
	v_bfe_u32 v1, v0, 10, 10
	v_and_b32_e32 v4, 0x3ff, v0
	s_waitcnt lgkmcnt(0)
	s_lshr_b32 s0, s2, 16
	s_delay_alu instid0(VALU_DEP_1) | instskip(SKIP_1) | instid1(SALU_CYCLE_1)
	v_cmp_gt_i32_e32 vcc_lo, s22, v4
	s_mul_i32 s15, s15, s0
	v_add_lshl_u32 v2, s15, v1, 1
	s_delay_alu instid0(VALU_DEP_1) | instskip(SKIP_1) | instid1(VALU_DEP_1)
	v_mad_u64_u32 v[0:1], null, v2, s21, v[4:5]
	v_sub_nc_u32_e32 v14, s20, v2
	v_cmp_lt_i32_e64 s0, 0, v14
	s_delay_alu instid0(VALU_DEP_3) | instskip(NEXT) | instid1(VALU_DEP_2)
	v_ashrrev_i32_e32 v1, 31, v0
	s_and_b32 s2, vcc_lo, s0
	s_delay_alu instid0(VALU_DEP_1) | instskip(SKIP_2) | instid1(VALU_DEP_3)
	v_lshlrev_b64 v[2:3], 3, v[0:1]
	v_mov_b32_e32 v0, 0
	v_mov_b32_e32 v1, 0xfff00000
	v_add_co_u32 v6, s1, s18, v2
	s_delay_alu instid0(VALU_DEP_1) | instskip(NEXT) | instid1(VALU_DEP_3)
	v_add_co_ci_u32_e64 v7, s1, s19, v3, s1
	v_dual_mov_b32 v5, v1 :: v_dual_mov_b32 v4, v0
	s_and_saveexec_b32 s1, s2
	s_cbranch_execz .LBB11_2
; %bb.1:
	global_load_b64 v[4:5], v[6:7], off
.LBB11_2:
	s_or_b32 exec_lo, exec_lo, s1
	v_cmp_lt_i32_e64 s1, 1, v14
	s_delay_alu instid0(VALU_DEP_1) | instskip(NEXT) | instid1(SALU_CYCLE_1)
	s_and_b32 s1, vcc_lo, s1
	s_and_saveexec_b32 s2, s1
	s_cbranch_execz .LBB11_4
; %bb.3:
	s_mov_b32 s23, 0
	s_delay_alu instid0(SALU_CYCLE_1) | instskip(NEXT) | instid1(SALU_CYCLE_1)
	s_lshl_b64 s[4:5], s[22:23], 3
	v_add_co_u32 v0, s1, v6, s4
	s_delay_alu instid0(VALU_DEP_1)
	v_add_co_ci_u32_e64 v1, s1, s5, v7, s1
	global_load_b64 v[0:1], v[0:1], off
.LBB11_4:
	s_or_b32 exec_lo, exec_lo, s2
	v_mbcnt_lo_u32_b32 v15, -1, 0
	s_mov_b32 s4, 0x6a5dcb37
	s_mov_b32 s5, 0x3e5ade15
	s_delay_alu instid0(VALU_DEP_1) | instskip(SKIP_2) | instid1(VALU_DEP_3)
	v_xor_b32_e32 v6, 16, v15
	v_xor_b32_e32 v10, 8, v15
	;; [unrolled: 1-line block ×3, first 2 shown]
	v_cmp_gt_i32_e64 s1, 32, v6
	s_delay_alu instid0(VALU_DEP_3) | instskip(NEXT) | instid1(VALU_DEP_2)
	v_cmp_gt_i32_e64 s3, 32, v10
	v_cndmask_b32_e64 v6, v15, v6, s1
	s_delay_alu instid0(VALU_DEP_2) | instskip(SKIP_1) | instid1(VALU_DEP_3)
	v_cndmask_b32_e64 v10, v15, v10, s3
	v_cmp_gt_i32_e64 s3, 32, v16
	v_lshlrev_b32_e32 v19, 2, v6
	s_delay_alu instid0(VALU_DEP_3) | instskip(NEXT) | instid1(VALU_DEP_3)
	v_lshlrev_b32_e32 v20, 2, v10
	v_cndmask_b32_e64 v16, v15, v16, s3
	s_waitcnt vmcnt(0)
	ds_bpermute_b32 v6, v19, v4
	ds_bpermute_b32 v7, v19, v5
	;; [unrolled: 1-line block ×4, first 2 shown]
	v_lshlrev_b32_e32 v21, 2, v16
	v_xor_b32_e32 v16, 2, v15
	s_delay_alu instid0(VALU_DEP_1) | instskip(NEXT) | instid1(VALU_DEP_1)
	v_cmp_gt_i32_e64 s3, 32, v16
	v_cndmask_b32_e64 v16, v15, v16, s3
	s_delay_alu instid0(VALU_DEP_1)
	v_lshlrev_b32_e32 v22, 2, v16
	s_waitcnt lgkmcnt(2)
	v_cmp_lt_f64_e64 s1, v[4:5], v[6:7]
	v_xor_b32_e32 v16, 1, v15
	s_waitcnt lgkmcnt(0)
	v_cmp_lt_f64_e64 s2, v[0:1], v[8:9]
	s_delay_alu instid0(VALU_DEP_2) | instskip(NEXT) | instid1(VALU_DEP_1)
	v_cmp_gt_i32_e64 s3, 32, v16
	v_cndmask_b32_e64 v15, v15, v16, s3
	s_delay_alu instid0(VALU_DEP_1)
	v_lshlrev_b32_e32 v23, 2, v15
	v_cndmask_b32_e64 v7, v5, v7, s1
	v_cndmask_b32_e64 v6, v4, v6, s1
	v_cndmask_b32_e64 v9, v1, v9, s2
	v_cndmask_b32_e64 v8, v0, v8, s2
	ds_bpermute_b32 v11, v20, v7
	ds_bpermute_b32 v10, v20, v6
	ds_bpermute_b32 v13, v20, v9
	ds_bpermute_b32 v12, v20, v8
	s_waitcnt lgkmcnt(2)
	v_cmp_lt_f64_e64 s1, v[6:7], v[10:11]
	s_waitcnt lgkmcnt(0)
	v_cmp_lt_f64_e64 s2, v[8:9], v[12:13]
	s_delay_alu instid0(VALU_DEP_2) | instskip(SKIP_1) | instid1(VALU_DEP_3)
	v_cndmask_b32_e64 v7, v7, v11, s1
	v_cndmask_b32_e64 v6, v6, v10, s1
	v_cndmask_b32_e64 v9, v9, v13, s2
	v_cndmask_b32_e64 v8, v8, v12, s2
	ds_bpermute_b32 v11, v21, v7
	ds_bpermute_b32 v10, v21, v6
	ds_bpermute_b32 v13, v21, v9
	ds_bpermute_b32 v12, v21, v8
	s_waitcnt lgkmcnt(2)
	v_cmp_lt_f64_e64 s1, v[6:7], v[10:11]
	s_waitcnt lgkmcnt(0)
	v_cmp_lt_f64_e64 s2, v[8:9], v[12:13]
	s_delay_alu instid0(VALU_DEP_2) | instskip(SKIP_1) | instid1(VALU_DEP_3)
	;; [unrolled: 13-line block ×4, first 2 shown]
	v_cndmask_b32_e64 v7, v7, v11, s1
	v_cndmask_b32_e64 v6, v6, v10, s1
	;; [unrolled: 1-line block ×4, first 2 shown]
	s_mov_b32 s2, 0x652b82fe
	s_mov_b32 s3, 0x3ff71547
	v_add_f64 v[4:5], v[4:5], -v[6:7]
	s_delay_alu instid0(VALU_DEP_2) | instskip(NEXT) | instid1(VALU_DEP_2)
	v_add_f64 v[0:1], v[0:1], -v[8:9]
	v_mul_f64 v[6:7], v[4:5], s[2:3]
	v_cmp_nlt_f64_e64 s1, 0x40900000, v[4:5]
	s_delay_alu instid0(VALU_DEP_3) | instskip(SKIP_2) | instid1(VALU_DEP_3)
	v_mul_f64 v[8:9], v[0:1], s[2:3]
	s_mov_b32 s2, 0xfefa39ef
	s_mov_b32 s3, 0xbfe62e42
	v_rndne_f64_e32 v[6:7], v[6:7]
	s_delay_alu instid0(VALU_DEP_2) | instskip(NEXT) | instid1(VALU_DEP_2)
	v_rndne_f64_e32 v[8:9], v[8:9]
	v_fma_f64 v[10:11], v[6:7], s[2:3], v[4:5]
	v_cvt_i32_f64_e32 v24, v[6:7]
	s_delay_alu instid0(VALU_DEP_3)
	v_fma_f64 v[12:13], v[8:9], s[2:3], v[0:1]
	s_mov_b32 s2, 0x3b39803f
	s_mov_b32 s3, 0xbc7abc9e
	s_delay_alu instid0(VALU_DEP_3) | instid1(SALU_CYCLE_1)
	v_fma_f64 v[10:11], v[6:7], s[2:3], v[10:11]
	s_delay_alu instid0(VALU_DEP_2)
	v_fma_f64 v[12:13], v[8:9], s[2:3], v[12:13]
	s_mov_b32 s2, 0xfca7ab0c
	s_mov_b32 s3, 0x3e928af3
	s_delay_alu instid0(VALU_DEP_2) | instid1(SALU_CYCLE_1)
	v_fma_f64 v[15:16], v[10:11], s[4:5], s[2:3]
	s_delay_alu instid0(VALU_DEP_2) | instskip(SKIP_3) | instid1(VALU_DEP_3)
	v_fma_f64 v[17:18], v[12:13], s[4:5], s[2:3]
	s_mov_b32 s2, 0x623fde64
	s_mov_b32 s3, 0x3ec71dee
	v_cmp_ngt_f64_e64 s4, 0xc090cc00, v[0:1]
	v_fma_f64 v[15:16], v[10:11], v[15:16], s[2:3]
	s_delay_alu instid0(VALU_DEP_3)
	v_fma_f64 v[17:18], v[12:13], v[17:18], s[2:3]
	s_mov_b32 s2, 0x7c89e6b0
	s_mov_b32 s3, 0x3efa0199
	s_delay_alu instid0(VALU_DEP_2) | instid1(SALU_CYCLE_1)
	v_fma_f64 v[15:16], v[10:11], v[15:16], s[2:3]
	s_delay_alu instid0(VALU_DEP_2)
	v_fma_f64 v[17:18], v[12:13], v[17:18], s[2:3]
	s_mov_b32 s2, 0x14761f6e
	s_mov_b32 s3, 0x3f2a01a0
	s_delay_alu instid0(VALU_DEP_2) | instid1(SALU_CYCLE_1)
	v_fma_f64 v[15:16], v[10:11], v[15:16], s[2:3]
	s_delay_alu instid0(VALU_DEP_2)
	;; [unrolled: 6-line block ×6, first 2 shown]
	v_fma_f64 v[17:18], v[12:13], v[17:18], s[2:3]
	s_mov_b32 s2, 11
	s_mov_b32 s3, 0x3fe00000
	s_delay_alu instid0(VALU_DEP_2) | instid1(SALU_CYCLE_1)
	v_fma_f64 v[15:16], v[10:11], v[15:16], s[2:3]
	s_delay_alu instid0(VALU_DEP_2) | instskip(SKIP_2) | instid1(VALU_DEP_4)
	v_fma_f64 v[17:18], v[12:13], v[17:18], s[2:3]
	v_cmp_nlt_f64_e64 s3, 0x40900000, v[0:1]
	v_cmp_ngt_f64_e64 s2, 0xc090cc00, v[4:5]
	v_fma_f64 v[15:16], v[10:11], v[15:16], 1.0
	s_delay_alu instid0(VALU_DEP_4) | instskip(NEXT) | instid1(VALU_DEP_2)
	v_fma_f64 v[17:18], v[12:13], v[17:18], 1.0
	v_fma_f64 v[6:7], v[10:11], v[15:16], 1.0
	v_cvt_i32_f64_e32 v10, v[8:9]
	s_delay_alu instid0(VALU_DEP_3) | instskip(NEXT) | instid1(VALU_DEP_3)
	v_fma_f64 v[8:9], v[12:13], v[17:18], 1.0
	v_ldexp_f64 v[6:7], v[6:7], v24
	s_delay_alu instid0(VALU_DEP_2) | instskip(NEXT) | instid1(VALU_DEP_2)
	v_ldexp_f64 v[8:9], v[8:9], v10
	v_add_f64 v[6:7], v[6:7], 0
	s_delay_alu instid0(VALU_DEP_2) | instskip(NEXT) | instid1(VALU_DEP_2)
	v_add_f64 v[8:9], v[8:9], 0
	v_cndmask_b32_e64 v7, 0x7ff00000, v7, s1
	s_and_b32 s1, s2, s1
	s_delay_alu instid0(VALU_DEP_2) | instskip(NEXT) | instid1(VALU_DEP_4)
	v_cndmask_b32_e64 v9, 0x7ff00000, v9, s3
	v_cndmask_b32_e64 v6, 0, v6, s1
	s_and_b32 s1, s4, s3
	v_cndmask_b32_e64 v7, 0, v7, s2
	v_cndmask_b32_e64 v8, 0, v8, s1
	;; [unrolled: 1-line block ×3, first 2 shown]
	ds_bpermute_b32 v10, v19, v6
	ds_bpermute_b32 v11, v19, v7
	ds_bpermute_b32 v12, v19, v8
	ds_bpermute_b32 v13, v19, v9
	s_waitcnt lgkmcnt(2)
	v_add_f64 v[6:7], v[6:7], v[10:11]
	s_waitcnt lgkmcnt(0)
	v_add_f64 v[8:9], v[8:9], v[12:13]
	ds_bpermute_b32 v10, v20, v6
	ds_bpermute_b32 v11, v20, v7
	ds_bpermute_b32 v12, v20, v8
	ds_bpermute_b32 v13, v20, v9
	s_waitcnt lgkmcnt(2)
	v_add_f64 v[6:7], v[6:7], v[10:11]
	s_waitcnt lgkmcnt(0)
	v_add_f64 v[8:9], v[8:9], v[12:13]
	;; [unrolled: 8-line block ×4, first 2 shown]
	ds_bpermute_b32 v12, v23, v10
	ds_bpermute_b32 v13, v23, v11
	;; [unrolled: 1-line block ×4, first 2 shown]
	s_and_saveexec_b32 s1, s0
	s_cbranch_execz .LBB11_10
; %bb.5:
	v_add_co_u32 v2, s0, s16, v2
	s_delay_alu instid0(VALU_DEP_1)
	v_add_co_ci_u32_e64 v3, s0, s17, v3, s0
	s_and_saveexec_b32 s2, vcc_lo
	s_cbranch_execz .LBB11_7
; %bb.6:
	s_waitcnt lgkmcnt(2)
	v_add_f64 v[10:11], v[10:11], v[12:13]
	s_mov_b32 s5, 0x3fe55555
	s_mov_b32 s4, 0x55555555
	v_mov_b32_e32 v15, 0
	s_mov_b32 s6, 0xbf559e2b
	s_mov_b32 s7, 0x3fc3ab76
	s_delay_alu instid0(VALU_DEP_2) | instskip(SKIP_1) | instid1(VALU_DEP_2)
	v_frexp_mant_f64_e32 v[12:13], v[10:11]
	v_frexp_exp_i32_f64_e32 v16, v[10:11]
	v_cmp_gt_f64_e64 s0, s[4:5], v[12:13]
	s_mov_b32 s4, 0x55555780
	s_delay_alu instid0(VALU_DEP_1) | instskip(SKIP_3) | instid1(VALU_DEP_1)
	v_subrev_co_ci_u32_e64 v27, s1, 0, v16, s0
	v_cndmask_b32_e64 v16, 0x3ff00000, 2.0, s0
	s_mov_b32 s0, 0x6b47b09a
	s_mov_b32 s1, 0x3fc38538
	v_mul_f64 v[12:13], v[12:13], v[15:16]
	s_delay_alu instid0(VALU_DEP_1) | instskip(SKIP_1) | instid1(VALU_DEP_2)
	v_add_f64 v[15:16], v[12:13], 1.0
	v_add_f64 v[21:22], v[12:13], -1.0
	v_rcp_f64_e32 v[17:18], v[15:16]
	v_add_f64 v[23:24], v[15:16], -1.0
	s_delay_alu instid0(VALU_DEP_1) | instskip(SKIP_2) | instid1(VALU_DEP_1)
	v_add_f64 v[12:13], v[12:13], -v[23:24]
	s_waitcnt_depctr 0xfff
	v_fma_f64 v[19:20], -v[15:16], v[17:18], 1.0
	v_fma_f64 v[17:18], v[19:20], v[17:18], v[17:18]
	s_delay_alu instid0(VALU_DEP_1) | instskip(NEXT) | instid1(VALU_DEP_1)
	v_fma_f64 v[19:20], -v[15:16], v[17:18], 1.0
	v_fma_f64 v[17:18], v[19:20], v[17:18], v[17:18]
	s_delay_alu instid0(VALU_DEP_1) | instskip(NEXT) | instid1(VALU_DEP_1)
	v_mul_f64 v[19:20], v[21:22], v[17:18]
	v_mul_f64 v[25:26], v[15:16], v[19:20]
	s_delay_alu instid0(VALU_DEP_1) | instskip(NEXT) | instid1(VALU_DEP_1)
	v_fma_f64 v[15:16], v[19:20], v[15:16], -v[25:26]
	v_fma_f64 v[12:13], v[19:20], v[12:13], v[15:16]
	s_delay_alu instid0(VALU_DEP_1) | instskip(NEXT) | instid1(VALU_DEP_1)
	v_add_f64 v[15:16], v[25:26], v[12:13]
	v_add_f64 v[23:24], v[21:22], -v[15:16]
	v_add_f64 v[25:26], v[15:16], -v[25:26]
	s_delay_alu instid0(VALU_DEP_2) | instskip(NEXT) | instid1(VALU_DEP_2)
	v_add_f64 v[21:22], v[21:22], -v[23:24]
	v_add_f64 v[12:13], v[25:26], -v[12:13]
	s_delay_alu instid0(VALU_DEP_2) | instskip(NEXT) | instid1(VALU_DEP_1)
	v_add_f64 v[15:16], v[21:22], -v[15:16]
	v_add_f64 v[12:13], v[12:13], v[15:16]
	s_delay_alu instid0(VALU_DEP_1) | instskip(NEXT) | instid1(VALU_DEP_1)
	v_add_f64 v[12:13], v[23:24], v[12:13]
	v_mul_f64 v[12:13], v[17:18], v[12:13]
	s_delay_alu instid0(VALU_DEP_1) | instskip(NEXT) | instid1(VALU_DEP_1)
	v_add_f64 v[15:16], v[19:20], v[12:13]
	v_mul_f64 v[17:18], v[15:16], v[15:16]
	s_delay_alu instid0(VALU_DEP_1) | instskip(SKIP_3) | instid1(VALU_DEP_2)
	v_fma_f64 v[21:22], v[17:18], s[6:7], s[0:1]
	s_mov_b32 s0, 0xd7f4df2e
	s_mov_b32 s1, 0x3fc7474d
	v_mul_f64 v[23:24], v[15:16], v[17:18]
	v_fma_f64 v[21:22], v[17:18], v[21:22], s[0:1]
	s_mov_b32 s0, 0x16291751
	s_mov_b32 s1, 0x3fcc71c0
	s_delay_alu instid0(VALU_DEP_1) | instid1(SALU_CYCLE_1)
	v_fma_f64 v[21:22], v[17:18], v[21:22], s[0:1]
	s_mov_b32 s0, 0x9b27acf1
	s_mov_b32 s1, 0x3fd24924
	s_delay_alu instid0(VALU_DEP_1) | instid1(SALU_CYCLE_1)
	;; [unrolled: 4-line block ×3, first 2 shown]
	v_fma_f64 v[21:22], v[17:18], v[21:22], s[0:1]
	s_mov_b32 s0, 0xfefa39ef
	s_mov_b32 s1, 0x3fe62e42
	s_delay_alu instid0(VALU_DEP_1) | instskip(SKIP_2) | instid1(VALU_DEP_3)
	v_fma_f64 v[17:18], v[17:18], v[21:22], s[4:5]
	v_ldexp_f64 v[21:22], v[15:16], 1
	v_add_f64 v[15:16], v[15:16], -v[19:20]
	v_mul_f64 v[17:18], v[23:24], v[17:18]
	v_cvt_f64_i32_e32 v[23:24], v27
	s_delay_alu instid0(VALU_DEP_3) | instskip(NEXT) | instid1(VALU_DEP_3)
	v_add_f64 v[12:13], v[12:13], -v[15:16]
	v_add_f64 v[19:20], v[21:22], v[17:18]
	s_delay_alu instid0(VALU_DEP_3) | instskip(NEXT) | instid1(VALU_DEP_3)
	v_mul_f64 v[25:26], v[23:24], s[0:1]
	v_ldexp_f64 v[12:13], v[12:13], 1
	s_delay_alu instid0(VALU_DEP_3) | instskip(NEXT) | instid1(VALU_DEP_3)
	v_add_f64 v[15:16], v[19:20], -v[21:22]
	v_fma_f64 v[21:22], v[23:24], s[0:1], -v[25:26]
	s_mov_b32 s0, 0x3b39803f
	s_mov_b32 s1, 0x3c7abc9e
	s_delay_alu instid0(VALU_DEP_2) | instskip(NEXT) | instid1(VALU_DEP_2)
	v_add_f64 v[15:16], v[17:18], -v[15:16]
	v_fma_f64 v[17:18], v[23:24], s[0:1], v[21:22]
	v_cmp_class_f64_e64 s0, v[10:11], 0x204
	s_delay_alu instid0(VALU_DEP_3) | instskip(NEXT) | instid1(VALU_DEP_3)
	v_add_f64 v[12:13], v[12:13], v[15:16]
	v_add_f64 v[15:16], v[25:26], v[17:18]
	s_delay_alu instid0(VALU_DEP_2) | instskip(NEXT) | instid1(VALU_DEP_2)
	v_add_f64 v[21:22], v[19:20], v[12:13]
	v_add_f64 v[25:26], v[15:16], -v[25:26]
	s_delay_alu instid0(VALU_DEP_2) | instskip(SKIP_1) | instid1(VALU_DEP_3)
	v_add_f64 v[23:24], v[15:16], v[21:22]
	v_add_f64 v[19:20], v[21:22], -v[19:20]
	v_add_f64 v[17:18], v[17:18], -v[25:26]
	s_delay_alu instid0(VALU_DEP_3) | instskip(NEXT) | instid1(VALU_DEP_3)
	v_add_f64 v[27:28], v[23:24], -v[15:16]
	v_add_f64 v[12:13], v[12:13], -v[19:20]
	s_delay_alu instid0(VALU_DEP_2) | instskip(SKIP_1) | instid1(VALU_DEP_3)
	v_add_f64 v[29:30], v[23:24], -v[27:28]
	v_add_f64 v[19:20], v[21:22], -v[27:28]
	v_add_f64 v[21:22], v[17:18], v[12:13]
	s_delay_alu instid0(VALU_DEP_3) | instskip(NEXT) | instid1(VALU_DEP_1)
	v_add_f64 v[15:16], v[15:16], -v[29:30]
	v_add_f64 v[15:16], v[19:20], v[15:16]
	s_delay_alu instid0(VALU_DEP_3) | instskip(NEXT) | instid1(VALU_DEP_2)
	v_add_f64 v[19:20], v[21:22], -v[17:18]
	v_add_f64 v[15:16], v[21:22], v[15:16]
	s_delay_alu instid0(VALU_DEP_2) | instskip(SKIP_1) | instid1(VALU_DEP_3)
	v_add_f64 v[21:22], v[21:22], -v[19:20]
	v_add_f64 v[12:13], v[12:13], -v[19:20]
	v_add_f64 v[25:26], v[23:24], v[15:16]
	s_delay_alu instid0(VALU_DEP_3) | instskip(NEXT) | instid1(VALU_DEP_2)
	v_add_f64 v[17:18], v[17:18], -v[21:22]
	v_add_f64 v[19:20], v[25:26], -v[23:24]
	s_delay_alu instid0(VALU_DEP_2) | instskip(NEXT) | instid1(VALU_DEP_2)
	v_add_f64 v[12:13], v[12:13], v[17:18]
	v_add_f64 v[15:16], v[15:16], -v[19:20]
	s_delay_alu instid0(VALU_DEP_1) | instskip(NEXT) | instid1(VALU_DEP_1)
	v_add_f64 v[12:13], v[12:13], v[15:16]
	v_add_f64 v[12:13], v[25:26], v[12:13]
	s_delay_alu instid0(VALU_DEP_1) | instskip(NEXT) | instid1(VALU_DEP_2)
	v_cndmask_b32_e64 v12, v12, v10, s0
	v_cndmask_b32_e64 v13, v13, v11, s0
	v_cmp_ngt_f64_e64 s0, 0, v[10:11]
	s_delay_alu instid0(VALU_DEP_1) | instskip(SKIP_1) | instid1(VALU_DEP_1)
	v_cndmask_b32_e64 v13, 0x7ff80000, v13, s0
	v_cmp_nge_f64_e64 s0, 0, v[10:11]
	v_cndmask_b32_e64 v12, 0, v12, s0
	v_cmp_neq_f64_e64 s0, 0, v[10:11]
	s_delay_alu instid0(VALU_DEP_1) | instskip(NEXT) | instid1(VALU_DEP_1)
	v_cndmask_b32_e64 v13, 0xfff00000, v13, s0
	v_add_f64 v[4:5], v[4:5], -v[12:13]
	global_store_b64 v[2:3], v[4:5], off
.LBB11_7:
	s_or_b32 exec_lo, exec_lo, s2
	v_cmp_ne_u32_e64 s0, 1, v14
	s_delay_alu instid0(VALU_DEP_1)
	s_and_b32 exec_lo, exec_lo, s0
	s_cbranch_execz .LBB11_10
; %bb.8:
	s_and_b32 exec_lo, exec_lo, vcc_lo
	s_cbranch_execz .LBB11_10
; %bb.9:
	s_waitcnt lgkmcnt(0)
	v_add_f64 v[4:5], v[6:7], v[8:9]
	s_mov_b32 s1, 0x3fe55555
	s_mov_b32 s0, 0x55555555
	;; [unrolled: 1-line block ×7, first 2 shown]
	s_delay_alu instid0(VALU_DEP_1) | instskip(SKIP_1) | instid1(VALU_DEP_2)
	v_frexp_mant_f64_e32 v[6:7], v[4:5]
	v_frexp_exp_i32_f64_e32 v9, v[4:5]
	v_cmp_gt_f64_e32 vcc_lo, s[0:1], v[6:7]
	s_delay_alu instid0(VALU_DEP_2) | instskip(SKIP_4) | instid1(VALU_DEP_1)
	v_subrev_co_ci_u32_e64 v20, s0, 0, v9, vcc_lo
	v_cndmask_b32_e64 v9, 0x3ff00000, 2.0, vcc_lo
	v_cmp_class_f64_e64 vcc_lo, v[4:5], 0x204
	v_mov_b32_e32 v8, 0
	s_mov_b32 s0, 0x55555780
	v_mul_f64 v[6:7], v[6:7], v[8:9]
	s_delay_alu instid0(VALU_DEP_1) | instskip(SKIP_1) | instid1(VALU_DEP_2)
	v_add_f64 v[8:9], v[6:7], 1.0
	v_add_f64 v[14:15], v[6:7], -1.0
	v_rcp_f64_e32 v[10:11], v[8:9]
	v_add_f64 v[16:17], v[8:9], -1.0
	s_delay_alu instid0(VALU_DEP_1) | instskip(SKIP_2) | instid1(VALU_DEP_1)
	v_add_f64 v[6:7], v[6:7], -v[16:17]
	s_waitcnt_depctr 0xfff
	v_fma_f64 v[12:13], -v[8:9], v[10:11], 1.0
	v_fma_f64 v[10:11], v[12:13], v[10:11], v[10:11]
	s_delay_alu instid0(VALU_DEP_1) | instskip(NEXT) | instid1(VALU_DEP_1)
	v_fma_f64 v[12:13], -v[8:9], v[10:11], 1.0
	v_fma_f64 v[10:11], v[12:13], v[10:11], v[10:11]
	s_delay_alu instid0(VALU_DEP_1) | instskip(NEXT) | instid1(VALU_DEP_1)
	v_mul_f64 v[12:13], v[14:15], v[10:11]
	v_mul_f64 v[18:19], v[8:9], v[12:13]
	s_delay_alu instid0(VALU_DEP_1) | instskip(NEXT) | instid1(VALU_DEP_1)
	v_fma_f64 v[8:9], v[12:13], v[8:9], -v[18:19]
	v_fma_f64 v[6:7], v[12:13], v[6:7], v[8:9]
	s_delay_alu instid0(VALU_DEP_1) | instskip(NEXT) | instid1(VALU_DEP_1)
	v_add_f64 v[8:9], v[18:19], v[6:7]
	v_add_f64 v[16:17], v[14:15], -v[8:9]
	v_add_f64 v[18:19], v[8:9], -v[18:19]
	s_delay_alu instid0(VALU_DEP_2) | instskip(NEXT) | instid1(VALU_DEP_2)
	v_add_f64 v[14:15], v[14:15], -v[16:17]
	v_add_f64 v[6:7], v[18:19], -v[6:7]
	s_delay_alu instid0(VALU_DEP_2) | instskip(NEXT) | instid1(VALU_DEP_1)
	v_add_f64 v[8:9], v[14:15], -v[8:9]
	v_add_f64 v[6:7], v[6:7], v[8:9]
	s_delay_alu instid0(VALU_DEP_1) | instskip(NEXT) | instid1(VALU_DEP_1)
	v_add_f64 v[6:7], v[16:17], v[6:7]
	v_mul_f64 v[6:7], v[10:11], v[6:7]
	s_delay_alu instid0(VALU_DEP_1) | instskip(NEXT) | instid1(VALU_DEP_1)
	v_add_f64 v[8:9], v[12:13], v[6:7]
	v_mul_f64 v[10:11], v[8:9], v[8:9]
	s_delay_alu instid0(VALU_DEP_1) | instskip(SKIP_3) | instid1(VALU_DEP_2)
	v_fma_f64 v[14:15], v[10:11], s[4:5], s[2:3]
	s_mov_b32 s2, 0xd7f4df2e
	s_mov_b32 s3, 0x3fc7474d
	v_mul_f64 v[16:17], v[8:9], v[10:11]
	v_fma_f64 v[14:15], v[10:11], v[14:15], s[2:3]
	s_mov_b32 s2, 0x16291751
	s_mov_b32 s3, 0x3fcc71c0
	s_delay_alu instid0(VALU_DEP_1) | instid1(SALU_CYCLE_1)
	v_fma_f64 v[14:15], v[10:11], v[14:15], s[2:3]
	s_mov_b32 s2, 0x9b27acf1
	s_mov_b32 s3, 0x3fd24924
	s_delay_alu instid0(VALU_DEP_1) | instid1(SALU_CYCLE_1)
	;; [unrolled: 4-line block ×3, first 2 shown]
	v_fma_f64 v[14:15], v[10:11], v[14:15], s[2:3]
	s_delay_alu instid0(VALU_DEP_1) | instskip(SKIP_4) | instid1(VALU_DEP_3)
	v_fma_f64 v[10:11], v[10:11], v[14:15], s[0:1]
	v_ldexp_f64 v[14:15], v[8:9], 1
	v_add_f64 v[8:9], v[8:9], -v[12:13]
	s_mov_b32 s0, 0xfefa39ef
	s_mov_b32 s1, 0x3fe62e42
	v_mul_f64 v[10:11], v[16:17], v[10:11]
	v_cvt_f64_i32_e32 v[16:17], v20
	s_delay_alu instid0(VALU_DEP_3) | instskip(NEXT) | instid1(VALU_DEP_3)
	v_add_f64 v[6:7], v[6:7], -v[8:9]
	v_add_f64 v[12:13], v[14:15], v[10:11]
	s_delay_alu instid0(VALU_DEP_3) | instskip(NEXT) | instid1(VALU_DEP_3)
	v_mul_f64 v[18:19], v[16:17], s[0:1]
	v_ldexp_f64 v[6:7], v[6:7], 1
	s_delay_alu instid0(VALU_DEP_3) | instskip(NEXT) | instid1(VALU_DEP_3)
	v_add_f64 v[8:9], v[12:13], -v[14:15]
	v_fma_f64 v[14:15], v[16:17], s[0:1], -v[18:19]
	s_mov_b32 s0, 0x3b39803f
	s_mov_b32 s1, 0x3c7abc9e
	s_delay_alu instid0(VALU_DEP_2) | instskip(NEXT) | instid1(VALU_DEP_2)
	v_add_f64 v[8:9], v[10:11], -v[8:9]
	v_fma_f64 v[10:11], v[16:17], s[0:1], v[14:15]
	s_lshl_b64 s[0:1], s[22:23], 3
	s_delay_alu instid0(VALU_DEP_2) | instskip(NEXT) | instid1(VALU_DEP_2)
	v_add_f64 v[6:7], v[6:7], v[8:9]
	v_add_f64 v[8:9], v[18:19], v[10:11]
	s_delay_alu instid0(VALU_DEP_2) | instskip(NEXT) | instid1(VALU_DEP_2)
	v_add_f64 v[14:15], v[12:13], v[6:7]
	v_add_f64 v[18:19], v[8:9], -v[18:19]
	s_delay_alu instid0(VALU_DEP_2) | instskip(SKIP_1) | instid1(VALU_DEP_3)
	v_add_f64 v[16:17], v[8:9], v[14:15]
	v_add_f64 v[12:13], v[14:15], -v[12:13]
	v_add_f64 v[10:11], v[10:11], -v[18:19]
	s_delay_alu instid0(VALU_DEP_3) | instskip(NEXT) | instid1(VALU_DEP_3)
	v_add_f64 v[20:21], v[16:17], -v[8:9]
	v_add_f64 v[6:7], v[6:7], -v[12:13]
	s_delay_alu instid0(VALU_DEP_2) | instskip(SKIP_1) | instid1(VALU_DEP_3)
	v_add_f64 v[22:23], v[16:17], -v[20:21]
	v_add_f64 v[12:13], v[14:15], -v[20:21]
	v_add_f64 v[14:15], v[10:11], v[6:7]
	s_delay_alu instid0(VALU_DEP_3) | instskip(NEXT) | instid1(VALU_DEP_1)
	v_add_f64 v[8:9], v[8:9], -v[22:23]
	v_add_f64 v[8:9], v[12:13], v[8:9]
	s_delay_alu instid0(VALU_DEP_3) | instskip(NEXT) | instid1(VALU_DEP_2)
	v_add_f64 v[12:13], v[14:15], -v[10:11]
	v_add_f64 v[8:9], v[14:15], v[8:9]
	s_delay_alu instid0(VALU_DEP_2) | instskip(SKIP_1) | instid1(VALU_DEP_3)
	v_add_f64 v[14:15], v[14:15], -v[12:13]
	v_add_f64 v[6:7], v[6:7], -v[12:13]
	v_add_f64 v[18:19], v[16:17], v[8:9]
	s_delay_alu instid0(VALU_DEP_3) | instskip(NEXT) | instid1(VALU_DEP_2)
	v_add_f64 v[10:11], v[10:11], -v[14:15]
	v_add_f64 v[12:13], v[18:19], -v[16:17]
	s_delay_alu instid0(VALU_DEP_2) | instskip(NEXT) | instid1(VALU_DEP_2)
	v_add_f64 v[6:7], v[6:7], v[10:11]
	v_add_f64 v[8:9], v[8:9], -v[12:13]
	s_delay_alu instid0(VALU_DEP_1) | instskip(NEXT) | instid1(VALU_DEP_1)
	v_add_f64 v[6:7], v[6:7], v[8:9]
	v_add_f64 v[6:7], v[18:19], v[6:7]
	s_delay_alu instid0(VALU_DEP_1) | instskip(SKIP_1) | instid1(VALU_DEP_2)
	v_dual_cndmask_b32 v7, v7, v5 :: v_dual_cndmask_b32 v6, v6, v4
	v_cmp_ngt_f64_e32 vcc_lo, 0, v[4:5]
	v_cndmask_b32_e32 v7, 0x7ff80000, v7, vcc_lo
	v_cmp_nge_f64_e32 vcc_lo, 0, v[4:5]
	s_delay_alu instid0(VALU_DEP_4) | instskip(SKIP_1) | instid1(VALU_DEP_4)
	v_cndmask_b32_e32 v6, 0, v6, vcc_lo
	v_cmp_neq_f64_e32 vcc_lo, 0, v[4:5]
	v_cndmask_b32_e32 v7, 0xfff00000, v7, vcc_lo
	v_add_co_u32 v2, vcc_lo, v2, s0
	v_add_co_ci_u32_e32 v3, vcc_lo, s1, v3, vcc_lo
	s_delay_alu instid0(VALU_DEP_3)
	v_add_f64 v[0:1], v[0:1], -v[6:7]
	global_store_b64 v[2:3], v[0:1], off
.LBB11_10:
	s_nop 0
	s_sendmsg sendmsg(MSG_DEALLOC_VGPRS)
	s_endpgm
	.section	.rodata,"a",@progbits
	.p2align	6, 0x0
	.amdhsa_kernel _ZN12_GLOBAL__N_120softmax_warp_forwardIdddLi5ELb1ELb0ELi32EEEvPT0_PKT_iiiPKbib
		.amdhsa_group_segment_fixed_size 0
		.amdhsa_private_segment_fixed_size 0
		.amdhsa_kernarg_size 304
		.amdhsa_user_sgpr_count 15
		.amdhsa_user_sgpr_dispatch_ptr 0
		.amdhsa_user_sgpr_queue_ptr 0
		.amdhsa_user_sgpr_kernarg_segment_ptr 1
		.amdhsa_user_sgpr_dispatch_id 0
		.amdhsa_user_sgpr_private_segment_size 0
		.amdhsa_wavefront_size32 1
		.amdhsa_uses_dynamic_stack 0
		.amdhsa_enable_private_segment 0
		.amdhsa_system_sgpr_workgroup_id_x 1
		.amdhsa_system_sgpr_workgroup_id_y 0
		.amdhsa_system_sgpr_workgroup_id_z 0
		.amdhsa_system_sgpr_workgroup_info 0
		.amdhsa_system_vgpr_workitem_id 1
		.amdhsa_next_free_vgpr 31
		.amdhsa_next_free_sgpr 24
		.amdhsa_reserve_vcc 1
		.amdhsa_float_round_mode_32 0
		.amdhsa_float_round_mode_16_64 0
		.amdhsa_float_denorm_mode_32 3
		.amdhsa_float_denorm_mode_16_64 3
		.amdhsa_dx10_clamp 1
		.amdhsa_ieee_mode 1
		.amdhsa_fp16_overflow 0
		.amdhsa_workgroup_processor_mode 1
		.amdhsa_memory_ordered 1
		.amdhsa_forward_progress 0
		.amdhsa_shared_vgpr_count 0
		.amdhsa_exception_fp_ieee_invalid_op 0
		.amdhsa_exception_fp_denorm_src 0
		.amdhsa_exception_fp_ieee_div_zero 0
		.amdhsa_exception_fp_ieee_overflow 0
		.amdhsa_exception_fp_ieee_underflow 0
		.amdhsa_exception_fp_ieee_inexact 0
		.amdhsa_exception_int_div_zero 0
	.end_amdhsa_kernel
	.section	.text._ZN12_GLOBAL__N_120softmax_warp_forwardIdddLi5ELb1ELb0ELi32EEEvPT0_PKT_iiiPKbib,"axG",@progbits,_ZN12_GLOBAL__N_120softmax_warp_forwardIdddLi5ELb1ELb0ELi32EEEvPT0_PKT_iiiPKbib,comdat
.Lfunc_end11:
	.size	_ZN12_GLOBAL__N_120softmax_warp_forwardIdddLi5ELb1ELb0ELi32EEEvPT0_PKT_iiiPKbib, .Lfunc_end11-_ZN12_GLOBAL__N_120softmax_warp_forwardIdddLi5ELb1ELb0ELi32EEEvPT0_PKT_iiiPKbib
                                        ; -- End function
	.section	.AMDGPU.csdata,"",@progbits
; Kernel info:
; codeLenInByte = 3880
; NumSgprs: 26
; NumVgprs: 31
; ScratchSize: 0
; MemoryBound: 0
; FloatMode: 240
; IeeeMode: 1
; LDSByteSize: 0 bytes/workgroup (compile time only)
; SGPRBlocks: 3
; VGPRBlocks: 3
; NumSGPRsForWavesPerEU: 26
; NumVGPRsForWavesPerEU: 31
; Occupancy: 16
; WaveLimiterHint : 0
; COMPUTE_PGM_RSRC2:SCRATCH_EN: 0
; COMPUTE_PGM_RSRC2:USER_SGPR: 15
; COMPUTE_PGM_RSRC2:TRAP_HANDLER: 0
; COMPUTE_PGM_RSRC2:TGID_X_EN: 1
; COMPUTE_PGM_RSRC2:TGID_Y_EN: 0
; COMPUTE_PGM_RSRC2:TGID_Z_EN: 0
; COMPUTE_PGM_RSRC2:TIDIG_COMP_CNT: 1
	.section	.text._ZN12_GLOBAL__N_120softmax_warp_forwardIdddLi6ELb1ELb0ELi64EEEvPT0_PKT_iiiPKbib,"axG",@progbits,_ZN12_GLOBAL__N_120softmax_warp_forwardIdddLi6ELb1ELb0ELi64EEEvPT0_PKT_iiiPKbib,comdat
	.globl	_ZN12_GLOBAL__N_120softmax_warp_forwardIdddLi6ELb1ELb0ELi64EEEvPT0_PKT_iiiPKbib ; -- Begin function _ZN12_GLOBAL__N_120softmax_warp_forwardIdddLi6ELb1ELb0ELi64EEEvPT0_PKT_iiiPKbib
	.p2align	8
	.type	_ZN12_GLOBAL__N_120softmax_warp_forwardIdddLi6ELb1ELb0ELi64EEEvPT0_PKT_iiiPKbib,@function
_ZN12_GLOBAL__N_120softmax_warp_forwardIdddLi6ELb1ELb0ELi64EEEvPT0_PKT_iiiPKbib: ; @_ZN12_GLOBAL__N_120softmax_warp_forwardIdddLi6ELb1ELb0ELi64EEEvPT0_PKT_iiiPKbib
; %bb.0:
	s_clause 0x1
	s_load_b32 s2, s[0:1], 0x3c
	s_load_b256 s[16:23], s[0:1], 0x0
	v_bfe_u32 v1, v0, 10, 10
	v_and_b32_e32 v4, 0x3ff, v0
	s_waitcnt lgkmcnt(0)
	s_lshr_b32 s0, s2, 16
	s_delay_alu instid0(VALU_DEP_1) | instskip(SKIP_1) | instid1(SALU_CYCLE_1)
	v_cmp_gt_i32_e32 vcc_lo, s22, v4
	s_mul_i32 s15, s15, s0
	v_add_lshl_u32 v2, s15, v1, 1
	s_delay_alu instid0(VALU_DEP_1) | instskip(SKIP_1) | instid1(VALU_DEP_1)
	v_mad_u64_u32 v[0:1], null, v2, s21, v[4:5]
	v_sub_nc_u32_e32 v14, s20, v2
	v_cmp_lt_i32_e64 s0, 0, v14
	s_delay_alu instid0(VALU_DEP_3) | instskip(NEXT) | instid1(VALU_DEP_2)
	v_ashrrev_i32_e32 v1, 31, v0
	s_and_b32 s2, vcc_lo, s0
	s_delay_alu instid0(VALU_DEP_1) | instskip(SKIP_2) | instid1(VALU_DEP_3)
	v_lshlrev_b64 v[2:3], 3, v[0:1]
	v_mov_b32_e32 v0, 0
	v_mov_b32_e32 v1, 0xfff00000
	v_add_co_u32 v6, s1, s18, v2
	s_delay_alu instid0(VALU_DEP_1) | instskip(NEXT) | instid1(VALU_DEP_3)
	v_add_co_ci_u32_e64 v7, s1, s19, v3, s1
	v_dual_mov_b32 v5, v1 :: v_dual_mov_b32 v4, v0
	s_and_saveexec_b32 s1, s2
	s_cbranch_execz .LBB12_2
; %bb.1:
	global_load_b64 v[4:5], v[6:7], off
.LBB12_2:
	s_or_b32 exec_lo, exec_lo, s1
	v_cmp_lt_i32_e64 s1, 1, v14
	s_delay_alu instid0(VALU_DEP_1) | instskip(NEXT) | instid1(SALU_CYCLE_1)
	s_and_b32 s1, vcc_lo, s1
	s_and_saveexec_b32 s2, s1
	s_cbranch_execz .LBB12_4
; %bb.3:
	s_mov_b32 s23, 0
	s_delay_alu instid0(SALU_CYCLE_1) | instskip(NEXT) | instid1(SALU_CYCLE_1)
	s_lshl_b64 s[4:5], s[22:23], 3
	v_add_co_u32 v0, s1, v6, s4
	s_delay_alu instid0(VALU_DEP_1)
	v_add_co_ci_u32_e64 v1, s1, s5, v7, s1
	global_load_b64 v[0:1], v[0:1], off
.LBB12_4:
	s_or_b32 exec_lo, exec_lo, s2
	v_mbcnt_lo_u32_b32 v15, -1, 0
	s_mov_b32 s4, 0x6a5dcb37
	s_mov_b32 s5, 0x3e5ade15
	s_delay_alu instid0(VALU_DEP_1) | instskip(SKIP_2) | instid1(VALU_DEP_3)
	v_or_b32_e32 v6, 32, v15
	v_xor_b32_e32 v10, 16, v15
	v_xor_b32_e32 v16, 8, v15
	v_cmp_gt_i32_e64 s1, 64, v6
	s_delay_alu instid0(VALU_DEP_3) | instskip(NEXT) | instid1(VALU_DEP_2)
	v_cmp_gt_i32_e64 s3, 64, v10
	v_cndmask_b32_e64 v6, v15, v6, s1
	s_delay_alu instid0(VALU_DEP_2) | instskip(SKIP_1) | instid1(VALU_DEP_3)
	v_cndmask_b32_e64 v10, v15, v10, s3
	v_cmp_gt_i32_e64 s3, 64, v16
	v_lshlrev_b32_e32 v19, 2, v6
	s_delay_alu instid0(VALU_DEP_3) | instskip(NEXT) | instid1(VALU_DEP_3)
	v_lshlrev_b32_e32 v20, 2, v10
	v_cndmask_b32_e64 v16, v15, v16, s3
	s_waitcnt vmcnt(0)
	ds_bpermute_b32 v6, v19, v4
	ds_bpermute_b32 v7, v19, v5
	;; [unrolled: 1-line block ×4, first 2 shown]
	v_lshlrev_b32_e32 v21, 2, v16
	v_xor_b32_e32 v16, 4, v15
	s_delay_alu instid0(VALU_DEP_1) | instskip(NEXT) | instid1(VALU_DEP_1)
	v_cmp_gt_i32_e64 s3, 64, v16
	v_cndmask_b32_e64 v16, v15, v16, s3
	s_delay_alu instid0(VALU_DEP_1)
	v_lshlrev_b32_e32 v22, 2, v16
	s_waitcnt lgkmcnt(2)
	v_cmp_lt_f64_e64 s1, v[4:5], v[6:7]
	v_xor_b32_e32 v16, 2, v15
	s_waitcnt lgkmcnt(0)
	v_cmp_lt_f64_e64 s2, v[0:1], v[8:9]
	s_delay_alu instid0(VALU_DEP_2) | instskip(NEXT) | instid1(VALU_DEP_1)
	v_cmp_gt_i32_e64 s3, 64, v16
	v_cndmask_b32_e64 v16, v15, v16, s3
	s_delay_alu instid0(VALU_DEP_1) | instskip(SKIP_1) | instid1(VALU_DEP_1)
	v_lshlrev_b32_e32 v23, 2, v16
	v_xor_b32_e32 v16, 1, v15
	v_cmp_gt_i32_e64 s3, 64, v16
	s_delay_alu instid0(VALU_DEP_1) | instskip(NEXT) | instid1(VALU_DEP_1)
	v_cndmask_b32_e64 v15, v15, v16, s3
	v_lshlrev_b32_e32 v24, 2, v15
	v_cndmask_b32_e64 v7, v5, v7, s1
	v_cndmask_b32_e64 v6, v4, v6, s1
	v_cndmask_b32_e64 v9, v1, v9, s2
	v_cndmask_b32_e64 v8, v0, v8, s2
	ds_bpermute_b32 v11, v20, v7
	ds_bpermute_b32 v10, v20, v6
	ds_bpermute_b32 v13, v20, v9
	ds_bpermute_b32 v12, v20, v8
	s_waitcnt lgkmcnt(2)
	v_cmp_lt_f64_e64 s1, v[6:7], v[10:11]
	s_waitcnt lgkmcnt(0)
	v_cmp_lt_f64_e64 s2, v[8:9], v[12:13]
	s_delay_alu instid0(VALU_DEP_2) | instskip(SKIP_1) | instid1(VALU_DEP_3)
	v_cndmask_b32_e64 v7, v7, v11, s1
	v_cndmask_b32_e64 v6, v6, v10, s1
	v_cndmask_b32_e64 v9, v9, v13, s2
	v_cndmask_b32_e64 v8, v8, v12, s2
	ds_bpermute_b32 v11, v21, v7
	ds_bpermute_b32 v10, v21, v6
	ds_bpermute_b32 v13, v21, v9
	ds_bpermute_b32 v12, v21, v8
	s_waitcnt lgkmcnt(2)
	v_cmp_lt_f64_e64 s1, v[6:7], v[10:11]
	s_waitcnt lgkmcnt(0)
	v_cmp_lt_f64_e64 s2, v[8:9], v[12:13]
	s_delay_alu instid0(VALU_DEP_2) | instskip(SKIP_1) | instid1(VALU_DEP_3)
	;; [unrolled: 13-line block ×5, first 2 shown]
	v_cndmask_b32_e64 v7, v7, v11, s1
	v_cndmask_b32_e64 v6, v6, v10, s1
	;; [unrolled: 1-line block ×4, first 2 shown]
	s_mov_b32 s2, 0x652b82fe
	s_mov_b32 s3, 0x3ff71547
	v_add_f64 v[4:5], v[4:5], -v[6:7]
	s_delay_alu instid0(VALU_DEP_2) | instskip(NEXT) | instid1(VALU_DEP_2)
	v_add_f64 v[0:1], v[0:1], -v[8:9]
	v_mul_f64 v[6:7], v[4:5], s[2:3]
	v_cmp_nlt_f64_e64 s1, 0x40900000, v[4:5]
	s_delay_alu instid0(VALU_DEP_3) | instskip(SKIP_2) | instid1(VALU_DEP_3)
	v_mul_f64 v[8:9], v[0:1], s[2:3]
	s_mov_b32 s2, 0xfefa39ef
	s_mov_b32 s3, 0xbfe62e42
	v_rndne_f64_e32 v[6:7], v[6:7]
	s_delay_alu instid0(VALU_DEP_2) | instskip(NEXT) | instid1(VALU_DEP_2)
	v_rndne_f64_e32 v[8:9], v[8:9]
	v_fma_f64 v[10:11], v[6:7], s[2:3], v[4:5]
	v_cvt_i32_f64_e32 v25, v[6:7]
	s_delay_alu instid0(VALU_DEP_3)
	v_fma_f64 v[12:13], v[8:9], s[2:3], v[0:1]
	s_mov_b32 s2, 0x3b39803f
	s_mov_b32 s3, 0xbc7abc9e
	s_delay_alu instid0(VALU_DEP_3) | instid1(SALU_CYCLE_1)
	v_fma_f64 v[10:11], v[6:7], s[2:3], v[10:11]
	s_delay_alu instid0(VALU_DEP_2)
	v_fma_f64 v[12:13], v[8:9], s[2:3], v[12:13]
	s_mov_b32 s2, 0xfca7ab0c
	s_mov_b32 s3, 0x3e928af3
	s_delay_alu instid0(VALU_DEP_2) | instid1(SALU_CYCLE_1)
	v_fma_f64 v[15:16], v[10:11], s[4:5], s[2:3]
	s_delay_alu instid0(VALU_DEP_2) | instskip(SKIP_3) | instid1(VALU_DEP_3)
	v_fma_f64 v[17:18], v[12:13], s[4:5], s[2:3]
	s_mov_b32 s2, 0x623fde64
	s_mov_b32 s3, 0x3ec71dee
	v_cmp_ngt_f64_e64 s4, 0xc090cc00, v[0:1]
	v_fma_f64 v[15:16], v[10:11], v[15:16], s[2:3]
	s_delay_alu instid0(VALU_DEP_3)
	v_fma_f64 v[17:18], v[12:13], v[17:18], s[2:3]
	s_mov_b32 s2, 0x7c89e6b0
	s_mov_b32 s3, 0x3efa0199
	s_delay_alu instid0(VALU_DEP_2) | instid1(SALU_CYCLE_1)
	v_fma_f64 v[15:16], v[10:11], v[15:16], s[2:3]
	s_delay_alu instid0(VALU_DEP_2)
	v_fma_f64 v[17:18], v[12:13], v[17:18], s[2:3]
	s_mov_b32 s2, 0x14761f6e
	s_mov_b32 s3, 0x3f2a01a0
	s_delay_alu instid0(VALU_DEP_2) | instid1(SALU_CYCLE_1)
	v_fma_f64 v[15:16], v[10:11], v[15:16], s[2:3]
	s_delay_alu instid0(VALU_DEP_2)
	;; [unrolled: 6-line block ×6, first 2 shown]
	v_fma_f64 v[17:18], v[12:13], v[17:18], s[2:3]
	s_mov_b32 s2, 11
	s_mov_b32 s3, 0x3fe00000
	s_delay_alu instid0(VALU_DEP_2) | instid1(SALU_CYCLE_1)
	v_fma_f64 v[15:16], v[10:11], v[15:16], s[2:3]
	s_delay_alu instid0(VALU_DEP_2) | instskip(SKIP_2) | instid1(VALU_DEP_4)
	v_fma_f64 v[17:18], v[12:13], v[17:18], s[2:3]
	v_cmp_nlt_f64_e64 s3, 0x40900000, v[0:1]
	v_cmp_ngt_f64_e64 s2, 0xc090cc00, v[4:5]
	v_fma_f64 v[15:16], v[10:11], v[15:16], 1.0
	s_delay_alu instid0(VALU_DEP_4) | instskip(NEXT) | instid1(VALU_DEP_2)
	v_fma_f64 v[17:18], v[12:13], v[17:18], 1.0
	v_fma_f64 v[6:7], v[10:11], v[15:16], 1.0
	v_cvt_i32_f64_e32 v10, v[8:9]
	s_delay_alu instid0(VALU_DEP_3) | instskip(NEXT) | instid1(VALU_DEP_3)
	v_fma_f64 v[8:9], v[12:13], v[17:18], 1.0
	v_ldexp_f64 v[6:7], v[6:7], v25
	s_delay_alu instid0(VALU_DEP_2) | instskip(NEXT) | instid1(VALU_DEP_2)
	v_ldexp_f64 v[8:9], v[8:9], v10
	v_add_f64 v[6:7], v[6:7], 0
	s_delay_alu instid0(VALU_DEP_2) | instskip(NEXT) | instid1(VALU_DEP_2)
	v_add_f64 v[8:9], v[8:9], 0
	v_cndmask_b32_e64 v7, 0x7ff00000, v7, s1
	s_and_b32 s1, s2, s1
	s_delay_alu instid0(VALU_DEP_2) | instskip(NEXT) | instid1(VALU_DEP_4)
	v_cndmask_b32_e64 v9, 0x7ff00000, v9, s3
	v_cndmask_b32_e64 v6, 0, v6, s1
	s_and_b32 s1, s4, s3
	v_cndmask_b32_e64 v7, 0, v7, s2
	v_cndmask_b32_e64 v8, 0, v8, s1
	;; [unrolled: 1-line block ×3, first 2 shown]
	ds_bpermute_b32 v10, v19, v6
	ds_bpermute_b32 v11, v19, v7
	ds_bpermute_b32 v12, v19, v8
	ds_bpermute_b32 v13, v19, v9
	s_waitcnt lgkmcnt(2)
	v_add_f64 v[6:7], v[6:7], v[10:11]
	s_waitcnt lgkmcnt(0)
	v_add_f64 v[8:9], v[8:9], v[12:13]
	ds_bpermute_b32 v10, v20, v6
	ds_bpermute_b32 v11, v20, v7
	ds_bpermute_b32 v12, v20, v8
	ds_bpermute_b32 v13, v20, v9
	s_waitcnt lgkmcnt(2)
	v_add_f64 v[6:7], v[6:7], v[10:11]
	s_waitcnt lgkmcnt(0)
	v_add_f64 v[8:9], v[8:9], v[12:13]
	;; [unrolled: 8-line block ×5, first 2 shown]
	ds_bpermute_b32 v12, v24, v10
	ds_bpermute_b32 v13, v24, v11
	;; [unrolled: 1-line block ×4, first 2 shown]
	s_and_saveexec_b32 s1, s0
	s_cbranch_execz .LBB12_10
; %bb.5:
	v_add_co_u32 v2, s0, s16, v2
	s_delay_alu instid0(VALU_DEP_1)
	v_add_co_ci_u32_e64 v3, s0, s17, v3, s0
	s_and_saveexec_b32 s2, vcc_lo
	s_cbranch_execz .LBB12_7
; %bb.6:
	s_waitcnt lgkmcnt(2)
	v_add_f64 v[10:11], v[10:11], v[12:13]
	s_mov_b32 s5, 0x3fe55555
	s_mov_b32 s4, 0x55555555
	v_mov_b32_e32 v15, 0
	s_mov_b32 s6, 0xbf559e2b
	s_mov_b32 s7, 0x3fc3ab76
	s_delay_alu instid0(VALU_DEP_2) | instskip(SKIP_1) | instid1(VALU_DEP_2)
	v_frexp_mant_f64_e32 v[12:13], v[10:11]
	v_frexp_exp_i32_f64_e32 v16, v[10:11]
	v_cmp_gt_f64_e64 s0, s[4:5], v[12:13]
	s_mov_b32 s4, 0x55555780
	s_delay_alu instid0(VALU_DEP_1) | instskip(SKIP_3) | instid1(VALU_DEP_1)
	v_subrev_co_ci_u32_e64 v27, s1, 0, v16, s0
	v_cndmask_b32_e64 v16, 0x3ff00000, 2.0, s0
	s_mov_b32 s0, 0x6b47b09a
	s_mov_b32 s1, 0x3fc38538
	v_mul_f64 v[12:13], v[12:13], v[15:16]
	s_delay_alu instid0(VALU_DEP_1) | instskip(SKIP_1) | instid1(VALU_DEP_2)
	v_add_f64 v[15:16], v[12:13], 1.0
	v_add_f64 v[21:22], v[12:13], -1.0
	v_rcp_f64_e32 v[17:18], v[15:16]
	v_add_f64 v[23:24], v[15:16], -1.0
	s_delay_alu instid0(VALU_DEP_1) | instskip(SKIP_2) | instid1(VALU_DEP_1)
	v_add_f64 v[12:13], v[12:13], -v[23:24]
	s_waitcnt_depctr 0xfff
	v_fma_f64 v[19:20], -v[15:16], v[17:18], 1.0
	v_fma_f64 v[17:18], v[19:20], v[17:18], v[17:18]
	s_delay_alu instid0(VALU_DEP_1) | instskip(NEXT) | instid1(VALU_DEP_1)
	v_fma_f64 v[19:20], -v[15:16], v[17:18], 1.0
	v_fma_f64 v[17:18], v[19:20], v[17:18], v[17:18]
	s_delay_alu instid0(VALU_DEP_1) | instskip(NEXT) | instid1(VALU_DEP_1)
	v_mul_f64 v[19:20], v[21:22], v[17:18]
	v_mul_f64 v[25:26], v[15:16], v[19:20]
	s_delay_alu instid0(VALU_DEP_1) | instskip(NEXT) | instid1(VALU_DEP_1)
	v_fma_f64 v[15:16], v[19:20], v[15:16], -v[25:26]
	v_fma_f64 v[12:13], v[19:20], v[12:13], v[15:16]
	s_delay_alu instid0(VALU_DEP_1) | instskip(NEXT) | instid1(VALU_DEP_1)
	v_add_f64 v[15:16], v[25:26], v[12:13]
	v_add_f64 v[23:24], v[21:22], -v[15:16]
	v_add_f64 v[25:26], v[15:16], -v[25:26]
	s_delay_alu instid0(VALU_DEP_2) | instskip(NEXT) | instid1(VALU_DEP_2)
	v_add_f64 v[21:22], v[21:22], -v[23:24]
	v_add_f64 v[12:13], v[25:26], -v[12:13]
	s_delay_alu instid0(VALU_DEP_2) | instskip(NEXT) | instid1(VALU_DEP_1)
	v_add_f64 v[15:16], v[21:22], -v[15:16]
	v_add_f64 v[12:13], v[12:13], v[15:16]
	s_delay_alu instid0(VALU_DEP_1) | instskip(NEXT) | instid1(VALU_DEP_1)
	v_add_f64 v[12:13], v[23:24], v[12:13]
	v_mul_f64 v[12:13], v[17:18], v[12:13]
	s_delay_alu instid0(VALU_DEP_1) | instskip(NEXT) | instid1(VALU_DEP_1)
	v_add_f64 v[15:16], v[19:20], v[12:13]
	v_mul_f64 v[17:18], v[15:16], v[15:16]
	s_delay_alu instid0(VALU_DEP_1) | instskip(SKIP_3) | instid1(VALU_DEP_2)
	v_fma_f64 v[21:22], v[17:18], s[6:7], s[0:1]
	s_mov_b32 s0, 0xd7f4df2e
	s_mov_b32 s1, 0x3fc7474d
	v_mul_f64 v[23:24], v[15:16], v[17:18]
	v_fma_f64 v[21:22], v[17:18], v[21:22], s[0:1]
	s_mov_b32 s0, 0x16291751
	s_mov_b32 s1, 0x3fcc71c0
	s_delay_alu instid0(VALU_DEP_1) | instid1(SALU_CYCLE_1)
	v_fma_f64 v[21:22], v[17:18], v[21:22], s[0:1]
	s_mov_b32 s0, 0x9b27acf1
	s_mov_b32 s1, 0x3fd24924
	s_delay_alu instid0(VALU_DEP_1) | instid1(SALU_CYCLE_1)
	;; [unrolled: 4-line block ×3, first 2 shown]
	v_fma_f64 v[21:22], v[17:18], v[21:22], s[0:1]
	s_mov_b32 s0, 0xfefa39ef
	s_mov_b32 s1, 0x3fe62e42
	s_delay_alu instid0(VALU_DEP_1) | instskip(SKIP_2) | instid1(VALU_DEP_3)
	v_fma_f64 v[17:18], v[17:18], v[21:22], s[4:5]
	v_ldexp_f64 v[21:22], v[15:16], 1
	v_add_f64 v[15:16], v[15:16], -v[19:20]
	v_mul_f64 v[17:18], v[23:24], v[17:18]
	v_cvt_f64_i32_e32 v[23:24], v27
	s_delay_alu instid0(VALU_DEP_3) | instskip(NEXT) | instid1(VALU_DEP_3)
	v_add_f64 v[12:13], v[12:13], -v[15:16]
	v_add_f64 v[19:20], v[21:22], v[17:18]
	s_delay_alu instid0(VALU_DEP_3) | instskip(NEXT) | instid1(VALU_DEP_3)
	v_mul_f64 v[25:26], v[23:24], s[0:1]
	v_ldexp_f64 v[12:13], v[12:13], 1
	s_delay_alu instid0(VALU_DEP_3) | instskip(NEXT) | instid1(VALU_DEP_3)
	v_add_f64 v[15:16], v[19:20], -v[21:22]
	v_fma_f64 v[21:22], v[23:24], s[0:1], -v[25:26]
	s_mov_b32 s0, 0x3b39803f
	s_mov_b32 s1, 0x3c7abc9e
	s_delay_alu instid0(VALU_DEP_2) | instskip(NEXT) | instid1(VALU_DEP_2)
	v_add_f64 v[15:16], v[17:18], -v[15:16]
	v_fma_f64 v[17:18], v[23:24], s[0:1], v[21:22]
	v_cmp_class_f64_e64 s0, v[10:11], 0x204
	s_delay_alu instid0(VALU_DEP_3) | instskip(NEXT) | instid1(VALU_DEP_3)
	v_add_f64 v[12:13], v[12:13], v[15:16]
	v_add_f64 v[15:16], v[25:26], v[17:18]
	s_delay_alu instid0(VALU_DEP_2) | instskip(NEXT) | instid1(VALU_DEP_2)
	v_add_f64 v[21:22], v[19:20], v[12:13]
	v_add_f64 v[25:26], v[15:16], -v[25:26]
	s_delay_alu instid0(VALU_DEP_2) | instskip(SKIP_1) | instid1(VALU_DEP_3)
	v_add_f64 v[23:24], v[15:16], v[21:22]
	v_add_f64 v[19:20], v[21:22], -v[19:20]
	v_add_f64 v[17:18], v[17:18], -v[25:26]
	s_delay_alu instid0(VALU_DEP_3) | instskip(NEXT) | instid1(VALU_DEP_3)
	v_add_f64 v[27:28], v[23:24], -v[15:16]
	v_add_f64 v[12:13], v[12:13], -v[19:20]
	s_delay_alu instid0(VALU_DEP_2) | instskip(SKIP_1) | instid1(VALU_DEP_3)
	v_add_f64 v[29:30], v[23:24], -v[27:28]
	v_add_f64 v[19:20], v[21:22], -v[27:28]
	v_add_f64 v[21:22], v[17:18], v[12:13]
	s_delay_alu instid0(VALU_DEP_3) | instskip(NEXT) | instid1(VALU_DEP_1)
	v_add_f64 v[15:16], v[15:16], -v[29:30]
	v_add_f64 v[15:16], v[19:20], v[15:16]
	s_delay_alu instid0(VALU_DEP_3) | instskip(NEXT) | instid1(VALU_DEP_2)
	v_add_f64 v[19:20], v[21:22], -v[17:18]
	v_add_f64 v[15:16], v[21:22], v[15:16]
	s_delay_alu instid0(VALU_DEP_2) | instskip(SKIP_1) | instid1(VALU_DEP_3)
	v_add_f64 v[21:22], v[21:22], -v[19:20]
	v_add_f64 v[12:13], v[12:13], -v[19:20]
	v_add_f64 v[25:26], v[23:24], v[15:16]
	s_delay_alu instid0(VALU_DEP_3) | instskip(NEXT) | instid1(VALU_DEP_2)
	v_add_f64 v[17:18], v[17:18], -v[21:22]
	v_add_f64 v[19:20], v[25:26], -v[23:24]
	s_delay_alu instid0(VALU_DEP_2) | instskip(NEXT) | instid1(VALU_DEP_2)
	v_add_f64 v[12:13], v[12:13], v[17:18]
	v_add_f64 v[15:16], v[15:16], -v[19:20]
	s_delay_alu instid0(VALU_DEP_1) | instskip(NEXT) | instid1(VALU_DEP_1)
	v_add_f64 v[12:13], v[12:13], v[15:16]
	v_add_f64 v[12:13], v[25:26], v[12:13]
	s_delay_alu instid0(VALU_DEP_1) | instskip(NEXT) | instid1(VALU_DEP_2)
	v_cndmask_b32_e64 v12, v12, v10, s0
	v_cndmask_b32_e64 v13, v13, v11, s0
	v_cmp_ngt_f64_e64 s0, 0, v[10:11]
	s_delay_alu instid0(VALU_DEP_1) | instskip(SKIP_1) | instid1(VALU_DEP_1)
	v_cndmask_b32_e64 v13, 0x7ff80000, v13, s0
	v_cmp_nge_f64_e64 s0, 0, v[10:11]
	v_cndmask_b32_e64 v12, 0, v12, s0
	v_cmp_neq_f64_e64 s0, 0, v[10:11]
	s_delay_alu instid0(VALU_DEP_1) | instskip(NEXT) | instid1(VALU_DEP_1)
	v_cndmask_b32_e64 v13, 0xfff00000, v13, s0
	v_add_f64 v[4:5], v[4:5], -v[12:13]
	global_store_b64 v[2:3], v[4:5], off
.LBB12_7:
	s_or_b32 exec_lo, exec_lo, s2
	v_cmp_ne_u32_e64 s0, 1, v14
	s_delay_alu instid0(VALU_DEP_1)
	s_and_b32 exec_lo, exec_lo, s0
	s_cbranch_execz .LBB12_10
; %bb.8:
	s_and_b32 exec_lo, exec_lo, vcc_lo
	s_cbranch_execz .LBB12_10
; %bb.9:
	s_waitcnt lgkmcnt(0)
	v_add_f64 v[4:5], v[6:7], v[8:9]
	s_mov_b32 s1, 0x3fe55555
	s_mov_b32 s0, 0x55555555
	;; [unrolled: 1-line block ×7, first 2 shown]
	s_delay_alu instid0(VALU_DEP_1) | instskip(SKIP_1) | instid1(VALU_DEP_2)
	v_frexp_mant_f64_e32 v[6:7], v[4:5]
	v_frexp_exp_i32_f64_e32 v9, v[4:5]
	v_cmp_gt_f64_e32 vcc_lo, s[0:1], v[6:7]
	s_delay_alu instid0(VALU_DEP_2) | instskip(SKIP_4) | instid1(VALU_DEP_1)
	v_subrev_co_ci_u32_e64 v20, s0, 0, v9, vcc_lo
	v_cndmask_b32_e64 v9, 0x3ff00000, 2.0, vcc_lo
	v_cmp_class_f64_e64 vcc_lo, v[4:5], 0x204
	v_mov_b32_e32 v8, 0
	s_mov_b32 s0, 0x55555780
	v_mul_f64 v[6:7], v[6:7], v[8:9]
	s_delay_alu instid0(VALU_DEP_1) | instskip(SKIP_1) | instid1(VALU_DEP_2)
	v_add_f64 v[8:9], v[6:7], 1.0
	v_add_f64 v[14:15], v[6:7], -1.0
	v_rcp_f64_e32 v[10:11], v[8:9]
	v_add_f64 v[16:17], v[8:9], -1.0
	s_delay_alu instid0(VALU_DEP_1) | instskip(SKIP_2) | instid1(VALU_DEP_1)
	v_add_f64 v[6:7], v[6:7], -v[16:17]
	s_waitcnt_depctr 0xfff
	v_fma_f64 v[12:13], -v[8:9], v[10:11], 1.0
	v_fma_f64 v[10:11], v[12:13], v[10:11], v[10:11]
	s_delay_alu instid0(VALU_DEP_1) | instskip(NEXT) | instid1(VALU_DEP_1)
	v_fma_f64 v[12:13], -v[8:9], v[10:11], 1.0
	v_fma_f64 v[10:11], v[12:13], v[10:11], v[10:11]
	s_delay_alu instid0(VALU_DEP_1) | instskip(NEXT) | instid1(VALU_DEP_1)
	v_mul_f64 v[12:13], v[14:15], v[10:11]
	v_mul_f64 v[18:19], v[8:9], v[12:13]
	s_delay_alu instid0(VALU_DEP_1) | instskip(NEXT) | instid1(VALU_DEP_1)
	v_fma_f64 v[8:9], v[12:13], v[8:9], -v[18:19]
	v_fma_f64 v[6:7], v[12:13], v[6:7], v[8:9]
	s_delay_alu instid0(VALU_DEP_1) | instskip(NEXT) | instid1(VALU_DEP_1)
	v_add_f64 v[8:9], v[18:19], v[6:7]
	v_add_f64 v[16:17], v[14:15], -v[8:9]
	v_add_f64 v[18:19], v[8:9], -v[18:19]
	s_delay_alu instid0(VALU_DEP_2) | instskip(NEXT) | instid1(VALU_DEP_2)
	v_add_f64 v[14:15], v[14:15], -v[16:17]
	v_add_f64 v[6:7], v[18:19], -v[6:7]
	s_delay_alu instid0(VALU_DEP_2) | instskip(NEXT) | instid1(VALU_DEP_1)
	v_add_f64 v[8:9], v[14:15], -v[8:9]
	v_add_f64 v[6:7], v[6:7], v[8:9]
	s_delay_alu instid0(VALU_DEP_1) | instskip(NEXT) | instid1(VALU_DEP_1)
	v_add_f64 v[6:7], v[16:17], v[6:7]
	v_mul_f64 v[6:7], v[10:11], v[6:7]
	s_delay_alu instid0(VALU_DEP_1) | instskip(NEXT) | instid1(VALU_DEP_1)
	v_add_f64 v[8:9], v[12:13], v[6:7]
	v_mul_f64 v[10:11], v[8:9], v[8:9]
	s_delay_alu instid0(VALU_DEP_1) | instskip(SKIP_3) | instid1(VALU_DEP_2)
	v_fma_f64 v[14:15], v[10:11], s[4:5], s[2:3]
	s_mov_b32 s2, 0xd7f4df2e
	s_mov_b32 s3, 0x3fc7474d
	v_mul_f64 v[16:17], v[8:9], v[10:11]
	v_fma_f64 v[14:15], v[10:11], v[14:15], s[2:3]
	s_mov_b32 s2, 0x16291751
	s_mov_b32 s3, 0x3fcc71c0
	s_delay_alu instid0(VALU_DEP_1) | instid1(SALU_CYCLE_1)
	v_fma_f64 v[14:15], v[10:11], v[14:15], s[2:3]
	s_mov_b32 s2, 0x9b27acf1
	s_mov_b32 s3, 0x3fd24924
	s_delay_alu instid0(VALU_DEP_1) | instid1(SALU_CYCLE_1)
	;; [unrolled: 4-line block ×3, first 2 shown]
	v_fma_f64 v[14:15], v[10:11], v[14:15], s[2:3]
	s_delay_alu instid0(VALU_DEP_1) | instskip(SKIP_4) | instid1(VALU_DEP_3)
	v_fma_f64 v[10:11], v[10:11], v[14:15], s[0:1]
	v_ldexp_f64 v[14:15], v[8:9], 1
	v_add_f64 v[8:9], v[8:9], -v[12:13]
	s_mov_b32 s0, 0xfefa39ef
	s_mov_b32 s1, 0x3fe62e42
	v_mul_f64 v[10:11], v[16:17], v[10:11]
	v_cvt_f64_i32_e32 v[16:17], v20
	s_delay_alu instid0(VALU_DEP_3) | instskip(NEXT) | instid1(VALU_DEP_3)
	v_add_f64 v[6:7], v[6:7], -v[8:9]
	v_add_f64 v[12:13], v[14:15], v[10:11]
	s_delay_alu instid0(VALU_DEP_3) | instskip(NEXT) | instid1(VALU_DEP_3)
	v_mul_f64 v[18:19], v[16:17], s[0:1]
	v_ldexp_f64 v[6:7], v[6:7], 1
	s_delay_alu instid0(VALU_DEP_3) | instskip(NEXT) | instid1(VALU_DEP_3)
	v_add_f64 v[8:9], v[12:13], -v[14:15]
	v_fma_f64 v[14:15], v[16:17], s[0:1], -v[18:19]
	s_mov_b32 s0, 0x3b39803f
	s_mov_b32 s1, 0x3c7abc9e
	s_delay_alu instid0(VALU_DEP_2) | instskip(NEXT) | instid1(VALU_DEP_2)
	v_add_f64 v[8:9], v[10:11], -v[8:9]
	v_fma_f64 v[10:11], v[16:17], s[0:1], v[14:15]
	s_lshl_b64 s[0:1], s[22:23], 3
	s_delay_alu instid0(VALU_DEP_2) | instskip(NEXT) | instid1(VALU_DEP_2)
	v_add_f64 v[6:7], v[6:7], v[8:9]
	v_add_f64 v[8:9], v[18:19], v[10:11]
	s_delay_alu instid0(VALU_DEP_2) | instskip(NEXT) | instid1(VALU_DEP_2)
	v_add_f64 v[14:15], v[12:13], v[6:7]
	v_add_f64 v[18:19], v[8:9], -v[18:19]
	s_delay_alu instid0(VALU_DEP_2) | instskip(SKIP_1) | instid1(VALU_DEP_3)
	v_add_f64 v[16:17], v[8:9], v[14:15]
	v_add_f64 v[12:13], v[14:15], -v[12:13]
	v_add_f64 v[10:11], v[10:11], -v[18:19]
	s_delay_alu instid0(VALU_DEP_3) | instskip(NEXT) | instid1(VALU_DEP_3)
	v_add_f64 v[20:21], v[16:17], -v[8:9]
	v_add_f64 v[6:7], v[6:7], -v[12:13]
	s_delay_alu instid0(VALU_DEP_2) | instskip(SKIP_1) | instid1(VALU_DEP_3)
	v_add_f64 v[22:23], v[16:17], -v[20:21]
	v_add_f64 v[12:13], v[14:15], -v[20:21]
	v_add_f64 v[14:15], v[10:11], v[6:7]
	s_delay_alu instid0(VALU_DEP_3) | instskip(NEXT) | instid1(VALU_DEP_1)
	v_add_f64 v[8:9], v[8:9], -v[22:23]
	v_add_f64 v[8:9], v[12:13], v[8:9]
	s_delay_alu instid0(VALU_DEP_3) | instskip(NEXT) | instid1(VALU_DEP_2)
	v_add_f64 v[12:13], v[14:15], -v[10:11]
	v_add_f64 v[8:9], v[14:15], v[8:9]
	s_delay_alu instid0(VALU_DEP_2) | instskip(SKIP_1) | instid1(VALU_DEP_3)
	v_add_f64 v[14:15], v[14:15], -v[12:13]
	v_add_f64 v[6:7], v[6:7], -v[12:13]
	v_add_f64 v[18:19], v[16:17], v[8:9]
	s_delay_alu instid0(VALU_DEP_3) | instskip(NEXT) | instid1(VALU_DEP_2)
	v_add_f64 v[10:11], v[10:11], -v[14:15]
	v_add_f64 v[12:13], v[18:19], -v[16:17]
	s_delay_alu instid0(VALU_DEP_2) | instskip(NEXT) | instid1(VALU_DEP_2)
	v_add_f64 v[6:7], v[6:7], v[10:11]
	v_add_f64 v[8:9], v[8:9], -v[12:13]
	s_delay_alu instid0(VALU_DEP_1) | instskip(NEXT) | instid1(VALU_DEP_1)
	v_add_f64 v[6:7], v[6:7], v[8:9]
	v_add_f64 v[6:7], v[18:19], v[6:7]
	s_delay_alu instid0(VALU_DEP_1) | instskip(SKIP_1) | instid1(VALU_DEP_2)
	v_dual_cndmask_b32 v7, v7, v5 :: v_dual_cndmask_b32 v6, v6, v4
	v_cmp_ngt_f64_e32 vcc_lo, 0, v[4:5]
	v_cndmask_b32_e32 v7, 0x7ff80000, v7, vcc_lo
	v_cmp_nge_f64_e32 vcc_lo, 0, v[4:5]
	s_delay_alu instid0(VALU_DEP_4) | instskip(SKIP_1) | instid1(VALU_DEP_4)
	v_cndmask_b32_e32 v6, 0, v6, vcc_lo
	v_cmp_neq_f64_e32 vcc_lo, 0, v[4:5]
	v_cndmask_b32_e32 v7, 0xfff00000, v7, vcc_lo
	v_add_co_u32 v2, vcc_lo, v2, s0
	v_add_co_ci_u32_e32 v3, vcc_lo, s1, v3, vcc_lo
	s_delay_alu instid0(VALU_DEP_3)
	v_add_f64 v[0:1], v[0:1], -v[6:7]
	global_store_b64 v[2:3], v[0:1], off
.LBB12_10:
	s_nop 0
	s_sendmsg sendmsg(MSG_DEALLOC_VGPRS)
	s_endpgm
	.section	.rodata,"a",@progbits
	.p2align	6, 0x0
	.amdhsa_kernel _ZN12_GLOBAL__N_120softmax_warp_forwardIdddLi6ELb1ELb0ELi64EEEvPT0_PKT_iiiPKbib
		.amdhsa_group_segment_fixed_size 0
		.amdhsa_private_segment_fixed_size 0
		.amdhsa_kernarg_size 304
		.amdhsa_user_sgpr_count 15
		.amdhsa_user_sgpr_dispatch_ptr 0
		.amdhsa_user_sgpr_queue_ptr 0
		.amdhsa_user_sgpr_kernarg_segment_ptr 1
		.amdhsa_user_sgpr_dispatch_id 0
		.amdhsa_user_sgpr_private_segment_size 0
		.amdhsa_wavefront_size32 1
		.amdhsa_uses_dynamic_stack 0
		.amdhsa_enable_private_segment 0
		.amdhsa_system_sgpr_workgroup_id_x 1
		.amdhsa_system_sgpr_workgroup_id_y 0
		.amdhsa_system_sgpr_workgroup_id_z 0
		.amdhsa_system_sgpr_workgroup_info 0
		.amdhsa_system_vgpr_workitem_id 1
		.amdhsa_next_free_vgpr 31
		.amdhsa_next_free_sgpr 24
		.amdhsa_reserve_vcc 1
		.amdhsa_float_round_mode_32 0
		.amdhsa_float_round_mode_16_64 0
		.amdhsa_float_denorm_mode_32 3
		.amdhsa_float_denorm_mode_16_64 3
		.amdhsa_dx10_clamp 1
		.amdhsa_ieee_mode 1
		.amdhsa_fp16_overflow 0
		.amdhsa_workgroup_processor_mode 1
		.amdhsa_memory_ordered 1
		.amdhsa_forward_progress 0
		.amdhsa_shared_vgpr_count 0
		.amdhsa_exception_fp_ieee_invalid_op 0
		.amdhsa_exception_fp_denorm_src 0
		.amdhsa_exception_fp_ieee_div_zero 0
		.amdhsa_exception_fp_ieee_overflow 0
		.amdhsa_exception_fp_ieee_underflow 0
		.amdhsa_exception_fp_ieee_inexact 0
		.amdhsa_exception_int_div_zero 0
	.end_amdhsa_kernel
	.section	.text._ZN12_GLOBAL__N_120softmax_warp_forwardIdddLi6ELb1ELb0ELi64EEEvPT0_PKT_iiiPKbib,"axG",@progbits,_ZN12_GLOBAL__N_120softmax_warp_forwardIdddLi6ELb1ELb0ELi64EEEvPT0_PKT_iiiPKbib,comdat
.Lfunc_end12:
	.size	_ZN12_GLOBAL__N_120softmax_warp_forwardIdddLi6ELb1ELb0ELi64EEEvPT0_PKT_iiiPKbib, .Lfunc_end12-_ZN12_GLOBAL__N_120softmax_warp_forwardIdddLi6ELb1ELb0ELi64EEEvPT0_PKT_iiiPKbib
                                        ; -- End function
	.section	.AMDGPU.csdata,"",@progbits
; Kernel info:
; codeLenInByte = 4056
; NumSgprs: 26
; NumVgprs: 31
; ScratchSize: 0
; MemoryBound: 0
; FloatMode: 240
; IeeeMode: 1
; LDSByteSize: 0 bytes/workgroup (compile time only)
; SGPRBlocks: 3
; VGPRBlocks: 3
; NumSGPRsForWavesPerEU: 26
; NumVGPRsForWavesPerEU: 31
; Occupancy: 16
; WaveLimiterHint : 0
; COMPUTE_PGM_RSRC2:SCRATCH_EN: 0
; COMPUTE_PGM_RSRC2:USER_SGPR: 15
; COMPUTE_PGM_RSRC2:TRAP_HANDLER: 0
; COMPUTE_PGM_RSRC2:TGID_X_EN: 1
; COMPUTE_PGM_RSRC2:TGID_Y_EN: 0
; COMPUTE_PGM_RSRC2:TGID_Z_EN: 0
; COMPUTE_PGM_RSRC2:TIDIG_COMP_CNT: 1
	.section	.text._ZN12_GLOBAL__N_120softmax_warp_forwardIdddLi6ELb1ELb0ELi32EEEvPT0_PKT_iiiPKbib,"axG",@progbits,_ZN12_GLOBAL__N_120softmax_warp_forwardIdddLi6ELb1ELb0ELi32EEEvPT0_PKT_iiiPKbib,comdat
	.globl	_ZN12_GLOBAL__N_120softmax_warp_forwardIdddLi6ELb1ELb0ELi32EEEvPT0_PKT_iiiPKbib ; -- Begin function _ZN12_GLOBAL__N_120softmax_warp_forwardIdddLi6ELb1ELb0ELi32EEEvPT0_PKT_iiiPKbib
	.p2align	8
	.type	_ZN12_GLOBAL__N_120softmax_warp_forwardIdddLi6ELb1ELb0ELi32EEEvPT0_PKT_iiiPKbib,@function
_ZN12_GLOBAL__N_120softmax_warp_forwardIdddLi6ELb1ELb0ELi32EEEvPT0_PKT_iiiPKbib: ; @_ZN12_GLOBAL__N_120softmax_warp_forwardIdddLi6ELb1ELb0ELi32EEEvPT0_PKT_iiiPKbib
; %bb.0:
	s_clause 0x1
	s_load_b32 s2, s[0:1], 0x3c
	s_load_b256 s[16:23], s[0:1], 0x0
	v_bfe_u32 v1, v0, 10, 10
	v_mov_b32_e32 v4, 0
	v_mov_b32_e32 v5, 0xfff00000
	s_delay_alu instid0(VALU_DEP_1) | instskip(NEXT) | instid1(VALU_DEP_3)
	v_dual_mov_b32 v7, v5 :: v_dual_and_b32 v0, 0x3ff, v0
	v_mov_b32_e32 v6, v4
	s_waitcnt lgkmcnt(0)
	s_lshr_b32 s0, s2, 16
	s_delay_alu instid0(SALU_CYCLE_1) | instskip(SKIP_2) | instid1(VALU_DEP_1)
	s_mul_i32 s15, s15, s0
	v_cmp_gt_i32_e64 s0, s22, v0
	v_add_lshl_u32 v3, s15, v1, 1
	v_mad_u64_u32 v[1:2], null, v3, s21, v[0:1]
	v_sub_nc_u32_e32 v18, s20, v3
	s_delay_alu instid0(VALU_DEP_1) | instskip(NEXT) | instid1(VALU_DEP_3)
	v_cmp_lt_i32_e64 s1, 0, v18
	v_ashrrev_i32_e32 v2, 31, v1
	s_delay_alu instid0(VALU_DEP_2) | instskip(NEXT) | instid1(VALU_DEP_1)
	s_and_b32 s3, s1, s0
	v_lshlrev_b64 v[2:3], 3, v[1:2]
	s_delay_alu instid0(VALU_DEP_1) | instskip(NEXT) | instid1(VALU_DEP_2)
	v_add_co_u32 v8, vcc_lo, s18, v2
	v_add_co_ci_u32_e32 v9, vcc_lo, s19, v3, vcc_lo
	s_and_saveexec_b32 s2, s3
	s_cbranch_execz .LBB13_2
; %bb.1:
	global_load_b64 v[6:7], v[8:9], off
.LBB13_2:
	s_or_b32 exec_lo, exec_lo, s2
	v_add_nc_u32_e32 v0, 32, v0
	s_delay_alu instid0(VALU_DEP_1) | instskip(SKIP_1) | instid1(SALU_CYCLE_1)
	v_cmp_gt_i32_e32 vcc_lo, s22, v0
	s_and_b32 s3, s1, vcc_lo
	s_and_saveexec_b32 s2, s3
	s_cbranch_execz .LBB13_4
; %bb.3:
	global_load_b64 v[4:5], v[8:9], off offset:256
.LBB13_4:
	s_or_b32 exec_lo, exec_lo, s2
	v_mov_b32_e32 v10, 0
	v_mov_b32_e32 v11, 0xfff00000
	v_cmp_lt_i32_e64 s2, 1, v18
	s_delay_alu instid0(VALU_DEP_2) | instskip(NEXT) | instid1(VALU_DEP_2)
	v_dual_mov_b32 v0, v10 :: v_dual_mov_b32 v1, v11
	s_and_b32 s3, s2, s0
	s_delay_alu instid0(SALU_CYCLE_1)
	s_and_saveexec_b32 s4, s3
	s_cbranch_execz .LBB13_6
; %bb.5:
	s_mov_b32 s23, 0
	s_delay_alu instid0(SALU_CYCLE_1) | instskip(NEXT) | instid1(SALU_CYCLE_1)
	s_lshl_b64 s[6:7], s[22:23], 3
	v_add_co_u32 v0, s3, v8, s6
	s_delay_alu instid0(VALU_DEP_1)
	v_add_co_ci_u32_e64 v1, s3, s7, v9, s3
	global_load_b64 v[0:1], v[0:1], off
.LBB13_6:
	s_or_b32 exec_lo, exec_lo, s4
	s_and_b32 s2, s2, vcc_lo
	s_delay_alu instid0(SALU_CYCLE_1)
	s_and_saveexec_b32 s3, s2
	s_cbranch_execz .LBB13_8
; %bb.7:
	s_mov_b32 s23, 0
	s_delay_alu instid0(SALU_CYCLE_1) | instskip(NEXT) | instid1(SALU_CYCLE_1)
	s_lshl_b64 s[4:5], s[22:23], 3
	v_add_co_u32 v8, s2, v8, s4
	s_delay_alu instid0(VALU_DEP_1)
	v_add_co_ci_u32_e64 v9, s2, s5, v9, s2
	global_load_b64 v[10:11], v[8:9], off offset:256
.LBB13_8:
	s_or_b32 exec_lo, exec_lo, s3
	s_waitcnt vmcnt(0)
	v_cmp_gt_f64_e64 s2, v[6:7], v[4:5]
	v_cmp_gt_f64_e64 s3, v[0:1], v[10:11]
	v_mbcnt_lo_u32_b32 v21, -1, 0
	s_delay_alu instid0(VALU_DEP_1) | instskip(SKIP_2) | instid1(VALU_DEP_3)
	v_xor_b32_e32 v8, 16, v21
	v_xor_b32_e32 v13, 8, v21
	;; [unrolled: 1-line block ×3, first 2 shown]
	v_cmp_gt_i32_e64 s4, 32, v8
	s_delay_alu instid0(VALU_DEP_1) | instskip(NEXT) | instid1(VALU_DEP_4)
	v_cndmask_b32_e64 v8, v21, v8, s4
	v_cmp_gt_i32_e64 s4, 32, v13
	s_delay_alu instid0(VALU_DEP_2) | instskip(NEXT) | instid1(VALU_DEP_2)
	v_lshlrev_b32_e32 v12, 2, v8
	v_cndmask_b32_e64 v13, v21, v13, s4
	v_cmp_gt_i32_e64 s4, 32, v22
	s_delay_alu instid0(VALU_DEP_2) | instskip(NEXT) | instid1(VALU_DEP_2)
	v_lshlrev_b32_e32 v13, 2, v13
	v_cndmask_b32_e64 v22, v21, v22, s4
	s_delay_alu instid0(VALU_DEP_1)
	v_lshlrev_b32_e32 v37, 2, v22
	v_xor_b32_e32 v22, 2, v21
	v_cndmask_b32_e64 v9, v5, v7, s2
	v_cndmask_b32_e64 v8, v4, v6, s2
	;; [unrolled: 1-line block ×4, first 2 shown]
	v_cmp_gt_i32_e64 s4, 32, v22
	ds_bpermute_b32 v17, v12, v9
	ds_bpermute_b32 v16, v12, v8
	;; [unrolled: 1-line block ×4, first 2 shown]
	v_cndmask_b32_e64 v22, v21, v22, s4
	s_delay_alu instid0(VALU_DEP_1) | instskip(SKIP_1) | instid1(VALU_DEP_1)
	v_lshlrev_b32_e32 v38, 2, v22
	v_xor_b32_e32 v22, 1, v21
	v_cmp_gt_i32_e64 s4, 32, v22
	s_delay_alu instid0(VALU_DEP_1)
	v_cndmask_b32_e64 v21, v21, v22, s4
	s_waitcnt lgkmcnt(2)
	v_cmp_lt_f64_e64 s2, v[8:9], v[16:17]
	s_mov_b32 s4, 0xfca7ab0c
	s_waitcnt lgkmcnt(0)
	v_cmp_lt_f64_e64 s3, v[14:15], v[19:20]
	s_mov_b32 s5, 0x3e928af3
	v_lshlrev_b32_e32 v39, 2, v21
	s_delay_alu instid0(VALU_DEP_3) | instskip(SKIP_1) | instid1(VALU_DEP_4)
	v_cndmask_b32_e64 v9, v9, v17, s2
	v_cndmask_b32_e64 v8, v8, v16, s2
	v_cndmask_b32_e64 v15, v15, v20, s3
	v_cndmask_b32_e64 v14, v14, v19, s3
	ds_bpermute_b32 v17, v13, v9
	ds_bpermute_b32 v16, v13, v8
	ds_bpermute_b32 v20, v13, v15
	ds_bpermute_b32 v19, v13, v14
	s_waitcnt lgkmcnt(2)
	v_cmp_lt_f64_e64 s2, v[8:9], v[16:17]
	s_waitcnt lgkmcnt(0)
	v_cmp_lt_f64_e64 s3, v[14:15], v[19:20]
	s_delay_alu instid0(VALU_DEP_2) | instskip(SKIP_1) | instid1(VALU_DEP_3)
	v_cndmask_b32_e64 v9, v9, v17, s2
	v_cndmask_b32_e64 v8, v8, v16, s2
	v_cndmask_b32_e64 v15, v15, v20, s3
	v_cndmask_b32_e64 v14, v14, v19, s3
	ds_bpermute_b32 v17, v37, v9
	ds_bpermute_b32 v16, v37, v8
	ds_bpermute_b32 v20, v37, v15
	ds_bpermute_b32 v19, v37, v14
	s_waitcnt lgkmcnt(2)
	v_cmp_lt_f64_e64 s2, v[8:9], v[16:17]
	s_waitcnt lgkmcnt(0)
	v_cmp_lt_f64_e64 s3, v[14:15], v[19:20]
	s_delay_alu instid0(VALU_DEP_2) | instskip(SKIP_1) | instid1(VALU_DEP_3)
	;; [unrolled: 13-line block ×4, first 2 shown]
	v_cndmask_b32_e64 v9, v9, v17, s2
	v_cndmask_b32_e64 v8, v8, v16, s2
	;; [unrolled: 1-line block ×4, first 2 shown]
	s_mov_b32 s2, 0x652b82fe
	s_mov_b32 s3, 0x3ff71547
	v_add_f64 v[6:7], v[6:7], -v[8:9]
	v_add_f64 v[8:9], v[4:5], -v[8:9]
	;; [unrolled: 1-line block ×4, first 2 shown]
	s_delay_alu instid0(VALU_DEP_4) | instskip(NEXT) | instid1(VALU_DEP_4)
	v_mul_f64 v[10:11], v[6:7], s[2:3]
	v_mul_f64 v[16:17], v[8:9], s[2:3]
	s_delay_alu instid0(VALU_DEP_4) | instskip(NEXT) | instid1(VALU_DEP_4)
	v_mul_f64 v[14:15], v[0:1], s[2:3]
	v_mul_f64 v[19:20], v[4:5], s[2:3]
	s_mov_b32 s2, 0xfefa39ef
	s_mov_b32 s3, 0xbfe62e42
	v_cmp_nlt_f64_e64 s6, 0x40900000, v[6:7]
	v_cmp_nlt_f64_e64 s8, 0x40900000, v[0:1]
	v_cmp_ngt_f64_e64 s7, 0xc090cc00, v[6:7]
	v_cmp_ngt_f64_e64 s9, 0xc090cc00, v[0:1]
	v_rndne_f64_e32 v[10:11], v[10:11]
	v_rndne_f64_e32 v[16:17], v[16:17]
	;; [unrolled: 1-line block ×4, first 2 shown]
	s_delay_alu instid0(VALU_DEP_4) | instskip(NEXT) | instid1(VALU_DEP_4)
	v_fma_f64 v[21:22], v[10:11], s[2:3], v[6:7]
	v_fma_f64 v[25:26], v[16:17], s[2:3], v[8:9]
	s_delay_alu instid0(VALU_DEP_4) | instskip(NEXT) | instid1(VALU_DEP_4)
	v_fma_f64 v[23:24], v[14:15], s[2:3], v[0:1]
	v_fma_f64 v[27:28], v[19:20], s[2:3], v[4:5]
	s_mov_b32 s2, 0x3b39803f
	s_mov_b32 s3, 0xbc7abc9e
	v_cvt_i32_f64_e32 v40, v[10:11]
	v_fma_f64 v[21:22], v[10:11], s[2:3], v[21:22]
	v_fma_f64 v[25:26], v[16:17], s[2:3], v[25:26]
	;; [unrolled: 1-line block ×4, first 2 shown]
	s_mov_b32 s2, 0x6a5dcb37
	s_mov_b32 s3, 0x3e5ade15
	s_delay_alu instid0(VALU_DEP_4) | instid1(SALU_CYCLE_1)
	v_fma_f64 v[29:30], v[21:22], s[2:3], s[4:5]
	s_delay_alu instid0(VALU_DEP_4) | instskip(NEXT) | instid1(VALU_DEP_4)
	v_fma_f64 v[33:34], v[25:26], s[2:3], s[4:5]
	v_fma_f64 v[31:32], v[23:24], s[2:3], s[4:5]
	s_delay_alu instid0(VALU_DEP_4)
	v_fma_f64 v[35:36], v[27:28], s[2:3], s[4:5]
	s_mov_b32 s2, 0x623fde64
	s_mov_b32 s3, 0x3ec71dee
	v_cmp_nlt_f64_e64 s4, 0x40900000, v[4:5]
	v_cmp_ngt_f64_e64 s5, 0xc090cc00, v[4:5]
	v_fma_f64 v[29:30], v[21:22], v[29:30], s[2:3]
	v_fma_f64 v[33:34], v[25:26], v[33:34], s[2:3]
	;; [unrolled: 1-line block ×4, first 2 shown]
	s_mov_b32 s2, 0x7c89e6b0
	s_mov_b32 s3, 0x3efa0199
	s_delay_alu instid0(VALU_DEP_4) | instid1(SALU_CYCLE_1)
	v_fma_f64 v[29:30], v[21:22], v[29:30], s[2:3]
	s_delay_alu instid0(VALU_DEP_4) | instskip(NEXT) | instid1(VALU_DEP_4)
	v_fma_f64 v[33:34], v[25:26], v[33:34], s[2:3]
	v_fma_f64 v[31:32], v[23:24], v[31:32], s[2:3]
	s_delay_alu instid0(VALU_DEP_4)
	v_fma_f64 v[35:36], v[27:28], v[35:36], s[2:3]
	s_mov_b32 s2, 0x14761f6e
	s_mov_b32 s3, 0x3f2a01a0
	s_delay_alu instid0(VALU_DEP_4) | instid1(SALU_CYCLE_1)
	v_fma_f64 v[29:30], v[21:22], v[29:30], s[2:3]
	s_delay_alu instid0(VALU_DEP_4) | instskip(NEXT) | instid1(VALU_DEP_4)
	v_fma_f64 v[33:34], v[25:26], v[33:34], s[2:3]
	v_fma_f64 v[31:32], v[23:24], v[31:32], s[2:3]
	s_delay_alu instid0(VALU_DEP_4)
	v_fma_f64 v[35:36], v[27:28], v[35:36], s[2:3]
	;; [unrolled: 9-line block ×7, first 2 shown]
	v_cmp_nlt_f64_e64 s2, 0x40900000, v[8:9]
	v_cmp_ngt_f64_e64 s3, 0xc090cc00, v[8:9]
	v_fma_f64 v[29:30], v[21:22], v[29:30], 1.0
	v_fma_f64 v[33:34], v[25:26], v[33:34], 1.0
	;; [unrolled: 1-line block ×4, first 2 shown]
	s_delay_alu instid0(VALU_DEP_4) | instskip(SKIP_1) | instid1(VALU_DEP_4)
	v_fma_f64 v[10:11], v[21:22], v[29:30], 1.0
	v_cvt_i32_f64_e32 v21, v[14:15]
	v_fma_f64 v[14:15], v[23:24], v[31:32], 1.0
	v_cvt_i32_f64_e32 v22, v[16:17]
	;; [unrolled: 2-line block ×3, first 2 shown]
	v_fma_f64 v[19:20], v[27:28], v[35:36], 1.0
	v_ldexp_f64 v[10:11], v[10:11], v40
	v_ldexp_f64 v[14:15], v[14:15], v21
	v_ldexp_f64 v[16:17], v[16:17], v22
	s_delay_alu instid0(VALU_DEP_4) | instskip(NEXT) | instid1(VALU_DEP_4)
	v_ldexp_f64 v[19:20], v[19:20], v23
	v_add_f64 v[10:11], v[10:11], 0
	s_delay_alu instid0(VALU_DEP_4) | instskip(NEXT) | instid1(VALU_DEP_4)
	v_add_f64 v[14:15], v[14:15], 0
	v_cndmask_b32_e64 v17, 0x7ff00000, v17, s2
	s_and_b32 s2, s3, s2
	s_delay_alu instid0(VALU_DEP_4)
	v_cndmask_b32_e64 v20, 0x7ff00000, v20, s4
	v_cndmask_b32_e64 v16, 0, v16, s2
	s_and_b32 s2, s5, s4
	v_cndmask_b32_e64 v17, 0, v17, s3
	v_cndmask_b32_e64 v19, 0, v19, s2
	s_and_b32 s2, s7, s6
	v_cndmask_b32_e64 v20, 0, v20, s5
	v_cndmask_b32_e64 v11, 0x7ff00000, v11, s6
	;; [unrolled: 1-line block ×4, first 2 shown]
	s_and_b32 s2, s9, s8
	s_delay_alu instid0(VALU_DEP_3) | instskip(SKIP_1) | instid1(VALU_DEP_3)
	v_cndmask_b32_e64 v11, 0, v11, s7
	v_cndmask_b32_e64 v14, 0, v14, s2
	v_cndmask_b32_e64 v15, 0, v15, s9
	s_delay_alu instid0(VALU_DEP_3) | instskip(NEXT) | instid1(VALU_DEP_2)
	v_add_f64 v[10:11], v[10:11], v[16:17]
	v_add_f64 v[14:15], v[14:15], v[19:20]
	ds_bpermute_b32 v16, v12, v10
	ds_bpermute_b32 v17, v12, v11
	ds_bpermute_b32 v19, v12, v14
	ds_bpermute_b32 v20, v12, v15
	s_waitcnt lgkmcnt(2)
	v_add_f64 v[10:11], v[10:11], v[16:17]
	s_waitcnt lgkmcnt(0)
	v_add_f64 v[14:15], v[14:15], v[19:20]
	ds_bpermute_b32 v16, v13, v10
	ds_bpermute_b32 v17, v13, v11
	ds_bpermute_b32 v12, v13, v14
	ds_bpermute_b32 v13, v13, v15
	s_waitcnt lgkmcnt(2)
	v_add_f64 v[10:11], v[10:11], v[16:17]
	s_waitcnt lgkmcnt(0)
	;; [unrolled: 8-line block ×4, first 2 shown]
	v_add_f64 v[10:11], v[12:13], v[16:17]
	ds_bpermute_b32 v16, v39, v14
	ds_bpermute_b32 v17, v39, v15
	;; [unrolled: 1-line block ×4, first 2 shown]
	s_and_saveexec_b32 s2, s1
	s_cbranch_execz .LBB13_16
; %bb.9:
	v_add_co_u32 v2, s1, s16, v2
	s_delay_alu instid0(VALU_DEP_1)
	v_add_co_ci_u32_e64 v3, s1, s17, v3, s1
	s_and_saveexec_b32 s2, s0
	s_cbranch_execz .LBB13_12
; %bb.10:
	s_waitcnt lgkmcnt(2)
	v_add_f64 v[15:16], v[14:15], v[16:17]
	s_mov_b32 s5, 0x3fe55555
	s_mov_b32 s4, 0x55555555
	v_mov_b32_e32 v21, 0
	s_mov_b32 s6, 0x6b47b09a
	s_mov_b32 s8, 0xbf559e2b
	;; [unrolled: 1-line block ×4, first 2 shown]
	s_delay_alu instid0(VALU_DEP_2) | instskip(SKIP_1) | instid1(VALU_DEP_2)
	v_frexp_mant_f64_e32 v[19:20], v[15:16]
	v_frexp_exp_i32_f64_e32 v14, v[15:16]
	v_cmp_gt_f64_e64 s1, s[4:5], v[19:20]
	s_mov_b32 s4, 0x55555780
	s_delay_alu instid0(VALU_DEP_1) | instskip(NEXT) | instid1(VALU_DEP_3)
	v_cndmask_b32_e64 v22, 0x3ff00000, 2.0, s1
	v_subrev_co_ci_u32_e64 v14, s1, 0, v14, s1
	v_cmp_class_f64_e64 s1, v[15:16], 0x204
	s_delay_alu instid0(VALU_DEP_3) | instskip(NEXT) | instid1(VALU_DEP_1)
	v_mul_f64 v[19:20], v[19:20], v[21:22]
	v_add_f64 v[21:22], v[19:20], 1.0
	v_add_f64 v[27:28], v[19:20], -1.0
	s_delay_alu instid0(VALU_DEP_2) | instskip(SKIP_1) | instid1(VALU_DEP_1)
	v_rcp_f64_e32 v[23:24], v[21:22]
	v_add_f64 v[29:30], v[21:22], -1.0
	v_add_f64 v[19:20], v[19:20], -v[29:30]
	s_waitcnt_depctr 0xfff
	v_fma_f64 v[25:26], -v[21:22], v[23:24], 1.0
	s_delay_alu instid0(VALU_DEP_1) | instskip(NEXT) | instid1(VALU_DEP_1)
	v_fma_f64 v[23:24], v[25:26], v[23:24], v[23:24]
	v_fma_f64 v[25:26], -v[21:22], v[23:24], 1.0
	s_delay_alu instid0(VALU_DEP_1) | instskip(NEXT) | instid1(VALU_DEP_1)
	v_fma_f64 v[23:24], v[25:26], v[23:24], v[23:24]
	v_mul_f64 v[25:26], v[27:28], v[23:24]
	s_delay_alu instid0(VALU_DEP_1) | instskip(NEXT) | instid1(VALU_DEP_1)
	v_mul_f64 v[31:32], v[21:22], v[25:26]
	v_fma_f64 v[21:22], v[25:26], v[21:22], -v[31:32]
	s_delay_alu instid0(VALU_DEP_1) | instskip(NEXT) | instid1(VALU_DEP_1)
	v_fma_f64 v[19:20], v[25:26], v[19:20], v[21:22]
	v_add_f64 v[21:22], v[31:32], v[19:20]
	s_delay_alu instid0(VALU_DEP_1) | instskip(SKIP_1) | instid1(VALU_DEP_2)
	v_add_f64 v[29:30], v[27:28], -v[21:22]
	v_add_f64 v[31:32], v[21:22], -v[31:32]
	v_add_f64 v[27:28], v[27:28], -v[29:30]
	s_delay_alu instid0(VALU_DEP_2) | instskip(NEXT) | instid1(VALU_DEP_2)
	v_add_f64 v[19:20], v[31:32], -v[19:20]
	v_add_f64 v[21:22], v[27:28], -v[21:22]
	s_delay_alu instid0(VALU_DEP_1) | instskip(NEXT) | instid1(VALU_DEP_1)
	v_add_f64 v[19:20], v[19:20], v[21:22]
	v_add_f64 v[19:20], v[29:30], v[19:20]
	s_delay_alu instid0(VALU_DEP_1) | instskip(NEXT) | instid1(VALU_DEP_1)
	v_mul_f64 v[19:20], v[23:24], v[19:20]
	v_add_f64 v[21:22], v[25:26], v[19:20]
	s_delay_alu instid0(VALU_DEP_1) | instskip(NEXT) | instid1(VALU_DEP_1)
	v_mul_f64 v[23:24], v[21:22], v[21:22]
	v_fma_f64 v[27:28], v[23:24], s[8:9], s[6:7]
	s_mov_b32 s6, 0xd7f4df2e
	s_mov_b32 s7, 0x3fc7474d
	v_mul_f64 v[29:30], v[21:22], v[23:24]
	s_delay_alu instid0(VALU_DEP_2)
	v_fma_f64 v[27:28], v[23:24], v[27:28], s[6:7]
	s_mov_b32 s6, 0x16291751
	s_mov_b32 s7, 0x3fcc71c0
	s_delay_alu instid0(VALU_DEP_1) | instid1(SALU_CYCLE_1)
	v_fma_f64 v[27:28], v[23:24], v[27:28], s[6:7]
	s_mov_b32 s6, 0x9b27acf1
	s_mov_b32 s7, 0x3fd24924
	s_delay_alu instid0(VALU_DEP_1) | instid1(SALU_CYCLE_1)
	;; [unrolled: 4-line block ×3, first 2 shown]
	v_fma_f64 v[27:28], v[23:24], v[27:28], s[6:7]
	s_delay_alu instid0(VALU_DEP_1) | instskip(SKIP_4) | instid1(VALU_DEP_3)
	v_fma_f64 v[23:24], v[23:24], v[27:28], s[4:5]
	v_ldexp_f64 v[27:28], v[21:22], 1
	v_add_f64 v[21:22], v[21:22], -v[25:26]
	s_mov_b32 s4, 0xfefa39ef
	s_mov_b32 s5, 0x3fe62e42
	v_mul_f64 v[23:24], v[29:30], v[23:24]
	v_cvt_f64_i32_e32 v[29:30], v14
	s_delay_alu instid0(VALU_DEP_3) | instskip(NEXT) | instid1(VALU_DEP_3)
	v_add_f64 v[19:20], v[19:20], -v[21:22]
	v_add_f64 v[25:26], v[27:28], v[23:24]
	s_delay_alu instid0(VALU_DEP_3) | instskip(NEXT) | instid1(VALU_DEP_3)
	v_mul_f64 v[31:32], v[29:30], s[4:5]
	v_ldexp_f64 v[19:20], v[19:20], 1
	s_delay_alu instid0(VALU_DEP_3) | instskip(NEXT) | instid1(VALU_DEP_3)
	v_add_f64 v[21:22], v[25:26], -v[27:28]
	v_fma_f64 v[27:28], v[29:30], s[4:5], -v[31:32]
	s_mov_b32 s4, 0x3b39803f
	s_mov_b32 s5, 0x3c7abc9e
	s_delay_alu instid0(VALU_DEP_2) | instskip(NEXT) | instid1(VALU_DEP_2)
	v_add_f64 v[21:22], v[23:24], -v[21:22]
	v_fma_f64 v[23:24], v[29:30], s[4:5], v[27:28]
	s_delay_alu instid0(VALU_DEP_2) | instskip(NEXT) | instid1(VALU_DEP_2)
	v_add_f64 v[19:20], v[19:20], v[21:22]
	v_add_f64 v[21:22], v[31:32], v[23:24]
	s_delay_alu instid0(VALU_DEP_2) | instskip(NEXT) | instid1(VALU_DEP_2)
	v_add_f64 v[27:28], v[25:26], v[19:20]
	v_add_f64 v[31:32], v[21:22], -v[31:32]
	s_delay_alu instid0(VALU_DEP_2) | instskip(SKIP_1) | instid1(VALU_DEP_3)
	v_add_f64 v[29:30], v[21:22], v[27:28]
	v_add_f64 v[25:26], v[27:28], -v[25:26]
	v_add_f64 v[23:24], v[23:24], -v[31:32]
	s_delay_alu instid0(VALU_DEP_3) | instskip(NEXT) | instid1(VALU_DEP_3)
	v_add_f64 v[33:34], v[29:30], -v[21:22]
	v_add_f64 v[19:20], v[19:20], -v[25:26]
	s_delay_alu instid0(VALU_DEP_2) | instskip(SKIP_1) | instid1(VALU_DEP_3)
	v_add_f64 v[35:36], v[29:30], -v[33:34]
	v_add_f64 v[25:26], v[27:28], -v[33:34]
	v_add_f64 v[27:28], v[23:24], v[19:20]
	s_delay_alu instid0(VALU_DEP_3) | instskip(NEXT) | instid1(VALU_DEP_1)
	v_add_f64 v[21:22], v[21:22], -v[35:36]
	v_add_f64 v[21:22], v[25:26], v[21:22]
	s_delay_alu instid0(VALU_DEP_3) | instskip(NEXT) | instid1(VALU_DEP_2)
	v_add_f64 v[25:26], v[27:28], -v[23:24]
	v_add_f64 v[21:22], v[27:28], v[21:22]
	s_delay_alu instid0(VALU_DEP_2) | instskip(SKIP_1) | instid1(VALU_DEP_3)
	v_add_f64 v[27:28], v[27:28], -v[25:26]
	v_add_f64 v[19:20], v[19:20], -v[25:26]
	v_add_f64 v[31:32], v[29:30], v[21:22]
	s_delay_alu instid0(VALU_DEP_3) | instskip(NEXT) | instid1(VALU_DEP_2)
	v_add_f64 v[23:24], v[23:24], -v[27:28]
	v_add_f64 v[25:26], v[31:32], -v[29:30]
	s_delay_alu instid0(VALU_DEP_2) | instskip(NEXT) | instid1(VALU_DEP_2)
	v_add_f64 v[19:20], v[19:20], v[23:24]
	v_add_f64 v[21:22], v[21:22], -v[25:26]
	s_delay_alu instid0(VALU_DEP_1) | instskip(NEXT) | instid1(VALU_DEP_1)
	v_add_f64 v[19:20], v[19:20], v[21:22]
	v_add_f64 v[19:20], v[31:32], v[19:20]
	s_delay_alu instid0(VALU_DEP_1) | instskip(NEXT) | instid1(VALU_DEP_2)
	v_cndmask_b32_e64 v14, v19, v15, s1
	v_cndmask_b32_e64 v17, v20, v16, s1
	v_cmp_ngt_f64_e64 s1, 0, v[15:16]
	s_delay_alu instid0(VALU_DEP_1) | instskip(SKIP_1) | instid1(VALU_DEP_1)
	v_cndmask_b32_e64 v17, 0x7ff80000, v17, s1
	v_cmp_nge_f64_e64 s1, 0, v[15:16]
	v_cndmask_b32_e64 v14, 0, v14, s1
	v_cmp_neq_f64_e64 s1, 0, v[15:16]
	s_delay_alu instid0(VALU_DEP_1) | instskip(NEXT) | instid1(VALU_DEP_1)
	v_cndmask_b32_e64 v15, 0xfff00000, v17, s1
	v_add_f64 v[6:7], v[6:7], -v[14:15]
	global_store_b64 v[2:3], v[6:7], off
	s_and_b32 exec_lo, exec_lo, vcc_lo
	s_cbranch_execz .LBB13_12
; %bb.11:
	v_add_f64 v[6:7], v[8:9], -v[14:15]
	global_store_b64 v[2:3], v[6:7], off offset:256
.LBB13_12:
	s_or_b32 exec_lo, exec_lo, s2
	v_cmp_ne_u32_e64 s1, 1, v18
	s_delay_alu instid0(VALU_DEP_1)
	s_and_b32 exec_lo, exec_lo, s1
	s_cbranch_execz .LBB13_16
; %bb.13:
	s_and_b32 exec_lo, exec_lo, s0
	s_cbranch_execz .LBB13_16
; %bb.14:
	s_waitcnt lgkmcnt(0)
	v_add_f64 v[7:8], v[10:11], v[12:13]
	s_mov_b32 s3, 0x3fe55555
	s_mov_b32 s2, 0x55555555
	v_mov_b32_e32 v11, 0
	s_mov_b32 s4, 0x6b47b09a
	s_mov_b32 s6, 0xbf559e2b
	;; [unrolled: 1-line block ×5, first 2 shown]
	s_delay_alu instid0(VALU_DEP_2) | instskip(SKIP_1) | instid1(VALU_DEP_2)
	v_frexp_mant_f64_e32 v[9:10], v[7:8]
	v_frexp_exp_i32_f64_e32 v6, v[7:8]
	v_cmp_gt_f64_e64 s0, s[2:3], v[9:10]
	s_mov_b32 s2, 0x55555780
	s_delay_alu instid0(VALU_DEP_1) | instskip(NEXT) | instid1(VALU_DEP_3)
	v_cndmask_b32_e64 v12, 0x3ff00000, 2.0, s0
	v_subrev_co_ci_u32_e64 v6, s0, 0, v6, s0
	s_mov_b32 s0, 0xfefa39ef
	s_mov_b32 s1, 0x3fe62e42
	s_delay_alu instid0(VALU_DEP_2) | instskip(NEXT) | instid1(VALU_DEP_1)
	v_mul_f64 v[9:10], v[9:10], v[11:12]
	v_add_f64 v[11:12], v[9:10], 1.0
	v_add_f64 v[17:18], v[9:10], -1.0
	s_delay_alu instid0(VALU_DEP_2) | instskip(SKIP_1) | instid1(VALU_DEP_1)
	v_rcp_f64_e32 v[13:14], v[11:12]
	v_add_f64 v[19:20], v[11:12], -1.0
	v_add_f64 v[9:10], v[9:10], -v[19:20]
	s_waitcnt_depctr 0xfff
	v_fma_f64 v[15:16], -v[11:12], v[13:14], 1.0
	s_delay_alu instid0(VALU_DEP_1) | instskip(NEXT) | instid1(VALU_DEP_1)
	v_fma_f64 v[13:14], v[15:16], v[13:14], v[13:14]
	v_fma_f64 v[15:16], -v[11:12], v[13:14], 1.0
	s_delay_alu instid0(VALU_DEP_1) | instskip(NEXT) | instid1(VALU_DEP_1)
	v_fma_f64 v[13:14], v[15:16], v[13:14], v[13:14]
	v_mul_f64 v[15:16], v[17:18], v[13:14]
	s_delay_alu instid0(VALU_DEP_1) | instskip(NEXT) | instid1(VALU_DEP_1)
	v_mul_f64 v[21:22], v[11:12], v[15:16]
	v_fma_f64 v[11:12], v[15:16], v[11:12], -v[21:22]
	s_delay_alu instid0(VALU_DEP_1) | instskip(NEXT) | instid1(VALU_DEP_1)
	v_fma_f64 v[9:10], v[15:16], v[9:10], v[11:12]
	v_add_f64 v[11:12], v[21:22], v[9:10]
	s_delay_alu instid0(VALU_DEP_1) | instskip(SKIP_1) | instid1(VALU_DEP_2)
	v_add_f64 v[19:20], v[17:18], -v[11:12]
	v_add_f64 v[21:22], v[11:12], -v[21:22]
	;; [unrolled: 1-line block ×3, first 2 shown]
	s_delay_alu instid0(VALU_DEP_2) | instskip(NEXT) | instid1(VALU_DEP_2)
	v_add_f64 v[9:10], v[21:22], -v[9:10]
	v_add_f64 v[11:12], v[17:18], -v[11:12]
	s_delay_alu instid0(VALU_DEP_1) | instskip(NEXT) | instid1(VALU_DEP_1)
	v_add_f64 v[9:10], v[9:10], v[11:12]
	v_add_f64 v[9:10], v[19:20], v[9:10]
	s_delay_alu instid0(VALU_DEP_1) | instskip(NEXT) | instid1(VALU_DEP_1)
	v_mul_f64 v[9:10], v[13:14], v[9:10]
	v_add_f64 v[11:12], v[15:16], v[9:10]
	s_delay_alu instid0(VALU_DEP_1) | instskip(NEXT) | instid1(VALU_DEP_1)
	v_mul_f64 v[13:14], v[11:12], v[11:12]
	v_fma_f64 v[17:18], v[13:14], s[6:7], s[4:5]
	s_mov_b32 s4, 0xd7f4df2e
	s_mov_b32 s5, 0x3fc7474d
	v_mul_f64 v[19:20], v[11:12], v[13:14]
	s_delay_alu instid0(VALU_DEP_2)
	v_fma_f64 v[17:18], v[13:14], v[17:18], s[4:5]
	s_mov_b32 s4, 0x16291751
	s_mov_b32 s5, 0x3fcc71c0
	s_delay_alu instid0(VALU_DEP_1) | instid1(SALU_CYCLE_1)
	v_fma_f64 v[17:18], v[13:14], v[17:18], s[4:5]
	s_mov_b32 s4, 0x9b27acf1
	s_mov_b32 s5, 0x3fd24924
	s_delay_alu instid0(VALU_DEP_1) | instid1(SALU_CYCLE_1)
	;; [unrolled: 4-line block ×3, first 2 shown]
	v_fma_f64 v[17:18], v[13:14], v[17:18], s[4:5]
	s_delay_alu instid0(VALU_DEP_1) | instskip(SKIP_2) | instid1(VALU_DEP_3)
	v_fma_f64 v[13:14], v[13:14], v[17:18], s[2:3]
	v_ldexp_f64 v[17:18], v[11:12], 1
	v_add_f64 v[11:12], v[11:12], -v[15:16]
	v_mul_f64 v[13:14], v[19:20], v[13:14]
	v_cvt_f64_i32_e32 v[19:20], v6
	s_delay_alu instid0(VALU_DEP_3) | instskip(NEXT) | instid1(VALU_DEP_3)
	v_add_f64 v[9:10], v[9:10], -v[11:12]
	v_add_f64 v[15:16], v[17:18], v[13:14]
	s_delay_alu instid0(VALU_DEP_3) | instskip(NEXT) | instid1(VALU_DEP_3)
	v_mul_f64 v[21:22], v[19:20], s[0:1]
	v_ldexp_f64 v[9:10], v[9:10], 1
	s_delay_alu instid0(VALU_DEP_3) | instskip(NEXT) | instid1(VALU_DEP_3)
	v_add_f64 v[11:12], v[15:16], -v[17:18]
	v_fma_f64 v[17:18], v[19:20], s[0:1], -v[21:22]
	s_mov_b32 s0, 0x3b39803f
	s_mov_b32 s1, 0x3c7abc9e
	s_delay_alu instid0(VALU_DEP_2) | instskip(NEXT) | instid1(VALU_DEP_2)
	v_add_f64 v[11:12], v[13:14], -v[11:12]
	v_fma_f64 v[13:14], v[19:20], s[0:1], v[17:18]
	v_cmp_class_f64_e64 s0, v[7:8], 0x204
	s_delay_alu instid0(VALU_DEP_3) | instskip(NEXT) | instid1(VALU_DEP_3)
	v_add_f64 v[9:10], v[9:10], v[11:12]
	v_add_f64 v[11:12], v[21:22], v[13:14]
	s_delay_alu instid0(VALU_DEP_2) | instskip(NEXT) | instid1(VALU_DEP_2)
	v_add_f64 v[17:18], v[15:16], v[9:10]
	v_add_f64 v[21:22], v[11:12], -v[21:22]
	s_delay_alu instid0(VALU_DEP_2) | instskip(SKIP_1) | instid1(VALU_DEP_3)
	v_add_f64 v[19:20], v[11:12], v[17:18]
	v_add_f64 v[15:16], v[17:18], -v[15:16]
	v_add_f64 v[13:14], v[13:14], -v[21:22]
	s_delay_alu instid0(VALU_DEP_3) | instskip(NEXT) | instid1(VALU_DEP_3)
	v_add_f64 v[23:24], v[19:20], -v[11:12]
	v_add_f64 v[9:10], v[9:10], -v[15:16]
	s_delay_alu instid0(VALU_DEP_2) | instskip(SKIP_1) | instid1(VALU_DEP_3)
	v_add_f64 v[25:26], v[19:20], -v[23:24]
	v_add_f64 v[15:16], v[17:18], -v[23:24]
	v_add_f64 v[17:18], v[13:14], v[9:10]
	s_delay_alu instid0(VALU_DEP_3) | instskip(NEXT) | instid1(VALU_DEP_1)
	v_add_f64 v[11:12], v[11:12], -v[25:26]
	v_add_f64 v[11:12], v[15:16], v[11:12]
	s_delay_alu instid0(VALU_DEP_3) | instskip(NEXT) | instid1(VALU_DEP_2)
	v_add_f64 v[15:16], v[17:18], -v[13:14]
	v_add_f64 v[11:12], v[17:18], v[11:12]
	s_delay_alu instid0(VALU_DEP_2) | instskip(SKIP_1) | instid1(VALU_DEP_3)
	v_add_f64 v[17:18], v[17:18], -v[15:16]
	v_add_f64 v[9:10], v[9:10], -v[15:16]
	v_add_f64 v[21:22], v[19:20], v[11:12]
	s_delay_alu instid0(VALU_DEP_3) | instskip(NEXT) | instid1(VALU_DEP_2)
	v_add_f64 v[13:14], v[13:14], -v[17:18]
	v_add_f64 v[15:16], v[21:22], -v[19:20]
	s_delay_alu instid0(VALU_DEP_2) | instskip(NEXT) | instid1(VALU_DEP_2)
	v_add_f64 v[9:10], v[9:10], v[13:14]
	v_add_f64 v[11:12], v[11:12], -v[15:16]
	s_delay_alu instid0(VALU_DEP_1) | instskip(NEXT) | instid1(VALU_DEP_1)
	v_add_f64 v[9:10], v[9:10], v[11:12]
	v_add_f64 v[9:10], v[21:22], v[9:10]
	s_delay_alu instid0(VALU_DEP_1) | instskip(NEXT) | instid1(VALU_DEP_2)
	v_cndmask_b32_e64 v6, v9, v7, s0
	v_cndmask_b32_e64 v9, v10, v8, s0
	v_cmp_ngt_f64_e64 s0, 0, v[7:8]
	s_delay_alu instid0(VALU_DEP_1) | instskip(SKIP_1) | instid1(VALU_DEP_1)
	v_cndmask_b32_e64 v9, 0x7ff80000, v9, s0
	v_cmp_nge_f64_e64 s0, 0, v[7:8]
	v_cndmask_b32_e64 v6, 0, v6, s0
	v_cmp_neq_f64_e64 s0, 0, v[7:8]
	s_delay_alu instid0(VALU_DEP_1) | instskip(SKIP_1) | instid1(SALU_CYCLE_1)
	v_cndmask_b32_e64 v7, 0xfff00000, v9, s0
	s_lshl_b64 s[0:1], s[22:23], 3
	v_add_co_u32 v8, s0, v2, s0
	s_delay_alu instid0(VALU_DEP_2)
	v_add_f64 v[0:1], v[0:1], -v[6:7]
	v_add_co_ci_u32_e64 v9, s0, s1, v3, s0
	global_store_b64 v[8:9], v[0:1], off
	s_and_b32 exec_lo, exec_lo, vcc_lo
	s_cbranch_execz .LBB13_16
; %bb.15:
	v_add_f64 v[0:1], v[4:5], -v[6:7]
	s_ashr_i32 s23, s22, 31
	s_delay_alu instid0(SALU_CYCLE_1) | instskip(NEXT) | instid1(SALU_CYCLE_1)
	s_lshl_b64 s[0:1], s[22:23], 3
	v_add_co_u32 v2, vcc_lo, v2, s0
	v_add_co_ci_u32_e32 v3, vcc_lo, s1, v3, vcc_lo
	global_store_b64 v[2:3], v[0:1], off offset:256
.LBB13_16:
	s_nop 0
	s_sendmsg sendmsg(MSG_DEALLOC_VGPRS)
	s_endpgm
	.section	.rodata,"a",@progbits
	.p2align	6, 0x0
	.amdhsa_kernel _ZN12_GLOBAL__N_120softmax_warp_forwardIdddLi6ELb1ELb0ELi32EEEvPT0_PKT_iiiPKbib
		.amdhsa_group_segment_fixed_size 0
		.amdhsa_private_segment_fixed_size 0
		.amdhsa_kernarg_size 304
		.amdhsa_user_sgpr_count 15
		.amdhsa_user_sgpr_dispatch_ptr 0
		.amdhsa_user_sgpr_queue_ptr 0
		.amdhsa_user_sgpr_kernarg_segment_ptr 1
		.amdhsa_user_sgpr_dispatch_id 0
		.amdhsa_user_sgpr_private_segment_size 0
		.amdhsa_wavefront_size32 1
		.amdhsa_uses_dynamic_stack 0
		.amdhsa_enable_private_segment 0
		.amdhsa_system_sgpr_workgroup_id_x 1
		.amdhsa_system_sgpr_workgroup_id_y 0
		.amdhsa_system_sgpr_workgroup_id_z 0
		.amdhsa_system_sgpr_workgroup_info 0
		.amdhsa_system_vgpr_workitem_id 1
		.amdhsa_next_free_vgpr 41
		.amdhsa_next_free_sgpr 24
		.amdhsa_reserve_vcc 1
		.amdhsa_float_round_mode_32 0
		.amdhsa_float_round_mode_16_64 0
		.amdhsa_float_denorm_mode_32 3
		.amdhsa_float_denorm_mode_16_64 3
		.amdhsa_dx10_clamp 1
		.amdhsa_ieee_mode 1
		.amdhsa_fp16_overflow 0
		.amdhsa_workgroup_processor_mode 1
		.amdhsa_memory_ordered 1
		.amdhsa_forward_progress 0
		.amdhsa_shared_vgpr_count 0
		.amdhsa_exception_fp_ieee_invalid_op 0
		.amdhsa_exception_fp_denorm_src 0
		.amdhsa_exception_fp_ieee_div_zero 0
		.amdhsa_exception_fp_ieee_overflow 0
		.amdhsa_exception_fp_ieee_underflow 0
		.amdhsa_exception_fp_ieee_inexact 0
		.amdhsa_exception_int_div_zero 0
	.end_amdhsa_kernel
	.section	.text._ZN12_GLOBAL__N_120softmax_warp_forwardIdddLi6ELb1ELb0ELi32EEEvPT0_PKT_iiiPKbib,"axG",@progbits,_ZN12_GLOBAL__N_120softmax_warp_forwardIdddLi6ELb1ELb0ELi32EEEvPT0_PKT_iiiPKbib,comdat
.Lfunc_end13:
	.size	_ZN12_GLOBAL__N_120softmax_warp_forwardIdddLi6ELb1ELb0ELi32EEEvPT0_PKT_iiiPKbib, .Lfunc_end13-_ZN12_GLOBAL__N_120softmax_warp_forwardIdddLi6ELb1ELb0ELi32EEEvPT0_PKT_iiiPKbib
                                        ; -- End function
	.section	.AMDGPU.csdata,"",@progbits
; Kernel info:
; codeLenInByte = 4596
; NumSgprs: 26
; NumVgprs: 41
; ScratchSize: 0
; MemoryBound: 0
; FloatMode: 240
; IeeeMode: 1
; LDSByteSize: 0 bytes/workgroup (compile time only)
; SGPRBlocks: 3
; VGPRBlocks: 5
; NumSGPRsForWavesPerEU: 26
; NumVGPRsForWavesPerEU: 41
; Occupancy: 16
; WaveLimiterHint : 0
; COMPUTE_PGM_RSRC2:SCRATCH_EN: 0
; COMPUTE_PGM_RSRC2:USER_SGPR: 15
; COMPUTE_PGM_RSRC2:TRAP_HANDLER: 0
; COMPUTE_PGM_RSRC2:TGID_X_EN: 1
; COMPUTE_PGM_RSRC2:TGID_Y_EN: 0
; COMPUTE_PGM_RSRC2:TGID_Z_EN: 0
; COMPUTE_PGM_RSRC2:TIDIG_COMP_CNT: 1
	.section	.text._ZN12_GLOBAL__N_120softmax_warp_forwardIdddLi7ELb1ELb0ELi64EEEvPT0_PKT_iiiPKbib,"axG",@progbits,_ZN12_GLOBAL__N_120softmax_warp_forwardIdddLi7ELb1ELb0ELi64EEEvPT0_PKT_iiiPKbib,comdat
	.globl	_ZN12_GLOBAL__N_120softmax_warp_forwardIdddLi7ELb1ELb0ELi64EEEvPT0_PKT_iiiPKbib ; -- Begin function _ZN12_GLOBAL__N_120softmax_warp_forwardIdddLi7ELb1ELb0ELi64EEEvPT0_PKT_iiiPKbib
	.p2align	8
	.type	_ZN12_GLOBAL__N_120softmax_warp_forwardIdddLi7ELb1ELb0ELi64EEEvPT0_PKT_iiiPKbib,@function
_ZN12_GLOBAL__N_120softmax_warp_forwardIdddLi7ELb1ELb0ELi64EEEvPT0_PKT_iiiPKbib: ; @_ZN12_GLOBAL__N_120softmax_warp_forwardIdddLi7ELb1ELb0ELi64EEEvPT0_PKT_iiiPKbib
; %bb.0:
	s_clause 0x1
	s_load_b32 s2, s[0:1], 0x3c
	s_load_b256 s[16:23], s[0:1], 0x0
	v_bfe_u32 v1, v0, 10, 10
	v_mov_b32_e32 v4, 0
	v_mov_b32_e32 v5, 0xfff00000
	s_delay_alu instid0(VALU_DEP_1) | instskip(NEXT) | instid1(VALU_DEP_3)
	v_dual_mov_b32 v7, v5 :: v_dual_and_b32 v2, 0x3ff, v0
	v_mov_b32_e32 v6, v4
	s_waitcnt lgkmcnt(0)
	s_lshr_b32 s0, s2, 16
	s_delay_alu instid0(SALU_CYCLE_1) | instskip(SKIP_2) | instid1(VALU_DEP_1)
	s_mul_i32 s15, s15, s0
	v_cmp_gt_i32_e64 s0, s22, v2
	v_add_lshl_u32 v3, s15, v1, 1
	v_mad_u64_u32 v[0:1], null, v3, s21, v[2:3]
	v_sub_nc_u32_e32 v18, s20, v3
	s_delay_alu instid0(VALU_DEP_1) | instskip(NEXT) | instid1(VALU_DEP_3)
	v_cmp_lt_i32_e64 s1, 0, v18
	v_ashrrev_i32_e32 v1, 31, v0
	s_delay_alu instid0(VALU_DEP_2) | instskip(NEXT) | instid1(VALU_DEP_1)
	s_and_b32 s3, s1, s0
	v_lshlrev_b64 v[0:1], 3, v[0:1]
	s_delay_alu instid0(VALU_DEP_1) | instskip(NEXT) | instid1(VALU_DEP_2)
	v_add_co_u32 v8, vcc_lo, s18, v0
	v_add_co_ci_u32_e32 v9, vcc_lo, s19, v1, vcc_lo
	s_and_saveexec_b32 s2, s3
	s_cbranch_execz .LBB14_2
; %bb.1:
	global_load_b64 v[6:7], v[8:9], off
.LBB14_2:
	s_or_b32 exec_lo, exec_lo, s2
	v_add_nc_u32_e32 v2, 64, v2
	s_delay_alu instid0(VALU_DEP_1) | instskip(SKIP_1) | instid1(SALU_CYCLE_1)
	v_cmp_gt_i32_e32 vcc_lo, s22, v2
	s_and_b32 s3, s1, vcc_lo
	s_and_saveexec_b32 s2, s3
	s_cbranch_execz .LBB14_4
; %bb.3:
	global_load_b64 v[4:5], v[8:9], off offset:512
.LBB14_4:
	s_or_b32 exec_lo, exec_lo, s2
	v_mov_b32_e32 v10, 0
	v_mov_b32_e32 v11, 0xfff00000
	v_cmp_lt_i32_e64 s2, 1, v18
	s_delay_alu instid0(VALU_DEP_2) | instskip(NEXT) | instid1(VALU_DEP_2)
	v_dual_mov_b32 v2, v10 :: v_dual_mov_b32 v3, v11
	s_and_b32 s3, s2, s0
	s_delay_alu instid0(SALU_CYCLE_1)
	s_and_saveexec_b32 s4, s3
	s_cbranch_execz .LBB14_6
; %bb.5:
	s_mov_b32 s23, 0
	s_delay_alu instid0(SALU_CYCLE_1) | instskip(NEXT) | instid1(SALU_CYCLE_1)
	s_lshl_b64 s[6:7], s[22:23], 3
	v_add_co_u32 v2, s3, v8, s6
	s_delay_alu instid0(VALU_DEP_1)
	v_add_co_ci_u32_e64 v3, s3, s7, v9, s3
	global_load_b64 v[2:3], v[2:3], off
.LBB14_6:
	s_or_b32 exec_lo, exec_lo, s4
	s_and_b32 s2, s2, vcc_lo
	s_delay_alu instid0(SALU_CYCLE_1)
	s_and_saveexec_b32 s3, s2
	s_cbranch_execz .LBB14_8
; %bb.7:
	s_mov_b32 s23, 0
	s_delay_alu instid0(SALU_CYCLE_1) | instskip(NEXT) | instid1(SALU_CYCLE_1)
	s_lshl_b64 s[4:5], s[22:23], 3
	v_add_co_u32 v8, s2, v8, s4
	s_delay_alu instid0(VALU_DEP_1)
	v_add_co_ci_u32_e64 v9, s2, s5, v9, s2
	global_load_b64 v[10:11], v[8:9], off offset:512
.LBB14_8:
	s_or_b32 exec_lo, exec_lo, s3
	s_waitcnt vmcnt(0)
	v_cmp_gt_f64_e64 s2, v[6:7], v[4:5]
	v_cmp_gt_f64_e64 s3, v[2:3], v[10:11]
	v_mbcnt_lo_u32_b32 v23, -1, 0
	s_delay_alu instid0(VALU_DEP_1) | instskip(SKIP_2) | instid1(VALU_DEP_3)
	v_or_b32_e32 v8, 32, v23
	v_xor_b32_e32 v13, 16, v23
	v_xor_b32_e32 v24, 2, v23
	v_cmp_gt_i32_e64 s4, 64, v8
	s_delay_alu instid0(VALU_DEP_1) | instskip(NEXT) | instid1(VALU_DEP_4)
	v_cndmask_b32_e64 v8, v23, v8, s4
	v_cmp_gt_i32_e64 s4, 64, v13
	s_delay_alu instid0(VALU_DEP_2) | instskip(NEXT) | instid1(VALU_DEP_2)
	v_lshlrev_b32_e32 v12, 2, v8
	v_cndmask_b32_e64 v13, v23, v13, s4
	s_delay_alu instid0(VALU_DEP_1)
	v_lshlrev_b32_e32 v13, 2, v13
	v_cndmask_b32_e64 v9, v5, v7, s2
	v_cndmask_b32_e64 v8, v4, v6, s2
	;; [unrolled: 1-line block ×4, first 2 shown]
	ds_bpermute_b32 v17, v12, v9
	ds_bpermute_b32 v16, v12, v8
	;; [unrolled: 1-line block ×4, first 2 shown]
	s_waitcnt lgkmcnt(2)
	v_cmp_lt_f64_e64 s2, v[8:9], v[16:17]
	s_waitcnt lgkmcnt(0)
	v_cmp_lt_f64_e64 s3, v[14:15], v[19:20]
	s_delay_alu instid0(VALU_DEP_2) | instskip(SKIP_1) | instid1(VALU_DEP_3)
	v_cndmask_b32_e64 v9, v9, v17, s2
	v_cndmask_b32_e64 v8, v8, v16, s2
	;; [unrolled: 1-line block ×4, first 2 shown]
	v_xor_b32_e32 v14, 8, v23
	ds_bpermute_b32 v20, v13, v9
	ds_bpermute_b32 v19, v13, v8
	;; [unrolled: 1-line block ×4, first 2 shown]
	v_cmp_gt_i32_e64 s4, 64, v14
	s_delay_alu instid0(VALU_DEP_1) | instskip(NEXT) | instid1(VALU_DEP_1)
	v_cndmask_b32_e64 v14, v23, v14, s4
	v_lshlrev_b32_e32 v14, 2, v14
	s_waitcnt lgkmcnt(2)
	v_cmp_lt_f64_e64 s2, v[8:9], v[19:20]
	s_waitcnt lgkmcnt(0)
	v_cmp_lt_f64_e64 s3, v[15:16], v[21:22]
	s_delay_alu instid0(VALU_DEP_2) | instskip(SKIP_1) | instid1(VALU_DEP_3)
	v_cndmask_b32_e64 v9, v9, v20, s2
	v_cndmask_b32_e64 v8, v8, v19, s2
	;; [unrolled: 1-line block ×4, first 2 shown]
	v_xor_b32_e32 v15, 4, v23
	ds_bpermute_b32 v20, v14, v9
	ds_bpermute_b32 v19, v14, v8
	;; [unrolled: 1-line block ×4, first 2 shown]
	v_cmp_gt_i32_e64 s4, 64, v15
	s_delay_alu instid0(VALU_DEP_1) | instskip(SKIP_1) | instid1(VALU_DEP_2)
	v_cndmask_b32_e64 v15, v23, v15, s4
	v_cmp_gt_i32_e64 s4, 64, v24
	v_lshlrev_b32_e32 v15, 2, v15
	s_delay_alu instid0(VALU_DEP_2) | instskip(NEXT) | instid1(VALU_DEP_1)
	v_cndmask_b32_e64 v24, v23, v24, s4
	v_lshlrev_b32_e32 v39, 2, v24
	s_waitcnt lgkmcnt(2)
	v_cmp_lt_f64_e64 s2, v[8:9], v[19:20]
	v_xor_b32_e32 v24, 1, v23
	s_waitcnt lgkmcnt(0)
	v_cmp_lt_f64_e64 s3, v[16:17], v[21:22]
	s_delay_alu instid0(VALU_DEP_2) | instskip(NEXT) | instid1(VALU_DEP_1)
	v_cmp_gt_i32_e64 s4, 64, v24
	v_cndmask_b32_e64 v23, v23, v24, s4
	s_mov_b32 s4, 0xfca7ab0c
	s_mov_b32 s5, 0x3e928af3
	s_delay_alu instid0(VALU_DEP_1)
	v_lshlrev_b32_e32 v40, 2, v23
	v_cndmask_b32_e64 v9, v9, v20, s2
	v_cndmask_b32_e64 v8, v8, v19, s2
	v_cndmask_b32_e64 v17, v17, v22, s3
	v_cndmask_b32_e64 v16, v16, v21, s3
	ds_bpermute_b32 v20, v15, v9
	ds_bpermute_b32 v19, v15, v8
	ds_bpermute_b32 v22, v15, v17
	ds_bpermute_b32 v21, v15, v16
	s_waitcnt lgkmcnt(2)
	v_cmp_lt_f64_e64 s2, v[8:9], v[19:20]
	s_waitcnt lgkmcnt(0)
	v_cmp_lt_f64_e64 s3, v[16:17], v[21:22]
	s_delay_alu instid0(VALU_DEP_2) | instskip(SKIP_1) | instid1(VALU_DEP_3)
	v_cndmask_b32_e64 v9, v9, v20, s2
	v_cndmask_b32_e64 v8, v8, v19, s2
	v_cndmask_b32_e64 v17, v17, v22, s3
	v_cndmask_b32_e64 v16, v16, v21, s3
	ds_bpermute_b32 v20, v39, v9
	ds_bpermute_b32 v19, v39, v8
	ds_bpermute_b32 v22, v39, v17
	ds_bpermute_b32 v21, v39, v16
	s_waitcnt lgkmcnt(2)
	v_cmp_lt_f64_e64 s2, v[8:9], v[19:20]
	s_waitcnt lgkmcnt(0)
	v_cmp_lt_f64_e64 s3, v[16:17], v[21:22]
	s_delay_alu instid0(VALU_DEP_2) | instskip(SKIP_1) | instid1(VALU_DEP_3)
	;; [unrolled: 13-line block ×3, first 2 shown]
	v_cndmask_b32_e64 v9, v9, v20, s2
	v_cndmask_b32_e64 v8, v8, v19, s2
	;; [unrolled: 1-line block ×4, first 2 shown]
	s_mov_b32 s2, 0x652b82fe
	s_mov_b32 s3, 0x3ff71547
	v_add_f64 v[6:7], v[6:7], -v[8:9]
	v_add_f64 v[8:9], v[4:5], -v[8:9]
	;; [unrolled: 1-line block ×4, first 2 shown]
	s_delay_alu instid0(VALU_DEP_4) | instskip(NEXT) | instid1(VALU_DEP_4)
	v_mul_f64 v[10:11], v[6:7], s[2:3]
	v_mul_f64 v[19:20], v[8:9], s[2:3]
	s_delay_alu instid0(VALU_DEP_4) | instskip(NEXT) | instid1(VALU_DEP_4)
	v_mul_f64 v[16:17], v[2:3], s[2:3]
	v_mul_f64 v[21:22], v[4:5], s[2:3]
	s_mov_b32 s2, 0xfefa39ef
	s_mov_b32 s3, 0xbfe62e42
	v_cmp_nlt_f64_e64 s6, 0x40900000, v[6:7]
	v_cmp_nlt_f64_e64 s8, 0x40900000, v[2:3]
	v_cmp_ngt_f64_e64 s7, 0xc090cc00, v[6:7]
	v_cmp_ngt_f64_e64 s9, 0xc090cc00, v[2:3]
	v_rndne_f64_e32 v[10:11], v[10:11]
	v_rndne_f64_e32 v[19:20], v[19:20]
	;; [unrolled: 1-line block ×4, first 2 shown]
	s_delay_alu instid0(VALU_DEP_4) | instskip(NEXT) | instid1(VALU_DEP_4)
	v_fma_f64 v[23:24], v[10:11], s[2:3], v[6:7]
	v_fma_f64 v[27:28], v[19:20], s[2:3], v[8:9]
	s_delay_alu instid0(VALU_DEP_4) | instskip(NEXT) | instid1(VALU_DEP_4)
	v_fma_f64 v[25:26], v[16:17], s[2:3], v[2:3]
	v_fma_f64 v[29:30], v[21:22], s[2:3], v[4:5]
	s_mov_b32 s2, 0x3b39803f
	s_mov_b32 s3, 0xbc7abc9e
	v_cvt_i32_f64_e32 v41, v[10:11]
	v_fma_f64 v[23:24], v[10:11], s[2:3], v[23:24]
	v_fma_f64 v[27:28], v[19:20], s[2:3], v[27:28]
	;; [unrolled: 1-line block ×4, first 2 shown]
	s_mov_b32 s2, 0x6a5dcb37
	s_mov_b32 s3, 0x3e5ade15
	s_delay_alu instid0(VALU_DEP_4) | instid1(SALU_CYCLE_1)
	v_fma_f64 v[31:32], v[23:24], s[2:3], s[4:5]
	s_delay_alu instid0(VALU_DEP_4) | instskip(NEXT) | instid1(VALU_DEP_4)
	v_fma_f64 v[35:36], v[27:28], s[2:3], s[4:5]
	v_fma_f64 v[33:34], v[25:26], s[2:3], s[4:5]
	s_delay_alu instid0(VALU_DEP_4)
	v_fma_f64 v[37:38], v[29:30], s[2:3], s[4:5]
	s_mov_b32 s2, 0x623fde64
	s_mov_b32 s3, 0x3ec71dee
	v_cmp_nlt_f64_e64 s4, 0x40900000, v[4:5]
	v_cmp_ngt_f64_e64 s5, 0xc090cc00, v[4:5]
	v_fma_f64 v[31:32], v[23:24], v[31:32], s[2:3]
	v_fma_f64 v[35:36], v[27:28], v[35:36], s[2:3]
	;; [unrolled: 1-line block ×4, first 2 shown]
	s_mov_b32 s2, 0x7c89e6b0
	s_mov_b32 s3, 0x3efa0199
	s_delay_alu instid0(VALU_DEP_4) | instid1(SALU_CYCLE_1)
	v_fma_f64 v[31:32], v[23:24], v[31:32], s[2:3]
	s_delay_alu instid0(VALU_DEP_4) | instskip(NEXT) | instid1(VALU_DEP_4)
	v_fma_f64 v[35:36], v[27:28], v[35:36], s[2:3]
	v_fma_f64 v[33:34], v[25:26], v[33:34], s[2:3]
	s_delay_alu instid0(VALU_DEP_4)
	v_fma_f64 v[37:38], v[29:30], v[37:38], s[2:3]
	s_mov_b32 s2, 0x14761f6e
	s_mov_b32 s3, 0x3f2a01a0
	s_delay_alu instid0(VALU_DEP_4) | instid1(SALU_CYCLE_1)
	v_fma_f64 v[31:32], v[23:24], v[31:32], s[2:3]
	s_delay_alu instid0(VALU_DEP_4) | instskip(NEXT) | instid1(VALU_DEP_4)
	v_fma_f64 v[35:36], v[27:28], v[35:36], s[2:3]
	v_fma_f64 v[33:34], v[25:26], v[33:34], s[2:3]
	s_delay_alu instid0(VALU_DEP_4)
	v_fma_f64 v[37:38], v[29:30], v[37:38], s[2:3]
	;; [unrolled: 9-line block ×7, first 2 shown]
	v_cmp_nlt_f64_e64 s2, 0x40900000, v[8:9]
	v_cmp_ngt_f64_e64 s3, 0xc090cc00, v[8:9]
	v_fma_f64 v[31:32], v[23:24], v[31:32], 1.0
	v_fma_f64 v[35:36], v[27:28], v[35:36], 1.0
	;; [unrolled: 1-line block ×4, first 2 shown]
	s_delay_alu instid0(VALU_DEP_4) | instskip(SKIP_1) | instid1(VALU_DEP_4)
	v_fma_f64 v[10:11], v[23:24], v[31:32], 1.0
	v_cvt_i32_f64_e32 v23, v[16:17]
	v_fma_f64 v[16:17], v[25:26], v[33:34], 1.0
	v_cvt_i32_f64_e32 v24, v[19:20]
	;; [unrolled: 2-line block ×3, first 2 shown]
	v_fma_f64 v[21:22], v[29:30], v[37:38], 1.0
	v_ldexp_f64 v[10:11], v[10:11], v41
	v_ldexp_f64 v[16:17], v[16:17], v23
	;; [unrolled: 1-line block ×3, first 2 shown]
	s_delay_alu instid0(VALU_DEP_4) | instskip(NEXT) | instid1(VALU_DEP_4)
	v_ldexp_f64 v[21:22], v[21:22], v25
	v_add_f64 v[10:11], v[10:11], 0
	s_delay_alu instid0(VALU_DEP_4) | instskip(NEXT) | instid1(VALU_DEP_4)
	v_add_f64 v[16:17], v[16:17], 0
	v_cndmask_b32_e64 v20, 0x7ff00000, v20, s2
	s_and_b32 s2, s3, s2
	s_delay_alu instid0(VALU_DEP_4)
	v_cndmask_b32_e64 v22, 0x7ff00000, v22, s4
	v_cndmask_b32_e64 v19, 0, v19, s2
	s_and_b32 s2, s5, s4
	v_cndmask_b32_e64 v20, 0, v20, s3
	v_cndmask_b32_e64 v21, 0, v21, s2
	s_and_b32 s2, s7, s6
	v_cndmask_b32_e64 v22, 0, v22, s5
	v_cndmask_b32_e64 v11, 0x7ff00000, v11, s6
	;; [unrolled: 1-line block ×4, first 2 shown]
	s_and_b32 s2, s9, s8
	s_delay_alu instid0(VALU_DEP_3) | instskip(SKIP_1) | instid1(VALU_DEP_3)
	v_cndmask_b32_e64 v11, 0, v11, s7
	v_cndmask_b32_e64 v16, 0, v16, s2
	;; [unrolled: 1-line block ×3, first 2 shown]
	s_delay_alu instid0(VALU_DEP_3) | instskip(NEXT) | instid1(VALU_DEP_2)
	v_add_f64 v[10:11], v[10:11], v[19:20]
	v_add_f64 v[16:17], v[16:17], v[21:22]
	ds_bpermute_b32 v19, v12, v10
	ds_bpermute_b32 v20, v12, v11
	ds_bpermute_b32 v21, v12, v16
	ds_bpermute_b32 v22, v12, v17
	s_waitcnt lgkmcnt(2)
	v_add_f64 v[10:11], v[10:11], v[19:20]
	s_waitcnt lgkmcnt(0)
	v_add_f64 v[16:17], v[16:17], v[21:22]
	ds_bpermute_b32 v19, v13, v10
	ds_bpermute_b32 v20, v13, v11
	ds_bpermute_b32 v12, v13, v16
	ds_bpermute_b32 v13, v13, v17
	s_waitcnt lgkmcnt(2)
	v_add_f64 v[10:11], v[10:11], v[19:20]
	s_waitcnt lgkmcnt(0)
	v_add_f64 v[12:13], v[16:17], v[12:13]
	ds_bpermute_b32 v16, v14, v10
	ds_bpermute_b32 v17, v14, v11
	ds_bpermute_b32 v19, v14, v12
	ds_bpermute_b32 v20, v14, v13
	s_waitcnt lgkmcnt(2)
	v_add_f64 v[10:11], v[10:11], v[16:17]
	s_waitcnt lgkmcnt(0)
	v_add_f64 v[12:13], v[12:13], v[19:20]
	ds_bpermute_b32 v16, v15, v10
	ds_bpermute_b32 v17, v15, v11
	ds_bpermute_b32 v14, v15, v12
	ds_bpermute_b32 v15, v15, v13
	s_waitcnt lgkmcnt(2)
	v_add_f64 v[10:11], v[10:11], v[16:17]
	s_waitcnt lgkmcnt(0)
	v_add_f64 v[12:13], v[12:13], v[14:15]
	ds_bpermute_b32 v14, v39, v10
	ds_bpermute_b32 v15, v39, v11
	ds_bpermute_b32 v16, v39, v12
	ds_bpermute_b32 v17, v39, v13
	s_waitcnt lgkmcnt(2)
	v_add_f64 v[14:15], v[10:11], v[14:15]
	s_waitcnt lgkmcnt(0)
	v_add_f64 v[10:11], v[12:13], v[16:17]
	ds_bpermute_b32 v16, v40, v14
	ds_bpermute_b32 v17, v40, v15
	;; [unrolled: 1-line block ×4, first 2 shown]
	s_and_saveexec_b32 s2, s1
	s_cbranch_execz .LBB14_16
; %bb.9:
	v_add_co_u32 v0, s1, s16, v0
	s_delay_alu instid0(VALU_DEP_1)
	v_add_co_ci_u32_e64 v1, s1, s17, v1, s1
	s_and_saveexec_b32 s2, s0
	s_cbranch_execz .LBB14_12
; %bb.10:
	s_waitcnt lgkmcnt(2)
	v_add_f64 v[15:16], v[14:15], v[16:17]
	s_mov_b32 s5, 0x3fe55555
	s_mov_b32 s4, 0x55555555
	v_mov_b32_e32 v21, 0
	s_mov_b32 s6, 0x6b47b09a
	s_mov_b32 s8, 0xbf559e2b
	;; [unrolled: 1-line block ×4, first 2 shown]
	s_delay_alu instid0(VALU_DEP_2) | instskip(SKIP_1) | instid1(VALU_DEP_2)
	v_frexp_mant_f64_e32 v[19:20], v[15:16]
	v_frexp_exp_i32_f64_e32 v14, v[15:16]
	v_cmp_gt_f64_e64 s1, s[4:5], v[19:20]
	s_mov_b32 s4, 0x55555780
	s_delay_alu instid0(VALU_DEP_1) | instskip(NEXT) | instid1(VALU_DEP_3)
	v_cndmask_b32_e64 v22, 0x3ff00000, 2.0, s1
	v_subrev_co_ci_u32_e64 v14, s1, 0, v14, s1
	v_cmp_class_f64_e64 s1, v[15:16], 0x204
	s_delay_alu instid0(VALU_DEP_3) | instskip(NEXT) | instid1(VALU_DEP_1)
	v_mul_f64 v[19:20], v[19:20], v[21:22]
	v_add_f64 v[21:22], v[19:20], 1.0
	v_add_f64 v[27:28], v[19:20], -1.0
	s_delay_alu instid0(VALU_DEP_2) | instskip(SKIP_1) | instid1(VALU_DEP_1)
	v_rcp_f64_e32 v[23:24], v[21:22]
	v_add_f64 v[29:30], v[21:22], -1.0
	v_add_f64 v[19:20], v[19:20], -v[29:30]
	s_waitcnt_depctr 0xfff
	v_fma_f64 v[25:26], -v[21:22], v[23:24], 1.0
	s_delay_alu instid0(VALU_DEP_1) | instskip(NEXT) | instid1(VALU_DEP_1)
	v_fma_f64 v[23:24], v[25:26], v[23:24], v[23:24]
	v_fma_f64 v[25:26], -v[21:22], v[23:24], 1.0
	s_delay_alu instid0(VALU_DEP_1) | instskip(NEXT) | instid1(VALU_DEP_1)
	v_fma_f64 v[23:24], v[25:26], v[23:24], v[23:24]
	v_mul_f64 v[25:26], v[27:28], v[23:24]
	s_delay_alu instid0(VALU_DEP_1) | instskip(NEXT) | instid1(VALU_DEP_1)
	v_mul_f64 v[31:32], v[21:22], v[25:26]
	v_fma_f64 v[21:22], v[25:26], v[21:22], -v[31:32]
	s_delay_alu instid0(VALU_DEP_1) | instskip(NEXT) | instid1(VALU_DEP_1)
	v_fma_f64 v[19:20], v[25:26], v[19:20], v[21:22]
	v_add_f64 v[21:22], v[31:32], v[19:20]
	s_delay_alu instid0(VALU_DEP_1) | instskip(SKIP_1) | instid1(VALU_DEP_2)
	v_add_f64 v[29:30], v[27:28], -v[21:22]
	v_add_f64 v[31:32], v[21:22], -v[31:32]
	;; [unrolled: 1-line block ×3, first 2 shown]
	s_delay_alu instid0(VALU_DEP_2) | instskip(NEXT) | instid1(VALU_DEP_2)
	v_add_f64 v[19:20], v[31:32], -v[19:20]
	v_add_f64 v[21:22], v[27:28], -v[21:22]
	s_delay_alu instid0(VALU_DEP_1) | instskip(NEXT) | instid1(VALU_DEP_1)
	v_add_f64 v[19:20], v[19:20], v[21:22]
	v_add_f64 v[19:20], v[29:30], v[19:20]
	s_delay_alu instid0(VALU_DEP_1) | instskip(NEXT) | instid1(VALU_DEP_1)
	v_mul_f64 v[19:20], v[23:24], v[19:20]
	v_add_f64 v[21:22], v[25:26], v[19:20]
	s_delay_alu instid0(VALU_DEP_1) | instskip(NEXT) | instid1(VALU_DEP_1)
	v_mul_f64 v[23:24], v[21:22], v[21:22]
	v_fma_f64 v[27:28], v[23:24], s[8:9], s[6:7]
	s_mov_b32 s6, 0xd7f4df2e
	s_mov_b32 s7, 0x3fc7474d
	v_mul_f64 v[29:30], v[21:22], v[23:24]
	s_delay_alu instid0(VALU_DEP_2)
	v_fma_f64 v[27:28], v[23:24], v[27:28], s[6:7]
	s_mov_b32 s6, 0x16291751
	s_mov_b32 s7, 0x3fcc71c0
	s_delay_alu instid0(VALU_DEP_1) | instid1(SALU_CYCLE_1)
	v_fma_f64 v[27:28], v[23:24], v[27:28], s[6:7]
	s_mov_b32 s6, 0x9b27acf1
	s_mov_b32 s7, 0x3fd24924
	s_delay_alu instid0(VALU_DEP_1) | instid1(SALU_CYCLE_1)
	;; [unrolled: 4-line block ×3, first 2 shown]
	v_fma_f64 v[27:28], v[23:24], v[27:28], s[6:7]
	s_delay_alu instid0(VALU_DEP_1) | instskip(SKIP_4) | instid1(VALU_DEP_3)
	v_fma_f64 v[23:24], v[23:24], v[27:28], s[4:5]
	v_ldexp_f64 v[27:28], v[21:22], 1
	v_add_f64 v[21:22], v[21:22], -v[25:26]
	s_mov_b32 s4, 0xfefa39ef
	s_mov_b32 s5, 0x3fe62e42
	v_mul_f64 v[23:24], v[29:30], v[23:24]
	v_cvt_f64_i32_e32 v[29:30], v14
	s_delay_alu instid0(VALU_DEP_3) | instskip(NEXT) | instid1(VALU_DEP_3)
	v_add_f64 v[19:20], v[19:20], -v[21:22]
	v_add_f64 v[25:26], v[27:28], v[23:24]
	s_delay_alu instid0(VALU_DEP_3) | instskip(NEXT) | instid1(VALU_DEP_3)
	v_mul_f64 v[31:32], v[29:30], s[4:5]
	v_ldexp_f64 v[19:20], v[19:20], 1
	s_delay_alu instid0(VALU_DEP_3) | instskip(NEXT) | instid1(VALU_DEP_3)
	v_add_f64 v[21:22], v[25:26], -v[27:28]
	v_fma_f64 v[27:28], v[29:30], s[4:5], -v[31:32]
	s_mov_b32 s4, 0x3b39803f
	s_mov_b32 s5, 0x3c7abc9e
	s_delay_alu instid0(VALU_DEP_2) | instskip(NEXT) | instid1(VALU_DEP_2)
	v_add_f64 v[21:22], v[23:24], -v[21:22]
	v_fma_f64 v[23:24], v[29:30], s[4:5], v[27:28]
	s_delay_alu instid0(VALU_DEP_2) | instskip(NEXT) | instid1(VALU_DEP_2)
	v_add_f64 v[19:20], v[19:20], v[21:22]
	v_add_f64 v[21:22], v[31:32], v[23:24]
	s_delay_alu instid0(VALU_DEP_2) | instskip(NEXT) | instid1(VALU_DEP_2)
	v_add_f64 v[27:28], v[25:26], v[19:20]
	v_add_f64 v[31:32], v[21:22], -v[31:32]
	s_delay_alu instid0(VALU_DEP_2) | instskip(SKIP_1) | instid1(VALU_DEP_3)
	v_add_f64 v[29:30], v[21:22], v[27:28]
	v_add_f64 v[25:26], v[27:28], -v[25:26]
	v_add_f64 v[23:24], v[23:24], -v[31:32]
	s_delay_alu instid0(VALU_DEP_3) | instskip(NEXT) | instid1(VALU_DEP_3)
	v_add_f64 v[33:34], v[29:30], -v[21:22]
	v_add_f64 v[19:20], v[19:20], -v[25:26]
	s_delay_alu instid0(VALU_DEP_2) | instskip(SKIP_1) | instid1(VALU_DEP_3)
	v_add_f64 v[35:36], v[29:30], -v[33:34]
	v_add_f64 v[25:26], v[27:28], -v[33:34]
	v_add_f64 v[27:28], v[23:24], v[19:20]
	s_delay_alu instid0(VALU_DEP_3) | instskip(NEXT) | instid1(VALU_DEP_1)
	v_add_f64 v[21:22], v[21:22], -v[35:36]
	v_add_f64 v[21:22], v[25:26], v[21:22]
	s_delay_alu instid0(VALU_DEP_3) | instskip(NEXT) | instid1(VALU_DEP_2)
	v_add_f64 v[25:26], v[27:28], -v[23:24]
	v_add_f64 v[21:22], v[27:28], v[21:22]
	s_delay_alu instid0(VALU_DEP_2) | instskip(SKIP_1) | instid1(VALU_DEP_3)
	v_add_f64 v[27:28], v[27:28], -v[25:26]
	v_add_f64 v[19:20], v[19:20], -v[25:26]
	v_add_f64 v[31:32], v[29:30], v[21:22]
	s_delay_alu instid0(VALU_DEP_3) | instskip(NEXT) | instid1(VALU_DEP_2)
	v_add_f64 v[23:24], v[23:24], -v[27:28]
	v_add_f64 v[25:26], v[31:32], -v[29:30]
	s_delay_alu instid0(VALU_DEP_2) | instskip(NEXT) | instid1(VALU_DEP_2)
	v_add_f64 v[19:20], v[19:20], v[23:24]
	v_add_f64 v[21:22], v[21:22], -v[25:26]
	s_delay_alu instid0(VALU_DEP_1) | instskip(NEXT) | instid1(VALU_DEP_1)
	v_add_f64 v[19:20], v[19:20], v[21:22]
	v_add_f64 v[19:20], v[31:32], v[19:20]
	s_delay_alu instid0(VALU_DEP_1) | instskip(NEXT) | instid1(VALU_DEP_2)
	v_cndmask_b32_e64 v14, v19, v15, s1
	v_cndmask_b32_e64 v17, v20, v16, s1
	v_cmp_ngt_f64_e64 s1, 0, v[15:16]
	s_delay_alu instid0(VALU_DEP_1) | instskip(SKIP_1) | instid1(VALU_DEP_1)
	v_cndmask_b32_e64 v17, 0x7ff80000, v17, s1
	v_cmp_nge_f64_e64 s1, 0, v[15:16]
	v_cndmask_b32_e64 v14, 0, v14, s1
	v_cmp_neq_f64_e64 s1, 0, v[15:16]
	s_delay_alu instid0(VALU_DEP_1) | instskip(NEXT) | instid1(VALU_DEP_1)
	v_cndmask_b32_e64 v15, 0xfff00000, v17, s1
	v_add_f64 v[6:7], v[6:7], -v[14:15]
	global_store_b64 v[0:1], v[6:7], off
	s_and_b32 exec_lo, exec_lo, vcc_lo
	s_cbranch_execz .LBB14_12
; %bb.11:
	v_add_f64 v[6:7], v[8:9], -v[14:15]
	global_store_b64 v[0:1], v[6:7], off offset:512
.LBB14_12:
	s_or_b32 exec_lo, exec_lo, s2
	v_cmp_ne_u32_e64 s1, 1, v18
	s_delay_alu instid0(VALU_DEP_1)
	s_and_b32 exec_lo, exec_lo, s1
	s_cbranch_execz .LBB14_16
; %bb.13:
	s_and_b32 exec_lo, exec_lo, s0
	s_cbranch_execz .LBB14_16
; %bb.14:
	s_waitcnt lgkmcnt(0)
	v_add_f64 v[7:8], v[10:11], v[12:13]
	s_mov_b32 s3, 0x3fe55555
	s_mov_b32 s2, 0x55555555
	v_mov_b32_e32 v11, 0
	s_mov_b32 s4, 0x6b47b09a
	s_mov_b32 s6, 0xbf559e2b
	;; [unrolled: 1-line block ×5, first 2 shown]
	s_delay_alu instid0(VALU_DEP_2) | instskip(SKIP_1) | instid1(VALU_DEP_2)
	v_frexp_mant_f64_e32 v[9:10], v[7:8]
	v_frexp_exp_i32_f64_e32 v6, v[7:8]
	v_cmp_gt_f64_e64 s0, s[2:3], v[9:10]
	s_mov_b32 s2, 0x55555780
	s_delay_alu instid0(VALU_DEP_1) | instskip(NEXT) | instid1(VALU_DEP_3)
	v_cndmask_b32_e64 v12, 0x3ff00000, 2.0, s0
	v_subrev_co_ci_u32_e64 v6, s0, 0, v6, s0
	s_mov_b32 s0, 0xfefa39ef
	s_mov_b32 s1, 0x3fe62e42
	s_delay_alu instid0(VALU_DEP_2) | instskip(NEXT) | instid1(VALU_DEP_1)
	v_mul_f64 v[9:10], v[9:10], v[11:12]
	v_add_f64 v[11:12], v[9:10], 1.0
	v_add_f64 v[17:18], v[9:10], -1.0
	s_delay_alu instid0(VALU_DEP_2) | instskip(SKIP_1) | instid1(VALU_DEP_1)
	v_rcp_f64_e32 v[13:14], v[11:12]
	v_add_f64 v[19:20], v[11:12], -1.0
	v_add_f64 v[9:10], v[9:10], -v[19:20]
	s_waitcnt_depctr 0xfff
	v_fma_f64 v[15:16], -v[11:12], v[13:14], 1.0
	s_delay_alu instid0(VALU_DEP_1) | instskip(NEXT) | instid1(VALU_DEP_1)
	v_fma_f64 v[13:14], v[15:16], v[13:14], v[13:14]
	v_fma_f64 v[15:16], -v[11:12], v[13:14], 1.0
	s_delay_alu instid0(VALU_DEP_1) | instskip(NEXT) | instid1(VALU_DEP_1)
	v_fma_f64 v[13:14], v[15:16], v[13:14], v[13:14]
	v_mul_f64 v[15:16], v[17:18], v[13:14]
	s_delay_alu instid0(VALU_DEP_1) | instskip(NEXT) | instid1(VALU_DEP_1)
	v_mul_f64 v[21:22], v[11:12], v[15:16]
	v_fma_f64 v[11:12], v[15:16], v[11:12], -v[21:22]
	s_delay_alu instid0(VALU_DEP_1) | instskip(NEXT) | instid1(VALU_DEP_1)
	v_fma_f64 v[9:10], v[15:16], v[9:10], v[11:12]
	v_add_f64 v[11:12], v[21:22], v[9:10]
	s_delay_alu instid0(VALU_DEP_1) | instskip(SKIP_1) | instid1(VALU_DEP_2)
	v_add_f64 v[19:20], v[17:18], -v[11:12]
	v_add_f64 v[21:22], v[11:12], -v[21:22]
	;; [unrolled: 1-line block ×3, first 2 shown]
	s_delay_alu instid0(VALU_DEP_2) | instskip(NEXT) | instid1(VALU_DEP_2)
	v_add_f64 v[9:10], v[21:22], -v[9:10]
	v_add_f64 v[11:12], v[17:18], -v[11:12]
	s_delay_alu instid0(VALU_DEP_1) | instskip(NEXT) | instid1(VALU_DEP_1)
	v_add_f64 v[9:10], v[9:10], v[11:12]
	v_add_f64 v[9:10], v[19:20], v[9:10]
	s_delay_alu instid0(VALU_DEP_1) | instskip(NEXT) | instid1(VALU_DEP_1)
	v_mul_f64 v[9:10], v[13:14], v[9:10]
	v_add_f64 v[11:12], v[15:16], v[9:10]
	s_delay_alu instid0(VALU_DEP_1) | instskip(NEXT) | instid1(VALU_DEP_1)
	v_mul_f64 v[13:14], v[11:12], v[11:12]
	v_fma_f64 v[17:18], v[13:14], s[6:7], s[4:5]
	s_mov_b32 s4, 0xd7f4df2e
	s_mov_b32 s5, 0x3fc7474d
	v_mul_f64 v[19:20], v[11:12], v[13:14]
	s_delay_alu instid0(VALU_DEP_2)
	v_fma_f64 v[17:18], v[13:14], v[17:18], s[4:5]
	s_mov_b32 s4, 0x16291751
	s_mov_b32 s5, 0x3fcc71c0
	s_delay_alu instid0(VALU_DEP_1) | instid1(SALU_CYCLE_1)
	v_fma_f64 v[17:18], v[13:14], v[17:18], s[4:5]
	s_mov_b32 s4, 0x9b27acf1
	s_mov_b32 s5, 0x3fd24924
	s_delay_alu instid0(VALU_DEP_1) | instid1(SALU_CYCLE_1)
	;; [unrolled: 4-line block ×3, first 2 shown]
	v_fma_f64 v[17:18], v[13:14], v[17:18], s[4:5]
	s_delay_alu instid0(VALU_DEP_1) | instskip(SKIP_2) | instid1(VALU_DEP_3)
	v_fma_f64 v[13:14], v[13:14], v[17:18], s[2:3]
	v_ldexp_f64 v[17:18], v[11:12], 1
	v_add_f64 v[11:12], v[11:12], -v[15:16]
	v_mul_f64 v[13:14], v[19:20], v[13:14]
	v_cvt_f64_i32_e32 v[19:20], v6
	s_delay_alu instid0(VALU_DEP_3) | instskip(NEXT) | instid1(VALU_DEP_3)
	v_add_f64 v[9:10], v[9:10], -v[11:12]
	v_add_f64 v[15:16], v[17:18], v[13:14]
	s_delay_alu instid0(VALU_DEP_3) | instskip(NEXT) | instid1(VALU_DEP_3)
	v_mul_f64 v[21:22], v[19:20], s[0:1]
	v_ldexp_f64 v[9:10], v[9:10], 1
	s_delay_alu instid0(VALU_DEP_3) | instskip(NEXT) | instid1(VALU_DEP_3)
	v_add_f64 v[11:12], v[15:16], -v[17:18]
	v_fma_f64 v[17:18], v[19:20], s[0:1], -v[21:22]
	s_mov_b32 s0, 0x3b39803f
	s_mov_b32 s1, 0x3c7abc9e
	s_delay_alu instid0(VALU_DEP_2) | instskip(NEXT) | instid1(VALU_DEP_2)
	v_add_f64 v[11:12], v[13:14], -v[11:12]
	v_fma_f64 v[13:14], v[19:20], s[0:1], v[17:18]
	v_cmp_class_f64_e64 s0, v[7:8], 0x204
	s_delay_alu instid0(VALU_DEP_3) | instskip(NEXT) | instid1(VALU_DEP_3)
	v_add_f64 v[9:10], v[9:10], v[11:12]
	v_add_f64 v[11:12], v[21:22], v[13:14]
	s_delay_alu instid0(VALU_DEP_2) | instskip(NEXT) | instid1(VALU_DEP_2)
	v_add_f64 v[17:18], v[15:16], v[9:10]
	v_add_f64 v[21:22], v[11:12], -v[21:22]
	s_delay_alu instid0(VALU_DEP_2) | instskip(SKIP_1) | instid1(VALU_DEP_3)
	v_add_f64 v[19:20], v[11:12], v[17:18]
	v_add_f64 v[15:16], v[17:18], -v[15:16]
	v_add_f64 v[13:14], v[13:14], -v[21:22]
	s_delay_alu instid0(VALU_DEP_3) | instskip(NEXT) | instid1(VALU_DEP_3)
	v_add_f64 v[23:24], v[19:20], -v[11:12]
	v_add_f64 v[9:10], v[9:10], -v[15:16]
	s_delay_alu instid0(VALU_DEP_2) | instskip(SKIP_1) | instid1(VALU_DEP_3)
	v_add_f64 v[25:26], v[19:20], -v[23:24]
	v_add_f64 v[15:16], v[17:18], -v[23:24]
	v_add_f64 v[17:18], v[13:14], v[9:10]
	s_delay_alu instid0(VALU_DEP_3) | instskip(NEXT) | instid1(VALU_DEP_1)
	v_add_f64 v[11:12], v[11:12], -v[25:26]
	v_add_f64 v[11:12], v[15:16], v[11:12]
	s_delay_alu instid0(VALU_DEP_3) | instskip(NEXT) | instid1(VALU_DEP_2)
	v_add_f64 v[15:16], v[17:18], -v[13:14]
	v_add_f64 v[11:12], v[17:18], v[11:12]
	s_delay_alu instid0(VALU_DEP_2) | instskip(SKIP_1) | instid1(VALU_DEP_3)
	v_add_f64 v[17:18], v[17:18], -v[15:16]
	v_add_f64 v[9:10], v[9:10], -v[15:16]
	v_add_f64 v[21:22], v[19:20], v[11:12]
	s_delay_alu instid0(VALU_DEP_3) | instskip(NEXT) | instid1(VALU_DEP_2)
	v_add_f64 v[13:14], v[13:14], -v[17:18]
	v_add_f64 v[15:16], v[21:22], -v[19:20]
	s_delay_alu instid0(VALU_DEP_2) | instskip(NEXT) | instid1(VALU_DEP_2)
	v_add_f64 v[9:10], v[9:10], v[13:14]
	v_add_f64 v[11:12], v[11:12], -v[15:16]
	s_delay_alu instid0(VALU_DEP_1) | instskip(NEXT) | instid1(VALU_DEP_1)
	v_add_f64 v[9:10], v[9:10], v[11:12]
	v_add_f64 v[9:10], v[21:22], v[9:10]
	s_delay_alu instid0(VALU_DEP_1) | instskip(NEXT) | instid1(VALU_DEP_2)
	v_cndmask_b32_e64 v6, v9, v7, s0
	v_cndmask_b32_e64 v9, v10, v8, s0
	v_cmp_ngt_f64_e64 s0, 0, v[7:8]
	s_delay_alu instid0(VALU_DEP_1) | instskip(SKIP_1) | instid1(VALU_DEP_1)
	v_cndmask_b32_e64 v9, 0x7ff80000, v9, s0
	v_cmp_nge_f64_e64 s0, 0, v[7:8]
	v_cndmask_b32_e64 v6, 0, v6, s0
	v_cmp_neq_f64_e64 s0, 0, v[7:8]
	s_delay_alu instid0(VALU_DEP_1) | instskip(SKIP_1) | instid1(SALU_CYCLE_1)
	v_cndmask_b32_e64 v7, 0xfff00000, v9, s0
	s_lshl_b64 s[0:1], s[22:23], 3
	v_add_co_u32 v8, s0, v0, s0
	s_delay_alu instid0(VALU_DEP_2)
	v_add_f64 v[2:3], v[2:3], -v[6:7]
	v_add_co_ci_u32_e64 v9, s0, s1, v1, s0
	global_store_b64 v[8:9], v[2:3], off
	s_and_b32 exec_lo, exec_lo, vcc_lo
	s_cbranch_execz .LBB14_16
; %bb.15:
	v_add_f64 v[2:3], v[4:5], -v[6:7]
	s_ashr_i32 s23, s22, 31
	s_delay_alu instid0(SALU_CYCLE_1) | instskip(NEXT) | instid1(SALU_CYCLE_1)
	s_lshl_b64 s[0:1], s[22:23], 3
	v_add_co_u32 v0, vcc_lo, v0, s0
	v_add_co_ci_u32_e32 v1, vcc_lo, s1, v1, vcc_lo
	global_store_b64 v[0:1], v[2:3], off offset:512
.LBB14_16:
	s_nop 0
	s_sendmsg sendmsg(MSG_DEALLOC_VGPRS)
	s_endpgm
	.section	.rodata,"a",@progbits
	.p2align	6, 0x0
	.amdhsa_kernel _ZN12_GLOBAL__N_120softmax_warp_forwardIdddLi7ELb1ELb0ELi64EEEvPT0_PKT_iiiPKbib
		.amdhsa_group_segment_fixed_size 0
		.amdhsa_private_segment_fixed_size 0
		.amdhsa_kernarg_size 304
		.amdhsa_user_sgpr_count 15
		.amdhsa_user_sgpr_dispatch_ptr 0
		.amdhsa_user_sgpr_queue_ptr 0
		.amdhsa_user_sgpr_kernarg_segment_ptr 1
		.amdhsa_user_sgpr_dispatch_id 0
		.amdhsa_user_sgpr_private_segment_size 0
		.amdhsa_wavefront_size32 1
		.amdhsa_uses_dynamic_stack 0
		.amdhsa_enable_private_segment 0
		.amdhsa_system_sgpr_workgroup_id_x 1
		.amdhsa_system_sgpr_workgroup_id_y 0
		.amdhsa_system_sgpr_workgroup_id_z 0
		.amdhsa_system_sgpr_workgroup_info 0
		.amdhsa_system_vgpr_workitem_id 1
		.amdhsa_next_free_vgpr 42
		.amdhsa_next_free_sgpr 24
		.amdhsa_reserve_vcc 1
		.amdhsa_float_round_mode_32 0
		.amdhsa_float_round_mode_16_64 0
		.amdhsa_float_denorm_mode_32 3
		.amdhsa_float_denorm_mode_16_64 3
		.amdhsa_dx10_clamp 1
		.amdhsa_ieee_mode 1
		.amdhsa_fp16_overflow 0
		.amdhsa_workgroup_processor_mode 1
		.amdhsa_memory_ordered 1
		.amdhsa_forward_progress 0
		.amdhsa_shared_vgpr_count 0
		.amdhsa_exception_fp_ieee_invalid_op 0
		.amdhsa_exception_fp_denorm_src 0
		.amdhsa_exception_fp_ieee_div_zero 0
		.amdhsa_exception_fp_ieee_overflow 0
		.amdhsa_exception_fp_ieee_underflow 0
		.amdhsa_exception_fp_ieee_inexact 0
		.amdhsa_exception_int_div_zero 0
	.end_amdhsa_kernel
	.section	.text._ZN12_GLOBAL__N_120softmax_warp_forwardIdddLi7ELb1ELb0ELi64EEEvPT0_PKT_iiiPKbib,"axG",@progbits,_ZN12_GLOBAL__N_120softmax_warp_forwardIdddLi7ELb1ELb0ELi64EEEvPT0_PKT_iiiPKbib,comdat
.Lfunc_end14:
	.size	_ZN12_GLOBAL__N_120softmax_warp_forwardIdddLi7ELb1ELb0ELi64EEEvPT0_PKT_iiiPKbib, .Lfunc_end14-_ZN12_GLOBAL__N_120softmax_warp_forwardIdddLi7ELb1ELb0ELi64EEEvPT0_PKT_iiiPKbib
                                        ; -- End function
	.section	.AMDGPU.csdata,"",@progbits
; Kernel info:
; codeLenInByte = 4772
; NumSgprs: 26
; NumVgprs: 42
; ScratchSize: 0
; MemoryBound: 0
; FloatMode: 240
; IeeeMode: 1
; LDSByteSize: 0 bytes/workgroup (compile time only)
; SGPRBlocks: 3
; VGPRBlocks: 5
; NumSGPRsForWavesPerEU: 26
; NumVGPRsForWavesPerEU: 42
; Occupancy: 16
; WaveLimiterHint : 0
; COMPUTE_PGM_RSRC2:SCRATCH_EN: 0
; COMPUTE_PGM_RSRC2:USER_SGPR: 15
; COMPUTE_PGM_RSRC2:TRAP_HANDLER: 0
; COMPUTE_PGM_RSRC2:TGID_X_EN: 1
; COMPUTE_PGM_RSRC2:TGID_Y_EN: 0
; COMPUTE_PGM_RSRC2:TGID_Z_EN: 0
; COMPUTE_PGM_RSRC2:TIDIG_COMP_CNT: 1
	.section	.text._ZN12_GLOBAL__N_120softmax_warp_forwardIdddLi7ELb1ELb0ELi32EEEvPT0_PKT_iiiPKbib,"axG",@progbits,_ZN12_GLOBAL__N_120softmax_warp_forwardIdddLi7ELb1ELb0ELi32EEEvPT0_PKT_iiiPKbib,comdat
	.globl	_ZN12_GLOBAL__N_120softmax_warp_forwardIdddLi7ELb1ELb0ELi32EEEvPT0_PKT_iiiPKbib ; -- Begin function _ZN12_GLOBAL__N_120softmax_warp_forwardIdddLi7ELb1ELb0ELi32EEEvPT0_PKT_iiiPKbib
	.p2align	8
	.type	_ZN12_GLOBAL__N_120softmax_warp_forwardIdddLi7ELb1ELb0ELi32EEEvPT0_PKT_iiiPKbib,@function
_ZN12_GLOBAL__N_120softmax_warp_forwardIdddLi7ELb1ELb0ELi32EEEvPT0_PKT_iiiPKbib: ; @_ZN12_GLOBAL__N_120softmax_warp_forwardIdddLi7ELb1ELb0ELi32EEEvPT0_PKT_iiiPKbib
; %bb.0:
	s_clause 0x1
	s_load_b32 s2, s[0:1], 0x3c
	s_load_b256 s[16:23], s[0:1], 0x0
	v_bfe_u32 v1, v0, 10, 10
	v_mov_b32_e32 v4, 0
	v_mov_b32_e32 v5, 0xfff00000
	s_delay_alu instid0(VALU_DEP_1) | instskip(NEXT) | instid1(VALU_DEP_3)
	v_dual_mov_b32 v9, v5 :: v_dual_and_b32 v2, 0x3ff, v0
	v_mov_b32_e32 v8, v4
	s_waitcnt lgkmcnt(0)
	s_lshr_b32 s0, s2, 16
	s_delay_alu instid0(VALU_DEP_2) | instskip(SKIP_1) | instid1(SALU_CYCLE_1)
	v_cmp_gt_i32_e64 s2, s22, v2
	s_mul_i32 s15, s15, s0
	v_add_lshl_u32 v3, s15, v1, 1
	s_delay_alu instid0(VALU_DEP_1) | instskip(SKIP_1) | instid1(VALU_DEP_1)
	v_mad_u64_u32 v[0:1], null, v3, s21, v[2:3]
	v_sub_nc_u32_e32 v26, s20, v3
	v_cmp_lt_i32_e64 s3, 0, v26
	s_delay_alu instid0(VALU_DEP_3) | instskip(NEXT) | instid1(VALU_DEP_2)
	v_ashrrev_i32_e32 v1, 31, v0
	s_and_b32 s1, s3, s2
	s_delay_alu instid0(VALU_DEP_1) | instskip(NEXT) | instid1(VALU_DEP_1)
	v_lshlrev_b64 v[0:1], 3, v[0:1]
	v_add_co_u32 v12, vcc_lo, s18, v0
	s_delay_alu instid0(VALU_DEP_2)
	v_add_co_ci_u32_e32 v13, vcc_lo, s19, v1, vcc_lo
	s_and_saveexec_b32 s0, s1
	s_cbranch_execz .LBB15_2
; %bb.1:
	global_load_b64 v[8:9], v[12:13], off
.LBB15_2:
	s_or_b32 exec_lo, exec_lo, s0
	v_add_nc_u32_e32 v3, 32, v2
	s_delay_alu instid0(VALU_DEP_1) | instskip(SKIP_1) | instid1(SALU_CYCLE_1)
	v_cmp_gt_i32_e32 vcc_lo, s22, v3
	s_and_b32 s1, s3, vcc_lo
	s_and_saveexec_b32 s0, s1
	s_cbranch_execz .LBB15_4
; %bb.3:
	global_load_b64 v[4:5], v[12:13], off offset:256
.LBB15_4:
	s_or_b32 exec_lo, exec_lo, s0
	v_dual_mov_b32 v10, 0 :: v_dual_add_nc_u32 v3, 64, v2
	v_mov_b32_e32 v11, 0xfff00000
	s_delay_alu instid0(VALU_DEP_2) | instskip(NEXT) | instid1(VALU_DEP_3)
	v_mov_b32_e32 v6, v10
	v_cmp_gt_i32_e64 s0, s22, v3
	s_delay_alu instid0(VALU_DEP_3) | instskip(NEXT) | instid1(VALU_DEP_2)
	v_mov_b32_e32 v7, v11
	s_and_b32 s4, s3, s0
	s_delay_alu instid0(SALU_CYCLE_1)
	s_and_saveexec_b32 s1, s4
	s_cbranch_execz .LBB15_6
; %bb.5:
	global_load_b64 v[6:7], v[12:13], off offset:512
.LBB15_6:
	s_or_b32 exec_lo, exec_lo, s1
	v_add_nc_u32_e32 v2, 0x60, v2
	s_delay_alu instid0(VALU_DEP_1) | instskip(NEXT) | instid1(VALU_DEP_1)
	v_cmp_gt_i32_e64 s1, s22, v2
	s_and_b32 s5, s3, s1
	s_delay_alu instid0(SALU_CYCLE_1)
	s_and_saveexec_b32 s4, s5
	s_cbranch_execz .LBB15_8
; %bb.7:
	global_load_b64 v[10:11], v[12:13], off offset:768
.LBB15_8:
	s_or_b32 exec_lo, exec_lo, s4
	v_mov_b32_e32 v14, 0
	v_mov_b32_e32 v15, 0xfff00000
	v_cmp_lt_i32_e64 s4, 1, v26
	s_delay_alu instid0(VALU_DEP_2) | instskip(NEXT) | instid1(VALU_DEP_2)
	v_dual_mov_b32 v2, v14 :: v_dual_mov_b32 v3, v15
	s_and_b32 s5, s4, s2
	s_delay_alu instid0(SALU_CYCLE_1)
	s_and_saveexec_b32 s6, s5
	s_cbranch_execz .LBB15_10
; %bb.9:
	s_mov_b32 s23, 0
	s_delay_alu instid0(SALU_CYCLE_1) | instskip(NEXT) | instid1(SALU_CYCLE_1)
	s_lshl_b64 s[8:9], s[22:23], 3
	v_add_co_u32 v2, s5, v12, s8
	s_delay_alu instid0(VALU_DEP_1)
	v_add_co_ci_u32_e64 v3, s5, s9, v13, s5
	global_load_b64 v[2:3], v[2:3], off
.LBB15_10:
	s_or_b32 exec_lo, exec_lo, s6
	s_and_b32 s5, s4, vcc_lo
	s_delay_alu instid0(SALU_CYCLE_1)
	s_and_saveexec_b32 s6, s5
	s_cbranch_execz .LBB15_12
; %bb.11:
	s_mov_b32 s23, 0
	s_delay_alu instid0(SALU_CYCLE_1) | instskip(NEXT) | instid1(SALU_CYCLE_1)
	s_lshl_b64 s[8:9], s[22:23], 3
	v_add_co_u32 v14, s5, v12, s8
	s_delay_alu instid0(VALU_DEP_1)
	v_add_co_ci_u32_e64 v15, s5, s9, v13, s5
	global_load_b64 v[14:15], v[14:15], off offset:256
.LBB15_12:
	s_or_b32 exec_lo, exec_lo, s6
	v_mov_b32_e32 v18, 0
	v_mov_b32_e32 v19, 0xfff00000
	s_delay_alu instid0(VALU_DEP_2) | instskip(SKIP_1) | instid1(VALU_DEP_2)
	v_mov_b32_e32 v16, v18
	s_and_b32 s5, s4, s0
	v_mov_b32_e32 v17, v19
	s_and_saveexec_b32 s6, s5
	s_cbranch_execz .LBB15_14
; %bb.13:
	s_mov_b32 s23, 0
	s_delay_alu instid0(SALU_CYCLE_1) | instskip(NEXT) | instid1(SALU_CYCLE_1)
	s_lshl_b64 s[8:9], s[22:23], 3
	v_add_co_u32 v16, s5, v12, s8
	s_delay_alu instid0(VALU_DEP_1)
	v_add_co_ci_u32_e64 v17, s5, s9, v13, s5
	global_load_b64 v[16:17], v[16:17], off offset:512
.LBB15_14:
	s_or_b32 exec_lo, exec_lo, s6
	s_and_b32 s4, s4, s1
	s_delay_alu instid0(SALU_CYCLE_1)
	s_and_saveexec_b32 s5, s4
	s_cbranch_execz .LBB15_16
; %bb.15:
	s_mov_b32 s23, 0
	s_delay_alu instid0(SALU_CYCLE_1) | instskip(NEXT) | instid1(SALU_CYCLE_1)
	s_lshl_b64 s[6:7], s[22:23], 3
	v_add_co_u32 v12, s4, v12, s6
	s_delay_alu instid0(VALU_DEP_1)
	v_add_co_ci_u32_e64 v13, s4, s7, v13, s4
	global_load_b64 v[18:19], v[12:13], off offset:768
.LBB15_16:
	s_or_b32 exec_lo, exec_lo, s5
	s_waitcnt vmcnt(0)
	v_cmp_gt_f64_e64 s4, v[8:9], v[4:5]
	v_cmp_gt_f64_e64 s5, v[2:3], v[14:15]
	v_mbcnt_lo_u32_b32 v32, -1, 0
	s_mov_b32 s8, 0xfca7ab0c
	s_mov_b32 s10, 0x6a5dcb37
	;; [unrolled: 1-line block ×4, first 2 shown]
	s_delay_alu instid0(VALU_DEP_3) | instskip(SKIP_1) | instid1(VALU_DEP_4)
	v_cndmask_b32_e64 v13, v5, v9, s4
	v_cndmask_b32_e64 v12, v4, v8, s4
	;; [unrolled: 1-line block ×4, first 2 shown]
	s_delay_alu instid0(VALU_DEP_3) | instskip(NEXT) | instid1(VALU_DEP_2)
	v_cmp_gt_f64_e64 s4, v[12:13], v[6:7]
	v_cmp_gt_f64_e64 s5, v[20:21], v[16:17]
	s_delay_alu instid0(VALU_DEP_2) | instskip(SKIP_1) | instid1(VALU_DEP_3)
	v_cndmask_b32_e64 v13, v7, v13, s4
	v_cndmask_b32_e64 v12, v6, v12, s4
	;; [unrolled: 1-line block ×4, first 2 shown]
	v_xor_b32_e32 v20, 16, v32
	s_delay_alu instid0(VALU_DEP_4) | instskip(NEXT) | instid1(VALU_DEP_3)
	v_cmp_gt_f64_e64 s4, v[12:13], v[10:11]
	v_cmp_gt_f64_e64 s5, v[21:22], v[18:19]
	s_delay_alu instid0(VALU_DEP_3) | instskip(NEXT) | instid1(VALU_DEP_1)
	v_cmp_gt_i32_e64 s6, 32, v20
	v_cndmask_b32_e64 v20, v32, v20, s6
	s_delay_alu instid0(VALU_DEP_1)
	v_lshlrev_b32_e32 v20, 2, v20
	v_cndmask_b32_e64 v13, v11, v13, s4
	v_cndmask_b32_e64 v12, v10, v12, s4
	v_cndmask_b32_e64 v23, v19, v22, s5
	v_cndmask_b32_e64 v22, v18, v21, s5
	v_xor_b32_e32 v21, 8, v32
	ds_bpermute_b32 v25, v20, v13
	ds_bpermute_b32 v24, v20, v12
	ds_bpermute_b32 v28, v20, v23
	ds_bpermute_b32 v27, v20, v22
	v_cmp_gt_i32_e64 s6, 32, v21
	s_delay_alu instid0(VALU_DEP_1) | instskip(NEXT) | instid1(VALU_DEP_1)
	v_cndmask_b32_e64 v21, v32, v21, s6
	v_lshlrev_b32_e32 v21, 2, v21
	s_waitcnt lgkmcnt(2)
	v_cmp_lt_f64_e64 s4, v[12:13], v[24:25]
	s_waitcnt lgkmcnt(0)
	v_cmp_lt_f64_e64 s5, v[22:23], v[27:28]
	s_delay_alu instid0(VALU_DEP_2) | instskip(SKIP_1) | instid1(VALU_DEP_3)
	v_cndmask_b32_e64 v13, v13, v25, s4
	v_cndmask_b32_e64 v12, v12, v24, s4
	v_cndmask_b32_e64 v24, v23, v28, s5
	v_cndmask_b32_e64 v23, v22, v27, s5
	v_xor_b32_e32 v22, 4, v32
	ds_bpermute_b32 v28, v21, v13
	ds_bpermute_b32 v27, v21, v12
	ds_bpermute_b32 v30, v21, v24
	ds_bpermute_b32 v29, v21, v23
	v_cmp_gt_i32_e64 s6, 32, v22
	s_delay_alu instid0(VALU_DEP_1) | instskip(NEXT) | instid1(VALU_DEP_1)
	v_cndmask_b32_e64 v22, v32, v22, s6
	v_lshlrev_b32_e32 v22, 2, v22
	s_waitcnt lgkmcnt(2)
	v_cmp_lt_f64_e64 s4, v[12:13], v[27:28]
	s_waitcnt lgkmcnt(0)
	v_cmp_lt_f64_e64 s5, v[23:24], v[29:30]
	s_delay_alu instid0(VALU_DEP_2) | instskip(SKIP_1) | instid1(VALU_DEP_3)
	;; [unrolled: 18-line block ×3, first 2 shown]
	v_cndmask_b32_e64 v13, v13, v28, s4
	v_cndmask_b32_e64 v12, v12, v27, s4
	;; [unrolled: 1-line block ×4, first 2 shown]
	v_xor_b32_e32 v27, 1, v32
	ds_bpermute_b32 v29, v23, v13
	ds_bpermute_b32 v28, v23, v12
	;; [unrolled: 1-line block ×4, first 2 shown]
	v_cmp_gt_i32_e64 s6, 32, v27
	s_delay_alu instid0(VALU_DEP_1) | instskip(SKIP_2) | instid1(VALU_DEP_1)
	v_cndmask_b32_e64 v27, v32, v27, s6
	s_mov_b32 s6, 0xfefa39ef
	s_mov_b32 s7, 0xbfe62e42
	v_lshlrev_b32_e32 v27, 2, v27
	s_waitcnt lgkmcnt(2)
	v_cmp_lt_f64_e64 s4, v[12:13], v[28:29]
	s_waitcnt lgkmcnt(0)
	v_cmp_lt_f64_e64 s5, v[24:25], v[30:31]
	s_delay_alu instid0(VALU_DEP_2) | instskip(SKIP_1) | instid1(VALU_DEP_3)
	v_cndmask_b32_e64 v13, v13, v29, s4
	v_cndmask_b32_e64 v12, v12, v28, s4
	;; [unrolled: 1-line block ×4, first 2 shown]
	ds_bpermute_b32 v29, v27, v13
	ds_bpermute_b32 v28, v27, v12
	;; [unrolled: 1-line block ×4, first 2 shown]
	s_waitcnt lgkmcnt(2)
	v_cmp_lt_f64_e64 s4, v[12:13], v[28:29]
	s_waitcnt lgkmcnt(0)
	v_cmp_lt_f64_e64 s5, v[24:25], v[30:31]
	s_delay_alu instid0(VALU_DEP_2) | instskip(SKIP_1) | instid1(VALU_DEP_3)
	v_cndmask_b32_e64 v29, v13, v29, s4
	v_cndmask_b32_e64 v28, v12, v28, s4
	;; [unrolled: 1-line block ×4, first 2 shown]
	s_mov_b32 s4, 0x652b82fe
	s_mov_b32 s5, 0x3ff71547
	v_add_f64 v[8:9], v[8:9], -v[28:29]
	v_add_f64 v[12:13], v[4:5], -v[28:29]
	;; [unrolled: 1-line block ×8, first 2 shown]
	v_mul_f64 v[30:31], v[8:9], s[4:5]
	v_mul_f64 v[34:35], v[12:13], s[4:5]
	;; [unrolled: 1-line block ×8, first 2 shown]
	s_mov_b32 s4, 0x3b39803f
	s_mov_b32 s5, 0xbc7abc9e
	v_cmp_nlt_f64_e64 s12, 0x40900000, v[14:15]
	v_cmp_nlt_f64_e64 s14, 0x40900000, v[6:7]
	v_cmp_ngt_f64_e64 s13, 0xc090cc00, v[14:15]
	v_cmp_ngt_f64_e64 s15, 0xc090cc00, v[6:7]
	v_rndne_f64_e32 v[30:31], v[30:31]
	v_rndne_f64_e32 v[28:29], v[34:35]
	;; [unrolled: 1-line block ×8, first 2 shown]
	v_fma_f64 v[36:37], v[30:31], s[6:7], v[8:9]
	v_fma_f64 v[44:45], v[28:29], s[6:7], v[12:13]
	;; [unrolled: 1-line block ×8, first 2 shown]
	s_mov_b32 s6, 0x623fde64
	s_mov_b32 s7, 0x3ec71dee
	v_cvt_i32_f64_e32 v72, v[30:31]
	v_cvt_i32_f64_e32 v73, v[32:33]
	v_fma_f64 v[36:37], v[30:31], s[4:5], v[36:37]
	v_fma_f64 v[44:45], v[28:29], s[4:5], v[44:45]
	;; [unrolled: 1-line block ×8, first 2 shown]
	s_mov_b32 s4, 0x7c89e6b0
	s_mov_b32 s5, 0x3efa0199
	v_cvt_i32_f64_e32 v40, v[40:41]
	v_cvt_i32_f64_e32 v41, v[42:43]
	v_fma_f64 v[52:53], v[36:37], s[10:11], s[8:9]
	v_fma_f64 v[60:61], v[44:45], s[10:11], s[8:9]
	;; [unrolled: 1-line block ×8, first 2 shown]
	s_mov_b32 s8, 0x14761f6e
	s_mov_b32 s9, 0x3f2a01a0
	v_cmp_nlt_f64_e64 s10, 0x40900000, v[2:3]
	v_cmp_ngt_f64_e64 s11, 0xc090cc00, v[2:3]
	v_fma_f64 v[52:53], v[36:37], v[52:53], s[6:7]
	v_fma_f64 v[60:61], v[44:45], v[60:61], s[6:7]
	v_fma_f64 v[54:55], v[38:39], v[54:55], s[6:7]
	v_fma_f64 v[62:63], v[46:47], v[62:63], s[6:7]
	v_fma_f64 v[64:65], v[48:49], v[64:65], s[6:7]
	v_fma_f64 v[66:67], v[50:51], v[66:67], s[6:7]
	v_fma_f64 v[68:69], v[56:57], v[68:69], s[6:7]
	v_fma_f64 v[70:71], v[58:59], v[70:71], s[6:7]
	s_mov_b32 s6, 0x1852b7b0
	s_mov_b32 s7, 0x3f56c16c
	v_fma_f64 v[52:53], v[36:37], v[52:53], s[4:5]
	v_fma_f64 v[60:61], v[44:45], v[60:61], s[4:5]
	v_fma_f64 v[54:55], v[38:39], v[54:55], s[4:5]
	v_fma_f64 v[62:63], v[46:47], v[62:63], s[4:5]
	v_fma_f64 v[64:65], v[48:49], v[64:65], s[4:5]
	v_fma_f64 v[66:67], v[50:51], v[66:67], s[4:5]
	v_fma_f64 v[68:69], v[56:57], v[68:69], s[4:5]
	v_fma_f64 v[70:71], v[58:59], v[70:71], s[4:5]
	s_mov_b32 s4, 0x11122322
	s_mov_b32 s5, 0x3f811111
	;; [unrolled: 10-line block ×5, first 2 shown]
	v_fma_f64 v[52:53], v[36:37], v[52:53], s[8:9]
	v_fma_f64 v[60:61], v[44:45], v[60:61], s[8:9]
	;; [unrolled: 1-line block ×8, first 2 shown]
	v_cmp_nlt_f64_e64 s8, 0x40900000, v[8:9]
	v_cmp_ngt_f64_e64 s9, 0xc090cc00, v[8:9]
	v_fma_f64 v[52:53], v[36:37], v[52:53], s[6:7]
	v_fma_f64 v[60:61], v[44:45], v[60:61], s[6:7]
	;; [unrolled: 1-line block ×8, first 2 shown]
	v_cmp_nlt_f64_e64 s6, 0x40900000, v[4:5]
	v_cmp_ngt_f64_e64 s7, 0xc090cc00, v[4:5]
	v_fma_f64 v[52:53], v[36:37], v[52:53], s[4:5]
	v_fma_f64 v[60:61], v[44:45], v[60:61], s[4:5]
	;; [unrolled: 1-line block ×6, first 2 shown]
	v_fma_f64 v[52:53], v[36:37], v[52:53], 1.0
	v_fma_f64 v[60:61], v[44:45], v[60:61], 1.0
	v_fma_f64 v[54:55], v[38:39], v[54:55], 1.0
	v_fma_f64 v[62:63], v[46:47], v[62:63], 1.0
	s_delay_alu instid0(VALU_DEP_4) | instskip(SKIP_1) | instid1(VALU_DEP_4)
	v_fma_f64 v[30:31], v[36:37], v[52:53], 1.0
	v_fma_f64 v[36:37], v[56:57], v[68:69], s[4:5]
	v_fma_f64 v[32:33], v[38:39], v[54:55], 1.0
	v_fma_f64 v[38:39], v[58:59], v[70:71], s[4:5]
	v_fma_f64 v[52:53], v[48:49], v[64:65], 1.0
	v_cvt_i32_f64_e32 v64, v[28:29]
	v_fma_f64 v[28:29], v[44:45], v[60:61], 1.0
	v_fma_f64 v[54:55], v[50:51], v[66:67], 1.0
	v_cvt_i32_f64_e32 v44, v[34:35]
	v_fma_f64 v[34:35], v[46:47], v[62:63], 1.0
	v_cmp_nlt_f64_e64 s4, 0x40900000, v[12:13]
	v_cmp_ngt_f64_e64 s5, 0xc090cc00, v[12:13]
	v_cvt_i32_f64_e32 v45, v[18:19]
	v_cvt_i32_f64_e32 v46, v[24:25]
	v_ldexp_f64 v[30:31], v[30:31], v72
	v_fma_f64 v[36:37], v[56:57], v[36:37], 1.0
	v_ldexp_f64 v[32:33], v[32:33], v73
	v_fma_f64 v[38:39], v[58:59], v[38:39], 1.0
	v_fma_f64 v[18:19], v[48:49], v[52:53], 1.0
	v_ldexp_f64 v[28:29], v[28:29], v64
	v_fma_f64 v[24:25], v[50:51], v[54:55], 1.0
	v_ldexp_f64 v[34:35], v[34:35], v44
	v_add_f64 v[30:31], v[30:31], 0
	v_fma_f64 v[36:37], v[56:57], v[36:37], 1.0
	v_add_f64 v[32:33], v[32:33], 0
	v_fma_f64 v[38:39], v[58:59], v[38:39], 1.0
	v_ldexp_f64 v[18:19], v[18:19], v45
	v_cndmask_b32_e64 v29, 0x7ff00000, v29, s4
	s_and_b32 s4, s5, s4
	v_ldexp_f64 v[24:25], v[24:25], v46
	v_cndmask_b32_e64 v28, 0, v28, s4
	s_and_b32 s4, s7, s6
	v_cndmask_b32_e64 v42, 0x7ff00000, v35, s6
	v_cndmask_b32_e64 v29, 0, v29, s5
	v_cmp_nlt_f64_e64 s6, 0x40900000, v[10:11]
	v_cmp_ngt_f64_e64 s5, 0xc090cc00, v[16:17]
	v_cndmask_b32_e64 v31, 0x7ff00000, v31, s8
	v_ldexp_f64 v[35:36], v[36:37], v40
	v_cndmask_b32_e64 v33, 0x7ff00000, v33, s10
	v_ldexp_f64 v[37:38], v[38:39], v41
	v_cndmask_b32_e64 v39, 0, v34, s4
	s_and_b32 s4, s9, s8
	v_cndmask_b32_e64 v40, 0, v42, s7
	v_cndmask_b32_e64 v30, 0, v30, s4
	s_and_b32 s4, s11, s10
	v_cndmask_b32_e64 v31, 0, v31, s9
	v_cndmask_b32_e64 v33, 0, v33, s11
	v_cndmask_b32_e64 v32, 0, v32, s4
	v_cndmask_b32_e64 v19, 0x7ff00000, v19, s12
	v_cndmask_b32_e64 v25, 0x7ff00000, v25, s14
	v_add_f64 v[28:29], v[30:31], v[28:29]
	v_cmp_nlt_f64_e64 s4, 0x40900000, v[16:17]
	v_add_f64 v[30:31], v[32:33], v[39:40]
	s_and_b32 s8, s13, s12
	v_cmp_ngt_f64_e64 s7, 0xc090cc00, v[10:11]
	v_cndmask_b32_e64 v18, 0, v18, s8
	s_and_b32 s8, s15, s14
	v_cndmask_b32_e64 v19, 0, v19, s13
	v_cndmask_b32_e64 v25, 0, v25, s15
	;; [unrolled: 1-line block ×4, first 2 shown]
	s_delay_alu instid0(VALU_DEP_4) | instskip(SKIP_1) | instid1(VALU_DEP_4)
	v_add_f64 v[18:19], v[28:29], v[18:19]
	v_cndmask_b32_e64 v32, 0x7ff00000, v36, s4
	v_add_f64 v[24:25], v[30:31], v[24:25]
	s_and_b32 s4, s5, s4
	v_cndmask_b32_e64 v31, 0, v33, s7
	v_cndmask_b32_e64 v28, 0, v35, s4
	s_and_b32 s4, s7, s6
	v_cndmask_b32_e64 v29, 0, v32, s5
	v_cndmask_b32_e64 v30, 0, v37, s4
	s_delay_alu instid0(VALU_DEP_2) | instskip(NEXT) | instid1(VALU_DEP_2)
	v_add_f64 v[18:19], v[18:19], v[28:29]
	v_add_f64 v[24:25], v[24:25], v[30:31]
	ds_bpermute_b32 v28, v20, v18
	ds_bpermute_b32 v29, v20, v19
	ds_bpermute_b32 v30, v20, v24
	ds_bpermute_b32 v31, v20, v25
	s_waitcnt lgkmcnt(2)
	v_add_f64 v[18:19], v[18:19], v[28:29]
	s_waitcnt lgkmcnt(0)
	v_add_f64 v[24:25], v[24:25], v[30:31]
	ds_bpermute_b32 v28, v21, v18
	ds_bpermute_b32 v29, v21, v19
	ds_bpermute_b32 v20, v21, v24
	ds_bpermute_b32 v21, v21, v25
	s_waitcnt lgkmcnt(2)
	v_add_f64 v[18:19], v[18:19], v[28:29]
	s_waitcnt lgkmcnt(0)
	;; [unrolled: 8-line block ×4, first 2 shown]
	v_add_f64 v[18:19], v[20:21], v[28:29]
	ds_bpermute_b32 v24, v27, v22
	ds_bpermute_b32 v25, v27, v23
	;; [unrolled: 1-line block ×4, first 2 shown]
	s_and_saveexec_b32 s4, s3
	s_cbranch_execz .LBB15_28
; %bb.17:
	v_add_co_u32 v0, s3, s16, v0
	s_delay_alu instid0(VALU_DEP_1)
	v_add_co_ci_u32_e64 v1, s3, s17, v1, s3
	s_and_saveexec_b32 s4, s2
	s_cbranch_execz .LBB15_22
; %bb.18:
	s_waitcnt lgkmcnt(2)
	v_add_f64 v[23:24], v[22:23], v[24:25]
	s_mov_b32 s7, 0x3fe55555
	s_mov_b32 s6, 0x55555555
	v_mov_b32_e32 v29, 0
	s_mov_b32 s8, 0x6b47b09a
	s_mov_b32 s10, 0xbf559e2b
	;; [unrolled: 1-line block ×4, first 2 shown]
	s_delay_alu instid0(VALU_DEP_2) | instskip(SKIP_1) | instid1(VALU_DEP_2)
	v_frexp_mant_f64_e32 v[27:28], v[23:24]
	v_frexp_exp_i32_f64_e32 v22, v[23:24]
	v_cmp_gt_f64_e64 s3, s[6:7], v[27:28]
	s_mov_b32 s6, 0x55555780
	s_delay_alu instid0(VALU_DEP_1) | instskip(NEXT) | instid1(VALU_DEP_3)
	v_cndmask_b32_e64 v30, 0x3ff00000, 2.0, s3
	v_subrev_co_ci_u32_e64 v22, s3, 0, v22, s3
	v_cmp_class_f64_e64 s3, v[23:24], 0x204
	s_delay_alu instid0(VALU_DEP_3) | instskip(NEXT) | instid1(VALU_DEP_1)
	v_mul_f64 v[27:28], v[27:28], v[29:30]
	v_add_f64 v[29:30], v[27:28], 1.0
	v_add_f64 v[35:36], v[27:28], -1.0
	s_delay_alu instid0(VALU_DEP_2) | instskip(SKIP_1) | instid1(VALU_DEP_1)
	v_rcp_f64_e32 v[31:32], v[29:30]
	v_add_f64 v[37:38], v[29:30], -1.0
	v_add_f64 v[27:28], v[27:28], -v[37:38]
	s_waitcnt_depctr 0xfff
	v_fma_f64 v[33:34], -v[29:30], v[31:32], 1.0
	s_delay_alu instid0(VALU_DEP_1) | instskip(NEXT) | instid1(VALU_DEP_1)
	v_fma_f64 v[31:32], v[33:34], v[31:32], v[31:32]
	v_fma_f64 v[33:34], -v[29:30], v[31:32], 1.0
	s_delay_alu instid0(VALU_DEP_1) | instskip(NEXT) | instid1(VALU_DEP_1)
	v_fma_f64 v[31:32], v[33:34], v[31:32], v[31:32]
	v_mul_f64 v[33:34], v[35:36], v[31:32]
	s_delay_alu instid0(VALU_DEP_1) | instskip(NEXT) | instid1(VALU_DEP_1)
	v_mul_f64 v[39:40], v[29:30], v[33:34]
	v_fma_f64 v[29:30], v[33:34], v[29:30], -v[39:40]
	s_delay_alu instid0(VALU_DEP_1) | instskip(NEXT) | instid1(VALU_DEP_1)
	v_fma_f64 v[27:28], v[33:34], v[27:28], v[29:30]
	v_add_f64 v[29:30], v[39:40], v[27:28]
	s_delay_alu instid0(VALU_DEP_1) | instskip(SKIP_1) | instid1(VALU_DEP_2)
	v_add_f64 v[37:38], v[35:36], -v[29:30]
	v_add_f64 v[39:40], v[29:30], -v[39:40]
	;; [unrolled: 1-line block ×3, first 2 shown]
	s_delay_alu instid0(VALU_DEP_2) | instskip(NEXT) | instid1(VALU_DEP_2)
	v_add_f64 v[27:28], v[39:40], -v[27:28]
	v_add_f64 v[29:30], v[35:36], -v[29:30]
	s_delay_alu instid0(VALU_DEP_1) | instskip(NEXT) | instid1(VALU_DEP_1)
	v_add_f64 v[27:28], v[27:28], v[29:30]
	v_add_f64 v[27:28], v[37:38], v[27:28]
	s_delay_alu instid0(VALU_DEP_1) | instskip(NEXT) | instid1(VALU_DEP_1)
	v_mul_f64 v[27:28], v[31:32], v[27:28]
	v_add_f64 v[29:30], v[33:34], v[27:28]
	s_delay_alu instid0(VALU_DEP_1) | instskip(NEXT) | instid1(VALU_DEP_1)
	v_mul_f64 v[31:32], v[29:30], v[29:30]
	v_fma_f64 v[35:36], v[31:32], s[10:11], s[8:9]
	s_mov_b32 s8, 0xd7f4df2e
	s_mov_b32 s9, 0x3fc7474d
	v_mul_f64 v[37:38], v[29:30], v[31:32]
	s_delay_alu instid0(VALU_DEP_2)
	v_fma_f64 v[35:36], v[31:32], v[35:36], s[8:9]
	s_mov_b32 s8, 0x16291751
	s_mov_b32 s9, 0x3fcc71c0
	s_delay_alu instid0(VALU_DEP_1) | instid1(SALU_CYCLE_1)
	v_fma_f64 v[35:36], v[31:32], v[35:36], s[8:9]
	s_mov_b32 s8, 0x9b27acf1
	s_mov_b32 s9, 0x3fd24924
	s_delay_alu instid0(VALU_DEP_1) | instid1(SALU_CYCLE_1)
	;; [unrolled: 4-line block ×3, first 2 shown]
	v_fma_f64 v[35:36], v[31:32], v[35:36], s[8:9]
	s_delay_alu instid0(VALU_DEP_1) | instskip(SKIP_4) | instid1(VALU_DEP_3)
	v_fma_f64 v[31:32], v[31:32], v[35:36], s[6:7]
	v_ldexp_f64 v[35:36], v[29:30], 1
	v_add_f64 v[29:30], v[29:30], -v[33:34]
	s_mov_b32 s6, 0xfefa39ef
	s_mov_b32 s7, 0x3fe62e42
	v_mul_f64 v[31:32], v[37:38], v[31:32]
	v_cvt_f64_i32_e32 v[37:38], v22
	s_delay_alu instid0(VALU_DEP_3) | instskip(NEXT) | instid1(VALU_DEP_3)
	v_add_f64 v[27:28], v[27:28], -v[29:30]
	v_add_f64 v[33:34], v[35:36], v[31:32]
	s_delay_alu instid0(VALU_DEP_3) | instskip(NEXT) | instid1(VALU_DEP_3)
	v_mul_f64 v[39:40], v[37:38], s[6:7]
	v_ldexp_f64 v[27:28], v[27:28], 1
	s_delay_alu instid0(VALU_DEP_3) | instskip(NEXT) | instid1(VALU_DEP_3)
	v_add_f64 v[29:30], v[33:34], -v[35:36]
	v_fma_f64 v[35:36], v[37:38], s[6:7], -v[39:40]
	s_mov_b32 s6, 0x3b39803f
	s_mov_b32 s7, 0x3c7abc9e
	s_delay_alu instid0(VALU_DEP_2) | instskip(NEXT) | instid1(VALU_DEP_2)
	v_add_f64 v[29:30], v[31:32], -v[29:30]
	v_fma_f64 v[31:32], v[37:38], s[6:7], v[35:36]
	s_delay_alu instid0(VALU_DEP_2) | instskip(NEXT) | instid1(VALU_DEP_2)
	v_add_f64 v[27:28], v[27:28], v[29:30]
	v_add_f64 v[29:30], v[39:40], v[31:32]
	s_delay_alu instid0(VALU_DEP_2) | instskip(NEXT) | instid1(VALU_DEP_2)
	v_add_f64 v[35:36], v[33:34], v[27:28]
	v_add_f64 v[39:40], v[29:30], -v[39:40]
	s_delay_alu instid0(VALU_DEP_2) | instskip(SKIP_1) | instid1(VALU_DEP_3)
	v_add_f64 v[37:38], v[29:30], v[35:36]
	v_add_f64 v[33:34], v[35:36], -v[33:34]
	v_add_f64 v[31:32], v[31:32], -v[39:40]
	s_delay_alu instid0(VALU_DEP_3) | instskip(NEXT) | instid1(VALU_DEP_3)
	v_add_f64 v[41:42], v[37:38], -v[29:30]
	v_add_f64 v[27:28], v[27:28], -v[33:34]
	s_delay_alu instid0(VALU_DEP_2) | instskip(SKIP_1) | instid1(VALU_DEP_3)
	v_add_f64 v[43:44], v[37:38], -v[41:42]
	v_add_f64 v[33:34], v[35:36], -v[41:42]
	v_add_f64 v[35:36], v[31:32], v[27:28]
	s_delay_alu instid0(VALU_DEP_3) | instskip(NEXT) | instid1(VALU_DEP_1)
	v_add_f64 v[29:30], v[29:30], -v[43:44]
	v_add_f64 v[29:30], v[33:34], v[29:30]
	s_delay_alu instid0(VALU_DEP_3) | instskip(NEXT) | instid1(VALU_DEP_2)
	v_add_f64 v[33:34], v[35:36], -v[31:32]
	v_add_f64 v[29:30], v[35:36], v[29:30]
	s_delay_alu instid0(VALU_DEP_2) | instskip(SKIP_1) | instid1(VALU_DEP_3)
	v_add_f64 v[35:36], v[35:36], -v[33:34]
	v_add_f64 v[27:28], v[27:28], -v[33:34]
	v_add_f64 v[39:40], v[37:38], v[29:30]
	s_delay_alu instid0(VALU_DEP_3) | instskip(NEXT) | instid1(VALU_DEP_2)
	v_add_f64 v[31:32], v[31:32], -v[35:36]
	v_add_f64 v[33:34], v[39:40], -v[37:38]
	s_delay_alu instid0(VALU_DEP_2) | instskip(NEXT) | instid1(VALU_DEP_2)
	v_add_f64 v[27:28], v[27:28], v[31:32]
	v_add_f64 v[29:30], v[29:30], -v[33:34]
	s_delay_alu instid0(VALU_DEP_1) | instskip(NEXT) | instid1(VALU_DEP_1)
	v_add_f64 v[27:28], v[27:28], v[29:30]
	v_add_f64 v[27:28], v[39:40], v[27:28]
	s_delay_alu instid0(VALU_DEP_1) | instskip(NEXT) | instid1(VALU_DEP_2)
	v_cndmask_b32_e64 v22, v27, v23, s3
	v_cndmask_b32_e64 v25, v28, v24, s3
	v_cmp_ngt_f64_e64 s3, 0, v[23:24]
	s_delay_alu instid0(VALU_DEP_1) | instskip(SKIP_1) | instid1(VALU_DEP_1)
	v_cndmask_b32_e64 v25, 0x7ff80000, v25, s3
	v_cmp_nge_f64_e64 s3, 0, v[23:24]
	v_cndmask_b32_e64 v22, 0, v22, s3
	v_cmp_neq_f64_e64 s3, 0, v[23:24]
	s_delay_alu instid0(VALU_DEP_1) | instskip(NEXT) | instid1(VALU_DEP_1)
	v_cndmask_b32_e64 v23, 0xfff00000, v25, s3
	v_add_f64 v[8:9], v[8:9], -v[22:23]
	global_store_b64 v[0:1], v[8:9], off
	s_and_b32 exec_lo, exec_lo, vcc_lo
	s_cbranch_execz .LBB15_22
; %bb.19:
	v_add_f64 v[8:9], v[12:13], -v[22:23]
	global_store_b64 v[0:1], v[8:9], off offset:256
	s_and_b32 exec_lo, exec_lo, s0
	s_cbranch_execz .LBB15_22
; %bb.20:
	v_add_f64 v[8:9], v[14:15], -v[22:23]
	global_store_b64 v[0:1], v[8:9], off offset:512
	s_and_b32 exec_lo, exec_lo, s1
	s_cbranch_execz .LBB15_22
; %bb.21:
	v_add_f64 v[8:9], v[16:17], -v[22:23]
	global_store_b64 v[0:1], v[8:9], off offset:768
.LBB15_22:
	s_or_b32 exec_lo, exec_lo, s4
	v_cmp_ne_u32_e64 s3, 1, v26
	s_delay_alu instid0(VALU_DEP_1)
	s_and_b32 exec_lo, exec_lo, s3
	s_cbranch_execz .LBB15_28
; %bb.23:
	s_and_b32 exec_lo, exec_lo, s2
	s_cbranch_execz .LBB15_28
; %bb.24:
	s_waitcnt lgkmcnt(0)
	v_add_f64 v[12:13], v[18:19], v[20:21]
	s_mov_b32 s5, 0x3fe55555
	s_mov_b32 s4, 0x55555555
	v_mov_b32_e32 v14, 0
	s_mov_b32 s6, 0x6b47b09a
	s_mov_b32 s8, 0xbf559e2b
	;; [unrolled: 1-line block ×4, first 2 shown]
	s_ashr_i32 s23, s22, 31
	s_delay_alu instid0(VALU_DEP_2) | instskip(NEXT) | instid1(VALU_DEP_1)
	v_frexp_mant_f64_e32 v[8:9], v[12:13]
	v_cmp_gt_f64_e64 s2, s[4:5], v[8:9]
	s_mov_b32 s4, 0x55555780
	s_delay_alu instid0(VALU_DEP_1) | instskip(NEXT) | instid1(VALU_DEP_1)
	v_cndmask_b32_e64 v15, 0x3ff00000, 2.0, s2
	v_mul_f64 v[8:9], v[8:9], v[14:15]
	s_delay_alu instid0(VALU_DEP_1) | instskip(SKIP_1) | instid1(VALU_DEP_2)
	v_add_f64 v[14:15], v[8:9], 1.0
	v_add_f64 v[20:21], v[8:9], -1.0
	v_rcp_f64_e32 v[16:17], v[14:15]
	v_add_f64 v[22:23], v[14:15], -1.0
	s_delay_alu instid0(VALU_DEP_1) | instskip(SKIP_2) | instid1(VALU_DEP_1)
	v_add_f64 v[8:9], v[8:9], -v[22:23]
	s_waitcnt_depctr 0xfff
	v_fma_f64 v[18:19], -v[14:15], v[16:17], 1.0
	v_fma_f64 v[16:17], v[18:19], v[16:17], v[16:17]
	s_delay_alu instid0(VALU_DEP_1) | instskip(NEXT) | instid1(VALU_DEP_1)
	v_fma_f64 v[18:19], -v[14:15], v[16:17], 1.0
	v_fma_f64 v[16:17], v[18:19], v[16:17], v[16:17]
	s_delay_alu instid0(VALU_DEP_1) | instskip(NEXT) | instid1(VALU_DEP_1)
	v_mul_f64 v[18:19], v[20:21], v[16:17]
	v_mul_f64 v[24:25], v[14:15], v[18:19]
	s_delay_alu instid0(VALU_DEP_1) | instskip(NEXT) | instid1(VALU_DEP_1)
	v_fma_f64 v[14:15], v[18:19], v[14:15], -v[24:25]
	v_fma_f64 v[8:9], v[18:19], v[8:9], v[14:15]
	s_delay_alu instid0(VALU_DEP_1) | instskip(NEXT) | instid1(VALU_DEP_1)
	v_add_f64 v[14:15], v[24:25], v[8:9]
	v_add_f64 v[22:23], v[20:21], -v[14:15]
	v_add_f64 v[24:25], v[14:15], -v[24:25]
	s_delay_alu instid0(VALU_DEP_2) | instskip(NEXT) | instid1(VALU_DEP_2)
	v_add_f64 v[20:21], v[20:21], -v[22:23]
	v_add_f64 v[8:9], v[24:25], -v[8:9]
	v_frexp_exp_i32_f64_e32 v24, v[12:13]
	s_delay_alu instid0(VALU_DEP_3) | instskip(NEXT) | instid1(VALU_DEP_1)
	v_add_f64 v[14:15], v[20:21], -v[14:15]
	v_add_f64 v[8:9], v[8:9], v[14:15]
	s_delay_alu instid0(VALU_DEP_1) | instskip(NEXT) | instid1(VALU_DEP_1)
	v_add_f64 v[8:9], v[22:23], v[8:9]
	v_mul_f64 v[8:9], v[16:17], v[8:9]
	s_delay_alu instid0(VALU_DEP_1) | instskip(NEXT) | instid1(VALU_DEP_1)
	v_add_f64 v[14:15], v[18:19], v[8:9]
	v_mul_f64 v[16:17], v[14:15], v[14:15]
	s_delay_alu instid0(VALU_DEP_1) | instskip(SKIP_3) | instid1(VALU_DEP_2)
	v_fma_f64 v[20:21], v[16:17], s[8:9], s[6:7]
	s_mov_b32 s6, 0xd7f4df2e
	s_mov_b32 s7, 0x3fc7474d
	v_mul_f64 v[22:23], v[14:15], v[16:17]
	v_fma_f64 v[20:21], v[16:17], v[20:21], s[6:7]
	s_mov_b32 s6, 0x16291751
	s_mov_b32 s7, 0x3fcc71c0
	s_delay_alu instid0(VALU_DEP_1) | instid1(SALU_CYCLE_1)
	v_fma_f64 v[20:21], v[16:17], v[20:21], s[6:7]
	s_mov_b32 s6, 0x9b27acf1
	s_mov_b32 s7, 0x3fd24924
	s_delay_alu instid0(VALU_DEP_1) | instid1(SALU_CYCLE_1)
	;; [unrolled: 4-line block ×3, first 2 shown]
	v_fma_f64 v[20:21], v[16:17], v[20:21], s[6:7]
	s_delay_alu instid0(VALU_DEP_1) | instskip(SKIP_2) | instid1(VALU_DEP_3)
	v_fma_f64 v[16:17], v[16:17], v[20:21], s[4:5]
	v_ldexp_f64 v[20:21], v[14:15], 1
	v_add_f64 v[14:15], v[14:15], -v[18:19]
	v_mul_f64 v[16:17], v[22:23], v[16:17]
	v_subrev_co_ci_u32_e64 v22, s2, 0, v24, s2
	s_mov_b32 s2, 0xfefa39ef
	s_mov_b32 s3, 0x3fe62e42
	s_delay_alu instid0(VALU_DEP_3) | instskip(NEXT) | instid1(VALU_DEP_2)
	v_add_f64 v[8:9], v[8:9], -v[14:15]
	v_cvt_f64_i32_e32 v[22:23], v22
	s_delay_alu instid0(VALU_DEP_4) | instskip(NEXT) | instid1(VALU_DEP_3)
	v_add_f64 v[18:19], v[20:21], v[16:17]
	v_ldexp_f64 v[8:9], v[8:9], 1
	s_delay_alu instid0(VALU_DEP_3) | instskip(NEXT) | instid1(VALU_DEP_3)
	v_mul_f64 v[24:25], v[22:23], s[2:3]
	v_add_f64 v[14:15], v[18:19], -v[20:21]
	s_delay_alu instid0(VALU_DEP_2) | instskip(SKIP_2) | instid1(VALU_DEP_2)
	v_fma_f64 v[20:21], v[22:23], s[2:3], -v[24:25]
	s_mov_b32 s2, 0x3b39803f
	s_mov_b32 s3, 0x3c7abc9e
	v_add_f64 v[14:15], v[16:17], -v[14:15]
	s_delay_alu instid0(VALU_DEP_2) | instskip(SKIP_1) | instid1(VALU_DEP_3)
	v_fma_f64 v[16:17], v[22:23], s[2:3], v[20:21]
	v_cmp_class_f64_e64 s2, v[12:13], 0x204
	v_add_f64 v[8:9], v[8:9], v[14:15]
	s_delay_alu instid0(VALU_DEP_3) | instskip(NEXT) | instid1(VALU_DEP_2)
	v_add_f64 v[14:15], v[24:25], v[16:17]
	v_add_f64 v[20:21], v[18:19], v[8:9]
	s_delay_alu instid0(VALU_DEP_2) | instskip(NEXT) | instid1(VALU_DEP_2)
	v_add_f64 v[24:25], v[14:15], -v[24:25]
	v_add_f64 v[22:23], v[14:15], v[20:21]
	v_add_f64 v[18:19], v[20:21], -v[18:19]
	s_delay_alu instid0(VALU_DEP_3) | instskip(NEXT) | instid1(VALU_DEP_3)
	v_add_f64 v[16:17], v[16:17], -v[24:25]
	v_add_f64 v[26:27], v[22:23], -v[14:15]
	s_delay_alu instid0(VALU_DEP_3) | instskip(NEXT) | instid1(VALU_DEP_2)
	v_add_f64 v[8:9], v[8:9], -v[18:19]
	v_add_f64 v[28:29], v[22:23], -v[26:27]
	;; [unrolled: 1-line block ×3, first 2 shown]
	s_delay_alu instid0(VALU_DEP_3) | instskip(NEXT) | instid1(VALU_DEP_3)
	v_add_f64 v[20:21], v[16:17], v[8:9]
	v_add_f64 v[14:15], v[14:15], -v[28:29]
	s_delay_alu instid0(VALU_DEP_1) | instskip(NEXT) | instid1(VALU_DEP_3)
	v_add_f64 v[14:15], v[18:19], v[14:15]
	v_add_f64 v[18:19], v[20:21], -v[16:17]
	s_delay_alu instid0(VALU_DEP_2) | instskip(NEXT) | instid1(VALU_DEP_2)
	v_add_f64 v[14:15], v[20:21], v[14:15]
	v_add_f64 v[20:21], v[20:21], -v[18:19]
	v_add_f64 v[8:9], v[8:9], -v[18:19]
	s_delay_alu instid0(VALU_DEP_3) | instskip(NEXT) | instid1(VALU_DEP_3)
	v_add_f64 v[24:25], v[22:23], v[14:15]
	v_add_f64 v[16:17], v[16:17], -v[20:21]
	s_delay_alu instid0(VALU_DEP_2) | instskip(NEXT) | instid1(VALU_DEP_2)
	v_add_f64 v[18:19], v[24:25], -v[22:23]
	v_add_f64 v[8:9], v[8:9], v[16:17]
	s_delay_alu instid0(VALU_DEP_2) | instskip(NEXT) | instid1(VALU_DEP_1)
	v_add_f64 v[14:15], v[14:15], -v[18:19]
	v_add_f64 v[8:9], v[8:9], v[14:15]
	s_delay_alu instid0(VALU_DEP_1) | instskip(NEXT) | instid1(VALU_DEP_1)
	v_add_f64 v[8:9], v[24:25], v[8:9]
	v_cndmask_b32_e64 v8, v8, v12, s2
	s_delay_alu instid0(VALU_DEP_2) | instskip(SKIP_1) | instid1(VALU_DEP_1)
	v_cndmask_b32_e64 v9, v9, v13, s2
	v_cmp_ngt_f64_e64 s2, 0, v[12:13]
	v_cndmask_b32_e64 v9, 0x7ff80000, v9, s2
	v_cmp_nge_f64_e64 s2, 0, v[12:13]
	s_delay_alu instid0(VALU_DEP_1) | instskip(SKIP_1) | instid1(VALU_DEP_1)
	v_cndmask_b32_e64 v8, 0, v8, s2
	v_cmp_neq_f64_e64 s2, 0, v[12:13]
	v_cndmask_b32_e64 v9, 0xfff00000, v9, s2
	s_lshl_b64 s[2:3], s[22:23], 3
	s_delay_alu instid0(SALU_CYCLE_1) | instskip(NEXT) | instid1(VALU_DEP_2)
	v_add_co_u32 v0, s2, v0, s2
	v_add_f64 v[2:3], v[2:3], -v[8:9]
	v_add_co_ci_u32_e64 v1, s2, s3, v1, s2
	global_store_b64 v[0:1], v[2:3], off
	s_and_b32 exec_lo, exec_lo, vcc_lo
	s_cbranch_execz .LBB15_28
; %bb.25:
	v_add_f64 v[2:3], v[4:5], -v[8:9]
	global_store_b64 v[0:1], v[2:3], off offset:256
	s_and_b32 exec_lo, exec_lo, s0
	s_cbranch_execz .LBB15_28
; %bb.26:
	v_add_f64 v[2:3], v[6:7], -v[8:9]
	global_store_b64 v[0:1], v[2:3], off offset:512
	s_and_b32 exec_lo, exec_lo, s1
	s_cbranch_execz .LBB15_28
; %bb.27:
	v_add_f64 v[2:3], v[10:11], -v[8:9]
	global_store_b64 v[0:1], v[2:3], off offset:768
.LBB15_28:
	s_nop 0
	s_sendmsg sendmsg(MSG_DEALLOC_VGPRS)
	s_endpgm
	.section	.rodata,"a",@progbits
	.p2align	6, 0x0
	.amdhsa_kernel _ZN12_GLOBAL__N_120softmax_warp_forwardIdddLi7ELb1ELb0ELi32EEEvPT0_PKT_iiiPKbib
		.amdhsa_group_segment_fixed_size 0
		.amdhsa_private_segment_fixed_size 0
		.amdhsa_kernarg_size 304
		.amdhsa_user_sgpr_count 15
		.amdhsa_user_sgpr_dispatch_ptr 0
		.amdhsa_user_sgpr_queue_ptr 0
		.amdhsa_user_sgpr_kernarg_segment_ptr 1
		.amdhsa_user_sgpr_dispatch_id 0
		.amdhsa_user_sgpr_private_segment_size 0
		.amdhsa_wavefront_size32 1
		.amdhsa_uses_dynamic_stack 0
		.amdhsa_enable_private_segment 0
		.amdhsa_system_sgpr_workgroup_id_x 1
		.amdhsa_system_sgpr_workgroup_id_y 0
		.amdhsa_system_sgpr_workgroup_id_z 0
		.amdhsa_system_sgpr_workgroup_info 0
		.amdhsa_system_vgpr_workitem_id 1
		.amdhsa_next_free_vgpr 74
		.amdhsa_next_free_sgpr 24
		.amdhsa_reserve_vcc 1
		.amdhsa_float_round_mode_32 0
		.amdhsa_float_round_mode_16_64 0
		.amdhsa_float_denorm_mode_32 3
		.amdhsa_float_denorm_mode_16_64 3
		.amdhsa_dx10_clamp 1
		.amdhsa_ieee_mode 1
		.amdhsa_fp16_overflow 0
		.amdhsa_workgroup_processor_mode 1
		.amdhsa_memory_ordered 1
		.amdhsa_forward_progress 0
		.amdhsa_shared_vgpr_count 0
		.amdhsa_exception_fp_ieee_invalid_op 0
		.amdhsa_exception_fp_denorm_src 0
		.amdhsa_exception_fp_ieee_div_zero 0
		.amdhsa_exception_fp_ieee_overflow 0
		.amdhsa_exception_fp_ieee_underflow 0
		.amdhsa_exception_fp_ieee_inexact 0
		.amdhsa_exception_int_div_zero 0
	.end_amdhsa_kernel
	.section	.text._ZN12_GLOBAL__N_120softmax_warp_forwardIdddLi7ELb1ELb0ELi32EEEvPT0_PKT_iiiPKbib,"axG",@progbits,_ZN12_GLOBAL__N_120softmax_warp_forwardIdddLi7ELb1ELb0ELi32EEEvPT0_PKT_iiiPKbib,comdat
.Lfunc_end15:
	.size	_ZN12_GLOBAL__N_120softmax_warp_forwardIdddLi7ELb1ELb0ELi32EEEvPT0_PKT_iiiPKbib, .Lfunc_end15-_ZN12_GLOBAL__N_120softmax_warp_forwardIdddLi7ELb1ELb0ELi32EEEvPT0_PKT_iiiPKbib
                                        ; -- End function
	.section	.AMDGPU.csdata,"",@progbits
; Kernel info:
; codeLenInByte = 5708
; NumSgprs: 26
; NumVgprs: 74
; ScratchSize: 0
; MemoryBound: 0
; FloatMode: 240
; IeeeMode: 1
; LDSByteSize: 0 bytes/workgroup (compile time only)
; SGPRBlocks: 3
; VGPRBlocks: 9
; NumSGPRsForWavesPerEU: 26
; NumVGPRsForWavesPerEU: 74
; Occupancy: 16
; WaveLimiterHint : 0
; COMPUTE_PGM_RSRC2:SCRATCH_EN: 0
; COMPUTE_PGM_RSRC2:USER_SGPR: 15
; COMPUTE_PGM_RSRC2:TRAP_HANDLER: 0
; COMPUTE_PGM_RSRC2:TGID_X_EN: 1
; COMPUTE_PGM_RSRC2:TGID_Y_EN: 0
; COMPUTE_PGM_RSRC2:TGID_Z_EN: 0
; COMPUTE_PGM_RSRC2:TIDIG_COMP_CNT: 1
	.section	.text._ZN12_GLOBAL__N_120softmax_warp_forwardIdddLi8ELb1ELb0ELi64EEEvPT0_PKT_iiiPKbib,"axG",@progbits,_ZN12_GLOBAL__N_120softmax_warp_forwardIdddLi8ELb1ELb0ELi64EEEvPT0_PKT_iiiPKbib,comdat
	.globl	_ZN12_GLOBAL__N_120softmax_warp_forwardIdddLi8ELb1ELb0ELi64EEEvPT0_PKT_iiiPKbib ; -- Begin function _ZN12_GLOBAL__N_120softmax_warp_forwardIdddLi8ELb1ELb0ELi64EEEvPT0_PKT_iiiPKbib
	.p2align	8
	.type	_ZN12_GLOBAL__N_120softmax_warp_forwardIdddLi8ELb1ELb0ELi64EEEvPT0_PKT_iiiPKbib,@function
_ZN12_GLOBAL__N_120softmax_warp_forwardIdddLi8ELb1ELb0ELi64EEEvPT0_PKT_iiiPKbib: ; @_ZN12_GLOBAL__N_120softmax_warp_forwardIdddLi8ELb1ELb0ELi64EEEvPT0_PKT_iiiPKbib
; %bb.0:
	s_clause 0x1
	s_load_b32 s2, s[0:1], 0x3c
	s_load_b256 s[16:23], s[0:1], 0x0
	v_bfe_u32 v1, v0, 10, 10
	v_mov_b32_e32 v4, 0
	v_mov_b32_e32 v5, 0xfff00000
	v_and_b32_e32 v10, 0x3ff, v0
	s_waitcnt lgkmcnt(0)
	s_lshr_b32 s0, s2, 16
	s_delay_alu instid0(SALU_CYCLE_1) | instskip(NEXT) | instid1(VALU_DEP_1)
	v_mad_u64_u32 v[2:3], null, s15, s0, v[1:2]
	v_mad_u64_u32 v[0:1], null, v2, s21, v[10:11]
	v_sub_nc_u32_e32 v14, s20, v2
	v_dual_mov_b32 v2, v4 :: v_dual_mov_b32 v3, v5
	v_cmp_gt_i32_e64 s2, s22, v10
	s_delay_alu instid0(VALU_DEP_3) | instskip(SKIP_1) | instid1(VALU_DEP_2)
	v_cmp_lt_i32_e64 s3, 0, v14
	v_ashrrev_i32_e32 v1, 31, v0
	s_and_b32 s1, s3, s2
	s_delay_alu instid0(VALU_DEP_1) | instskip(NEXT) | instid1(VALU_DEP_1)
	v_lshlrev_b64 v[0:1], 3, v[0:1]
	v_add_co_u32 v11, vcc_lo, s18, v0
	s_delay_alu instid0(VALU_DEP_2)
	v_add_co_ci_u32_e32 v12, vcc_lo, s19, v1, vcc_lo
	s_and_saveexec_b32 s0, s1
	s_cbranch_execz .LBB16_2
; %bb.1:
	global_load_b64 v[2:3], v[11:12], off
.LBB16_2:
	s_or_b32 exec_lo, exec_lo, s0
	v_add_nc_u32_e32 v6, 64, v10
	s_delay_alu instid0(VALU_DEP_1) | instskip(SKIP_1) | instid1(SALU_CYCLE_1)
	v_cmp_gt_i32_e32 vcc_lo, s22, v6
	s_and_b32 s1, s3, vcc_lo
	s_and_saveexec_b32 s0, s1
	s_cbranch_execz .LBB16_4
; %bb.3:
	global_load_b64 v[4:5], v[11:12], off offset:512
.LBB16_4:
	s_or_b32 exec_lo, exec_lo, s0
	v_mov_b32_e32 v8, 0
	v_mov_b32_e32 v9, 0xfff00000
	v_add_nc_u32_e32 v6, 0x80, v10
	s_delay_alu instid0(VALU_DEP_1) | instskip(NEXT) | instid1(VALU_DEP_3)
	v_cmp_gt_i32_e64 s0, s22, v6
	v_dual_mov_b32 v6, v8 :: v_dual_mov_b32 v7, v9
	s_delay_alu instid0(VALU_DEP_2) | instskip(NEXT) | instid1(SALU_CYCLE_1)
	s_and_b32 s4, s3, s0
	s_and_saveexec_b32 s1, s4
	s_cbranch_execz .LBB16_6
; %bb.5:
	global_load_b64 v[6:7], v[11:12], off offset:1024
.LBB16_6:
	s_or_b32 exec_lo, exec_lo, s1
	v_add_nc_u32_e32 v10, 0xc0, v10
	s_delay_alu instid0(VALU_DEP_1) | instskip(NEXT) | instid1(VALU_DEP_1)
	v_cmp_gt_i32_e64 s1, s22, v10
	s_and_b32 s4, s3, s1
	s_delay_alu instid0(SALU_CYCLE_1)
	s_and_saveexec_b32 s3, s4
	s_cbranch_execz .LBB16_8
; %bb.7:
	global_load_b64 v[8:9], v[11:12], off offset:1536
.LBB16_8:
	s_or_b32 exec_lo, exec_lo, s3
	s_waitcnt vmcnt(0)
	v_cmp_gt_f64_e64 s3, v[2:3], v[4:5]
	v_mbcnt_lo_u32_b32 v15, -1, 0
	s_mov_b32 s6, 0xfefa39ef
	s_mov_b32 s7, 0xbfe62e42
	;; [unrolled: 1-line block ×4, first 2 shown]
	v_or_b32_e32 v12, 32, v15
	v_xor_b32_e32 v16, 16, v15
	s_mov_b32 s9, 0x3e928af3
	s_mov_b32 s11, 0x3e5ade15
	s_delay_alu instid0(VALU_DEP_2) | instskip(NEXT) | instid1(VALU_DEP_1)
	v_cmp_gt_i32_e64 s4, 64, v12
	v_cndmask_b32_e64 v12, v15, v12, s4
	v_cmp_gt_i32_e64 s4, 64, v16
	s_delay_alu instid0(VALU_DEP_2) | instskip(NEXT) | instid1(VALU_DEP_2)
	v_lshlrev_b32_e32 v35, 2, v12
	v_cndmask_b32_e64 v16, v15, v16, s4
	s_delay_alu instid0(VALU_DEP_1) | instskip(SKIP_1) | instid1(VALU_DEP_1)
	v_lshlrev_b32_e32 v36, 2, v16
	v_xor_b32_e32 v16, 8, v15
	v_cmp_gt_i32_e64 s4, 64, v16
	s_delay_alu instid0(VALU_DEP_1) | instskip(SKIP_2) | instid1(VALU_DEP_3)
	v_cndmask_b32_e64 v16, v15, v16, s4
	v_cndmask_b32_e64 v11, v5, v3, s3
	;; [unrolled: 1-line block ×3, first 2 shown]
	v_lshlrev_b32_e32 v37, 2, v16
	v_xor_b32_e32 v16, 4, v15
	s_delay_alu instid0(VALU_DEP_3) | instskip(NEXT) | instid1(VALU_DEP_2)
	v_cmp_gt_f64_e64 s3, v[10:11], v[6:7]
	v_cmp_gt_i32_e64 s4, 64, v16
	s_delay_alu instid0(VALU_DEP_1) | instskip(NEXT) | instid1(VALU_DEP_1)
	v_cndmask_b32_e64 v16, v15, v16, s4
	v_lshlrev_b32_e32 v38, 2, v16
	v_xor_b32_e32 v16, 2, v15
	s_delay_alu instid0(VALU_DEP_1) | instskip(NEXT) | instid1(VALU_DEP_1)
	v_cmp_gt_i32_e64 s4, 64, v16
	v_cndmask_b32_e64 v16, v15, v16, s4
	s_delay_alu instid0(VALU_DEP_1) | instskip(SKIP_1) | instid1(VALU_DEP_1)
	v_lshlrev_b32_e32 v39, 2, v16
	v_xor_b32_e32 v16, 1, v15
	v_cmp_gt_i32_e64 s4, 64, v16
	v_cndmask_b32_e64 v11, v7, v11, s3
	v_cndmask_b32_e64 v10, v6, v10, s3
	s_delay_alu instid0(VALU_DEP_3) | instskip(SKIP_2) | instid1(VALU_DEP_2)
	v_cndmask_b32_e64 v15, v15, v16, s4
	s_mov_b32 s4, 0x652b82fe
	s_mov_b32 s5, 0x3ff71547
	v_cmp_gt_f64_e64 s3, v[10:11], v[8:9]
	s_delay_alu instid0(VALU_DEP_2) | instskip(NEXT) | instid1(VALU_DEP_2)
	v_lshlrev_b32_e32 v40, 2, v15
	v_cndmask_b32_e64 v11, v9, v11, s3
	v_cndmask_b32_e64 v10, v8, v10, s3
	ds_bpermute_b32 v13, v35, v11
	ds_bpermute_b32 v12, v35, v10
	s_waitcnt lgkmcnt(0)
	v_cmp_lt_f64_e64 s3, v[10:11], v[12:13]
	s_delay_alu instid0(VALU_DEP_1)
	v_cndmask_b32_e64 v11, v11, v13, s3
	v_cndmask_b32_e64 v10, v10, v12, s3
	ds_bpermute_b32 v13, v36, v11
	ds_bpermute_b32 v12, v36, v10
	s_waitcnt lgkmcnt(0)
	v_cmp_lt_f64_e64 s3, v[10:11], v[12:13]
	s_delay_alu instid0(VALU_DEP_1)
	;; [unrolled: 7-line block ×5, first 2 shown]
	v_cndmask_b32_e64 v11, v11, v13, s3
	v_cndmask_b32_e64 v10, v10, v12, s3
	ds_bpermute_b32 v13, v40, v11
	ds_bpermute_b32 v12, v40, v10
	s_waitcnt lgkmcnt(0)
	v_cmp_lt_f64_e64 s3, v[10:11], v[12:13]
	s_delay_alu instid0(VALU_DEP_1) | instskip(SKIP_1) | instid1(VALU_DEP_1)
	v_cndmask_b32_e64 v11, v11, v13, s3
	v_cndmask_b32_e64 v10, v10, v12, s3
	v_add_f64 v[2:3], v[2:3], -v[10:11]
	v_add_f64 v[4:5], v[4:5], -v[10:11]
	;; [unrolled: 1-line block ×4, first 2 shown]
	s_delay_alu instid0(VALU_DEP_4) | instskip(NEXT) | instid1(VALU_DEP_4)
	v_mul_f64 v[12:13], v[2:3], s[4:5]
	v_mul_f64 v[15:16], v[4:5], s[4:5]
	s_delay_alu instid0(VALU_DEP_4) | instskip(NEXT) | instid1(VALU_DEP_4)
	v_mul_f64 v[10:11], v[6:7], s[4:5]
	v_mul_f64 v[19:20], v[8:9], s[4:5]
	s_mov_b32 s4, 0x3b39803f
	s_mov_b32 s5, 0xbc7abc9e
	v_cmp_nlt_f64_e64 s3, 0x40900000, v[4:5]
	v_rndne_f64_e32 v[12:13], v[12:13]
	v_rndne_f64_e32 v[15:16], v[15:16]
	;; [unrolled: 1-line block ×4, first 2 shown]
	s_delay_alu instid0(VALU_DEP_4) | instskip(NEXT) | instid1(VALU_DEP_4)
	v_fma_f64 v[17:18], v[12:13], s[6:7], v[2:3]
	v_fma_f64 v[21:22], v[15:16], s[6:7], v[4:5]
	s_delay_alu instid0(VALU_DEP_4) | instskip(NEXT) | instid1(VALU_DEP_4)
	v_fma_f64 v[23:24], v[10:11], s[6:7], v[6:7]
	v_fma_f64 v[27:28], v[19:20], s[6:7], v[8:9]
	s_mov_b32 s6, 0x623fde64
	s_mov_b32 s7, 0x3ec71dee
	v_cvt_i32_f64_e32 v41, v[12:13]
	v_fma_f64 v[17:18], v[12:13], s[4:5], v[17:18]
	v_fma_f64 v[21:22], v[15:16], s[4:5], v[21:22]
	;; [unrolled: 1-line block ×4, first 2 shown]
	s_mov_b32 s4, 0x7c89e6b0
	s_mov_b32 s5, 0x3efa0199
	v_cvt_i32_f64_e32 v19, v[19:20]
	v_fma_f64 v[25:26], v[17:18], s[10:11], s[8:9]
	v_fma_f64 v[29:30], v[21:22], s[10:11], s[8:9]
	;; [unrolled: 1-line block ×4, first 2 shown]
	s_mov_b32 s8, 0x14761f6e
	s_mov_b32 s9, 0x3f2a01a0
	s_delay_alu instid0(VALU_DEP_4) | instskip(NEXT) | instid1(VALU_DEP_4)
	v_fma_f64 v[25:26], v[17:18], v[25:26], s[6:7]
	v_fma_f64 v[29:30], v[21:22], v[29:30], s[6:7]
	s_delay_alu instid0(VALU_DEP_4) | instskip(NEXT) | instid1(VALU_DEP_4)
	v_fma_f64 v[31:32], v[23:24], v[31:32], s[6:7]
	v_fma_f64 v[33:34], v[27:28], v[33:34], s[6:7]
	s_mov_b32 s6, 0x1852b7b0
	s_mov_b32 s7, 0x3f56c16c
	s_delay_alu instid0(VALU_DEP_4) | instskip(NEXT) | instid1(VALU_DEP_4)
	v_fma_f64 v[25:26], v[17:18], v[25:26], s[4:5]
	v_fma_f64 v[29:30], v[21:22], v[29:30], s[4:5]
	s_delay_alu instid0(VALU_DEP_4) | instskip(NEXT) | instid1(VALU_DEP_4)
	v_fma_f64 v[31:32], v[23:24], v[31:32], s[4:5]
	v_fma_f64 v[33:34], v[27:28], v[33:34], s[4:5]
	;; [unrolled: 8-line block ×6, first 2 shown]
	v_cmp_ngt_f64_e64 s8, 0xc090cc00, v[6:7]
	v_fma_f64 v[25:26], v[17:18], v[25:26], s[6:7]
	v_fma_f64 v[29:30], v[21:22], v[29:30], s[6:7]
	;; [unrolled: 1-line block ×4, first 2 shown]
	v_cmp_ngt_f64_e64 s6, 0xc090cc00, v[2:3]
	v_cmp_nlt_f64_e64 s7, 0x40900000, v[6:7]
	v_fma_f64 v[25:26], v[17:18], v[25:26], s[4:5]
	v_fma_f64 v[29:30], v[21:22], v[29:30], s[4:5]
	;; [unrolled: 1-line block ×3, first 2 shown]
	s_delay_alu instid0(VALU_DEP_3) | instskip(NEXT) | instid1(VALU_DEP_3)
	v_fma_f64 v[25:26], v[17:18], v[25:26], 1.0
	v_fma_f64 v[29:30], v[21:22], v[29:30], 1.0
	s_delay_alu instid0(VALU_DEP_2)
	v_fma_f64 v[12:13], v[17:18], v[25:26], 1.0
	v_fma_f64 v[17:18], v[27:28], v[33:34], s[4:5]
	v_fma_f64 v[25:26], v[23:24], v[31:32], 1.0
	v_cvt_i32_f64_e32 v31, v[15:16]
	v_fma_f64 v[15:16], v[21:22], v[29:30], 1.0
	v_cvt_i32_f64_e32 v21, v[10:11]
	v_cmp_nlt_f64_e64 s5, 0x40900000, v[2:3]
	v_cmp_ngt_f64_e64 s4, 0xc090cc00, v[4:5]
	v_ldexp_f64 v[12:13], v[12:13], v41
	v_fma_f64 v[17:18], v[27:28], v[17:18], 1.0
	v_fma_f64 v[10:11], v[23:24], v[25:26], 1.0
	v_ldexp_f64 v[15:16], v[15:16], v31
	s_delay_alu instid0(VALU_DEP_4) | instskip(NEXT) | instid1(VALU_DEP_4)
	v_add_f64 v[12:13], v[12:13], 0
	v_fma_f64 v[17:18], v[27:28], v[17:18], 1.0
	s_delay_alu instid0(VALU_DEP_4) | instskip(NEXT) | instid1(VALU_DEP_4)
	v_ldexp_f64 v[10:11], v[10:11], v21
	v_cndmask_b32_e64 v20, 0x7ff00000, v16, s3
	s_and_b32 s3, s4, s3
	s_delay_alu instid0(VALU_DEP_4) | instskip(NEXT) | instid1(VALU_DEP_4)
	v_cndmask_b32_e64 v13, 0x7ff00000, v13, s5
	v_ldexp_f64 v[16:17], v[17:18], v19
	v_cndmask_b32_e64 v18, 0, v15, s3
	s_and_b32 s3, s6, s5
	v_cndmask_b32_e64 v19, 0, v20, s4
	v_cndmask_b32_e64 v13, 0, v13, s6
	;; [unrolled: 1-line block ×3, first 2 shown]
	v_cmp_nlt_f64_e64 s3, 0x40900000, v[8:9]
	v_cndmask_b32_e64 v21, 0x7ff00000, v11, s7
	v_cmp_ngt_f64_e64 s4, 0xc090cc00, v[8:9]
	s_and_b32 s5, s8, s7
	v_add_f64 v[11:12], v[12:13], v[18:19]
	s_delay_alu instid0(VALU_DEP_3) | instskip(SKIP_3) | instid1(VALU_DEP_2)
	v_cndmask_b32_e64 v18, 0, v21, s8
	v_cndmask_b32_e64 v13, 0x7ff00000, v17, s3
	v_cndmask_b32_e64 v17, 0, v10, s5
	s_and_b32 s3, s4, s3
	v_cndmask_b32_e64 v13, 0, v13, s4
	s_delay_alu instid0(VALU_DEP_2) | instskip(SKIP_2) | instid1(VALU_DEP_1)
	v_add_f64 v[10:11], v[11:12], v[17:18]
	v_cndmask_b32_e64 v12, 0, v16, s3
	s_mov_b32 s4, exec_lo
	v_add_f64 v[10:11], v[10:11], v[12:13]
	ds_bpermute_b32 v12, v35, v10
	ds_bpermute_b32 v13, v35, v11
	s_waitcnt lgkmcnt(0)
	v_add_f64 v[10:11], v[10:11], v[12:13]
	ds_bpermute_b32 v12, v36, v10
	ds_bpermute_b32 v13, v36, v11
	s_waitcnt lgkmcnt(0)
	v_add_f64 v[10:11], v[10:11], v[12:13]
	ds_bpermute_b32 v12, v37, v10
	ds_bpermute_b32 v13, v37, v11
	s_waitcnt lgkmcnt(0)
	v_add_f64 v[10:11], v[10:11], v[12:13]
	ds_bpermute_b32 v12, v38, v10
	ds_bpermute_b32 v13, v38, v11
	s_waitcnt lgkmcnt(0)
	v_add_f64 v[10:11], v[10:11], v[12:13]
	ds_bpermute_b32 v12, v39, v10
	ds_bpermute_b32 v13, v39, v11
	s_waitcnt lgkmcnt(0)
	v_add_f64 v[10:11], v[10:11], v[12:13]
	ds_bpermute_b32 v12, v40, v10
	ds_bpermute_b32 v13, v40, v11
	v_cmpx_lt_i32_e32 0, v14
	s_cbranch_execz .LBB16_14
; %bb.9:
	s_and_b32 exec_lo, exec_lo, s2
	s_cbranch_execz .LBB16_14
; %bb.10:
	s_waitcnt lgkmcnt(0)
	v_add_f64 v[11:12], v[10:11], v[12:13]
	s_mov_b32 s5, 0x3fe55555
	s_mov_b32 s4, 0x55555555
	v_mov_b32_e32 v15, 0
	s_mov_b32 s6, 0x6b47b09a
	s_mov_b32 s8, 0xbf559e2b
	;; [unrolled: 1-line block ×4, first 2 shown]
	s_delay_alu instid0(VALU_DEP_2) | instskip(SKIP_1) | instid1(VALU_DEP_2)
	v_frexp_mant_f64_e32 v[13:14], v[11:12]
	v_frexp_exp_i32_f64_e32 v10, v[11:12]
	v_cmp_gt_f64_e64 s2, s[4:5], v[13:14]
	s_mov_b32 s4, 0x55555780
	s_delay_alu instid0(VALU_DEP_1) | instskip(NEXT) | instid1(VALU_DEP_3)
	v_cndmask_b32_e64 v16, 0x3ff00000, 2.0, s2
	v_subrev_co_ci_u32_e64 v10, s2, 0, v10, s2
	s_mov_b32 s2, 0xfefa39ef
	s_mov_b32 s3, 0x3fe62e42
	s_delay_alu instid0(VALU_DEP_2) | instskip(NEXT) | instid1(VALU_DEP_1)
	v_mul_f64 v[13:14], v[13:14], v[15:16]
	v_add_f64 v[15:16], v[13:14], 1.0
	v_add_f64 v[21:22], v[13:14], -1.0
	s_delay_alu instid0(VALU_DEP_2) | instskip(SKIP_1) | instid1(VALU_DEP_1)
	v_rcp_f64_e32 v[17:18], v[15:16]
	v_add_f64 v[23:24], v[15:16], -1.0
	v_add_f64 v[13:14], v[13:14], -v[23:24]
	s_waitcnt_depctr 0xfff
	v_fma_f64 v[19:20], -v[15:16], v[17:18], 1.0
	s_delay_alu instid0(VALU_DEP_1) | instskip(NEXT) | instid1(VALU_DEP_1)
	v_fma_f64 v[17:18], v[19:20], v[17:18], v[17:18]
	v_fma_f64 v[19:20], -v[15:16], v[17:18], 1.0
	s_delay_alu instid0(VALU_DEP_1) | instskip(NEXT) | instid1(VALU_DEP_1)
	v_fma_f64 v[17:18], v[19:20], v[17:18], v[17:18]
	v_mul_f64 v[19:20], v[21:22], v[17:18]
	s_delay_alu instid0(VALU_DEP_1) | instskip(NEXT) | instid1(VALU_DEP_1)
	v_mul_f64 v[25:26], v[15:16], v[19:20]
	v_fma_f64 v[15:16], v[19:20], v[15:16], -v[25:26]
	s_delay_alu instid0(VALU_DEP_1) | instskip(NEXT) | instid1(VALU_DEP_1)
	v_fma_f64 v[13:14], v[19:20], v[13:14], v[15:16]
	v_add_f64 v[15:16], v[25:26], v[13:14]
	s_delay_alu instid0(VALU_DEP_1) | instskip(SKIP_1) | instid1(VALU_DEP_2)
	v_add_f64 v[23:24], v[21:22], -v[15:16]
	v_add_f64 v[25:26], v[15:16], -v[25:26]
	v_add_f64 v[21:22], v[21:22], -v[23:24]
	s_delay_alu instid0(VALU_DEP_2) | instskip(NEXT) | instid1(VALU_DEP_2)
	v_add_f64 v[13:14], v[25:26], -v[13:14]
	v_add_f64 v[15:16], v[21:22], -v[15:16]
	s_delay_alu instid0(VALU_DEP_1) | instskip(NEXT) | instid1(VALU_DEP_1)
	v_add_f64 v[13:14], v[13:14], v[15:16]
	v_add_f64 v[13:14], v[23:24], v[13:14]
	s_delay_alu instid0(VALU_DEP_1) | instskip(NEXT) | instid1(VALU_DEP_1)
	v_mul_f64 v[13:14], v[17:18], v[13:14]
	v_add_f64 v[15:16], v[19:20], v[13:14]
	s_delay_alu instid0(VALU_DEP_1) | instskip(NEXT) | instid1(VALU_DEP_1)
	v_mul_f64 v[17:18], v[15:16], v[15:16]
	v_fma_f64 v[21:22], v[17:18], s[8:9], s[6:7]
	s_mov_b32 s6, 0xd7f4df2e
	s_mov_b32 s7, 0x3fc7474d
	v_mul_f64 v[23:24], v[15:16], v[17:18]
	s_delay_alu instid0(VALU_DEP_2)
	v_fma_f64 v[21:22], v[17:18], v[21:22], s[6:7]
	s_mov_b32 s6, 0x16291751
	s_mov_b32 s7, 0x3fcc71c0
	s_delay_alu instid0(VALU_DEP_1) | instid1(SALU_CYCLE_1)
	v_fma_f64 v[21:22], v[17:18], v[21:22], s[6:7]
	s_mov_b32 s6, 0x9b27acf1
	s_mov_b32 s7, 0x3fd24924
	s_delay_alu instid0(VALU_DEP_1) | instid1(SALU_CYCLE_1)
	v_fma_f64 v[21:22], v[17:18], v[21:22], s[6:7]
	s_mov_b32 s6, 0x998ef7b6
	s_mov_b32 s7, 0x3fd99999
	s_delay_alu instid0(VALU_DEP_1) | instid1(SALU_CYCLE_1)
	v_fma_f64 v[21:22], v[17:18], v[21:22], s[6:7]
	s_delay_alu instid0(VALU_DEP_1) | instskip(SKIP_2) | instid1(VALU_DEP_3)
	v_fma_f64 v[17:18], v[17:18], v[21:22], s[4:5]
	v_ldexp_f64 v[21:22], v[15:16], 1
	v_add_f64 v[15:16], v[15:16], -v[19:20]
	v_mul_f64 v[17:18], v[23:24], v[17:18]
	v_cvt_f64_i32_e32 v[23:24], v10
	s_delay_alu instid0(VALU_DEP_3) | instskip(NEXT) | instid1(VALU_DEP_3)
	v_add_f64 v[13:14], v[13:14], -v[15:16]
	v_add_f64 v[19:20], v[21:22], v[17:18]
	s_delay_alu instid0(VALU_DEP_3) | instskip(NEXT) | instid1(VALU_DEP_3)
	v_mul_f64 v[25:26], v[23:24], s[2:3]
	v_ldexp_f64 v[13:14], v[13:14], 1
	s_delay_alu instid0(VALU_DEP_3) | instskip(NEXT) | instid1(VALU_DEP_3)
	v_add_f64 v[15:16], v[19:20], -v[21:22]
	v_fma_f64 v[21:22], v[23:24], s[2:3], -v[25:26]
	s_mov_b32 s2, 0x3b39803f
	s_mov_b32 s3, 0x3c7abc9e
	s_delay_alu instid0(VALU_DEP_2) | instskip(NEXT) | instid1(VALU_DEP_2)
	v_add_f64 v[15:16], v[17:18], -v[15:16]
	v_fma_f64 v[17:18], v[23:24], s[2:3], v[21:22]
	v_cmp_class_f64_e64 s2, v[11:12], 0x204
	s_delay_alu instid0(VALU_DEP_3) | instskip(NEXT) | instid1(VALU_DEP_3)
	v_add_f64 v[13:14], v[13:14], v[15:16]
	v_add_f64 v[15:16], v[25:26], v[17:18]
	s_delay_alu instid0(VALU_DEP_2) | instskip(NEXT) | instid1(VALU_DEP_2)
	v_add_f64 v[21:22], v[19:20], v[13:14]
	v_add_f64 v[25:26], v[15:16], -v[25:26]
	s_delay_alu instid0(VALU_DEP_2) | instskip(SKIP_1) | instid1(VALU_DEP_3)
	v_add_f64 v[23:24], v[15:16], v[21:22]
	v_add_f64 v[19:20], v[21:22], -v[19:20]
	v_add_f64 v[17:18], v[17:18], -v[25:26]
	s_delay_alu instid0(VALU_DEP_3) | instskip(NEXT) | instid1(VALU_DEP_3)
	v_add_f64 v[27:28], v[23:24], -v[15:16]
	v_add_f64 v[13:14], v[13:14], -v[19:20]
	s_delay_alu instid0(VALU_DEP_2) | instskip(SKIP_1) | instid1(VALU_DEP_3)
	v_add_f64 v[29:30], v[23:24], -v[27:28]
	v_add_f64 v[19:20], v[21:22], -v[27:28]
	v_add_f64 v[21:22], v[17:18], v[13:14]
	s_delay_alu instid0(VALU_DEP_3) | instskip(NEXT) | instid1(VALU_DEP_1)
	v_add_f64 v[15:16], v[15:16], -v[29:30]
	v_add_f64 v[15:16], v[19:20], v[15:16]
	s_delay_alu instid0(VALU_DEP_3) | instskip(NEXT) | instid1(VALU_DEP_2)
	v_add_f64 v[19:20], v[21:22], -v[17:18]
	v_add_f64 v[15:16], v[21:22], v[15:16]
	s_delay_alu instid0(VALU_DEP_2) | instskip(SKIP_1) | instid1(VALU_DEP_3)
	v_add_f64 v[21:22], v[21:22], -v[19:20]
	v_add_f64 v[13:14], v[13:14], -v[19:20]
	v_add_f64 v[25:26], v[23:24], v[15:16]
	s_delay_alu instid0(VALU_DEP_3) | instskip(NEXT) | instid1(VALU_DEP_2)
	v_add_f64 v[17:18], v[17:18], -v[21:22]
	v_add_f64 v[19:20], v[25:26], -v[23:24]
	s_delay_alu instid0(VALU_DEP_2) | instskip(NEXT) | instid1(VALU_DEP_2)
	v_add_f64 v[13:14], v[13:14], v[17:18]
	v_add_f64 v[15:16], v[15:16], -v[19:20]
	s_delay_alu instid0(VALU_DEP_1) | instskip(NEXT) | instid1(VALU_DEP_1)
	v_add_f64 v[13:14], v[13:14], v[15:16]
	v_add_f64 v[13:14], v[25:26], v[13:14]
	s_delay_alu instid0(VALU_DEP_1) | instskip(NEXT) | instid1(VALU_DEP_2)
	v_cndmask_b32_e64 v10, v13, v11, s2
	v_cndmask_b32_e64 v13, v14, v12, s2
	v_cmp_ngt_f64_e64 s2, 0, v[11:12]
	s_delay_alu instid0(VALU_DEP_1) | instskip(SKIP_1) | instid1(VALU_DEP_1)
	v_cndmask_b32_e64 v13, 0x7ff80000, v13, s2
	v_cmp_nge_f64_e64 s2, 0, v[11:12]
	v_cndmask_b32_e64 v10, 0, v10, s2
	v_cmp_neq_f64_e64 s2, 0, v[11:12]
	s_delay_alu instid0(VALU_DEP_1) | instskip(SKIP_1) | instid1(VALU_DEP_1)
	v_cndmask_b32_e64 v11, 0xfff00000, v13, s2
	v_add_co_u32 v0, s2, s16, v0
	v_add_co_ci_u32_e64 v1, s2, s17, v1, s2
	s_delay_alu instid0(VALU_DEP_3)
	v_add_f64 v[2:3], v[2:3], -v[10:11]
	global_store_b64 v[0:1], v[2:3], off
	s_and_b32 exec_lo, exec_lo, vcc_lo
	s_cbranch_execz .LBB16_14
; %bb.11:
	v_add_f64 v[2:3], v[4:5], -v[10:11]
	global_store_b64 v[0:1], v[2:3], off offset:512
	s_and_b32 exec_lo, exec_lo, s0
	s_cbranch_execz .LBB16_14
; %bb.12:
	v_add_f64 v[2:3], v[6:7], -v[10:11]
	global_store_b64 v[0:1], v[2:3], off offset:1024
	s_and_b32 exec_lo, exec_lo, s1
	s_cbranch_execz .LBB16_14
; %bb.13:
	v_add_f64 v[2:3], v[8:9], -v[10:11]
	global_store_b64 v[0:1], v[2:3], off offset:1536
.LBB16_14:
	s_nop 0
	s_sendmsg sendmsg(MSG_DEALLOC_VGPRS)
	s_endpgm
	.section	.rodata,"a",@progbits
	.p2align	6, 0x0
	.amdhsa_kernel _ZN12_GLOBAL__N_120softmax_warp_forwardIdddLi8ELb1ELb0ELi64EEEvPT0_PKT_iiiPKbib
		.amdhsa_group_segment_fixed_size 0
		.amdhsa_private_segment_fixed_size 0
		.amdhsa_kernarg_size 304
		.amdhsa_user_sgpr_count 15
		.amdhsa_user_sgpr_dispatch_ptr 0
		.amdhsa_user_sgpr_queue_ptr 0
		.amdhsa_user_sgpr_kernarg_segment_ptr 1
		.amdhsa_user_sgpr_dispatch_id 0
		.amdhsa_user_sgpr_private_segment_size 0
		.amdhsa_wavefront_size32 1
		.amdhsa_uses_dynamic_stack 0
		.amdhsa_enable_private_segment 0
		.amdhsa_system_sgpr_workgroup_id_x 1
		.amdhsa_system_sgpr_workgroup_id_y 0
		.amdhsa_system_sgpr_workgroup_id_z 0
		.amdhsa_system_sgpr_workgroup_info 0
		.amdhsa_system_vgpr_workitem_id 1
		.amdhsa_next_free_vgpr 42
		.amdhsa_next_free_sgpr 24
		.amdhsa_reserve_vcc 1
		.amdhsa_float_round_mode_32 0
		.amdhsa_float_round_mode_16_64 0
		.amdhsa_float_denorm_mode_32 3
		.amdhsa_float_denorm_mode_16_64 3
		.amdhsa_dx10_clamp 1
		.amdhsa_ieee_mode 1
		.amdhsa_fp16_overflow 0
		.amdhsa_workgroup_processor_mode 1
		.amdhsa_memory_ordered 1
		.amdhsa_forward_progress 0
		.amdhsa_shared_vgpr_count 0
		.amdhsa_exception_fp_ieee_invalid_op 0
		.amdhsa_exception_fp_denorm_src 0
		.amdhsa_exception_fp_ieee_div_zero 0
		.amdhsa_exception_fp_ieee_overflow 0
		.amdhsa_exception_fp_ieee_underflow 0
		.amdhsa_exception_fp_ieee_inexact 0
		.amdhsa_exception_int_div_zero 0
	.end_amdhsa_kernel
	.section	.text._ZN12_GLOBAL__N_120softmax_warp_forwardIdddLi8ELb1ELb0ELi64EEEvPT0_PKT_iiiPKbib,"axG",@progbits,_ZN12_GLOBAL__N_120softmax_warp_forwardIdddLi8ELb1ELb0ELi64EEEvPT0_PKT_iiiPKbib,comdat
.Lfunc_end16:
	.size	_ZN12_GLOBAL__N_120softmax_warp_forwardIdddLi8ELb1ELb0ELi64EEEvPT0_PKT_iiiPKbib, .Lfunc_end16-_ZN12_GLOBAL__N_120softmax_warp_forwardIdddLi8ELb1ELb0ELi64EEEvPT0_PKT_iiiPKbib
                                        ; -- End function
	.section	.AMDGPU.csdata,"",@progbits
; Kernel info:
; codeLenInByte = 3244
; NumSgprs: 26
; NumVgprs: 42
; ScratchSize: 0
; MemoryBound: 0
; FloatMode: 240
; IeeeMode: 1
; LDSByteSize: 0 bytes/workgroup (compile time only)
; SGPRBlocks: 3
; VGPRBlocks: 5
; NumSGPRsForWavesPerEU: 26
; NumVGPRsForWavesPerEU: 42
; Occupancy: 16
; WaveLimiterHint : 0
; COMPUTE_PGM_RSRC2:SCRATCH_EN: 0
; COMPUTE_PGM_RSRC2:USER_SGPR: 15
; COMPUTE_PGM_RSRC2:TRAP_HANDLER: 0
; COMPUTE_PGM_RSRC2:TGID_X_EN: 1
; COMPUTE_PGM_RSRC2:TGID_Y_EN: 0
; COMPUTE_PGM_RSRC2:TGID_Z_EN: 0
; COMPUTE_PGM_RSRC2:TIDIG_COMP_CNT: 1
	.section	.text._ZN12_GLOBAL__N_120softmax_warp_forwardIdddLi8ELb1ELb0ELi32EEEvPT0_PKT_iiiPKbib,"axG",@progbits,_ZN12_GLOBAL__N_120softmax_warp_forwardIdddLi8ELb1ELb0ELi32EEEvPT0_PKT_iiiPKbib,comdat
	.globl	_ZN12_GLOBAL__N_120softmax_warp_forwardIdddLi8ELb1ELb0ELi32EEEvPT0_PKT_iiiPKbib ; -- Begin function _ZN12_GLOBAL__N_120softmax_warp_forwardIdddLi8ELb1ELb0ELi32EEEvPT0_PKT_iiiPKbib
	.p2align	8
	.type	_ZN12_GLOBAL__N_120softmax_warp_forwardIdddLi8ELb1ELb0ELi32EEEvPT0_PKT_iiiPKbib,@function
_ZN12_GLOBAL__N_120softmax_warp_forwardIdddLi8ELb1ELb0ELi32EEEvPT0_PKT_iiiPKbib: ; @_ZN12_GLOBAL__N_120softmax_warp_forwardIdddLi8ELb1ELb0ELi32EEEvPT0_PKT_iiiPKbib
; %bb.0:
	s_clause 0x1
	s_load_b32 s2, s[0:1], 0x3c
	s_load_b256 s[16:23], s[0:1], 0x0
	v_bfe_u32 v1, v0, 10, 10
	v_mov_b32_e32 v4, 0
	v_mov_b32_e32 v5, 0xfff00000
	v_and_b32_e32 v18, 0x3ff, v0
	s_waitcnt lgkmcnt(0)
	s_lshr_b32 s0, s2, 16
	s_delay_alu instid0(SALU_CYCLE_1) | instskip(NEXT) | instid1(VALU_DEP_1)
	v_mad_u64_u32 v[2:3], null, s15, s0, v[1:2]
	v_mad_u64_u32 v[0:1], null, v2, s21, v[18:19]
	v_sub_nc_u32_e32 v22, s20, v2
	v_dual_mov_b32 v2, v4 :: v_dual_mov_b32 v3, v5
	v_cmp_gt_i32_e64 s6, s22, v18
	s_delay_alu instid0(VALU_DEP_3) | instskip(SKIP_1) | instid1(VALU_DEP_2)
	v_cmp_lt_i32_e64 s7, 0, v22
	v_ashrrev_i32_e32 v1, 31, v0
	s_and_b32 s1, s7, s6
	s_delay_alu instid0(VALU_DEP_1) | instskip(NEXT) | instid1(VALU_DEP_1)
	v_lshlrev_b64 v[0:1], 3, v[0:1]
	v_add_co_u32 v19, vcc_lo, s18, v0
	s_delay_alu instid0(VALU_DEP_2)
	v_add_co_ci_u32_e32 v20, vcc_lo, s19, v1, vcc_lo
	s_and_saveexec_b32 s0, s1
	s_cbranch_execz .LBB17_2
; %bb.1:
	global_load_b64 v[2:3], v[19:20], off
.LBB17_2:
	s_or_b32 exec_lo, exec_lo, s0
	v_add_nc_u32_e32 v6, 32, v18
	s_delay_alu instid0(VALU_DEP_1) | instskip(SKIP_1) | instid1(SALU_CYCLE_1)
	v_cmp_gt_i32_e32 vcc_lo, s22, v6
	s_and_b32 s1, s7, vcc_lo
	s_and_saveexec_b32 s0, s1
	s_cbranch_execz .LBB17_4
; %bb.3:
	global_load_b64 v[4:5], v[19:20], off offset:256
.LBB17_4:
	s_or_b32 exec_lo, exec_lo, s0
	v_add_nc_u32_e32 v6, 64, v18
	v_mov_b32_e32 v8, 0
	v_mov_b32_e32 v9, 0xfff00000
	s_delay_alu instid0(VALU_DEP_3) | instskip(NEXT) | instid1(VALU_DEP_2)
	v_cmp_gt_i32_e64 s0, s22, v6
	v_dual_mov_b32 v6, v8 :: v_dual_mov_b32 v7, v9
	s_delay_alu instid0(VALU_DEP_2) | instskip(NEXT) | instid1(SALU_CYCLE_1)
	s_and_b32 s2, s7, s0
	s_and_saveexec_b32 s1, s2
	s_cbranch_execz .LBB17_6
; %bb.5:
	global_load_b64 v[6:7], v[19:20], off offset:512
.LBB17_6:
	s_or_b32 exec_lo, exec_lo, s1
	v_add_nc_u32_e32 v10, 0x60, v18
	s_delay_alu instid0(VALU_DEP_1) | instskip(NEXT) | instid1(VALU_DEP_1)
	v_cmp_gt_i32_e64 s1, s22, v10
	s_and_b32 s3, s7, s1
	s_delay_alu instid0(SALU_CYCLE_1)
	s_and_saveexec_b32 s2, s3
	s_cbranch_execz .LBB17_8
; %bb.7:
	global_load_b64 v[8:9], v[19:20], off offset:768
.LBB17_8:
	s_or_b32 exec_lo, exec_lo, s2
	v_mov_b32_e32 v12, 0
	v_mov_b32_e32 v13, 0xfff00000
	v_add_nc_u32_e32 v10, 0x80, v18
	s_delay_alu instid0(VALU_DEP_1) | instskip(NEXT) | instid1(VALU_DEP_3)
	v_cmp_gt_i32_e64 s2, s22, v10
	v_dual_mov_b32 v10, v12 :: v_dual_mov_b32 v11, v13
	s_delay_alu instid0(VALU_DEP_2) | instskip(NEXT) | instid1(SALU_CYCLE_1)
	s_and_b32 s4, s7, s2
	s_and_saveexec_b32 s3, s4
	s_cbranch_execz .LBB17_10
; %bb.9:
	global_load_b64 v[10:11], v[19:20], off offset:1024
.LBB17_10:
	s_or_b32 exec_lo, exec_lo, s3
	v_add_nc_u32_e32 v14, 0xa0, v18
	s_delay_alu instid0(VALU_DEP_1) | instskip(NEXT) | instid1(VALU_DEP_1)
	v_cmp_gt_i32_e64 s3, s22, v14
	s_and_b32 s5, s7, s3
	s_delay_alu instid0(SALU_CYCLE_1)
	s_and_saveexec_b32 s4, s5
	s_cbranch_execz .LBB17_12
; %bb.11:
	global_load_b64 v[12:13], v[19:20], off offset:1280
.LBB17_12:
	s_or_b32 exec_lo, exec_lo, s4
	v_mov_b32_e32 v16, 0
	v_mov_b32_e32 v17, 0xfff00000
	v_add_nc_u32_e32 v14, 0xc0, v18
	s_delay_alu instid0(VALU_DEP_1) | instskip(NEXT) | instid1(VALU_DEP_3)
	v_cmp_gt_i32_e64 s4, s22, v14
	v_dual_mov_b32 v14, v16 :: v_dual_mov_b32 v15, v17
	s_delay_alu instid0(VALU_DEP_2) | instskip(NEXT) | instid1(SALU_CYCLE_1)
	s_and_b32 s8, s7, s4
	s_and_saveexec_b32 s5, s8
	s_cbranch_execz .LBB17_14
; %bb.13:
	global_load_b64 v[14:15], v[19:20], off offset:1536
.LBB17_14:
	s_or_b32 exec_lo, exec_lo, s5
	v_add_nc_u32_e32 v18, 0xe0, v18
	s_delay_alu instid0(VALU_DEP_1) | instskip(NEXT) | instid1(VALU_DEP_1)
	v_cmp_gt_i32_e64 s5, s22, v18
	s_and_b32 s8, s7, s5
	s_delay_alu instid0(SALU_CYCLE_1)
	s_and_saveexec_b32 s7, s8
	s_cbranch_execz .LBB17_16
; %bb.15:
	global_load_b64 v[16:17], v[19:20], off offset:1792
.LBB17_16:
	s_or_b32 exec_lo, exec_lo, s7
	s_waitcnt vmcnt(0)
	v_cmp_gt_f64_e64 s7, v[2:3], v[4:5]
	v_mbcnt_lo_u32_b32 v29, -1, 0
	s_mov_b32 s10, 0xfefa39ef
	s_mov_b32 s11, 0xbfe62e42
	;; [unrolled: 1-line block ×14, first 2 shown]
	s_delay_alu instid0(VALU_DEP_2) | instskip(SKIP_1) | instid1(VALU_DEP_1)
	v_cndmask_b32_e64 v19, v5, v3, s7
	v_cndmask_b32_e64 v18, v4, v2, s7
	v_cmp_gt_f64_e64 s7, v[18:19], v[6:7]
	s_delay_alu instid0(VALU_DEP_1) | instskip(SKIP_1) | instid1(VALU_DEP_1)
	v_cndmask_b32_e64 v19, v7, v19, s7
	v_cndmask_b32_e64 v18, v6, v18, s7
	v_cmp_gt_f64_e64 s7, v[18:19], v[8:9]
	s_delay_alu instid0(VALU_DEP_1) | instskip(SKIP_1) | instid1(VALU_DEP_1)
	;; [unrolled: 4-line block ×4, first 2 shown]
	v_cndmask_b32_e64 v19, v13, v19, s7
	v_cndmask_b32_e64 v18, v12, v18, s7
	v_cmp_gt_f64_e64 s7, v[18:19], v[14:15]
	s_delay_alu instid0(VALU_DEP_1) | instskip(SKIP_2) | instid1(VALU_DEP_2)
	v_cndmask_b32_e64 v20, v15, v19, s7
	v_cndmask_b32_e64 v19, v14, v18, s7
	v_xor_b32_e32 v18, 16, v29
	v_cmp_gt_f64_e64 s7, v[19:20], v[16:17]
	s_delay_alu instid0(VALU_DEP_2) | instskip(NEXT) | instid1(VALU_DEP_1)
	v_cmp_gt_i32_e64 s8, 32, v18
	v_cndmask_b32_e64 v18, v29, v18, s8
	s_delay_alu instid0(VALU_DEP_1) | instskip(NEXT) | instid1(VALU_DEP_4)
	v_lshlrev_b32_e32 v18, 2, v18
	v_cndmask_b32_e64 v21, v17, v20, s7
	v_cndmask_b32_e64 v20, v16, v19, s7
	v_xor_b32_e32 v19, 8, v29
	ds_bpermute_b32 v24, v18, v21
	ds_bpermute_b32 v23, v18, v20
	v_cmp_gt_i32_e64 s8, 32, v19
	s_delay_alu instid0(VALU_DEP_1) | instskip(NEXT) | instid1(VALU_DEP_1)
	v_cndmask_b32_e64 v19, v29, v19, s8
	v_lshlrev_b32_e32 v19, 2, v19
	s_waitcnt lgkmcnt(0)
	v_cmp_lt_f64_e64 s7, v[20:21], v[23:24]
	s_delay_alu instid0(VALU_DEP_1)
	v_cndmask_b32_e64 v24, v21, v24, s7
	v_cndmask_b32_e64 v23, v20, v23, s7
	v_xor_b32_e32 v20, 4, v29
	v_xor_b32_e32 v21, 2, v29
	ds_bpermute_b32 v26, v19, v24
	ds_bpermute_b32 v25, v19, v23
	v_cmp_gt_i32_e64 s8, 32, v20
	s_delay_alu instid0(VALU_DEP_1) | instskip(SKIP_1) | instid1(VALU_DEP_2)
	v_cndmask_b32_e64 v20, v29, v20, s8
	v_cmp_gt_i32_e64 s8, 32, v21
	v_lshlrev_b32_e32 v20, 2, v20
	s_delay_alu instid0(VALU_DEP_2) | instskip(NEXT) | instid1(VALU_DEP_1)
	v_cndmask_b32_e64 v21, v29, v21, s8
	v_lshlrev_b32_e32 v21, 2, v21
	s_waitcnt lgkmcnt(0)
	v_cmp_lt_f64_e64 s7, v[23:24], v[25:26]
	s_delay_alu instid0(VALU_DEP_1)
	v_cndmask_b32_e64 v24, v24, v26, s7
	v_cndmask_b32_e64 v23, v23, v25, s7
	ds_bpermute_b32 v26, v20, v24
	ds_bpermute_b32 v25, v20, v23
	s_waitcnt lgkmcnt(0)
	v_cmp_lt_f64_e64 s7, v[23:24], v[25:26]
	s_delay_alu instid0(VALU_DEP_1)
	v_cndmask_b32_e64 v26, v24, v26, s7
	v_cndmask_b32_e64 v25, v23, v25, s7
	v_xor_b32_e32 v23, 1, v29
	ds_bpermute_b32 v28, v21, v26
	ds_bpermute_b32 v27, v21, v25
	v_cmp_gt_i32_e64 s8, 32, v23
	s_delay_alu instid0(VALU_DEP_1) | instskip(SKIP_2) | instid1(VALU_DEP_1)
	v_cndmask_b32_e64 v23, v29, v23, s8
	s_mov_b32 s8, 0x652b82fe
	s_mov_b32 s9, 0x3ff71547
	v_lshlrev_b32_e32 v23, 2, v23
	s_waitcnt lgkmcnt(0)
	v_cmp_lt_f64_e64 s7, v[25:26], v[27:28]
	s_delay_alu instid0(VALU_DEP_1)
	v_cndmask_b32_e64 v26, v26, v28, s7
	v_cndmask_b32_e64 v25, v25, v27, s7
	ds_bpermute_b32 v28, v23, v26
	ds_bpermute_b32 v27, v23, v25
	s_waitcnt lgkmcnt(0)
	v_cmp_lt_f64_e64 s7, v[25:26], v[27:28]
	s_delay_alu instid0(VALU_DEP_1) | instskip(SKIP_1) | instid1(VALU_DEP_1)
	v_cndmask_b32_e64 v26, v26, v28, s7
	v_cndmask_b32_e64 v25, v25, v27, s7
	v_add_f64 v[2:3], v[2:3], -v[25:26]
	v_add_f64 v[4:5], v[4:5], -v[25:26]
	;; [unrolled: 1-line block ×8, first 2 shown]
	v_mul_f64 v[27:28], v[2:3], s[8:9]
	v_mul_f64 v[29:30], v[4:5], s[8:9]
	v_mul_f64 v[31:32], v[6:7], s[8:9]
	v_mul_f64 v[35:36], v[8:9], s[8:9]
	v_mul_f64 v[39:40], v[10:11], s[8:9]
	v_mul_f64 v[45:46], v[12:13], s[8:9]
	v_mul_f64 v[24:25], v[14:15], s[8:9]
	v_mul_f64 v[55:56], v[16:17], s[8:9]
	s_mov_b32 s8, 0x14761f6e
	s_mov_b32 s9, 0x3f2a01a0
	v_cmp_nlt_f64_e64 s7, 0x40900000, v[4:5]
	v_rndne_f64_e32 v[27:28], v[27:28]
	v_rndne_f64_e32 v[29:30], v[29:30]
	;; [unrolled: 1-line block ×8, first 2 shown]
	v_fma_f64 v[33:34], v[27:28], s[10:11], v[2:3]
	v_fma_f64 v[37:38], v[29:30], s[10:11], v[4:5]
	;; [unrolled: 1-line block ×8, first 2 shown]
	s_mov_b32 s10, 0x11122322
	s_mov_b32 s11, 0x3f811111
	v_cvt_i32_f64_e32 v73, v[27:28]
	v_fma_f64 v[33:34], v[27:28], s[12:13], v[33:34]
	v_fma_f64 v[37:38], v[29:30], s[12:13], v[37:38]
	;; [unrolled: 1-line block ×8, first 2 shown]
	s_mov_b32 s12, 0x555502a1
	s_mov_b32 s13, 0x3fa55555
	v_fma_f64 v[43:44], v[33:34], s[18:19], s[14:15]
	v_fma_f64 v[49:50], v[37:38], s[18:19], s[14:15]
	;; [unrolled: 1-line block ×8, first 2 shown]
	s_mov_b32 s14, 0x55555511
	s_mov_b32 s15, 0x3fc55555
	;; [unrolled: 1-line block ×4, first 2 shown]
	v_fma_f64 v[43:44], v[33:34], v[43:44], s[20:21]
	v_fma_f64 v[49:50], v[37:38], v[49:50], s[20:21]
	;; [unrolled: 1-line block ×24, first 2 shown]
	v_cmp_nlt_f64_e64 s9, 0x40900000, v[2:3]
	v_cmp_ngt_f64_e64 s8, 0xc090cc00, v[4:5]
	v_fma_f64 v[43:44], v[33:34], v[43:44], s[24:25]
	v_fma_f64 v[49:50], v[37:38], v[49:50], s[24:25]
	;; [unrolled: 1-line block ×28, first 2 shown]
	s_delay_alu instid0(VALU_DEP_4) | instskip(NEXT) | instid1(VALU_DEP_4)
	v_fma_f64 v[43:44], v[33:34], v[43:44], 1.0
	v_fma_f64 v[49:50], v[37:38], v[49:50], 1.0
	s_delay_alu instid0(VALU_DEP_4) | instskip(NEXT) | instid1(VALU_DEP_4)
	v_fma_f64 v[53:54], v[41:42], v[53:54], 1.0
	v_fma_f64 v[59:60], v[47:48], v[59:60], 1.0
	s_delay_alu instid0(VALU_DEP_4)
	v_fma_f64 v[26:27], v[33:34], v[43:44], 1.0
	v_fma_f64 v[33:34], v[65:66], v[71:72], s[24:25]
	v_fma_f64 v[43:44], v[61:62], v[69:70], s[10:11]
	v_cvt_i32_f64_e32 v69, v[29:30]
	v_fma_f64 v[28:29], v[37:38], v[49:50], 1.0
	v_fma_f64 v[49:50], v[51:52], v[63:64], s[18:19]
	v_cvt_i32_f64_e32 v63, v[31:32]
	v_fma_f64 v[30:31], v[41:42], v[53:54], 1.0
	v_cvt_i32_f64_e32 v53, v[35:36]
	v_ldexp_f64 v[26:27], v[26:27], v73
	v_fma_f64 v[33:34], v[65:66], v[33:34], s[10:11]
	v_fma_f64 v[37:38], v[61:62], v[43:44], s[12:13]
	;; [unrolled: 1-line block ×3, first 2 shown]
	v_ldexp_f64 v[28:29], v[28:29], v69
	v_cmp_ngt_f64_e64 s10, 0xc090cc00, v[2:3]
	v_fma_f64 v[41:42], v[51:52], v[49:50], 1.0
	v_ldexp_f64 v[30:31], v[30:31], v63
	v_cmp_nlt_f64_e64 s11, 0x40900000, v[6:7]
	v_add_f64 v[26:27], v[26:27], 0
	v_fma_f64 v[32:33], v[65:66], v[33:34], s[12:13]
	v_fma_f64 v[34:35], v[61:62], v[37:38], s[14:15]
	;; [unrolled: 1-line block ×3, first 2 shown]
	v_fma_f64 v[43:44], v[47:48], v[59:60], 1.0
	v_cndmask_b32_e64 v29, 0x7ff00000, v29, s7
	s_and_b32 s7, s8, s7
	v_cmp_ngt_f64_e64 s12, 0xc090cc00, v[6:7]
	v_cndmask_b32_e64 v28, 0, v28, s7
	s_and_b32 s7, s10, s9
	v_cvt_i32_f64_e32 v47, v[39:40]
	v_fma_f64 v[38:39], v[51:52], v[41:42], 1.0
	v_cndmask_b32_e64 v29, 0, v29, s8
	v_cndmask_b32_e64 v42, 0x7ff00000, v31, s11
	v_cmp_ngt_f64_e64 s8, 0xc090cc00, v[8:9]
	v_cndmask_b32_e64 v27, 0x7ff00000, v27, s9
	v_fma_f64 v[32:33], v[65:66], v[32:33], s[14:15]
	v_fma_f64 v[34:35], v[61:62], v[34:35], s[18:19]
	v_fma_f64 v[36:37], v[57:58], v[36:37], 1.0
	v_cndmask_b32_e64 v26, 0, v26, s7
	v_cndmask_b32_e64 v27, 0, v27, s10
	v_ldexp_f64 v[40:41], v[43:44], v53
	v_cmp_nlt_f64_e64 s7, 0x40900000, v[8:9]
	s_and_b32 s9, s12, s11
	v_cvt_i32_f64_e32 v43, v[45:46]
	v_add_f64 v[26:27], v[26:27], v[28:29]
	v_cmp_ngt_f64_e64 s10, 0xc090cc00, v[10:11]
	v_fma_f64 v[28:29], v[65:66], v[32:33], s[18:19]
	v_fma_f64 v[31:32], v[61:62], v[34:35], 1.0
	v_fma_f64 v[33:34], v[57:58], v[36:37], 1.0
	v_ldexp_f64 v[35:36], v[38:39], v47
	v_cndmask_b32_e64 v38, 0, v42, s12
	v_cndmask_b32_e64 v37, 0, v30, s9
	;; [unrolled: 1-line block ×3, first 2 shown]
	v_cmp_nlt_f64_e64 s9, 0x40900000, v[10:11]
	s_and_b32 s7, s8, s7
	s_delay_alu instid0(VALU_DEP_3)
	v_add_f64 v[26:27], v[26:27], v[37:38]
	v_cvt_i32_f64_e32 v37, v[24:25]
	v_fma_f64 v[24:25], v[65:66], v[28:29], 1.0
	v_fma_f64 v[28:29], v[61:62], v[31:32], 1.0
	v_ldexp_f64 v[30:31], v[33:34], v43
	v_cndmask_b32_e64 v33, 0, v39, s8
	v_cndmask_b32_e64 v32, 0, v40, s7
	v_cmp_nlt_f64_e64 s7, 0x40900000, v[12:13]
	v_cmp_ngt_f64_e64 s8, 0xc090cc00, v[12:13]
	v_cndmask_b32_e64 v34, 0x7ff00000, v36, s9
	s_and_b32 s9, s10, s9
	v_add_f64 v[26:27], v[26:27], v[32:33]
	v_cvt_i32_f64_e32 v33, v[55:56]
	s_delay_alu instid0(VALU_DEP_3)
	v_cndmask_b32_e64 v32, 0, v34, s10
	v_cmp_ngt_f64_e64 s10, 0xc090cc00, v[14:15]
	v_fma_f64 v[24:25], v[65:66], v[24:25], 1.0
	v_ldexp_f64 v[28:29], v[28:29], v37
	v_cndmask_b32_e64 v36, 0x7ff00000, v31, s7
	v_cndmask_b32_e64 v31, 0, v35, s9
	v_cmp_nlt_f64_e64 s9, 0x40900000, v[14:15]
	s_and_b32 s7, s8, s7
	s_delay_alu instid0(SALU_CYCLE_1) | instskip(NEXT) | instid1(VALU_DEP_3)
	v_cndmask_b32_e64 v30, 0, v30, s7
	v_add_f64 v[26:27], v[26:27], v[31:32]
	v_cndmask_b32_e64 v31, 0, v36, s8
	v_cmp_nlt_f64_e64 s7, 0x40900000, v[16:17]
	v_cmp_ngt_f64_e64 s8, 0xc090cc00, v[16:17]
	v_ldexp_f64 v[24:25], v[24:25], v33
	v_cndmask_b32_e64 v29, 0x7ff00000, v29, s9
	s_and_b32 s9, s10, s9
	s_delay_alu instid0(SALU_CYCLE_1) | instskip(SKIP_1) | instid1(VALU_DEP_3)
	v_cndmask_b32_e64 v28, 0, v28, s9
	v_add_f64 v[26:27], v[26:27], v[30:31]
	v_cndmask_b32_e64 v29, 0, v29, s10
	v_cndmask_b32_e64 v30, 0x7ff00000, v25, s7
	s_and_b32 s7, s8, s7
	s_delay_alu instid0(VALU_DEP_2) | instskip(NEXT) | instid1(VALU_DEP_2)
	v_add_f64 v[25:26], v[26:27], v[28:29]
	v_cndmask_b32_e64 v28, 0, v30, s8
	v_cndmask_b32_e64 v27, 0, v24, s7
	s_mov_b32 s8, exec_lo
	s_delay_alu instid0(VALU_DEP_1)
	v_add_f64 v[24:25], v[25:26], v[27:28]
	ds_bpermute_b32 v26, v18, v24
	ds_bpermute_b32 v27, v18, v25
	s_waitcnt lgkmcnt(0)
	v_add_f64 v[24:25], v[24:25], v[26:27]
	ds_bpermute_b32 v18, v19, v24
	ds_bpermute_b32 v19, v19, v25
	s_waitcnt lgkmcnt(0)
	;; [unrolled: 4-line block ×4, first 2 shown]
	v_add_f64 v[18:19], v[18:19], v[20:21]
	ds_bpermute_b32 v20, v23, v18
	ds_bpermute_b32 v21, v23, v19
	v_cmpx_lt_i32_e32 0, v22
	s_cbranch_execz .LBB17_26
; %bb.17:
	s_and_b32 exec_lo, exec_lo, s6
	s_cbranch_execz .LBB17_26
; %bb.18:
	s_waitcnt lgkmcnt(0)
	v_add_f64 v[19:20], v[18:19], v[20:21]
	s_mov_b32 s9, 0x3fe55555
	s_mov_b32 s8, 0x55555555
	v_mov_b32_e32 v23, 0
	s_mov_b32 s10, 0x6b47b09a
	s_mov_b32 s12, 0xbf559e2b
	;; [unrolled: 1-line block ×4, first 2 shown]
	s_delay_alu instid0(VALU_DEP_2) | instskip(SKIP_1) | instid1(VALU_DEP_2)
	v_frexp_mant_f64_e32 v[21:22], v[19:20]
	v_frexp_exp_i32_f64_e32 v18, v[19:20]
	v_cmp_gt_f64_e64 s6, s[8:9], v[21:22]
	s_mov_b32 s8, 0x55555780
	s_delay_alu instid0(VALU_DEP_1) | instskip(NEXT) | instid1(VALU_DEP_3)
	v_cndmask_b32_e64 v24, 0x3ff00000, 2.0, s6
	v_subrev_co_ci_u32_e64 v18, s6, 0, v18, s6
	s_mov_b32 s6, 0xfefa39ef
	s_mov_b32 s7, 0x3fe62e42
	s_delay_alu instid0(VALU_DEP_2) | instskip(NEXT) | instid1(VALU_DEP_1)
	v_mul_f64 v[21:22], v[21:22], v[23:24]
	v_add_f64 v[23:24], v[21:22], 1.0
	v_add_f64 v[29:30], v[21:22], -1.0
	s_delay_alu instid0(VALU_DEP_2) | instskip(SKIP_1) | instid1(VALU_DEP_1)
	v_rcp_f64_e32 v[25:26], v[23:24]
	v_add_f64 v[31:32], v[23:24], -1.0
	v_add_f64 v[21:22], v[21:22], -v[31:32]
	s_waitcnt_depctr 0xfff
	v_fma_f64 v[27:28], -v[23:24], v[25:26], 1.0
	s_delay_alu instid0(VALU_DEP_1) | instskip(NEXT) | instid1(VALU_DEP_1)
	v_fma_f64 v[25:26], v[27:28], v[25:26], v[25:26]
	v_fma_f64 v[27:28], -v[23:24], v[25:26], 1.0
	s_delay_alu instid0(VALU_DEP_1) | instskip(NEXT) | instid1(VALU_DEP_1)
	v_fma_f64 v[25:26], v[27:28], v[25:26], v[25:26]
	v_mul_f64 v[27:28], v[29:30], v[25:26]
	s_delay_alu instid0(VALU_DEP_1) | instskip(NEXT) | instid1(VALU_DEP_1)
	v_mul_f64 v[33:34], v[23:24], v[27:28]
	v_fma_f64 v[23:24], v[27:28], v[23:24], -v[33:34]
	s_delay_alu instid0(VALU_DEP_1) | instskip(NEXT) | instid1(VALU_DEP_1)
	v_fma_f64 v[21:22], v[27:28], v[21:22], v[23:24]
	v_add_f64 v[23:24], v[33:34], v[21:22]
	s_delay_alu instid0(VALU_DEP_1) | instskip(SKIP_1) | instid1(VALU_DEP_2)
	v_add_f64 v[31:32], v[29:30], -v[23:24]
	v_add_f64 v[33:34], v[23:24], -v[33:34]
	;; [unrolled: 1-line block ×3, first 2 shown]
	s_delay_alu instid0(VALU_DEP_2) | instskip(NEXT) | instid1(VALU_DEP_2)
	v_add_f64 v[21:22], v[33:34], -v[21:22]
	v_add_f64 v[23:24], v[29:30], -v[23:24]
	s_delay_alu instid0(VALU_DEP_1) | instskip(NEXT) | instid1(VALU_DEP_1)
	v_add_f64 v[21:22], v[21:22], v[23:24]
	v_add_f64 v[21:22], v[31:32], v[21:22]
	s_delay_alu instid0(VALU_DEP_1) | instskip(NEXT) | instid1(VALU_DEP_1)
	v_mul_f64 v[21:22], v[25:26], v[21:22]
	v_add_f64 v[23:24], v[27:28], v[21:22]
	s_delay_alu instid0(VALU_DEP_1) | instskip(NEXT) | instid1(VALU_DEP_1)
	v_mul_f64 v[25:26], v[23:24], v[23:24]
	v_fma_f64 v[29:30], v[25:26], s[12:13], s[10:11]
	s_mov_b32 s10, 0xd7f4df2e
	s_mov_b32 s11, 0x3fc7474d
	v_mul_f64 v[31:32], v[23:24], v[25:26]
	s_delay_alu instid0(VALU_DEP_2)
	v_fma_f64 v[29:30], v[25:26], v[29:30], s[10:11]
	s_mov_b32 s10, 0x16291751
	s_mov_b32 s11, 0x3fcc71c0
	s_delay_alu instid0(VALU_DEP_1) | instid1(SALU_CYCLE_1)
	v_fma_f64 v[29:30], v[25:26], v[29:30], s[10:11]
	s_mov_b32 s10, 0x9b27acf1
	s_mov_b32 s11, 0x3fd24924
	s_delay_alu instid0(VALU_DEP_1) | instid1(SALU_CYCLE_1)
	;; [unrolled: 4-line block ×3, first 2 shown]
	v_fma_f64 v[29:30], v[25:26], v[29:30], s[10:11]
	s_delay_alu instid0(VALU_DEP_1) | instskip(SKIP_2) | instid1(VALU_DEP_3)
	v_fma_f64 v[25:26], v[25:26], v[29:30], s[8:9]
	v_ldexp_f64 v[29:30], v[23:24], 1
	v_add_f64 v[23:24], v[23:24], -v[27:28]
	v_mul_f64 v[25:26], v[31:32], v[25:26]
	v_cvt_f64_i32_e32 v[31:32], v18
	s_delay_alu instid0(VALU_DEP_3) | instskip(NEXT) | instid1(VALU_DEP_3)
	v_add_f64 v[21:22], v[21:22], -v[23:24]
	v_add_f64 v[27:28], v[29:30], v[25:26]
	s_delay_alu instid0(VALU_DEP_3) | instskip(NEXT) | instid1(VALU_DEP_3)
	v_mul_f64 v[33:34], v[31:32], s[6:7]
	v_ldexp_f64 v[21:22], v[21:22], 1
	s_delay_alu instid0(VALU_DEP_3) | instskip(NEXT) | instid1(VALU_DEP_3)
	v_add_f64 v[23:24], v[27:28], -v[29:30]
	v_fma_f64 v[29:30], v[31:32], s[6:7], -v[33:34]
	s_mov_b32 s6, 0x3b39803f
	s_mov_b32 s7, 0x3c7abc9e
	s_delay_alu instid0(VALU_DEP_2) | instskip(NEXT) | instid1(VALU_DEP_2)
	v_add_f64 v[23:24], v[25:26], -v[23:24]
	v_fma_f64 v[25:26], v[31:32], s[6:7], v[29:30]
	v_cmp_class_f64_e64 s6, v[19:20], 0x204
	s_delay_alu instid0(VALU_DEP_3) | instskip(NEXT) | instid1(VALU_DEP_3)
	v_add_f64 v[21:22], v[21:22], v[23:24]
	v_add_f64 v[23:24], v[33:34], v[25:26]
	s_delay_alu instid0(VALU_DEP_2) | instskip(NEXT) | instid1(VALU_DEP_2)
	v_add_f64 v[29:30], v[27:28], v[21:22]
	v_add_f64 v[33:34], v[23:24], -v[33:34]
	s_delay_alu instid0(VALU_DEP_2) | instskip(SKIP_1) | instid1(VALU_DEP_3)
	v_add_f64 v[31:32], v[23:24], v[29:30]
	v_add_f64 v[27:28], v[29:30], -v[27:28]
	v_add_f64 v[25:26], v[25:26], -v[33:34]
	s_delay_alu instid0(VALU_DEP_3) | instskip(NEXT) | instid1(VALU_DEP_3)
	v_add_f64 v[35:36], v[31:32], -v[23:24]
	v_add_f64 v[21:22], v[21:22], -v[27:28]
	s_delay_alu instid0(VALU_DEP_2) | instskip(SKIP_1) | instid1(VALU_DEP_3)
	v_add_f64 v[37:38], v[31:32], -v[35:36]
	v_add_f64 v[27:28], v[29:30], -v[35:36]
	v_add_f64 v[29:30], v[25:26], v[21:22]
	s_delay_alu instid0(VALU_DEP_3) | instskip(NEXT) | instid1(VALU_DEP_1)
	v_add_f64 v[23:24], v[23:24], -v[37:38]
	v_add_f64 v[23:24], v[27:28], v[23:24]
	s_delay_alu instid0(VALU_DEP_3) | instskip(NEXT) | instid1(VALU_DEP_2)
	v_add_f64 v[27:28], v[29:30], -v[25:26]
	v_add_f64 v[23:24], v[29:30], v[23:24]
	s_delay_alu instid0(VALU_DEP_2) | instskip(SKIP_1) | instid1(VALU_DEP_3)
	v_add_f64 v[29:30], v[29:30], -v[27:28]
	v_add_f64 v[21:22], v[21:22], -v[27:28]
	v_add_f64 v[33:34], v[31:32], v[23:24]
	s_delay_alu instid0(VALU_DEP_3) | instskip(NEXT) | instid1(VALU_DEP_2)
	v_add_f64 v[25:26], v[25:26], -v[29:30]
	v_add_f64 v[27:28], v[33:34], -v[31:32]
	s_delay_alu instid0(VALU_DEP_2) | instskip(NEXT) | instid1(VALU_DEP_2)
	v_add_f64 v[21:22], v[21:22], v[25:26]
	v_add_f64 v[23:24], v[23:24], -v[27:28]
	s_delay_alu instid0(VALU_DEP_1) | instskip(NEXT) | instid1(VALU_DEP_1)
	v_add_f64 v[21:22], v[21:22], v[23:24]
	v_add_f64 v[21:22], v[33:34], v[21:22]
	s_delay_alu instid0(VALU_DEP_1) | instskip(NEXT) | instid1(VALU_DEP_2)
	v_cndmask_b32_e64 v18, v21, v19, s6
	v_cndmask_b32_e64 v21, v22, v20, s6
	v_cmp_ngt_f64_e64 s6, 0, v[19:20]
	s_delay_alu instid0(VALU_DEP_1) | instskip(SKIP_1) | instid1(VALU_DEP_1)
	v_cndmask_b32_e64 v21, 0x7ff80000, v21, s6
	v_cmp_nge_f64_e64 s6, 0, v[19:20]
	v_cndmask_b32_e64 v18, 0, v18, s6
	v_cmp_neq_f64_e64 s6, 0, v[19:20]
	s_delay_alu instid0(VALU_DEP_1) | instskip(SKIP_1) | instid1(VALU_DEP_1)
	v_cndmask_b32_e64 v19, 0xfff00000, v21, s6
	v_add_co_u32 v0, s6, s16, v0
	v_add_co_ci_u32_e64 v1, s6, s17, v1, s6
	s_delay_alu instid0(VALU_DEP_3)
	v_add_f64 v[2:3], v[2:3], -v[18:19]
	global_store_b64 v[0:1], v[2:3], off
	s_and_b32 exec_lo, exec_lo, vcc_lo
	s_cbranch_execz .LBB17_26
; %bb.19:
	v_add_f64 v[2:3], v[4:5], -v[18:19]
	global_store_b64 v[0:1], v[2:3], off offset:256
	s_and_b32 exec_lo, exec_lo, s0
	s_cbranch_execz .LBB17_26
; %bb.20:
	v_add_f64 v[2:3], v[6:7], -v[18:19]
	global_store_b64 v[0:1], v[2:3], off offset:512
	s_and_b32 exec_lo, exec_lo, s1
	;; [unrolled: 5-line block ×6, first 2 shown]
	s_cbranch_execz .LBB17_26
; %bb.25:
	v_add_f64 v[2:3], v[16:17], -v[18:19]
	global_store_b64 v[0:1], v[2:3], off offset:1792
.LBB17_26:
	s_nop 0
	s_sendmsg sendmsg(MSG_DEALLOC_VGPRS)
	s_endpgm
	.section	.rodata,"a",@progbits
	.p2align	6, 0x0
	.amdhsa_kernel _ZN12_GLOBAL__N_120softmax_warp_forwardIdddLi8ELb1ELb0ELi32EEEvPT0_PKT_iiiPKbib
		.amdhsa_group_segment_fixed_size 0
		.amdhsa_private_segment_fixed_size 0
		.amdhsa_kernarg_size 304
		.amdhsa_user_sgpr_count 15
		.amdhsa_user_sgpr_dispatch_ptr 0
		.amdhsa_user_sgpr_queue_ptr 0
		.amdhsa_user_sgpr_kernarg_segment_ptr 1
		.amdhsa_user_sgpr_dispatch_id 0
		.amdhsa_user_sgpr_private_segment_size 0
		.amdhsa_wavefront_size32 1
		.amdhsa_uses_dynamic_stack 0
		.amdhsa_enable_private_segment 0
		.amdhsa_system_sgpr_workgroup_id_x 1
		.amdhsa_system_sgpr_workgroup_id_y 0
		.amdhsa_system_sgpr_workgroup_id_z 0
		.amdhsa_system_sgpr_workgroup_info 0
		.amdhsa_system_vgpr_workitem_id 1
		.amdhsa_next_free_vgpr 74
		.amdhsa_next_free_sgpr 26
		.amdhsa_reserve_vcc 1
		.amdhsa_float_round_mode_32 0
		.amdhsa_float_round_mode_16_64 0
		.amdhsa_float_denorm_mode_32 3
		.amdhsa_float_denorm_mode_16_64 3
		.amdhsa_dx10_clamp 1
		.amdhsa_ieee_mode 1
		.amdhsa_fp16_overflow 0
		.amdhsa_workgroup_processor_mode 1
		.amdhsa_memory_ordered 1
		.amdhsa_forward_progress 0
		.amdhsa_shared_vgpr_count 0
		.amdhsa_exception_fp_ieee_invalid_op 0
		.amdhsa_exception_fp_denorm_src 0
		.amdhsa_exception_fp_ieee_div_zero 0
		.amdhsa_exception_fp_ieee_overflow 0
		.amdhsa_exception_fp_ieee_underflow 0
		.amdhsa_exception_fp_ieee_inexact 0
		.amdhsa_exception_int_div_zero 0
	.end_amdhsa_kernel
	.section	.text._ZN12_GLOBAL__N_120softmax_warp_forwardIdddLi8ELb1ELb0ELi32EEEvPT0_PKT_iiiPKbib,"axG",@progbits,_ZN12_GLOBAL__N_120softmax_warp_forwardIdddLi8ELb1ELb0ELi32EEEvPT0_PKT_iiiPKbib,comdat
.Lfunc_end17:
	.size	_ZN12_GLOBAL__N_120softmax_warp_forwardIdddLi8ELb1ELb0ELi32EEEvPT0_PKT_iiiPKbib, .Lfunc_end17-_ZN12_GLOBAL__N_120softmax_warp_forwardIdddLi8ELb1ELb0ELi32EEEvPT0_PKT_iiiPKbib
                                        ; -- End function
	.section	.AMDGPU.csdata,"",@progbits
; Kernel info:
; codeLenInByte = 4316
; NumSgprs: 28
; NumVgprs: 74
; ScratchSize: 0
; MemoryBound: 0
; FloatMode: 240
; IeeeMode: 1
; LDSByteSize: 0 bytes/workgroup (compile time only)
; SGPRBlocks: 3
; VGPRBlocks: 9
; NumSGPRsForWavesPerEU: 28
; NumVGPRsForWavesPerEU: 74
; Occupancy: 16
; WaveLimiterHint : 0
; COMPUTE_PGM_RSRC2:SCRATCH_EN: 0
; COMPUTE_PGM_RSRC2:USER_SGPR: 15
; COMPUTE_PGM_RSRC2:TRAP_HANDLER: 0
; COMPUTE_PGM_RSRC2:TGID_X_EN: 1
; COMPUTE_PGM_RSRC2:TGID_Y_EN: 0
; COMPUTE_PGM_RSRC2:TGID_Z_EN: 0
; COMPUTE_PGM_RSRC2:TIDIG_COMP_CNT: 1
	.section	.text._ZN12_GLOBAL__N_120softmax_warp_forwardIdddLi9ELb1ELb0ELi64EEEvPT0_PKT_iiiPKbib,"axG",@progbits,_ZN12_GLOBAL__N_120softmax_warp_forwardIdddLi9ELb1ELb0ELi64EEEvPT0_PKT_iiiPKbib,comdat
	.globl	_ZN12_GLOBAL__N_120softmax_warp_forwardIdddLi9ELb1ELb0ELi64EEEvPT0_PKT_iiiPKbib ; -- Begin function _ZN12_GLOBAL__N_120softmax_warp_forwardIdddLi9ELb1ELb0ELi64EEEvPT0_PKT_iiiPKbib
	.p2align	8
	.type	_ZN12_GLOBAL__N_120softmax_warp_forwardIdddLi9ELb1ELb0ELi64EEEvPT0_PKT_iiiPKbib,@function
_ZN12_GLOBAL__N_120softmax_warp_forwardIdddLi9ELb1ELb0ELi64EEEvPT0_PKT_iiiPKbib: ; @_ZN12_GLOBAL__N_120softmax_warp_forwardIdddLi9ELb1ELb0ELi64EEEvPT0_PKT_iiiPKbib
; %bb.0:
	s_clause 0x1
	s_load_b32 s2, s[0:1], 0x3c
	s_load_b256 s[16:23], s[0:1], 0x0
	v_bfe_u32 v1, v0, 10, 10
	v_mov_b32_e32 v4, 0
	v_mov_b32_e32 v5, 0xfff00000
	v_and_b32_e32 v18, 0x3ff, v0
	s_waitcnt lgkmcnt(0)
	s_lshr_b32 s0, s2, 16
	s_delay_alu instid0(SALU_CYCLE_1) | instskip(NEXT) | instid1(VALU_DEP_1)
	v_mad_u64_u32 v[2:3], null, s15, s0, v[1:2]
	v_mad_u64_u32 v[0:1], null, v2, s21, v[18:19]
	v_sub_nc_u32_e32 v22, s20, v2
	v_dual_mov_b32 v2, v4 :: v_dual_mov_b32 v3, v5
	v_cmp_gt_i32_e64 s6, s22, v18
	s_delay_alu instid0(VALU_DEP_3) | instskip(SKIP_1) | instid1(VALU_DEP_2)
	v_cmp_lt_i32_e64 s7, 0, v22
	v_ashrrev_i32_e32 v1, 31, v0
	s_and_b32 s1, s7, s6
	s_delay_alu instid0(VALU_DEP_1) | instskip(NEXT) | instid1(VALU_DEP_1)
	v_lshlrev_b64 v[0:1], 3, v[0:1]
	v_add_co_u32 v19, vcc_lo, s18, v0
	s_delay_alu instid0(VALU_DEP_2)
	v_add_co_ci_u32_e32 v20, vcc_lo, s19, v1, vcc_lo
	s_and_saveexec_b32 s0, s1
	s_cbranch_execz .LBB18_2
; %bb.1:
	global_load_b64 v[2:3], v[19:20], off
.LBB18_2:
	s_or_b32 exec_lo, exec_lo, s0
	v_add_nc_u32_e32 v6, 64, v18
	s_delay_alu instid0(VALU_DEP_1) | instskip(SKIP_1) | instid1(SALU_CYCLE_1)
	v_cmp_gt_i32_e32 vcc_lo, s22, v6
	s_and_b32 s1, s7, vcc_lo
	s_and_saveexec_b32 s0, s1
	s_cbranch_execz .LBB18_4
; %bb.3:
	global_load_b64 v[4:5], v[19:20], off offset:512
.LBB18_4:
	s_or_b32 exec_lo, exec_lo, s0
	v_mov_b32_e32 v8, 0
	v_mov_b32_e32 v9, 0xfff00000
	v_add_nc_u32_e32 v6, 0x80, v18
	s_delay_alu instid0(VALU_DEP_1) | instskip(NEXT) | instid1(VALU_DEP_3)
	v_cmp_gt_i32_e64 s0, s22, v6
	v_dual_mov_b32 v6, v8 :: v_dual_mov_b32 v7, v9
	s_delay_alu instid0(VALU_DEP_2) | instskip(NEXT) | instid1(SALU_CYCLE_1)
	s_and_b32 s2, s7, s0
	s_and_saveexec_b32 s1, s2
	s_cbranch_execz .LBB18_6
; %bb.5:
	global_load_b64 v[6:7], v[19:20], off offset:1024
.LBB18_6:
	s_or_b32 exec_lo, exec_lo, s1
	v_add_nc_u32_e32 v10, 0xc0, v18
	s_delay_alu instid0(VALU_DEP_1) | instskip(NEXT) | instid1(VALU_DEP_1)
	v_cmp_gt_i32_e64 s1, s22, v10
	s_and_b32 s3, s7, s1
	s_delay_alu instid0(SALU_CYCLE_1)
	s_and_saveexec_b32 s2, s3
	s_cbranch_execz .LBB18_8
; %bb.7:
	global_load_b64 v[8:9], v[19:20], off offset:1536
.LBB18_8:
	s_or_b32 exec_lo, exec_lo, s2
	v_mov_b32_e32 v12, 0
	v_mov_b32_e32 v13, 0xfff00000
	v_add_nc_u32_e32 v10, 0x100, v18
	s_delay_alu instid0(VALU_DEP_1) | instskip(NEXT) | instid1(VALU_DEP_3)
	v_cmp_gt_i32_e64 s2, s22, v10
	v_dual_mov_b32 v10, v12 :: v_dual_mov_b32 v11, v13
	s_delay_alu instid0(VALU_DEP_2) | instskip(NEXT) | instid1(SALU_CYCLE_1)
	s_and_b32 s4, s7, s2
	s_and_saveexec_b32 s3, s4
	s_cbranch_execz .LBB18_10
; %bb.9:
	global_load_b64 v[10:11], v[19:20], off offset:2048
.LBB18_10:
	s_or_b32 exec_lo, exec_lo, s3
	v_add_nc_u32_e32 v14, 0x140, v18
	s_delay_alu instid0(VALU_DEP_1) | instskip(NEXT) | instid1(VALU_DEP_1)
	v_cmp_gt_i32_e64 s3, s22, v14
	s_and_b32 s5, s7, s3
	s_delay_alu instid0(SALU_CYCLE_1)
	;; [unrolled: 25-line block ×3, first 2 shown]
	s_and_saveexec_b32 s7, s8
	s_cbranch_execz .LBB18_16
; %bb.15:
	global_load_b64 v[16:17], v[19:20], off offset:3584
.LBB18_16:
	s_or_b32 exec_lo, exec_lo, s7
	s_waitcnt vmcnt(0)
	v_cmp_gt_f64_e64 s7, v[2:3], v[4:5]
	v_mbcnt_lo_u32_b32 v29, -1, 0
	s_mov_b32 s10, 0xfefa39ef
	s_mov_b32 s11, 0xbfe62e42
	;; [unrolled: 1-line block ×14, first 2 shown]
	s_delay_alu instid0(VALU_DEP_2) | instskip(SKIP_1) | instid1(VALU_DEP_1)
	v_cndmask_b32_e64 v19, v5, v3, s7
	v_cndmask_b32_e64 v18, v4, v2, s7
	v_cmp_gt_f64_e64 s7, v[18:19], v[6:7]
	s_delay_alu instid0(VALU_DEP_1) | instskip(SKIP_1) | instid1(VALU_DEP_1)
	v_cndmask_b32_e64 v19, v7, v19, s7
	v_cndmask_b32_e64 v18, v6, v18, s7
	v_cmp_gt_f64_e64 s7, v[18:19], v[8:9]
	s_delay_alu instid0(VALU_DEP_1) | instskip(SKIP_1) | instid1(VALU_DEP_1)
	;; [unrolled: 4-line block ×4, first 2 shown]
	v_cndmask_b32_e64 v19, v13, v19, s7
	v_cndmask_b32_e64 v18, v12, v18, s7
	v_cmp_gt_f64_e64 s7, v[18:19], v[14:15]
	s_delay_alu instid0(VALU_DEP_1) | instskip(SKIP_2) | instid1(VALU_DEP_2)
	v_cndmask_b32_e64 v20, v15, v19, s7
	v_cndmask_b32_e64 v19, v14, v18, s7
	v_or_b32_e32 v18, 32, v29
	v_cmp_gt_f64_e64 s7, v[19:20], v[16:17]
	s_delay_alu instid0(VALU_DEP_2) | instskip(NEXT) | instid1(VALU_DEP_1)
	v_cmp_gt_i32_e64 s8, 64, v18
	v_cndmask_b32_e64 v18, v29, v18, s8
	s_delay_alu instid0(VALU_DEP_1) | instskip(NEXT) | instid1(VALU_DEP_4)
	v_lshlrev_b32_e32 v18, 2, v18
	v_cndmask_b32_e64 v21, v17, v20, s7
	v_cndmask_b32_e64 v20, v16, v19, s7
	v_xor_b32_e32 v19, 16, v29
	ds_bpermute_b32 v24, v18, v21
	ds_bpermute_b32 v23, v18, v20
	v_cmp_gt_i32_e64 s8, 64, v19
	s_delay_alu instid0(VALU_DEP_1) | instskip(NEXT) | instid1(VALU_DEP_1)
	v_cndmask_b32_e64 v19, v29, v19, s8
	v_lshlrev_b32_e32 v19, 2, v19
	s_waitcnt lgkmcnt(0)
	v_cmp_lt_f64_e64 s7, v[20:21], v[23:24]
	s_delay_alu instid0(VALU_DEP_1)
	v_cndmask_b32_e64 v24, v21, v24, s7
	v_cndmask_b32_e64 v23, v20, v23, s7
	v_xor_b32_e32 v20, 8, v29
	v_xor_b32_e32 v21, 4, v29
	ds_bpermute_b32 v26, v19, v24
	ds_bpermute_b32 v25, v19, v23
	v_cmp_gt_i32_e64 s8, 64, v20
	s_delay_alu instid0(VALU_DEP_1) | instskip(SKIP_1) | instid1(VALU_DEP_2)
	v_cndmask_b32_e64 v20, v29, v20, s8
	v_cmp_gt_i32_e64 s8, 64, v21
	v_lshlrev_b32_e32 v20, 2, v20
	s_delay_alu instid0(VALU_DEP_2) | instskip(NEXT) | instid1(VALU_DEP_1)
	v_cndmask_b32_e64 v21, v29, v21, s8
	v_lshlrev_b32_e32 v21, 2, v21
	s_waitcnt lgkmcnt(0)
	v_cmp_lt_f64_e64 s7, v[23:24], v[25:26]
	s_delay_alu instid0(VALU_DEP_1)
	v_cndmask_b32_e64 v24, v24, v26, s7
	v_cndmask_b32_e64 v23, v23, v25, s7
	ds_bpermute_b32 v26, v20, v24
	ds_bpermute_b32 v25, v20, v23
	s_waitcnt lgkmcnt(0)
	v_cmp_lt_f64_e64 s7, v[23:24], v[25:26]
	s_delay_alu instid0(VALU_DEP_1)
	v_cndmask_b32_e64 v26, v24, v26, s7
	v_cndmask_b32_e64 v25, v23, v25, s7
	v_xor_b32_e32 v23, 2, v29
	v_xor_b32_e32 v24, 1, v29
	ds_bpermute_b32 v28, v21, v26
	ds_bpermute_b32 v27, v21, v25
	v_cmp_gt_i32_e64 s8, 64, v23
	s_delay_alu instid0(VALU_DEP_1) | instskip(SKIP_1) | instid1(VALU_DEP_2)
	v_cndmask_b32_e64 v23, v29, v23, s8
	v_cmp_gt_i32_e64 s8, 64, v24
	v_lshlrev_b32_e32 v23, 2, v23
	s_delay_alu instid0(VALU_DEP_2) | instskip(SKIP_2) | instid1(VALU_DEP_1)
	v_cndmask_b32_e64 v24, v29, v24, s8
	s_mov_b32 s8, 0x652b82fe
	s_mov_b32 s9, 0x3ff71547
	v_lshlrev_b32_e32 v24, 2, v24
	s_waitcnt lgkmcnt(0)
	v_cmp_lt_f64_e64 s7, v[25:26], v[27:28]
	s_delay_alu instid0(VALU_DEP_1)
	v_cndmask_b32_e64 v26, v26, v28, s7
	v_cndmask_b32_e64 v25, v25, v27, s7
	ds_bpermute_b32 v28, v23, v26
	ds_bpermute_b32 v27, v23, v25
	s_waitcnt lgkmcnt(0)
	v_cmp_lt_f64_e64 s7, v[25:26], v[27:28]
	s_delay_alu instid0(VALU_DEP_1)
	v_cndmask_b32_e64 v26, v26, v28, s7
	v_cndmask_b32_e64 v25, v25, v27, s7
	ds_bpermute_b32 v28, v24, v26
	ds_bpermute_b32 v27, v24, v25
	s_waitcnt lgkmcnt(0)
	v_cmp_lt_f64_e64 s7, v[25:26], v[27:28]
	s_delay_alu instid0(VALU_DEP_1) | instskip(SKIP_1) | instid1(VALU_DEP_1)
	v_cndmask_b32_e64 v26, v26, v28, s7
	v_cndmask_b32_e64 v25, v25, v27, s7
	v_add_f64 v[2:3], v[2:3], -v[25:26]
	v_add_f64 v[4:5], v[4:5], -v[25:26]
	;; [unrolled: 1-line block ×8, first 2 shown]
	v_mul_f64 v[27:28], v[2:3], s[8:9]
	v_mul_f64 v[29:30], v[4:5], s[8:9]
	;; [unrolled: 1-line block ×8, first 2 shown]
	s_mov_b32 s8, 0x14761f6e
	s_mov_b32 s9, 0x3f2a01a0
	v_cmp_nlt_f64_e64 s7, 0x40900000, v[4:5]
	v_rndne_f64_e32 v[27:28], v[27:28]
	v_rndne_f64_e32 v[29:30], v[29:30]
	;; [unrolled: 1-line block ×8, first 2 shown]
	v_fma_f64 v[33:34], v[27:28], s[10:11], v[2:3]
	v_fma_f64 v[37:38], v[29:30], s[10:11], v[4:5]
	;; [unrolled: 1-line block ×8, first 2 shown]
	s_mov_b32 s10, 0x11122322
	s_mov_b32 s11, 0x3f811111
	v_cvt_i32_f64_e32 v73, v[27:28]
	v_fma_f64 v[33:34], v[27:28], s[12:13], v[33:34]
	v_fma_f64 v[37:38], v[29:30], s[12:13], v[37:38]
	;; [unrolled: 1-line block ×8, first 2 shown]
	s_mov_b32 s12, 0x555502a1
	s_mov_b32 s13, 0x3fa55555
	v_fma_f64 v[43:44], v[33:34], s[18:19], s[14:15]
	v_fma_f64 v[49:50], v[37:38], s[18:19], s[14:15]
	;; [unrolled: 1-line block ×8, first 2 shown]
	s_mov_b32 s14, 0x55555511
	s_mov_b32 s15, 0x3fc55555
	;; [unrolled: 1-line block ×4, first 2 shown]
	v_fma_f64 v[43:44], v[33:34], v[43:44], s[20:21]
	v_fma_f64 v[49:50], v[37:38], v[49:50], s[20:21]
	;; [unrolled: 1-line block ×24, first 2 shown]
	v_cmp_nlt_f64_e64 s9, 0x40900000, v[2:3]
	v_cmp_ngt_f64_e64 s8, 0xc090cc00, v[4:5]
	v_fma_f64 v[43:44], v[33:34], v[43:44], s[24:25]
	v_fma_f64 v[49:50], v[37:38], v[49:50], s[24:25]
	;; [unrolled: 1-line block ×28, first 2 shown]
	s_delay_alu instid0(VALU_DEP_4) | instskip(NEXT) | instid1(VALU_DEP_4)
	v_fma_f64 v[43:44], v[33:34], v[43:44], 1.0
	v_fma_f64 v[49:50], v[37:38], v[49:50], 1.0
	s_delay_alu instid0(VALU_DEP_4) | instskip(NEXT) | instid1(VALU_DEP_4)
	v_fma_f64 v[53:54], v[41:42], v[53:54], 1.0
	v_fma_f64 v[59:60], v[47:48], v[59:60], 1.0
	s_delay_alu instid0(VALU_DEP_4)
	v_fma_f64 v[27:28], v[33:34], v[43:44], 1.0
	v_fma_f64 v[33:34], v[65:66], v[71:72], s[24:25]
	v_fma_f64 v[43:44], v[61:62], v[69:70], s[10:11]
	v_cvt_i32_f64_e32 v69, v[29:30]
	v_fma_f64 v[29:30], v[37:38], v[49:50], 1.0
	v_fma_f64 v[49:50], v[51:52], v[63:64], s[18:19]
	v_cvt_i32_f64_e32 v63, v[31:32]
	v_fma_f64 v[31:32], v[41:42], v[53:54], 1.0
	v_cvt_i32_f64_e32 v53, v[35:36]
	v_ldexp_f64 v[27:28], v[27:28], v73
	v_fma_f64 v[33:34], v[65:66], v[33:34], s[10:11]
	v_fma_f64 v[37:38], v[61:62], v[43:44], s[12:13]
	;; [unrolled: 1-line block ×3, first 2 shown]
	v_ldexp_f64 v[29:30], v[29:30], v69
	v_cmp_ngt_f64_e64 s10, 0xc090cc00, v[2:3]
	v_fma_f64 v[41:42], v[51:52], v[49:50], 1.0
	v_ldexp_f64 v[31:32], v[31:32], v63
	v_cmp_nlt_f64_e64 s11, 0x40900000, v[6:7]
	v_add_f64 v[27:28], v[27:28], 0
	v_fma_f64 v[33:34], v[65:66], v[33:34], s[12:13]
	v_fma_f64 v[35:36], v[61:62], v[37:38], s[14:15]
	;; [unrolled: 1-line block ×3, first 2 shown]
	v_fma_f64 v[43:44], v[47:48], v[59:60], 1.0
	v_cndmask_b32_e64 v30, 0x7ff00000, v30, s7
	s_and_b32 s7, s8, s7
	v_cmp_ngt_f64_e64 s12, 0xc090cc00, v[6:7]
	v_cndmask_b32_e64 v29, 0, v29, s7
	s_and_b32 s7, s10, s9
	v_cvt_i32_f64_e32 v47, v[39:40]
	v_fma_f64 v[39:40], v[51:52], v[41:42], 1.0
	v_cndmask_b32_e64 v30, 0, v30, s8
	v_cmp_ngt_f64_e64 s8, 0xc090cc00, v[8:9]
	v_cndmask_b32_e64 v28, 0x7ff00000, v28, s9
	v_fma_f64 v[33:34], v[65:66], v[33:34], s[14:15]
	v_fma_f64 v[35:36], v[61:62], v[35:36], s[18:19]
	v_fma_f64 v[37:38], v[57:58], v[37:38], 1.0
	v_cndmask_b32_e64 v27, 0, v27, s7
	v_cndmask_b32_e64 v28, 0, v28, s10
	v_ldexp_f64 v[41:42], v[43:44], v53
	v_cndmask_b32_e64 v43, 0x7ff00000, v32, s11
	v_cmp_nlt_f64_e64 s7, 0x40900000, v[8:9]
	s_and_b32 s9, s12, s11
	v_add_f64 v[27:28], v[27:28], v[29:30]
	v_cvt_i32_f64_e32 v44, v[45:46]
	v_cmp_ngt_f64_e64 s10, 0xc090cc00, v[10:11]
	v_fma_f64 v[29:30], v[65:66], v[33:34], s[18:19]
	v_fma_f64 v[32:33], v[61:62], v[35:36], 1.0
	v_fma_f64 v[34:35], v[57:58], v[37:38], 1.0
	v_ldexp_f64 v[36:37], v[39:40], v47
	v_cndmask_b32_e64 v39, 0, v43, s12
	v_cndmask_b32_e64 v38, 0, v31, s9
	v_cmp_nlt_f64_e64 s9, 0x40900000, v[10:11]
	v_cndmask_b32_e64 v40, 0x7ff00000, v42, s7
	s_and_b32 s7, s8, s7
	s_delay_alu instid0(VALU_DEP_3)
	v_add_f64 v[27:28], v[27:28], v[38:39]
	v_cvt_i32_f64_e32 v38, v[25:26]
	v_fma_f64 v[25:26], v[65:66], v[29:30], 1.0
	v_fma_f64 v[29:30], v[61:62], v[32:33], 1.0
	v_ldexp_f64 v[31:32], v[34:35], v44
	v_cndmask_b32_e64 v34, 0, v40, s8
	v_cndmask_b32_e64 v33, 0, v41, s7
	v_cmp_nlt_f64_e64 s7, 0x40900000, v[12:13]
	v_cndmask_b32_e64 v35, 0x7ff00000, v37, s9
	v_cmp_ngt_f64_e64 s8, 0xc090cc00, v[12:13]
	s_and_b32 s9, s10, s9
	v_add_f64 v[27:28], v[27:28], v[33:34]
	s_delay_alu instid0(VALU_DEP_3)
	v_cndmask_b32_e64 v33, 0, v35, s10
	v_cvt_i32_f64_e32 v34, v[55:56]
	v_cmp_ngt_f64_e64 s10, 0xc090cc00, v[14:15]
	v_fma_f64 v[25:26], v[65:66], v[25:26], 1.0
	v_ldexp_f64 v[29:30], v[29:30], v38
	v_cndmask_b32_e64 v37, 0x7ff00000, v32, s7
	v_cndmask_b32_e64 v32, 0, v36, s9
	v_cmp_nlt_f64_e64 s9, 0x40900000, v[14:15]
	s_and_b32 s7, s8, s7
	s_delay_alu instid0(SALU_CYCLE_1) | instskip(NEXT) | instid1(VALU_DEP_3)
	v_cndmask_b32_e64 v31, 0, v31, s7
	v_add_f64 v[27:28], v[27:28], v[32:33]
	v_cndmask_b32_e64 v32, 0, v37, s8
	v_cmp_nlt_f64_e64 s7, 0x40900000, v[16:17]
	v_cmp_ngt_f64_e64 s8, 0xc090cc00, v[16:17]
	v_ldexp_f64 v[25:26], v[25:26], v34
	v_cndmask_b32_e64 v30, 0x7ff00000, v30, s9
	s_and_b32 s9, s10, s9
	s_delay_alu instid0(SALU_CYCLE_1) | instskip(SKIP_1) | instid1(VALU_DEP_3)
	v_cndmask_b32_e64 v29, 0, v29, s9
	v_add_f64 v[27:28], v[27:28], v[31:32]
	v_cndmask_b32_e64 v30, 0, v30, s10
	v_cndmask_b32_e64 v31, 0x7ff00000, v26, s7
	s_and_b32 s7, s8, s7
	s_delay_alu instid0(VALU_DEP_2) | instskip(NEXT) | instid1(VALU_DEP_2)
	v_add_f64 v[26:27], v[27:28], v[29:30]
	v_cndmask_b32_e64 v29, 0, v31, s8
	v_cndmask_b32_e64 v28, 0, v25, s7
	s_mov_b32 s8, exec_lo
	s_delay_alu instid0(VALU_DEP_1)
	v_add_f64 v[25:26], v[26:27], v[28:29]
	ds_bpermute_b32 v27, v18, v25
	ds_bpermute_b32 v28, v18, v26
	s_waitcnt lgkmcnt(0)
	v_add_f64 v[25:26], v[25:26], v[27:28]
	ds_bpermute_b32 v18, v19, v25
	ds_bpermute_b32 v19, v19, v26
	s_waitcnt lgkmcnt(0)
	;; [unrolled: 4-line block ×5, first 2 shown]
	v_add_f64 v[18:19], v[18:19], v[20:21]
	ds_bpermute_b32 v20, v24, v18
	ds_bpermute_b32 v21, v24, v19
	v_cmpx_lt_i32_e32 0, v22
	s_cbranch_execz .LBB18_26
; %bb.17:
	s_and_b32 exec_lo, exec_lo, s6
	s_cbranch_execz .LBB18_26
; %bb.18:
	s_waitcnt lgkmcnt(0)
	v_add_f64 v[19:20], v[18:19], v[20:21]
	s_mov_b32 s9, 0x3fe55555
	s_mov_b32 s8, 0x55555555
	v_mov_b32_e32 v23, 0
	s_mov_b32 s10, 0x6b47b09a
	s_mov_b32 s12, 0xbf559e2b
	;; [unrolled: 1-line block ×4, first 2 shown]
	s_delay_alu instid0(VALU_DEP_2) | instskip(SKIP_1) | instid1(VALU_DEP_2)
	v_frexp_mant_f64_e32 v[21:22], v[19:20]
	v_frexp_exp_i32_f64_e32 v18, v[19:20]
	v_cmp_gt_f64_e64 s6, s[8:9], v[21:22]
	s_mov_b32 s8, 0x55555780
	s_delay_alu instid0(VALU_DEP_1) | instskip(NEXT) | instid1(VALU_DEP_3)
	v_cndmask_b32_e64 v24, 0x3ff00000, 2.0, s6
	v_subrev_co_ci_u32_e64 v18, s6, 0, v18, s6
	s_mov_b32 s6, 0xfefa39ef
	s_mov_b32 s7, 0x3fe62e42
	s_delay_alu instid0(VALU_DEP_2) | instskip(NEXT) | instid1(VALU_DEP_1)
	v_mul_f64 v[21:22], v[21:22], v[23:24]
	v_add_f64 v[23:24], v[21:22], 1.0
	v_add_f64 v[29:30], v[21:22], -1.0
	s_delay_alu instid0(VALU_DEP_2) | instskip(SKIP_1) | instid1(VALU_DEP_1)
	v_rcp_f64_e32 v[25:26], v[23:24]
	v_add_f64 v[31:32], v[23:24], -1.0
	v_add_f64 v[21:22], v[21:22], -v[31:32]
	s_waitcnt_depctr 0xfff
	v_fma_f64 v[27:28], -v[23:24], v[25:26], 1.0
	s_delay_alu instid0(VALU_DEP_1) | instskip(NEXT) | instid1(VALU_DEP_1)
	v_fma_f64 v[25:26], v[27:28], v[25:26], v[25:26]
	v_fma_f64 v[27:28], -v[23:24], v[25:26], 1.0
	s_delay_alu instid0(VALU_DEP_1) | instskip(NEXT) | instid1(VALU_DEP_1)
	v_fma_f64 v[25:26], v[27:28], v[25:26], v[25:26]
	v_mul_f64 v[27:28], v[29:30], v[25:26]
	s_delay_alu instid0(VALU_DEP_1) | instskip(NEXT) | instid1(VALU_DEP_1)
	v_mul_f64 v[33:34], v[23:24], v[27:28]
	v_fma_f64 v[23:24], v[27:28], v[23:24], -v[33:34]
	s_delay_alu instid0(VALU_DEP_1) | instskip(NEXT) | instid1(VALU_DEP_1)
	v_fma_f64 v[21:22], v[27:28], v[21:22], v[23:24]
	v_add_f64 v[23:24], v[33:34], v[21:22]
	s_delay_alu instid0(VALU_DEP_1) | instskip(SKIP_1) | instid1(VALU_DEP_2)
	v_add_f64 v[31:32], v[29:30], -v[23:24]
	v_add_f64 v[33:34], v[23:24], -v[33:34]
	;; [unrolled: 1-line block ×3, first 2 shown]
	s_delay_alu instid0(VALU_DEP_2) | instskip(NEXT) | instid1(VALU_DEP_2)
	v_add_f64 v[21:22], v[33:34], -v[21:22]
	v_add_f64 v[23:24], v[29:30], -v[23:24]
	s_delay_alu instid0(VALU_DEP_1) | instskip(NEXT) | instid1(VALU_DEP_1)
	v_add_f64 v[21:22], v[21:22], v[23:24]
	v_add_f64 v[21:22], v[31:32], v[21:22]
	s_delay_alu instid0(VALU_DEP_1) | instskip(NEXT) | instid1(VALU_DEP_1)
	v_mul_f64 v[21:22], v[25:26], v[21:22]
	v_add_f64 v[23:24], v[27:28], v[21:22]
	s_delay_alu instid0(VALU_DEP_1) | instskip(NEXT) | instid1(VALU_DEP_1)
	v_mul_f64 v[25:26], v[23:24], v[23:24]
	v_fma_f64 v[29:30], v[25:26], s[12:13], s[10:11]
	s_mov_b32 s10, 0xd7f4df2e
	s_mov_b32 s11, 0x3fc7474d
	v_mul_f64 v[31:32], v[23:24], v[25:26]
	s_delay_alu instid0(VALU_DEP_2)
	v_fma_f64 v[29:30], v[25:26], v[29:30], s[10:11]
	s_mov_b32 s10, 0x16291751
	s_mov_b32 s11, 0x3fcc71c0
	s_delay_alu instid0(VALU_DEP_1) | instid1(SALU_CYCLE_1)
	v_fma_f64 v[29:30], v[25:26], v[29:30], s[10:11]
	s_mov_b32 s10, 0x9b27acf1
	s_mov_b32 s11, 0x3fd24924
	s_delay_alu instid0(VALU_DEP_1) | instid1(SALU_CYCLE_1)
	;; [unrolled: 4-line block ×3, first 2 shown]
	v_fma_f64 v[29:30], v[25:26], v[29:30], s[10:11]
	s_delay_alu instid0(VALU_DEP_1) | instskip(SKIP_2) | instid1(VALU_DEP_3)
	v_fma_f64 v[25:26], v[25:26], v[29:30], s[8:9]
	v_ldexp_f64 v[29:30], v[23:24], 1
	v_add_f64 v[23:24], v[23:24], -v[27:28]
	v_mul_f64 v[25:26], v[31:32], v[25:26]
	v_cvt_f64_i32_e32 v[31:32], v18
	s_delay_alu instid0(VALU_DEP_3) | instskip(NEXT) | instid1(VALU_DEP_3)
	v_add_f64 v[21:22], v[21:22], -v[23:24]
	v_add_f64 v[27:28], v[29:30], v[25:26]
	s_delay_alu instid0(VALU_DEP_3) | instskip(NEXT) | instid1(VALU_DEP_3)
	v_mul_f64 v[33:34], v[31:32], s[6:7]
	v_ldexp_f64 v[21:22], v[21:22], 1
	s_delay_alu instid0(VALU_DEP_3) | instskip(NEXT) | instid1(VALU_DEP_3)
	v_add_f64 v[23:24], v[27:28], -v[29:30]
	v_fma_f64 v[29:30], v[31:32], s[6:7], -v[33:34]
	s_mov_b32 s6, 0x3b39803f
	s_mov_b32 s7, 0x3c7abc9e
	s_delay_alu instid0(VALU_DEP_2) | instskip(NEXT) | instid1(VALU_DEP_2)
	v_add_f64 v[23:24], v[25:26], -v[23:24]
	v_fma_f64 v[25:26], v[31:32], s[6:7], v[29:30]
	v_cmp_class_f64_e64 s6, v[19:20], 0x204
	s_delay_alu instid0(VALU_DEP_3) | instskip(NEXT) | instid1(VALU_DEP_3)
	v_add_f64 v[21:22], v[21:22], v[23:24]
	v_add_f64 v[23:24], v[33:34], v[25:26]
	s_delay_alu instid0(VALU_DEP_2) | instskip(NEXT) | instid1(VALU_DEP_2)
	v_add_f64 v[29:30], v[27:28], v[21:22]
	v_add_f64 v[33:34], v[23:24], -v[33:34]
	s_delay_alu instid0(VALU_DEP_2) | instskip(SKIP_1) | instid1(VALU_DEP_3)
	v_add_f64 v[31:32], v[23:24], v[29:30]
	v_add_f64 v[27:28], v[29:30], -v[27:28]
	v_add_f64 v[25:26], v[25:26], -v[33:34]
	s_delay_alu instid0(VALU_DEP_3) | instskip(NEXT) | instid1(VALU_DEP_3)
	v_add_f64 v[35:36], v[31:32], -v[23:24]
	v_add_f64 v[21:22], v[21:22], -v[27:28]
	s_delay_alu instid0(VALU_DEP_2) | instskip(SKIP_1) | instid1(VALU_DEP_3)
	v_add_f64 v[37:38], v[31:32], -v[35:36]
	v_add_f64 v[27:28], v[29:30], -v[35:36]
	v_add_f64 v[29:30], v[25:26], v[21:22]
	s_delay_alu instid0(VALU_DEP_3) | instskip(NEXT) | instid1(VALU_DEP_1)
	v_add_f64 v[23:24], v[23:24], -v[37:38]
	v_add_f64 v[23:24], v[27:28], v[23:24]
	s_delay_alu instid0(VALU_DEP_3) | instskip(NEXT) | instid1(VALU_DEP_2)
	v_add_f64 v[27:28], v[29:30], -v[25:26]
	v_add_f64 v[23:24], v[29:30], v[23:24]
	s_delay_alu instid0(VALU_DEP_2) | instskip(SKIP_1) | instid1(VALU_DEP_3)
	v_add_f64 v[29:30], v[29:30], -v[27:28]
	v_add_f64 v[21:22], v[21:22], -v[27:28]
	v_add_f64 v[33:34], v[31:32], v[23:24]
	s_delay_alu instid0(VALU_DEP_3) | instskip(NEXT) | instid1(VALU_DEP_2)
	v_add_f64 v[25:26], v[25:26], -v[29:30]
	v_add_f64 v[27:28], v[33:34], -v[31:32]
	s_delay_alu instid0(VALU_DEP_2) | instskip(NEXT) | instid1(VALU_DEP_2)
	v_add_f64 v[21:22], v[21:22], v[25:26]
	v_add_f64 v[23:24], v[23:24], -v[27:28]
	s_delay_alu instid0(VALU_DEP_1) | instskip(NEXT) | instid1(VALU_DEP_1)
	v_add_f64 v[21:22], v[21:22], v[23:24]
	v_add_f64 v[21:22], v[33:34], v[21:22]
	s_delay_alu instid0(VALU_DEP_1) | instskip(NEXT) | instid1(VALU_DEP_2)
	v_cndmask_b32_e64 v18, v21, v19, s6
	v_cndmask_b32_e64 v21, v22, v20, s6
	v_cmp_ngt_f64_e64 s6, 0, v[19:20]
	s_delay_alu instid0(VALU_DEP_1) | instskip(SKIP_1) | instid1(VALU_DEP_1)
	v_cndmask_b32_e64 v21, 0x7ff80000, v21, s6
	v_cmp_nge_f64_e64 s6, 0, v[19:20]
	v_cndmask_b32_e64 v18, 0, v18, s6
	v_cmp_neq_f64_e64 s6, 0, v[19:20]
	s_delay_alu instid0(VALU_DEP_1) | instskip(SKIP_1) | instid1(VALU_DEP_1)
	v_cndmask_b32_e64 v19, 0xfff00000, v21, s6
	v_add_co_u32 v0, s6, s16, v0
	v_add_co_ci_u32_e64 v1, s6, s17, v1, s6
	s_delay_alu instid0(VALU_DEP_3)
	v_add_f64 v[2:3], v[2:3], -v[18:19]
	global_store_b64 v[0:1], v[2:3], off
	s_and_b32 exec_lo, exec_lo, vcc_lo
	s_cbranch_execz .LBB18_26
; %bb.19:
	v_add_f64 v[2:3], v[4:5], -v[18:19]
	global_store_b64 v[0:1], v[2:3], off offset:512
	s_and_b32 exec_lo, exec_lo, s0
	s_cbranch_execz .LBB18_26
; %bb.20:
	v_add_f64 v[2:3], v[6:7], -v[18:19]
	global_store_b64 v[0:1], v[2:3], off offset:1024
	s_and_b32 exec_lo, exec_lo, s1
	;; [unrolled: 5-line block ×6, first 2 shown]
	s_cbranch_execz .LBB18_26
; %bb.25:
	v_add_f64 v[2:3], v[16:17], -v[18:19]
	global_store_b64 v[0:1], v[2:3], off offset:3584
.LBB18_26:
	s_nop 0
	s_sendmsg sendmsg(MSG_DEALLOC_VGPRS)
	s_endpgm
	.section	.rodata,"a",@progbits
	.p2align	6, 0x0
	.amdhsa_kernel _ZN12_GLOBAL__N_120softmax_warp_forwardIdddLi9ELb1ELb0ELi64EEEvPT0_PKT_iiiPKbib
		.amdhsa_group_segment_fixed_size 0
		.amdhsa_private_segment_fixed_size 0
		.amdhsa_kernarg_size 304
		.amdhsa_user_sgpr_count 15
		.amdhsa_user_sgpr_dispatch_ptr 0
		.amdhsa_user_sgpr_queue_ptr 0
		.amdhsa_user_sgpr_kernarg_segment_ptr 1
		.amdhsa_user_sgpr_dispatch_id 0
		.amdhsa_user_sgpr_private_segment_size 0
		.amdhsa_wavefront_size32 1
		.amdhsa_uses_dynamic_stack 0
		.amdhsa_enable_private_segment 0
		.amdhsa_system_sgpr_workgroup_id_x 1
		.amdhsa_system_sgpr_workgroup_id_y 0
		.amdhsa_system_sgpr_workgroup_id_z 0
		.amdhsa_system_sgpr_workgroup_info 0
		.amdhsa_system_vgpr_workitem_id 1
		.amdhsa_next_free_vgpr 74
		.amdhsa_next_free_sgpr 26
		.amdhsa_reserve_vcc 1
		.amdhsa_float_round_mode_32 0
		.amdhsa_float_round_mode_16_64 0
		.amdhsa_float_denorm_mode_32 3
		.amdhsa_float_denorm_mode_16_64 3
		.amdhsa_dx10_clamp 1
		.amdhsa_ieee_mode 1
		.amdhsa_fp16_overflow 0
		.amdhsa_workgroup_processor_mode 1
		.amdhsa_memory_ordered 1
		.amdhsa_forward_progress 0
		.amdhsa_shared_vgpr_count 0
		.amdhsa_exception_fp_ieee_invalid_op 0
		.amdhsa_exception_fp_denorm_src 0
		.amdhsa_exception_fp_ieee_div_zero 0
		.amdhsa_exception_fp_ieee_overflow 0
		.amdhsa_exception_fp_ieee_underflow 0
		.amdhsa_exception_fp_ieee_inexact 0
		.amdhsa_exception_int_div_zero 0
	.end_amdhsa_kernel
	.section	.text._ZN12_GLOBAL__N_120softmax_warp_forwardIdddLi9ELb1ELb0ELi64EEEvPT0_PKT_iiiPKbib,"axG",@progbits,_ZN12_GLOBAL__N_120softmax_warp_forwardIdddLi9ELb1ELb0ELi64EEEvPT0_PKT_iiiPKbib,comdat
.Lfunc_end18:
	.size	_ZN12_GLOBAL__N_120softmax_warp_forwardIdddLi9ELb1ELb0ELi64EEEvPT0_PKT_iiiPKbib, .Lfunc_end18-_ZN12_GLOBAL__N_120softmax_warp_forwardIdddLi9ELb1ELb0ELi64EEEvPT0_PKT_iiiPKbib
                                        ; -- End function
	.section	.AMDGPU.csdata,"",@progbits
; Kernel info:
; codeLenInByte = 4424
; NumSgprs: 28
; NumVgprs: 74
; ScratchSize: 0
; MemoryBound: 0
; FloatMode: 240
; IeeeMode: 1
; LDSByteSize: 0 bytes/workgroup (compile time only)
; SGPRBlocks: 3
; VGPRBlocks: 9
; NumSGPRsForWavesPerEU: 28
; NumVGPRsForWavesPerEU: 74
; Occupancy: 16
; WaveLimiterHint : 0
; COMPUTE_PGM_RSRC2:SCRATCH_EN: 0
; COMPUTE_PGM_RSRC2:USER_SGPR: 15
; COMPUTE_PGM_RSRC2:TRAP_HANDLER: 0
; COMPUTE_PGM_RSRC2:TGID_X_EN: 1
; COMPUTE_PGM_RSRC2:TGID_Y_EN: 0
; COMPUTE_PGM_RSRC2:TGID_Z_EN: 0
; COMPUTE_PGM_RSRC2:TIDIG_COMP_CNT: 1
	.section	.text._ZN12_GLOBAL__N_120softmax_warp_forwardIdddLi9ELb1ELb0ELi32EEEvPT0_PKT_iiiPKbib,"axG",@progbits,_ZN12_GLOBAL__N_120softmax_warp_forwardIdddLi9ELb1ELb0ELi32EEEvPT0_PKT_iiiPKbib,comdat
	.globl	_ZN12_GLOBAL__N_120softmax_warp_forwardIdddLi9ELb1ELb0ELi32EEEvPT0_PKT_iiiPKbib ; -- Begin function _ZN12_GLOBAL__N_120softmax_warp_forwardIdddLi9ELb1ELb0ELi32EEEvPT0_PKT_iiiPKbib
	.p2align	8
	.type	_ZN12_GLOBAL__N_120softmax_warp_forwardIdddLi9ELb1ELb0ELi32EEEvPT0_PKT_iiiPKbib,@function
_ZN12_GLOBAL__N_120softmax_warp_forwardIdddLi9ELb1ELb0ELi32EEEvPT0_PKT_iiiPKbib: ; @_ZN12_GLOBAL__N_120softmax_warp_forwardIdddLi9ELb1ELb0ELi32EEEvPT0_PKT_iiiPKbib
; %bb.0:
	s_clause 0x1
	s_load_b32 s2, s[0:1], 0x3c
	s_load_b256 s[20:27], s[0:1], 0x0
	v_bfe_u32 v1, v0, 10, 10
	v_mov_b32_e32 v4, 0
	v_mov_b32_e32 v5, 0xfff00000
	v_and_b32_e32 v34, 0x3ff, v0
	s_waitcnt lgkmcnt(0)
	s_lshr_b32 s0, s2, 16
	s_delay_alu instid0(SALU_CYCLE_1) | instskip(NEXT) | instid1(VALU_DEP_1)
	v_mad_u64_u32 v[2:3], null, s15, s0, v[1:2]
	v_mad_u64_u32 v[0:1], null, v2, s25, v[34:35]
	v_sub_nc_u32_e32 v38, s24, v2
	v_dual_mov_b32 v2, v4 :: v_dual_mov_b32 v3, v5
	v_cmp_gt_i32_e64 s14, s26, v34
	s_delay_alu instid0(VALU_DEP_3) | instskip(SKIP_1) | instid1(VALU_DEP_2)
	v_cmp_lt_i32_e64 s15, 0, v38
	v_ashrrev_i32_e32 v1, 31, v0
	s_and_b32 s1, s15, s14
	s_delay_alu instid0(VALU_DEP_1) | instskip(NEXT) | instid1(VALU_DEP_1)
	v_lshlrev_b64 v[0:1], 3, v[0:1]
	v_add_co_u32 v35, vcc_lo, s22, v0
	s_delay_alu instid0(VALU_DEP_2)
	v_add_co_ci_u32_e32 v36, vcc_lo, s23, v1, vcc_lo
	s_and_saveexec_b32 s0, s1
	s_cbranch_execz .LBB19_2
; %bb.1:
	global_load_b64 v[2:3], v[35:36], off
.LBB19_2:
	s_or_b32 exec_lo, exec_lo, s0
	v_add_nc_u32_e32 v6, 32, v34
	s_delay_alu instid0(VALU_DEP_1) | instskip(SKIP_1) | instid1(SALU_CYCLE_1)
	v_cmp_gt_i32_e32 vcc_lo, s26, v6
	s_and_b32 s1, s15, vcc_lo
	s_and_saveexec_b32 s0, s1
	s_cbranch_execz .LBB19_4
; %bb.3:
	global_load_b64 v[4:5], v[35:36], off offset:256
.LBB19_4:
	s_or_b32 exec_lo, exec_lo, s0
	v_add_nc_u32_e32 v6, 64, v34
	v_mov_b32_e32 v8, 0
	v_mov_b32_e32 v9, 0xfff00000
	s_delay_alu instid0(VALU_DEP_3) | instskip(NEXT) | instid1(VALU_DEP_2)
	v_cmp_gt_i32_e64 s0, s26, v6
	v_dual_mov_b32 v6, v8 :: v_dual_mov_b32 v7, v9
	s_delay_alu instid0(VALU_DEP_2) | instskip(NEXT) | instid1(SALU_CYCLE_1)
	s_and_b32 s2, s15, s0
	s_and_saveexec_b32 s1, s2
	s_cbranch_execz .LBB19_6
; %bb.5:
	global_load_b64 v[6:7], v[35:36], off offset:512
.LBB19_6:
	s_or_b32 exec_lo, exec_lo, s1
	v_add_nc_u32_e32 v10, 0x60, v34
	s_delay_alu instid0(VALU_DEP_1) | instskip(NEXT) | instid1(VALU_DEP_1)
	v_cmp_gt_i32_e64 s1, s26, v10
	s_and_b32 s3, s15, s1
	s_delay_alu instid0(SALU_CYCLE_1)
	s_and_saveexec_b32 s2, s3
	s_cbranch_execz .LBB19_8
; %bb.7:
	global_load_b64 v[8:9], v[35:36], off offset:768
.LBB19_8:
	s_or_b32 exec_lo, exec_lo, s2
	v_mov_b32_e32 v12, 0
	v_mov_b32_e32 v13, 0xfff00000
	v_add_nc_u32_e32 v10, 0x80, v34
	s_delay_alu instid0(VALU_DEP_1) | instskip(NEXT) | instid1(VALU_DEP_3)
	v_cmp_gt_i32_e64 s2, s26, v10
	v_dual_mov_b32 v10, v12 :: v_dual_mov_b32 v11, v13
	s_delay_alu instid0(VALU_DEP_2) | instskip(NEXT) | instid1(SALU_CYCLE_1)
	s_and_b32 s4, s15, s2
	s_and_saveexec_b32 s3, s4
	s_cbranch_execz .LBB19_10
; %bb.9:
	global_load_b64 v[10:11], v[35:36], off offset:1024
.LBB19_10:
	s_or_b32 exec_lo, exec_lo, s3
	v_add_nc_u32_e32 v14, 0xa0, v34
	s_delay_alu instid0(VALU_DEP_1) | instskip(NEXT) | instid1(VALU_DEP_1)
	v_cmp_gt_i32_e64 s3, s26, v14
	s_and_b32 s5, s15, s3
	s_delay_alu instid0(SALU_CYCLE_1)
	s_and_saveexec_b32 s4, s5
	s_cbranch_execz .LBB19_12
; %bb.11:
	global_load_b64 v[12:13], v[35:36], off offset:1280
.LBB19_12:
	s_or_b32 exec_lo, exec_lo, s4
	v_mov_b32_e32 v16, 0
	v_mov_b32_e32 v17, 0xfff00000
	v_add_nc_u32_e32 v14, 0xc0, v34
	s_delay_alu instid0(VALU_DEP_1) | instskip(NEXT) | instid1(VALU_DEP_3)
	v_cmp_gt_i32_e64 s4, s26, v14
	v_dual_mov_b32 v14, v16 :: v_dual_mov_b32 v15, v17
	s_delay_alu instid0(VALU_DEP_2) | instskip(NEXT) | instid1(SALU_CYCLE_1)
	s_and_b32 s6, s15, s4
	s_and_saveexec_b32 s5, s6
	s_cbranch_execz .LBB19_14
; %bb.13:
	global_load_b64 v[14:15], v[35:36], off offset:1536
.LBB19_14:
	s_or_b32 exec_lo, exec_lo, s5
	v_add_nc_u32_e32 v18, 0xe0, v34
	s_delay_alu instid0(VALU_DEP_1) | instskip(NEXT) | instid1(VALU_DEP_1)
	v_cmp_gt_i32_e64 s5, s26, v18
	s_and_b32 s7, s15, s5
	s_delay_alu instid0(SALU_CYCLE_1)
	s_and_saveexec_b32 s6, s7
	s_cbranch_execz .LBB19_16
; %bb.15:
	global_load_b64 v[16:17], v[35:36], off offset:1792
.LBB19_16:
	s_or_b32 exec_lo, exec_lo, s6
	v_mov_b32_e32 v26, 0
	v_mov_b32_e32 v27, 0xfff00000
	v_add_nc_u32_e32 v18, 0x100, v34
	s_delay_alu instid0(VALU_DEP_1) | instskip(NEXT) | instid1(VALU_DEP_3)
	v_cmp_gt_i32_e64 s6, s26, v18
	v_dual_mov_b32 v18, v26 :: v_dual_mov_b32 v19, v27
	s_delay_alu instid0(VALU_DEP_2) | instskip(NEXT) | instid1(SALU_CYCLE_1)
	s_and_b32 s8, s15, s6
	s_and_saveexec_b32 s7, s8
	s_cbranch_execz .LBB19_18
; %bb.17:
	global_load_b64 v[18:19], v[35:36], off offset:2048
.LBB19_18:
	s_or_b32 exec_lo, exec_lo, s7
	v_add_nc_u32_e32 v20, 0x120, v34
	s_delay_alu instid0(VALU_DEP_1) | instskip(NEXT) | instid1(VALU_DEP_1)
	v_cmp_gt_i32_e64 s7, s26, v20
	s_and_b32 s9, s15, s7
	s_delay_alu instid0(SALU_CYCLE_1)
	s_and_saveexec_b32 s8, s9
	s_cbranch_execz .LBB19_20
; %bb.19:
	global_load_b64 v[26:27], v[35:36], off offset:2304
.LBB19_20:
	s_or_b32 exec_lo, exec_lo, s8
	v_mov_b32_e32 v28, 0
	v_mov_b32_e32 v29, 0xfff00000
	s_delay_alu instid0(VALU_DEP_1) | instskip(NEXT) | instid1(VALU_DEP_1)
	v_dual_mov_b32 v33, v29 :: v_dual_add_nc_u32 v20, 0x140, v34
	v_cmp_gt_i32_e64 s8, s26, v20
	s_delay_alu instid0(VALU_DEP_4) | instskip(NEXT) | instid1(VALU_DEP_2)
	v_mov_b32_e32 v32, v28
	s_and_b32 s10, s15, s8
	s_delay_alu instid0(SALU_CYCLE_1)
	s_and_saveexec_b32 s9, s10
	s_cbranch_execz .LBB19_22
; %bb.21:
	global_load_b64 v[32:33], v[35:36], off offset:2560
.LBB19_22:
	s_or_b32 exec_lo, exec_lo, s9
	v_add_nc_u32_e32 v20, 0x160, v34
	s_delay_alu instid0(VALU_DEP_1) | instskip(NEXT) | instid1(VALU_DEP_1)
	v_cmp_gt_i32_e64 s9, s26, v20
	s_and_b32 s11, s15, s9
	s_delay_alu instid0(SALU_CYCLE_1)
	s_and_saveexec_b32 s10, s11
	s_cbranch_execz .LBB19_24
; %bb.23:
	global_load_b64 v[28:29], v[35:36], off offset:2816
.LBB19_24:
	s_or_b32 exec_lo, exec_lo, s10
	v_mov_b32_e32 v22, 0
	v_mov_b32_e32 v23, 0xfff00000
	s_delay_alu instid0(VALU_DEP_1) | instskip(NEXT) | instid1(VALU_DEP_1)
	v_dual_mov_b32 v31, v23 :: v_dual_add_nc_u32 v20, 0x180, v34
	v_cmp_gt_i32_e64 s10, s26, v20
	s_delay_alu instid0(VALU_DEP_4) | instskip(NEXT) | instid1(VALU_DEP_2)
	v_mov_b32_e32 v30, v22
	s_and_b32 s12, s15, s10
	s_delay_alu instid0(SALU_CYCLE_1)
	s_and_saveexec_b32 s11, s12
	s_cbranch_execz .LBB19_26
; %bb.25:
	global_load_b64 v[30:31], v[35:36], off offset:3072
.LBB19_26:
	s_or_b32 exec_lo, exec_lo, s11
	v_add_nc_u32_e32 v20, 0x1a0, v34
	s_delay_alu instid0(VALU_DEP_1) | instskip(NEXT) | instid1(VALU_DEP_1)
	v_cmp_gt_i32_e64 s11, s26, v20
	s_and_b32 s13, s15, s11
	s_delay_alu instid0(SALU_CYCLE_1)
	s_and_saveexec_b32 s12, s13
	s_cbranch_execz .LBB19_28
; %bb.27:
	global_load_b64 v[22:23], v[35:36], off offset:3328
.LBB19_28:
	s_or_b32 exec_lo, exec_lo, s12
	v_add_nc_u32_e32 v24, 0x1c0, v34
	v_mov_b32_e32 v20, 0
	v_mov_b32_e32 v21, 0xfff00000
	s_delay_alu instid0(VALU_DEP_3) | instskip(NEXT) | instid1(VALU_DEP_2)
	v_cmp_gt_i32_e64 s12, s26, v24
	v_dual_mov_b32 v25, v21 :: v_dual_mov_b32 v24, v20
	s_delay_alu instid0(VALU_DEP_2) | instskip(NEXT) | instid1(SALU_CYCLE_1)
	s_and_b32 s16, s15, s12
	s_and_saveexec_b32 s13, s16
	s_cbranch_execz .LBB19_30
; %bb.29:
	global_load_b64 v[24:25], v[35:36], off offset:3584
.LBB19_30:
	s_or_b32 exec_lo, exec_lo, s13
	v_add_nc_u32_e32 v34, 0x1e0, v34
	s_delay_alu instid0(VALU_DEP_1) | instskip(NEXT) | instid1(VALU_DEP_1)
	v_cmp_gt_i32_e64 s13, s26, v34
	s_and_b32 s16, s15, s13
	s_delay_alu instid0(SALU_CYCLE_1)
	s_and_saveexec_b32 s15, s16
	s_cbranch_execz .LBB19_32
; %bb.31:
	global_load_b64 v[20:21], v[35:36], off offset:3840
.LBB19_32:
	s_or_b32 exec_lo, exec_lo, s15
	s_waitcnt vmcnt(0)
	v_cmp_gt_f64_e64 s15, v[2:3], v[4:5]
	v_mbcnt_lo_u32_b32 v44, -1, 0
	s_mov_b32 s22, 0x652b82fe
	s_mov_b32 s23, 0x3ff71547
	;; [unrolled: 1-line block ×4, first 2 shown]
	v_xor_b32_e32 v36, 16, v44
	v_xor_b32_e32 v37, 8, v44
	s_mov_b32 s26, 0x3b39803f
	s_mov_b32 s27, 0xbc7abc9e
	;; [unrolled: 1-line block ×3, first 2 shown]
	v_cmp_gt_i32_e64 s16, 32, v36
	s_mov_b32 s30, 0x6a5dcb37
	s_mov_b32 s29, 0x3e928af3
	;; [unrolled: 1-line block ×4, first 2 shown]
	v_cndmask_b32_e64 v36, v44, v36, s16
	v_cmp_gt_i32_e64 s16, 32, v37
	s_mov_b32 s35, 0x3ec71dee
	s_mov_b32 s44, 0x7c89e6b0
	;; [unrolled: 1-line block ×3, first 2 shown]
	v_lshlrev_b32_e32 v36, 2, v36
	v_cndmask_b32_e64 v37, v44, v37, s16
	s_mov_b32 s48, 0x14761f6e
	s_mov_b32 s49, 0x3f2a01a0
	s_mov_b32 s46, 0x1852b7b0
	s_mov_b32 s47, 0x3f56c16c
	v_lshlrev_b32_e32 v37, 2, v37
	s_mov_b32 s42, 0x11122322
	s_mov_b32 s43, 0x3f811111
	;; [unrolled: 1-line block ×8, first 2 shown]
	v_cndmask_b32_e64 v35, v5, v3, s15
	v_cndmask_b32_e64 v34, v4, v2, s15
	s_delay_alu instid0(VALU_DEP_1) | instskip(NEXT) | instid1(VALU_DEP_1)
	v_cmp_gt_f64_e64 s15, v[34:35], v[6:7]
	v_cndmask_b32_e64 v35, v7, v35, s15
	v_cndmask_b32_e64 v34, v6, v34, s15
	s_delay_alu instid0(VALU_DEP_1) | instskip(NEXT) | instid1(VALU_DEP_1)
	v_cmp_gt_f64_e64 s15, v[34:35], v[8:9]
	;; [unrolled: 4-line block ×14, first 2 shown]
	v_cndmask_b32_e64 v35, v21, v35, s15
	v_cndmask_b32_e64 v34, v20, v34, s15
	ds_bpermute_b32 v40, v36, v35
	ds_bpermute_b32 v39, v36, v34
	s_waitcnt lgkmcnt(0)
	v_cmp_lt_f64_e64 s15, v[34:35], v[39:40]
	s_delay_alu instid0(VALU_DEP_1)
	v_cndmask_b32_e64 v35, v35, v40, s15
	v_cndmask_b32_e64 v34, v34, v39, s15
	v_xor_b32_e32 v39, 4, v44
	ds_bpermute_b32 v41, v37, v35
	ds_bpermute_b32 v40, v37, v34
	v_cmp_gt_i32_e64 s16, 32, v39
	s_delay_alu instid0(VALU_DEP_1) | instskip(NEXT) | instid1(VALU_DEP_1)
	v_cndmask_b32_e64 v39, v44, v39, s16
	v_lshlrev_b32_e32 v39, 2, v39
	s_waitcnt lgkmcnt(0)
	v_cmp_lt_f64_e64 s15, v[34:35], v[40:41]
	s_delay_alu instid0(VALU_DEP_1)
	v_cndmask_b32_e64 v35, v35, v41, s15
	v_cndmask_b32_e64 v34, v34, v40, s15
	v_xor_b32_e32 v40, 2, v44
	ds_bpermute_b32 v42, v39, v35
	ds_bpermute_b32 v41, v39, v34
	v_cmp_gt_i32_e64 s16, 32, v40
	s_delay_alu instid0(VALU_DEP_1) | instskip(NEXT) | instid1(VALU_DEP_1)
	v_cndmask_b32_e64 v40, v44, v40, s16
	v_lshlrev_b32_e32 v40, 2, v40
	;; [unrolled: 12-line block ×3, first 2 shown]
	s_waitcnt lgkmcnt(0)
	v_cmp_lt_f64_e64 s15, v[34:35], v[42:43]
	s_delay_alu instid0(VALU_DEP_1)
	v_cndmask_b32_e64 v35, v35, v43, s15
	v_cndmask_b32_e64 v34, v34, v42, s15
	ds_bpermute_b32 v43, v41, v35
	ds_bpermute_b32 v42, v41, v34
	s_waitcnt lgkmcnt(0)
	v_cmp_lt_f64_e64 s15, v[34:35], v[42:43]
	s_delay_alu instid0(VALU_DEP_1) | instskip(SKIP_1) | instid1(VALU_DEP_1)
	v_cndmask_b32_e64 v35, v35, v43, s15
	v_cndmask_b32_e64 v34, v34, v42, s15
	v_add_f64 v[2:3], v[2:3], -v[34:35]
	v_add_f64 v[4:5], v[4:5], -v[34:35]
	;; [unrolled: 1-line block ×16, first 2 shown]
	v_mul_f64 v[42:43], v[2:3], s[22:23]
	v_mul_f64 v[44:45], v[4:5], s[22:23]
	;; [unrolled: 1-line block ×9, first 2 shown]
	v_cmp_nlt_f64_e64 s15, 0x40900000, v[4:5]
	v_cmp_ngt_f64_e64 s16, 0xc090cc00, v[4:5]
	v_cmp_nlt_f64_e64 s17, 0x40900000, v[2:3]
	v_cmp_ngt_f64_e64 s18, 0xc090cc00, v[2:3]
	v_rndne_f64_e32 v[42:43], v[42:43]
	v_rndne_f64_e32 v[44:45], v[44:45]
	v_rndne_f64_e32 v[48:49], v[48:49]
	v_rndne_f64_e32 v[52:53], v[52:53]
	v_rndne_f64_e32 v[54:55], v[54:55]
	v_rndne_f64_e32 v[58:59], v[58:59]
	v_rndne_f64_e32 v[64:65], v[64:65]
	v_rndne_f64_e32 v[68:69], v[68:69]
	v_rndne_f64_e32 v[74:75], v[74:75]
	v_fma_f64 v[46:47], v[42:43], s[24:25], v[2:3]
	v_fma_f64 v[50:51], v[44:45], s[24:25], v[4:5]
	;; [unrolled: 1-line block ×9, first 2 shown]
	v_cvt_i32_f64_e32 v94, v[42:43]
	v_cvt_i32_f64_e32 v95, v[44:45]
	;; [unrolled: 1-line block ×3, first 2 shown]
	v_fma_f64 v[46:47], v[42:43], s[26:27], v[46:47]
	v_fma_f64 v[50:51], v[44:45], s[26:27], v[50:51]
	;; [unrolled: 1-line block ×43, first 2 shown]
	v_cvt_i32_f64_e32 v92, v[48:49]
	v_cvt_i32_f64_e32 v93, v[52:53]
	v_fma_f64 v[56:57], v[46:47], v[56:57], s[46:47]
	v_fma_f64 v[62:63], v[50:51], v[62:63], s[46:47]
	;; [unrolled: 1-line block ×40, first 2 shown]
	v_mul_f64 v[42:43], v[28:29], s[22:23]
	v_fma_f64 v[80:81], v[82:83], v[80:81], s[40:41]
	v_fma_f64 v[84:85], v[70:71], v[84:85], s[36:37]
	;; [unrolled: 1-line block ×3, first 2 shown]
	v_mul_f64 v[86:87], v[30:31], s[22:23]
	v_fma_f64 v[64:65], v[78:79], v[90:91], s[36:37]
	v_fma_f64 v[44:45], v[88:89], v[44:45], s[36:37]
	v_fma_f64 v[56:57], v[46:47], v[56:57], 1.0
	v_fma_f64 v[62:63], v[50:51], v[62:63], 1.0
	;; [unrolled: 1-line block ×4, first 2 shown]
	v_rndne_f64_e32 v[42:43], v[42:43]
	v_fma_f64 v[80:81], v[82:83], v[80:81], s[38:39]
	v_fma_f64 v[84:85], v[70:71], v[84:85], 1.0
	v_fma_f64 v[52:53], v[72:73], v[52:53], 1.0
	v_fma_f64 v[64:65], v[78:79], v[64:65], 1.0
	v_fma_f64 v[44:45], v[88:89], v[44:45], 1.0
	v_fma_f64 v[46:47], v[46:47], v[56:57], 1.0
	v_mul_f64 v[56:57], v[26:27], s[22:23]
	v_fma_f64 v[50:51], v[50:51], v[62:63], 1.0
	v_mul_f64 v[62:63], v[32:33], s[22:23]
	v_fma_f64 v[60:61], v[60:61], v[76:77], 1.0
	v_fma_f64 v[34:35], v[66:67], v[34:35], 1.0
	v_fma_f64 v[66:67], v[42:43], s[24:25], v[28:29]
	v_fma_f64 v[80:81], v[82:83], v[80:81], s[36:37]
	v_fma_f64 v[70:71], v[70:71], v[84:85], 1.0
	v_fma_f64 v[64:65], v[78:79], v[64:65], 1.0
	v_mul_f64 v[78:79], v[20:21], s[22:23]
	v_fma_f64 v[44:45], v[88:89], v[44:45], 1.0
	v_ldexp_f64 v[46:47], v[46:47], v94
	v_rndne_f64_e32 v[56:57], v[56:57]
	v_ldexp_f64 v[50:51], v[50:51], v95
	v_rndne_f64_e32 v[62:63], v[62:63]
	v_cvt_i32_f64_e32 v94, v[54:55]
	v_mul_f64 v[54:55], v[22:23], s[22:23]
	v_cvt_i32_f64_e32 v95, v[58:59]
	v_rndne_f64_e32 v[58:59], v[86:87]
	v_ldexp_f64 v[60:61], v[60:61], v92
	v_fma_f64 v[66:67], v[42:43], s[26:27], v[66:67]
	v_fma_f64 v[80:81], v[82:83], v[80:81], 1.0
	v_ldexp_f64 v[34:35], v[34:35], v93
	v_rndne_f64_e32 v[78:79], v[78:79]
	v_ldexp_f64 v[64:65], v[64:65], v96
	v_add_f64 v[46:47], v[46:47], 0
	v_fma_f64 v[48:49], v[56:57], s[24:25], v[26:27]
	v_cndmask_b32_e64 v86, 0x7ff00000, v51, s15
	v_fma_f64 v[76:77], v[62:63], s[24:25], v[32:33]
	s_and_b32 s15, s16, s15
	v_fma_f64 v[51:52], v[72:73], v[52:53], 1.0
	v_rndne_f64_e32 v[53:54], v[54:55]
	v_cvt_i32_f64_e32 v55, v[68:69]
	v_cndmask_b32_e64 v68, 0, v50, s15
	s_and_b32 s15, s18, s17
	v_cndmask_b32_e64 v69, 0, v86, s16
	v_cmp_ngt_f64_e64 s16, 0xc090cc00, v[6:7]
	v_mul_f64 v[72:73], v[24:25], s[22:23]
	v_fma_f64 v[86:87], v[58:59], s[24:25], v[30:31]
	v_ldexp_f64 v[70:71], v[70:71], v94
	v_fma_f64 v[80:81], v[82:83], v[80:81], 1.0
	v_fma_f64 v[82:83], v[66:67], s[30:31], s[28:29]
	v_cvt_i32_f64_e32 v94, v[74:75]
	v_fma_f64 v[74:75], v[78:79], s[24:25], v[20:21]
	v_cndmask_b32_e64 v46, 0, v46, s15
	v_fma_f64 v[48:49], v[56:57], s[26:27], v[48:49]
	v_cmp_nlt_f64_e64 s15, 0x40900000, v[6:7]
	v_fma_f64 v[76:77], v[62:63], s[26:27], v[76:77]
	v_cndmask_b32_e64 v47, 0x7ff00000, v47, s17
	v_cmp_nlt_f64_e64 s17, 0x40900000, v[10:11]
	v_ldexp_f64 v[50:51], v[51:52], v95
	v_cvt_i32_f64_e32 v57, v[56:57]
	s_delay_alu instid0(VALU_DEP_4) | instskip(SKIP_3) | instid1(VALU_DEP_4)
	v_cndmask_b32_e64 v47, 0, v47, s18
	v_cmp_ngt_f64_e64 s18, 0xc090cc00, v[10:11]
	v_rndne_f64_e32 v[72:73], v[72:73]
	v_fma_f64 v[86:87], v[58:59], s[26:27], v[86:87]
	v_add_f64 v[46:47], v[46:47], v[68:69]
	v_fma_f64 v[68:69], v[53:54], s[24:25], v[22:23]
	v_fma_f64 v[82:83], v[66:67], v[82:83], s[34:35]
	v_ldexp_f64 v[80:81], v[80:81], v55
	v_fma_f64 v[74:75], v[78:79], s[26:27], v[74:75]
	v_ldexp_f64 v[44:45], v[44:45], v94
	v_cvt_i32_f64_e32 v59, v[58:59]
	v_fma_f64 v[84:85], v[48:49], s[30:31], s[28:29]
	v_cndmask_b32_e64 v61, 0x7ff00000, v61, s15
	v_fma_f64 v[90:91], v[76:77], s[30:31], s[28:29]
	s_and_b32 s15, s16, s15
	v_cndmask_b32_e64 v52, 0x7ff00000, v71, s17
	v_cndmask_b32_e64 v60, 0, v60, s15
	;; [unrolled: 1-line block ×3, first 2 shown]
	v_cmp_nlt_f64_e64 s15, 0x40900000, v[8:9]
	v_cmp_ngt_f64_e64 s16, 0xc090cc00, v[8:9]
	v_cndmask_b32_e64 v71, 0, v52, s18
	v_fma_f64 v[88:89], v[86:87], s[30:31], s[28:29]
	v_add_f64 v[46:47], v[46:47], v[60:61]
	v_fma_f64 v[60:61], v[72:73], s[24:25], v[24:25]
	v_fma_f64 v[68:69], v[53:54], s[26:27], v[68:69]
	;; [unrolled: 1-line block ×5, first 2 shown]
	v_cndmask_b32_e64 v35, 0x7ff00000, v35, s15
	s_and_b32 s15, s16, s15
	s_delay_alu instid0(SALU_CYCLE_1) | instskip(SKIP_1) | instid1(VALU_DEP_2)
	v_cndmask_b32_e64 v34, 0, v34, s15
	s_and_b32 s15, s18, s17
	v_cndmask_b32_e64 v35, 0, v35, s16
	v_cndmask_b32_e64 v70, 0, v70, s15
	v_cmp_nlt_f64_e64 s15, 0x40900000, v[12:13]
	v_cmp_ngt_f64_e64 s16, 0xc090cc00, v[12:13]
	v_fma_f64 v[82:83], v[66:67], v[82:83], s[48:49]
	v_add_f64 v[34:35], v[46:47], v[34:35]
	v_fma_f64 v[46:47], v[68:69], s[30:31], s[28:29]
	v_cmp_nlt_f64_e64 s17, 0x40900000, v[16:17]
	v_cmp_ngt_f64_e64 s18, 0xc090cc00, v[16:17]
	v_fma_f64 v[84:85], v[48:49], v[84:85], s[44:45]
	v_fma_f64 v[90:91], v[76:77], v[90:91], s[44:45]
	v_cndmask_b32_e64 v92, 0x7ff00000, v51, s15
	v_fma_f64 v[51:52], v[72:73], s[26:27], v[60:61]
	v_fma_f64 v[60:61], v[86:87], v[88:89], s[34:35]
	v_add_f64 v[34:35], v[34:35], v[70:71]
	v_fma_f64 v[46:47], v[68:69], v[46:47], s[34:35]
	v_fma_f64 v[70:71], v[74:75], s[30:31], s[28:29]
	;; [unrolled: 1-line block ×3, first 2 shown]
	s_and_b32 s15, s16, s15
	v_cndmask_b32_e64 v81, 0x7ff00000, v81, s17
	s_and_b32 s17, s18, s17
	v_fma_f64 v[84:85], v[48:49], v[84:85], s[48:49]
	v_fma_f64 v[88:89], v[76:77], v[90:91], s[48:49]
	v_cndmask_b32_e64 v91, 0, v92, s16
	v_cndmask_b32_e64 v90, 0, v50, s15
	v_cmp_nlt_f64_e64 s15, 0x40900000, v[14:15]
	v_cmp_ngt_f64_e64 s16, 0xc090cc00, v[14:15]
	v_fma_f64 v[92:93], v[51:52], s[30:31], s[28:29]
	v_fma_f64 v[60:61], v[86:87], v[60:61], s[44:45]
	v_add_f64 v[34:35], v[34:35], v[90:91]
	v_fma_f64 v[46:47], v[68:69], v[46:47], s[44:45]
	v_fma_f64 v[70:71], v[74:75], v[70:71], s[34:35]
	;; [unrolled: 1-line block ×5, first 2 shown]
	v_cndmask_b32_e64 v50, 0x7ff00000, v65, s15
	s_and_b32 s15, s16, s15
	s_delay_alu instid0(SALU_CYCLE_1) | instskip(SKIP_1) | instid1(VALU_DEP_3)
	v_cndmask_b32_e64 v64, 0, v64, s15
	v_cmp_nlt_f64_e64 s15, 0x40900000, v[18:19]
	v_cndmask_b32_e64 v65, 0, v50, s16
	v_cmp_ngt_f64_e64 s16, 0xc090cc00, v[18:19]
	v_cvt_i32_f64_e32 v50, v[62:63]
	v_fma_f64 v[92:93], v[51:52], v[92:93], s[34:35]
	v_fma_f64 v[60:61], v[86:87], v[60:61], s[48:49]
	v_add_f64 v[34:35], v[34:35], v[64:65]
	v_fma_f64 v[46:47], v[68:69], v[46:47], s[48:49]
	v_fma_f64 v[70:71], v[74:75], v[70:71], s[44:45]
	;; [unrolled: 1-line block ×23, first 2 shown]
	v_fma_f64 v[64:65], v[66:67], v[82:83], 1.0
	v_fma_f64 v[84:85], v[48:49], v[84:85], s[36:37]
	v_fma_f64 v[88:89], v[76:77], v[88:89], s[36:37]
	;; [unrolled: 1-line block ×5, first 2 shown]
	v_fma_f64 v[84:85], v[48:49], v[84:85], 1.0
	v_fma_f64 v[88:89], v[76:77], v[88:89], 1.0
	v_fma_f64 v[62:63], v[51:52], v[70:71], s[40:41]
	v_fma_f64 v[60:61], v[86:87], v[60:61], s[36:37]
	s_delay_alu instid0(VALU_DEP_4) | instskip(NEXT) | instid1(VALU_DEP_4)
	v_fma_f64 v[48:49], v[48:49], v[84:85], 1.0
	v_fma_f64 v[70:71], v[76:77], v[88:89], 1.0
	v_cndmask_b32_e64 v77, 0, v81, s18
	v_cndmask_b32_e64 v76, 0, v80, s17
	v_cmp_nlt_f64_e64 s17, 0x40900000, v[26:27]
	v_cmp_ngt_f64_e64 s18, 0xc090cc00, v[26:27]
	s_delay_alu instid0(VALU_DEP_3)
	v_add_f64 v[34:35], v[34:35], v[76:77]
	v_cvt_i32_f64_e32 v76, v[42:43]
	v_fma_f64 v[42:43], v[74:75], v[55:56], s[40:41]
	v_fma_f64 v[55:56], v[51:52], v[62:63], s[38:39]
	v_fma_f64 v[62:63], v[66:67], v[64:65], 1.0
	v_fma_f64 v[60:61], v[86:87], v[60:61], 1.0
	v_ldexp_f64 v[48:49], v[48:49], v57
	v_cndmask_b32_e64 v57, 0x7ff00000, v45, s15
	s_and_b32 s15, s16, s15
	v_ldexp_f64 v[64:65], v[70:71], v50
	v_fma_f64 v[45:46], v[68:69], v[46:47], s[36:37]
	s_delay_alu instid0(VALU_DEP_3)
	v_cndmask_b32_e64 v50, 0, v57, s16
	v_cmp_ngt_f64_e64 s16, 0xc090cc00, v[32:33]
	v_fma_f64 v[42:43], v[74:75], v[42:43], s[38:39]
	v_cndmask_b32_e64 v66, 0x7ff00000, v49, s17
	v_cndmask_b32_e64 v49, 0, v44, s15
	v_cmp_nlt_f64_e64 s15, 0x40900000, v[32:33]
	s_and_b32 s17, s18, s17
	v_fma_f64 v[44:45], v[68:69], v[45:46], 1.0
	v_cndmask_b32_e64 v58, 0, v66, s18
	v_add_f64 v[34:35], v[34:35], v[49:50]
	v_fma_f64 v[49:50], v[51:52], v[55:56], s[36:37]
	v_cndmask_b32_e64 v57, 0, v48, s17
	v_fma_f64 v[46:47], v[86:87], v[60:61], 1.0
	v_ldexp_f64 v[55:56], v[62:63], v76
	v_cmp_nlt_f64_e64 s17, 0x40900000, v[28:29]
	v_cmp_ngt_f64_e64 s18, 0xc090cc00, v[28:29]
	v_fma_f64 v[42:43], v[74:75], v[42:43], s[36:37]
	v_cndmask_b32_e64 v60, 0x7ff00000, v65, s15
	s_and_b32 s15, s16, s15
	v_fma_f64 v[44:45], v[68:69], v[44:45], 1.0
	v_add_f64 v[34:35], v[34:35], v[57:58]
	v_cvt_i32_f64_e32 v57, v[53:54]
	v_fma_f64 v[48:49], v[51:52], v[49:50], 1.0
	v_cndmask_b32_e64 v54, 0, v60, s16
	v_cndmask_b32_e64 v53, 0, v64, s15
	v_ldexp_f64 v[46:47], v[46:47], v59
	v_cndmask_b32_e64 v50, 0x7ff00000, v56, s17
	v_cmp_nlt_f64_e64 s15, 0x40900000, v[30:31]
	v_cmp_ngt_f64_e64 s16, 0xc090cc00, v[30:31]
	s_and_b32 s17, s18, s17
	v_fma_f64 v[42:43], v[74:75], v[42:43], 1.0
	v_add_f64 v[34:35], v[34:35], v[53:54]
	v_cvt_i32_f64_e32 v53, v[72:73]
	v_fma_f64 v[48:49], v[51:52], v[48:49], 1.0
	v_cndmask_b32_e64 v51, 0, v50, s18
	v_cndmask_b32_e64 v50, 0, v55, s17
	v_ldexp_f64 v[44:45], v[44:45], v57
	v_cmp_nlt_f64_e64 s17, 0x40900000, v[22:23]
	v_cndmask_b32_e64 v52, 0x7ff00000, v47, s15
	v_cmp_ngt_f64_e64 s18, 0xc090cc00, v[22:23]
	s_and_b32 s15, s16, s15
	v_fma_f64 v[42:43], v[74:75], v[42:43], 1.0
	v_add_f64 v[34:35], v[34:35], v[50:51]
	v_cvt_i32_f64_e32 v51, v[78:79]
	v_ldexp_f64 v[47:48], v[48:49], v53
	v_cndmask_b32_e64 v50, 0, v52, s16
	v_cndmask_b32_e64 v49, 0, v46, s15
	v_cmp_nlt_f64_e64 s15, 0x40900000, v[24:25]
	v_cndmask_b32_e64 v45, 0x7ff00000, v45, s17
	v_cmp_ngt_f64_e64 s16, 0xc090cc00, v[24:25]
	s_and_b32 s17, s18, s17
	s_delay_alu instid0(SALU_CYCLE_1) | instskip(NEXT) | instid1(VALU_DEP_3)
	v_cndmask_b32_e64 v44, 0, v44, s17
	v_cndmask_b32_e64 v45, 0, v45, s18
	v_cmp_nlt_f64_e64 s17, 0x40900000, v[20:21]
	v_cmp_ngt_f64_e64 s18, 0xc090cc00, v[20:21]
	v_add_f64 v[34:35], v[34:35], v[49:50]
	v_ldexp_f64 v[42:43], v[42:43], v51
	v_cndmask_b32_e64 v46, 0x7ff00000, v48, s15
	s_and_b32 s15, s16, s15
	s_delay_alu instid0(VALU_DEP_3) | instskip(NEXT) | instid1(VALU_DEP_3)
	v_add_f64 v[34:35], v[34:35], v[44:45]
	v_cndmask_b32_e64 v45, 0x7ff00000, v43, s17
	s_delay_alu instid0(VALU_DEP_3) | instskip(SKIP_4) | instid1(VALU_DEP_2)
	v_cndmask_b32_e64 v44, 0, v46, s16
	v_cndmask_b32_e64 v43, 0, v47, s15
	s_and_b32 s15, s18, s17
	s_mov_b32 s16, exec_lo
	v_cndmask_b32_e64 v42, 0, v42, s15
	v_add_f64 v[34:35], v[34:35], v[43:44]
	v_cndmask_b32_e64 v43, 0, v45, s18
	s_delay_alu instid0(VALU_DEP_1)
	v_add_f64 v[34:35], v[34:35], v[42:43]
	ds_bpermute_b32 v42, v36, v34
	ds_bpermute_b32 v43, v36, v35
	s_waitcnt lgkmcnt(0)
	v_add_f64 v[34:35], v[34:35], v[42:43]
	ds_bpermute_b32 v36, v37, v34
	ds_bpermute_b32 v37, v37, v35
	s_waitcnt lgkmcnt(0)
	;; [unrolled: 4-line block ×4, first 2 shown]
	v_add_f64 v[34:35], v[34:35], v[36:37]
	ds_bpermute_b32 v36, v41, v34
	ds_bpermute_b32 v37, v41, v35
	v_cmpx_lt_i32_e32 0, v38
	s_cbranch_execz .LBB19_50
; %bb.33:
	s_and_b32 exec_lo, exec_lo, s14
	s_cbranch_execz .LBB19_50
; %bb.34:
	s_waitcnt lgkmcnt(0)
	v_add_f64 v[35:36], v[34:35], v[36:37]
	s_mov_b32 s17, 0x3fe55555
	s_mov_b32 s16, 0x55555555
	v_mov_b32_e32 v39, 0
	s_mov_b32 s18, 0x6b47b09a
	s_mov_b32 s22, 0xbf559e2b
	s_mov_b32 s19, 0x3fc38538
	s_mov_b32 s23, 0x3fc3ab76
	s_delay_alu instid0(VALU_DEP_2) | instskip(SKIP_1) | instid1(VALU_DEP_2)
	v_frexp_mant_f64_e32 v[37:38], v[35:36]
	v_frexp_exp_i32_f64_e32 v34, v[35:36]
	v_cmp_gt_f64_e64 s14, s[16:17], v[37:38]
	s_mov_b32 s16, 0x55555780
	s_delay_alu instid0(VALU_DEP_1) | instskip(NEXT) | instid1(VALU_DEP_3)
	v_cndmask_b32_e64 v40, 0x3ff00000, 2.0, s14
	v_subrev_co_ci_u32_e64 v34, s14, 0, v34, s14
	s_mov_b32 s14, 0xfefa39ef
	s_mov_b32 s15, 0x3fe62e42
	s_delay_alu instid0(VALU_DEP_2) | instskip(NEXT) | instid1(VALU_DEP_1)
	v_mul_f64 v[37:38], v[37:38], v[39:40]
	v_add_f64 v[39:40], v[37:38], 1.0
	v_add_f64 v[45:46], v[37:38], -1.0
	s_delay_alu instid0(VALU_DEP_2) | instskip(SKIP_1) | instid1(VALU_DEP_1)
	v_rcp_f64_e32 v[41:42], v[39:40]
	v_add_f64 v[47:48], v[39:40], -1.0
	v_add_f64 v[37:38], v[37:38], -v[47:48]
	s_waitcnt_depctr 0xfff
	v_fma_f64 v[43:44], -v[39:40], v[41:42], 1.0
	s_delay_alu instid0(VALU_DEP_1) | instskip(NEXT) | instid1(VALU_DEP_1)
	v_fma_f64 v[41:42], v[43:44], v[41:42], v[41:42]
	v_fma_f64 v[43:44], -v[39:40], v[41:42], 1.0
	s_delay_alu instid0(VALU_DEP_1) | instskip(NEXT) | instid1(VALU_DEP_1)
	v_fma_f64 v[41:42], v[43:44], v[41:42], v[41:42]
	v_mul_f64 v[43:44], v[45:46], v[41:42]
	s_delay_alu instid0(VALU_DEP_1) | instskip(NEXT) | instid1(VALU_DEP_1)
	v_mul_f64 v[49:50], v[39:40], v[43:44]
	v_fma_f64 v[39:40], v[43:44], v[39:40], -v[49:50]
	s_delay_alu instid0(VALU_DEP_1) | instskip(NEXT) | instid1(VALU_DEP_1)
	v_fma_f64 v[37:38], v[43:44], v[37:38], v[39:40]
	v_add_f64 v[39:40], v[49:50], v[37:38]
	s_delay_alu instid0(VALU_DEP_1) | instskip(SKIP_1) | instid1(VALU_DEP_2)
	v_add_f64 v[47:48], v[45:46], -v[39:40]
	v_add_f64 v[49:50], v[39:40], -v[49:50]
	;; [unrolled: 1-line block ×3, first 2 shown]
	s_delay_alu instid0(VALU_DEP_2) | instskip(NEXT) | instid1(VALU_DEP_2)
	v_add_f64 v[37:38], v[49:50], -v[37:38]
	v_add_f64 v[39:40], v[45:46], -v[39:40]
	s_delay_alu instid0(VALU_DEP_1) | instskip(NEXT) | instid1(VALU_DEP_1)
	v_add_f64 v[37:38], v[37:38], v[39:40]
	v_add_f64 v[37:38], v[47:48], v[37:38]
	s_delay_alu instid0(VALU_DEP_1) | instskip(NEXT) | instid1(VALU_DEP_1)
	v_mul_f64 v[37:38], v[41:42], v[37:38]
	v_add_f64 v[39:40], v[43:44], v[37:38]
	s_delay_alu instid0(VALU_DEP_1) | instskip(NEXT) | instid1(VALU_DEP_1)
	v_mul_f64 v[41:42], v[39:40], v[39:40]
	v_fma_f64 v[45:46], v[41:42], s[22:23], s[18:19]
	s_mov_b32 s18, 0xd7f4df2e
	s_mov_b32 s19, 0x3fc7474d
	v_mul_f64 v[47:48], v[39:40], v[41:42]
	s_delay_alu instid0(VALU_DEP_2)
	v_fma_f64 v[45:46], v[41:42], v[45:46], s[18:19]
	s_mov_b32 s18, 0x16291751
	s_mov_b32 s19, 0x3fcc71c0
	s_delay_alu instid0(VALU_DEP_1) | instid1(SALU_CYCLE_1)
	v_fma_f64 v[45:46], v[41:42], v[45:46], s[18:19]
	s_mov_b32 s18, 0x9b27acf1
	s_mov_b32 s19, 0x3fd24924
	s_delay_alu instid0(VALU_DEP_1) | instid1(SALU_CYCLE_1)
	;; [unrolled: 4-line block ×3, first 2 shown]
	v_fma_f64 v[45:46], v[41:42], v[45:46], s[18:19]
	s_delay_alu instid0(VALU_DEP_1) | instskip(SKIP_2) | instid1(VALU_DEP_3)
	v_fma_f64 v[41:42], v[41:42], v[45:46], s[16:17]
	v_ldexp_f64 v[45:46], v[39:40], 1
	v_add_f64 v[39:40], v[39:40], -v[43:44]
	v_mul_f64 v[41:42], v[47:48], v[41:42]
	v_cvt_f64_i32_e32 v[47:48], v34
	s_delay_alu instid0(VALU_DEP_3) | instskip(NEXT) | instid1(VALU_DEP_3)
	v_add_f64 v[37:38], v[37:38], -v[39:40]
	v_add_f64 v[43:44], v[45:46], v[41:42]
	s_delay_alu instid0(VALU_DEP_3) | instskip(NEXT) | instid1(VALU_DEP_3)
	v_mul_f64 v[49:50], v[47:48], s[14:15]
	v_ldexp_f64 v[37:38], v[37:38], 1
	s_delay_alu instid0(VALU_DEP_3) | instskip(NEXT) | instid1(VALU_DEP_3)
	v_add_f64 v[39:40], v[43:44], -v[45:46]
	v_fma_f64 v[45:46], v[47:48], s[14:15], -v[49:50]
	s_mov_b32 s14, 0x3b39803f
	s_mov_b32 s15, 0x3c7abc9e
	s_delay_alu instid0(VALU_DEP_2) | instskip(NEXT) | instid1(VALU_DEP_2)
	v_add_f64 v[39:40], v[41:42], -v[39:40]
	v_fma_f64 v[41:42], v[47:48], s[14:15], v[45:46]
	v_cmp_class_f64_e64 s14, v[35:36], 0x204
	s_delay_alu instid0(VALU_DEP_3) | instskip(NEXT) | instid1(VALU_DEP_3)
	v_add_f64 v[37:38], v[37:38], v[39:40]
	v_add_f64 v[39:40], v[49:50], v[41:42]
	s_delay_alu instid0(VALU_DEP_2) | instskip(NEXT) | instid1(VALU_DEP_2)
	v_add_f64 v[45:46], v[43:44], v[37:38]
	v_add_f64 v[49:50], v[39:40], -v[49:50]
	s_delay_alu instid0(VALU_DEP_2) | instskip(SKIP_1) | instid1(VALU_DEP_3)
	v_add_f64 v[47:48], v[39:40], v[45:46]
	v_add_f64 v[43:44], v[45:46], -v[43:44]
	v_add_f64 v[41:42], v[41:42], -v[49:50]
	s_delay_alu instid0(VALU_DEP_3) | instskip(NEXT) | instid1(VALU_DEP_3)
	v_add_f64 v[51:52], v[47:48], -v[39:40]
	v_add_f64 v[37:38], v[37:38], -v[43:44]
	s_delay_alu instid0(VALU_DEP_2) | instskip(SKIP_1) | instid1(VALU_DEP_3)
	v_add_f64 v[53:54], v[47:48], -v[51:52]
	v_add_f64 v[43:44], v[45:46], -v[51:52]
	v_add_f64 v[45:46], v[41:42], v[37:38]
	s_delay_alu instid0(VALU_DEP_3) | instskip(NEXT) | instid1(VALU_DEP_1)
	v_add_f64 v[39:40], v[39:40], -v[53:54]
	v_add_f64 v[39:40], v[43:44], v[39:40]
	s_delay_alu instid0(VALU_DEP_3) | instskip(NEXT) | instid1(VALU_DEP_2)
	v_add_f64 v[43:44], v[45:46], -v[41:42]
	v_add_f64 v[39:40], v[45:46], v[39:40]
	s_delay_alu instid0(VALU_DEP_2) | instskip(SKIP_1) | instid1(VALU_DEP_3)
	v_add_f64 v[45:46], v[45:46], -v[43:44]
	v_add_f64 v[37:38], v[37:38], -v[43:44]
	v_add_f64 v[49:50], v[47:48], v[39:40]
	s_delay_alu instid0(VALU_DEP_3) | instskip(NEXT) | instid1(VALU_DEP_2)
	v_add_f64 v[41:42], v[41:42], -v[45:46]
	v_add_f64 v[43:44], v[49:50], -v[47:48]
	s_delay_alu instid0(VALU_DEP_2) | instskip(NEXT) | instid1(VALU_DEP_2)
	v_add_f64 v[37:38], v[37:38], v[41:42]
	v_add_f64 v[39:40], v[39:40], -v[43:44]
	s_delay_alu instid0(VALU_DEP_1) | instskip(NEXT) | instid1(VALU_DEP_1)
	v_add_f64 v[37:38], v[37:38], v[39:40]
	v_add_f64 v[37:38], v[49:50], v[37:38]
	s_delay_alu instid0(VALU_DEP_1) | instskip(NEXT) | instid1(VALU_DEP_2)
	v_cndmask_b32_e64 v34, v37, v35, s14
	v_cndmask_b32_e64 v37, v38, v36, s14
	v_cmp_ngt_f64_e64 s14, 0, v[35:36]
	s_delay_alu instid0(VALU_DEP_1) | instskip(SKIP_1) | instid1(VALU_DEP_1)
	v_cndmask_b32_e64 v37, 0x7ff80000, v37, s14
	v_cmp_nge_f64_e64 s14, 0, v[35:36]
	v_cndmask_b32_e64 v34, 0, v34, s14
	v_cmp_neq_f64_e64 s14, 0, v[35:36]
	s_delay_alu instid0(VALU_DEP_1) | instskip(SKIP_1) | instid1(VALU_DEP_1)
	v_cndmask_b32_e64 v35, 0xfff00000, v37, s14
	v_add_co_u32 v0, s14, s20, v0
	v_add_co_ci_u32_e64 v1, s14, s21, v1, s14
	s_delay_alu instid0(VALU_DEP_3)
	v_add_f64 v[2:3], v[2:3], -v[34:35]
	global_store_b64 v[0:1], v[2:3], off
	s_and_b32 exec_lo, exec_lo, vcc_lo
	s_cbranch_execz .LBB19_50
; %bb.35:
	v_add_f64 v[2:3], v[4:5], -v[34:35]
	global_store_b64 v[0:1], v[2:3], off offset:256
	s_and_b32 exec_lo, exec_lo, s0
	s_cbranch_execz .LBB19_50
; %bb.36:
	v_add_f64 v[2:3], v[6:7], -v[34:35]
	global_store_b64 v[0:1], v[2:3], off offset:512
	s_and_b32 exec_lo, exec_lo, s1
	;; [unrolled: 5-line block ×14, first 2 shown]
	s_cbranch_execz .LBB19_50
; %bb.49:
	v_add_f64 v[2:3], v[20:21], -v[34:35]
	global_store_b64 v[0:1], v[2:3], off offset:3840
.LBB19_50:
	s_nop 0
	s_sendmsg sendmsg(MSG_DEALLOC_VGPRS)
	s_endpgm
	.section	.rodata,"a",@progbits
	.p2align	6, 0x0
	.amdhsa_kernel _ZN12_GLOBAL__N_120softmax_warp_forwardIdddLi9ELb1ELb0ELi32EEEvPT0_PKT_iiiPKbib
		.amdhsa_group_segment_fixed_size 0
		.amdhsa_private_segment_fixed_size 0
		.amdhsa_kernarg_size 304
		.amdhsa_user_sgpr_count 15
		.amdhsa_user_sgpr_dispatch_ptr 0
		.amdhsa_user_sgpr_queue_ptr 0
		.amdhsa_user_sgpr_kernarg_segment_ptr 1
		.amdhsa_user_sgpr_dispatch_id 0
		.amdhsa_user_sgpr_private_segment_size 0
		.amdhsa_wavefront_size32 1
		.amdhsa_uses_dynamic_stack 0
		.amdhsa_enable_private_segment 0
		.amdhsa_system_sgpr_workgroup_id_x 1
		.amdhsa_system_sgpr_workgroup_id_y 0
		.amdhsa_system_sgpr_workgroup_id_z 0
		.amdhsa_system_sgpr_workgroup_info 0
		.amdhsa_system_vgpr_workitem_id 1
		.amdhsa_next_free_vgpr 97
		.amdhsa_next_free_sgpr 50
		.amdhsa_reserve_vcc 1
		.amdhsa_float_round_mode_32 0
		.amdhsa_float_round_mode_16_64 0
		.amdhsa_float_denorm_mode_32 3
		.amdhsa_float_denorm_mode_16_64 3
		.amdhsa_dx10_clamp 1
		.amdhsa_ieee_mode 1
		.amdhsa_fp16_overflow 0
		.amdhsa_workgroup_processor_mode 1
		.amdhsa_memory_ordered 1
		.amdhsa_forward_progress 0
		.amdhsa_shared_vgpr_count 0
		.amdhsa_exception_fp_ieee_invalid_op 0
		.amdhsa_exception_fp_denorm_src 0
		.amdhsa_exception_fp_ieee_div_zero 0
		.amdhsa_exception_fp_ieee_overflow 0
		.amdhsa_exception_fp_ieee_underflow 0
		.amdhsa_exception_fp_ieee_inexact 0
		.amdhsa_exception_int_div_zero 0
	.end_amdhsa_kernel
	.section	.text._ZN12_GLOBAL__N_120softmax_warp_forwardIdddLi9ELb1ELb0ELi32EEEvPT0_PKT_iiiPKbib,"axG",@progbits,_ZN12_GLOBAL__N_120softmax_warp_forwardIdddLi9ELb1ELb0ELi32EEEvPT0_PKT_iiiPKbib,comdat
.Lfunc_end19:
	.size	_ZN12_GLOBAL__N_120softmax_warp_forwardIdddLi9ELb1ELb0ELi32EEEvPT0_PKT_iiiPKbib, .Lfunc_end19-_ZN12_GLOBAL__N_120softmax_warp_forwardIdddLi9ELb1ELb0ELi32EEEvPT0_PKT_iiiPKbib
                                        ; -- End function
	.section	.AMDGPU.csdata,"",@progbits
; Kernel info:
; codeLenInByte = 6796
; NumSgprs: 52
; NumVgprs: 97
; ScratchSize: 0
; MemoryBound: 0
; FloatMode: 240
; IeeeMode: 1
; LDSByteSize: 0 bytes/workgroup (compile time only)
; SGPRBlocks: 6
; VGPRBlocks: 12
; NumSGPRsForWavesPerEU: 52
; NumVGPRsForWavesPerEU: 97
; Occupancy: 12
; WaveLimiterHint : 0
; COMPUTE_PGM_RSRC2:SCRATCH_EN: 0
; COMPUTE_PGM_RSRC2:USER_SGPR: 15
; COMPUTE_PGM_RSRC2:TRAP_HANDLER: 0
; COMPUTE_PGM_RSRC2:TGID_X_EN: 1
; COMPUTE_PGM_RSRC2:TGID_Y_EN: 0
; COMPUTE_PGM_RSRC2:TGID_Z_EN: 0
; COMPUTE_PGM_RSRC2:TIDIG_COMP_CNT: 1
	.section	.text._ZN12_GLOBAL__N_120softmax_warp_forwardIdddLi10ELb1ELb0ELi64EEEvPT0_PKT_iiiPKbib,"axG",@progbits,_ZN12_GLOBAL__N_120softmax_warp_forwardIdddLi10ELb1ELb0ELi64EEEvPT0_PKT_iiiPKbib,comdat
	.globl	_ZN12_GLOBAL__N_120softmax_warp_forwardIdddLi10ELb1ELb0ELi64EEEvPT0_PKT_iiiPKbib ; -- Begin function _ZN12_GLOBAL__N_120softmax_warp_forwardIdddLi10ELb1ELb0ELi64EEEvPT0_PKT_iiiPKbib
	.p2align	8
	.type	_ZN12_GLOBAL__N_120softmax_warp_forwardIdddLi10ELb1ELb0ELi64EEEvPT0_PKT_iiiPKbib,@function
_ZN12_GLOBAL__N_120softmax_warp_forwardIdddLi10ELb1ELb0ELi64EEEvPT0_PKT_iiiPKbib: ; @_ZN12_GLOBAL__N_120softmax_warp_forwardIdddLi10ELb1ELb0ELi64EEEvPT0_PKT_iiiPKbib
; %bb.0:
	s_clause 0x1
	s_load_b32 s2, s[0:1], 0x3c
	s_load_b256 s[20:27], s[0:1], 0x0
	v_bfe_u32 v1, v0, 10, 10
	v_mov_b32_e32 v4, 0
	v_mov_b32_e32 v5, 0xfff00000
	v_and_b32_e32 v34, 0x3ff, v0
	s_waitcnt lgkmcnt(0)
	s_lshr_b32 s0, s2, 16
	s_delay_alu instid0(SALU_CYCLE_1) | instskip(NEXT) | instid1(VALU_DEP_1)
	v_mad_u64_u32 v[2:3], null, s15, s0, v[1:2]
	v_mad_u64_u32 v[0:1], null, v2, s25, v[34:35]
	v_sub_nc_u32_e32 v42, s24, v2
	v_dual_mov_b32 v2, v4 :: v_dual_mov_b32 v3, v5
	v_cmp_gt_i32_e64 s14, s26, v34
	s_delay_alu instid0(VALU_DEP_3) | instskip(SKIP_1) | instid1(VALU_DEP_2)
	v_cmp_lt_i32_e64 s15, 0, v42
	v_ashrrev_i32_e32 v1, 31, v0
	s_and_b32 s1, s15, s14
	s_delay_alu instid0(VALU_DEP_1) | instskip(NEXT) | instid1(VALU_DEP_1)
	v_lshlrev_b64 v[0:1], 3, v[0:1]
	v_add_co_u32 v35, vcc_lo, s22, v0
	s_delay_alu instid0(VALU_DEP_2)
	v_add_co_ci_u32_e32 v36, vcc_lo, s23, v1, vcc_lo
	s_and_saveexec_b32 s0, s1
	s_cbranch_execz .LBB20_2
; %bb.1:
	global_load_b64 v[2:3], v[35:36], off
.LBB20_2:
	s_or_b32 exec_lo, exec_lo, s0
	v_add_nc_u32_e32 v6, 64, v34
	s_delay_alu instid0(VALU_DEP_1) | instskip(SKIP_1) | instid1(SALU_CYCLE_1)
	v_cmp_gt_i32_e32 vcc_lo, s26, v6
	s_and_b32 s1, s15, vcc_lo
	s_and_saveexec_b32 s0, s1
	s_cbranch_execz .LBB20_4
; %bb.3:
	global_load_b64 v[4:5], v[35:36], off offset:512
.LBB20_4:
	s_or_b32 exec_lo, exec_lo, s0
	v_mov_b32_e32 v8, 0
	v_mov_b32_e32 v9, 0xfff00000
	v_add_nc_u32_e32 v6, 0x80, v34
	s_delay_alu instid0(VALU_DEP_1) | instskip(NEXT) | instid1(VALU_DEP_3)
	v_cmp_gt_i32_e64 s0, s26, v6
	v_dual_mov_b32 v6, v8 :: v_dual_mov_b32 v7, v9
	s_delay_alu instid0(VALU_DEP_2) | instskip(NEXT) | instid1(SALU_CYCLE_1)
	s_and_b32 s2, s15, s0
	s_and_saveexec_b32 s1, s2
	s_cbranch_execz .LBB20_6
; %bb.5:
	global_load_b64 v[6:7], v[35:36], off offset:1024
.LBB20_6:
	s_or_b32 exec_lo, exec_lo, s1
	v_add_nc_u32_e32 v10, 0xc0, v34
	s_delay_alu instid0(VALU_DEP_1) | instskip(NEXT) | instid1(VALU_DEP_1)
	v_cmp_gt_i32_e64 s1, s26, v10
	s_and_b32 s3, s15, s1
	s_delay_alu instid0(SALU_CYCLE_1)
	s_and_saveexec_b32 s2, s3
	s_cbranch_execz .LBB20_8
; %bb.7:
	global_load_b64 v[8:9], v[35:36], off offset:1536
.LBB20_8:
	s_or_b32 exec_lo, exec_lo, s2
	v_mov_b32_e32 v12, 0
	v_mov_b32_e32 v13, 0xfff00000
	v_add_nc_u32_e32 v10, 0x100, v34
	s_delay_alu instid0(VALU_DEP_1) | instskip(NEXT) | instid1(VALU_DEP_3)
	v_cmp_gt_i32_e64 s2, s26, v10
	v_dual_mov_b32 v10, v12 :: v_dual_mov_b32 v11, v13
	s_delay_alu instid0(VALU_DEP_2) | instskip(NEXT) | instid1(SALU_CYCLE_1)
	s_and_b32 s4, s15, s2
	s_and_saveexec_b32 s3, s4
	s_cbranch_execz .LBB20_10
; %bb.9:
	global_load_b64 v[10:11], v[35:36], off offset:2048
.LBB20_10:
	s_or_b32 exec_lo, exec_lo, s3
	v_add_nc_u32_e32 v14, 0x140, v34
	s_delay_alu instid0(VALU_DEP_1) | instskip(NEXT) | instid1(VALU_DEP_1)
	v_cmp_gt_i32_e64 s3, s26, v14
	s_and_b32 s5, s15, s3
	s_delay_alu instid0(SALU_CYCLE_1)
	;; [unrolled: 25-line block ×3, first 2 shown]
	s_and_saveexec_b32 s6, s7
	s_cbranch_execz .LBB20_16
; %bb.15:
	global_load_b64 v[16:17], v[35:36], off offset:3584
.LBB20_16:
	s_or_b32 exec_lo, exec_lo, s6
	v_mov_b32_e32 v20, 0
	v_mov_b32_e32 v21, 0xfff00000
	v_add_nc_u32_e32 v18, 0x200, v34
	s_delay_alu instid0(VALU_DEP_1) | instskip(NEXT) | instid1(VALU_DEP_3)
	v_cmp_gt_i32_e64 s6, s26, v18
	v_dual_mov_b32 v18, v20 :: v_dual_mov_b32 v19, v21
	s_delay_alu instid0(VALU_DEP_2) | instskip(NEXT) | instid1(SALU_CYCLE_1)
	s_and_b32 s7, s15, s6
	s_and_saveexec_b32 s8, s7
	s_cbranch_execz .LBB20_18
; %bb.17:
	v_add_co_u32 v18, s7, 0x1000, v35
	s_delay_alu instid0(VALU_DEP_1)
	v_add_co_ci_u32_e64 v19, s7, 0, v36, s7
	global_load_b64 v[18:19], v[18:19], off
.LBB20_18:
	s_or_b32 exec_lo, exec_lo, s8
	v_add_nc_u32_e32 v22, 0x240, v34
	s_delay_alu instid0(VALU_DEP_1) | instskip(NEXT) | instid1(VALU_DEP_1)
	v_cmp_gt_i32_e64 s7, s26, v22
	s_and_b32 s8, s15, s7
	s_delay_alu instid0(SALU_CYCLE_1)
	s_and_saveexec_b32 s9, s8
	s_cbranch_execz .LBB20_20
; %bb.19:
	v_add_co_u32 v20, s8, 0x1000, v35
	s_delay_alu instid0(VALU_DEP_1)
	v_add_co_ci_u32_e64 v21, s8, 0, v36, s8
	global_load_b64 v[20:21], v[20:21], off offset:512
.LBB20_20:
	s_or_b32 exec_lo, exec_lo, s9
	v_mov_b32_e32 v24, 0
	v_mov_b32_e32 v25, 0xfff00000
	v_add_nc_u32_e32 v22, 0x280, v34
	s_delay_alu instid0(VALU_DEP_1) | instskip(NEXT) | instid1(VALU_DEP_3)
	v_cmp_gt_i32_e64 s8, s26, v22
	v_dual_mov_b32 v22, v24 :: v_dual_mov_b32 v23, v25
	s_delay_alu instid0(VALU_DEP_2) | instskip(NEXT) | instid1(SALU_CYCLE_1)
	s_and_b32 s9, s15, s8
	s_and_saveexec_b32 s10, s9
	s_cbranch_execz .LBB20_22
; %bb.21:
	v_add_co_u32 v22, s9, 0x1000, v35
	s_delay_alu instid0(VALU_DEP_1)
	v_add_co_ci_u32_e64 v23, s9, 0, v36, s9
	global_load_b64 v[22:23], v[22:23], off offset:1024
.LBB20_22:
	s_or_b32 exec_lo, exec_lo, s10
	v_add_nc_u32_e32 v26, 0x2c0, v34
	s_delay_alu instid0(VALU_DEP_1) | instskip(NEXT) | instid1(VALU_DEP_1)
	v_cmp_gt_i32_e64 s9, s26, v26
	s_and_b32 s10, s15, s9
	s_delay_alu instid0(SALU_CYCLE_1)
	s_and_saveexec_b32 s11, s10
	s_cbranch_execz .LBB20_24
; %bb.23:
	v_add_co_u32 v24, s10, 0x1000, v35
	s_delay_alu instid0(VALU_DEP_1)
	v_add_co_ci_u32_e64 v25, s10, 0, v36, s10
	global_load_b64 v[24:25], v[24:25], off offset:1536
.LBB20_24:
	s_or_b32 exec_lo, exec_lo, s11
	v_mov_b32_e32 v30, 0
	v_mov_b32_e32 v31, 0xfff00000
	v_add_nc_u32_e32 v26, 0x300, v34
	s_delay_alu instid0(VALU_DEP_1) | instskip(NEXT) | instid1(VALU_DEP_3)
	v_cmp_gt_i32_e64 s10, s26, v26
	v_dual_mov_b32 v26, v30 :: v_dual_mov_b32 v27, v31
	s_delay_alu instid0(VALU_DEP_2) | instskip(NEXT) | instid1(SALU_CYCLE_1)
	s_and_b32 s11, s15, s10
	s_and_saveexec_b32 s12, s11
	s_cbranch_execz .LBB20_26
; %bb.25:
	v_add_co_u32 v26, s11, 0x1000, v35
	s_delay_alu instid0(VALU_DEP_1)
	v_add_co_ci_u32_e64 v27, s11, 0, v36, s11
	global_load_b64 v[26:27], v[26:27], off offset:2048
.LBB20_26:
	s_or_b32 exec_lo, exec_lo, s12
	v_add_nc_u32_e32 v28, 0x340, v34
	s_delay_alu instid0(VALU_DEP_1) | instskip(NEXT) | instid1(VALU_DEP_1)
	v_cmp_gt_i32_e64 s11, s26, v28
	s_and_b32 s12, s15, s11
	s_delay_alu instid0(SALU_CYCLE_1)
	s_and_saveexec_b32 s13, s12
	s_cbranch_execz .LBB20_28
; %bb.27:
	v_add_co_u32 v28, s12, 0x1000, v35
	s_delay_alu instid0(VALU_DEP_1)
	v_add_co_ci_u32_e64 v29, s12, 0, v36, s12
	global_load_b64 v[30:31], v[28:29], off offset:2560
.LBB20_28:
	s_or_b32 exec_lo, exec_lo, s13
	v_add_nc_u32_e32 v32, 0x380, v34
	v_mov_b32_e32 v28, 0
	v_mov_b32_e32 v29, 0xfff00000
	s_delay_alu instid0(VALU_DEP_3) | instskip(NEXT) | instid1(VALU_DEP_2)
	v_cmp_gt_i32_e64 s12, s26, v32
	v_dual_mov_b32 v33, v29 :: v_dual_mov_b32 v32, v28
	s_delay_alu instid0(VALU_DEP_2) | instskip(NEXT) | instid1(SALU_CYCLE_1)
	s_and_b32 s13, s15, s12
	s_and_saveexec_b32 s16, s13
	s_cbranch_execz .LBB20_30
; %bb.29:
	v_add_co_u32 v32, s13, 0x1000, v35
	s_delay_alu instid0(VALU_DEP_1)
	v_add_co_ci_u32_e64 v33, s13, 0, v36, s13
	global_load_b64 v[32:33], v[32:33], off offset:3072
.LBB20_30:
	s_or_b32 exec_lo, exec_lo, s16
	v_add_nc_u32_e32 v34, 0x3c0, v34
	s_delay_alu instid0(VALU_DEP_1) | instskip(NEXT) | instid1(VALU_DEP_1)
	v_cmp_gt_i32_e64 s13, s26, v34
	s_and_b32 s15, s15, s13
	s_delay_alu instid0(SALU_CYCLE_1)
	s_and_saveexec_b32 s16, s15
	s_cbranch_execz .LBB20_32
; %bb.31:
	v_add_co_u32 v28, s15, 0x1000, v35
	s_delay_alu instid0(VALU_DEP_1)
	v_add_co_ci_u32_e64 v29, s15, 0, v36, s15
	global_load_b64 v[28:29], v[28:29], off offset:3584
.LBB20_32:
	s_or_b32 exec_lo, exec_lo, s16
	s_waitcnt vmcnt(0)
	v_cmp_gt_f64_e64 s15, v[2:3], v[4:5]
	v_mbcnt_lo_u32_b32 v38, -1, 0
	s_mov_b32 s24, 0x652b82fe
	s_mov_b32 s25, 0x3ff71547
	s_mov_b32 s22, 0xfefa39ef
	s_mov_b32 s23, 0xbfe62e42
	v_or_b32_e32 v36, 32, v38
	v_xor_b32_e32 v39, 16, v38
	s_mov_b32 s26, 0x3b39803f
	s_mov_b32 s27, 0xbc7abc9e
	;; [unrolled: 1-line block ×3, first 2 shown]
	v_cmp_gt_i32_e64 s16, 64, v36
	s_mov_b32 s30, 0x6a5dcb37
	s_mov_b32 s29, 0x3e928af3
	;; [unrolled: 1-line block ×4, first 2 shown]
	v_cndmask_b32_e64 v36, v38, v36, s16
	v_cmp_gt_i32_e64 s16, 64, v39
	s_mov_b32 s35, 0x3ec71dee
	s_mov_b32 s36, 0x7c89e6b0
	;; [unrolled: 1-line block ×3, first 2 shown]
	v_lshlrev_b32_e32 v43, 2, v36
	v_cndmask_b32_e64 v39, v38, v39, s16
	s_mov_b32 s40, 0x14761f6e
	s_mov_b32 s41, 0x3f2a01a0
	;; [unrolled: 1-line block ×4, first 2 shown]
	v_lshlrev_b32_e32 v44, 2, v39
	v_xor_b32_e32 v39, 8, v38
	s_mov_b32 s48, 0x11122322
	s_mov_b32 s49, 0x3f811111
	;; [unrolled: 1-line block ×4, first 2 shown]
	v_cmp_gt_i32_e64 s16, 64, v39
	s_mov_b32 s44, 0x55555511
	s_mov_b32 s45, 0x3fc55555
	;; [unrolled: 1-line block ×4, first 2 shown]
	v_cndmask_b32_e64 v35, v5, v3, s15
	v_cndmask_b32_e64 v34, v4, v2, s15
	;; [unrolled: 1-line block ×3, first 2 shown]
	s_delay_alu instid0(VALU_DEP_2) | instskip(NEXT) | instid1(VALU_DEP_2)
	v_cmp_gt_f64_e64 s15, v[34:35], v[6:7]
	v_lshlrev_b32_e32 v45, 2, v39
	v_xor_b32_e32 v39, 4, v38
	s_delay_alu instid0(VALU_DEP_1) | instskip(NEXT) | instid1(VALU_DEP_1)
	v_cmp_gt_i32_e64 s16, 64, v39
	v_cndmask_b32_e64 v39, v38, v39, s16
	s_delay_alu instid0(VALU_DEP_1) | instskip(SKIP_1) | instid1(VALU_DEP_1)
	v_lshlrev_b32_e32 v46, 2, v39
	v_xor_b32_e32 v39, 2, v38
	v_cmp_gt_i32_e64 s16, 64, v39
	s_delay_alu instid0(VALU_DEP_1) | instskip(NEXT) | instid1(VALU_DEP_1)
	v_cndmask_b32_e64 v39, v38, v39, s16
	v_lshlrev_b32_e32 v47, 2, v39
	v_xor_b32_e32 v39, 1, v38
	v_cndmask_b32_e64 v35, v7, v35, s15
	v_cndmask_b32_e64 v34, v6, v34, s15
	s_delay_alu instid0(VALU_DEP_3) | instskip(NEXT) | instid1(VALU_DEP_2)
	v_cmp_gt_i32_e64 s16, 64, v39
	v_cmp_gt_f64_e64 s15, v[34:35], v[8:9]
	s_delay_alu instid0(VALU_DEP_2) | instskip(NEXT) | instid1(VALU_DEP_1)
	v_cndmask_b32_e64 v38, v38, v39, s16
	v_lshlrev_b32_e32 v48, 2, v38
	s_delay_alu instid0(VALU_DEP_3) | instskip(SKIP_1) | instid1(VALU_DEP_1)
	v_cndmask_b32_e64 v35, v9, v35, s15
	v_cndmask_b32_e64 v34, v8, v34, s15
	v_cmp_gt_f64_e64 s15, v[34:35], v[10:11]
	s_delay_alu instid0(VALU_DEP_1) | instskip(SKIP_1) | instid1(VALU_DEP_1)
	v_cndmask_b32_e64 v35, v11, v35, s15
	v_cndmask_b32_e64 v34, v10, v34, s15
	v_cmp_gt_f64_e64 s15, v[34:35], v[12:13]
	s_delay_alu instid0(VALU_DEP_1) | instskip(SKIP_1) | instid1(VALU_DEP_1)
	;; [unrolled: 4-line block ×11, first 2 shown]
	v_cndmask_b32_e64 v35, v33, v35, s15
	v_cndmask_b32_e64 v34, v32, v34, s15
	v_cmp_gt_f64_e64 s15, v[34:35], v[28:29]
	s_delay_alu instid0(VALU_DEP_1)
	v_cndmask_b32_e64 v35, v29, v35, s15
	v_cndmask_b32_e64 v34, v28, v34, s15
	ds_bpermute_b32 v37, v43, v35
	ds_bpermute_b32 v36, v43, v34
	s_waitcnt lgkmcnt(0)
	v_cmp_lt_f64_e64 s15, v[34:35], v[36:37]
	s_delay_alu instid0(VALU_DEP_1)
	v_cndmask_b32_e64 v35, v35, v37, s15
	v_cndmask_b32_e64 v34, v34, v36, s15
	ds_bpermute_b32 v37, v44, v35
	ds_bpermute_b32 v36, v44, v34
	s_waitcnt lgkmcnt(0)
	v_cmp_lt_f64_e64 s15, v[34:35], v[36:37]
	;; [unrolled: 7-line block ×6, first 2 shown]
	s_delay_alu instid0(VALU_DEP_1) | instskip(SKIP_1) | instid1(VALU_DEP_1)
	v_cndmask_b32_e64 v35, v35, v37, s15
	v_cndmask_b32_e64 v34, v34, v36, s15
	v_add_f64 v[2:3], v[2:3], -v[34:35]
	v_add_f64 v[4:5], v[4:5], -v[34:35]
	v_add_f64 v[6:7], v[6:7], -v[34:35]
	v_add_f64 v[8:9], v[8:9], -v[34:35]
	v_add_f64 v[10:11], v[10:11], -v[34:35]
	v_add_f64 v[12:13], v[12:13], -v[34:35]
	v_add_f64 v[14:15], v[14:15], -v[34:35]
	v_add_f64 v[16:17], v[16:17], -v[34:35]
	v_add_f64 v[18:19], v[18:19], -v[34:35]
	v_add_f64 v[20:21], v[20:21], -v[34:35]
	v_add_f64 v[22:23], v[22:23], -v[34:35]
	v_add_f64 v[24:25], v[24:25], -v[34:35]
	v_add_f64 v[26:27], v[26:27], -v[34:35]
	v_add_f64 v[30:31], v[30:31], -v[34:35]
	v_add_f64 v[32:33], v[32:33], -v[34:35]
	v_add_f64 v[28:29], v[28:29], -v[34:35]
	v_mul_f64 v[36:37], v[2:3], s[24:25]
	v_mul_f64 v[40:41], v[4:5], s[24:25]
	v_cmp_nlt_f64_e64 s15, 0x40900000, v[4:5]
	v_mul_f64 v[53:54], v[8:9], s[24:25]
	v_mul_f64 v[55:56], v[10:11], s[24:25]
	;; [unrolled: 1-line block ×6, first 2 shown]
	v_cmp_ngt_f64_e64 s16, 0xc090cc00, v[4:5]
	v_cmp_nlt_f64_e64 s17, 0x40900000, v[2:3]
	v_cmp_ngt_f64_e64 s18, 0xc090cc00, v[2:3]
	v_rndne_f64_e32 v[38:39], v[36:37]
	v_rndne_f64_e32 v[36:37], v[40:41]
	v_mul_f64 v[40:41], v[6:7], s[24:25]
	v_rndne_f64_e32 v[53:54], v[53:54]
	v_rndne_f64_e32 v[55:56], v[55:56]
	;; [unrolled: 1-line block ×6, first 2 shown]
	v_fma_f64 v[49:50], v[38:39], s[22:23], v[2:3]
	v_fma_f64 v[51:52], v[36:37], s[22:23], v[4:5]
	v_rndne_f64_e32 v[40:41], v[40:41]
	v_fma_f64 v[69:70], v[53:54], s[22:23], v[8:9]
	v_fma_f64 v[71:72], v[55:56], s[22:23], v[10:11]
	;; [unrolled: 1-line block ×6, first 2 shown]
	v_cvt_i32_f64_e32 v93, v[38:39]
	v_cvt_i32_f64_e32 v94, v[36:37]
	;; [unrolled: 1-line block ×4, first 2 shown]
	v_fma_f64 v[49:50], v[38:39], s[26:27], v[49:50]
	v_fma_f64 v[51:52], v[36:37], s[26:27], v[51:52]
	;; [unrolled: 1-line block ×86, first 2 shown]
	v_mul_f64 v[85:86], v[24:25], s[24:25]
	v_fma_f64 v[89:90], v[75:76], v[89:90], s[42:43]
	v_fma_f64 v[34:35], v[81:82], v[34:35], s[42:43]
	;; [unrolled: 1-line block ×3, first 2 shown]
	v_fma_f64 v[61:62], v[49:50], v[61:62], 1.0
	v_fma_f64 v[67:68], v[51:52], v[67:68], 1.0
	v_fma_f64 v[77:78], v[59:60], v[77:78], s[42:43]
	v_fma_f64 v[36:37], v[71:72], v[36:37], 1.0
	v_rndne_f64_e32 v[85:86], v[85:86]
	v_fma_f64 v[55:56], v[75:76], v[89:90], 1.0
	v_fma_f64 v[34:35], v[81:82], v[34:35], 1.0
	;; [unrolled: 1-line block ×4, first 2 shown]
	v_mul_f64 v[61:62], v[20:21], s[24:25]
	v_fma_f64 v[77:78], v[59:60], v[77:78], 1.0
	v_fma_f64 v[51:52], v[51:52], v[67:68], 1.0
	v_mul_f64 v[67:68], v[22:23], s[24:25]
	v_fma_f64 v[57:58], v[85:86], s[22:23], v[24:25]
	v_fma_f64 v[36:37], v[71:72], v[36:37], 1.0
	v_fma_f64 v[34:35], v[81:82], v[34:35], 1.0
	v_fma_f64 v[38:39], v[87:88], v[38:39], 1.0
	v_ldexp_f64 v[49:50], v[49:50], v93
	v_rndne_f64_e32 v[61:62], v[61:62]
	v_fma_f64 v[59:60], v[59:60], v[77:78], 1.0
	v_cvt_i32_f64_e32 v93, v[40:41]
	v_rndne_f64_e32 v[67:68], v[67:68]
	v_fma_f64 v[40:41], v[69:70], v[83:84], 1.0
	v_fma_f64 v[83:84], v[79:80], v[91:92], s[42:43]
	v_mul_f64 v[91:92], v[26:27], s[24:25]
	v_ldexp_f64 v[51:52], v[51:52], v94
	v_cvt_i32_f64_e32 v94, v[53:54]
	v_ldexp_f64 v[36:37], v[36:37], v95
	v_cvt_i32_f64_e32 v95, v[73:74]
	v_add_f64 v[49:50], v[49:50], 0
	v_fma_f64 v[77:78], v[61:62], s[22:23], v[20:21]
	v_ldexp_f64 v[59:60], v[59:60], v93
	v_fma_f64 v[53:54], v[67:68], s[22:23], v[22:23]
	v_fma_f64 v[40:41], v[69:70], v[40:41], 1.0
	v_mul_f64 v[69:70], v[30:31], s[24:25]
	v_fma_f64 v[83:84], v[79:80], v[83:84], 1.0
	v_rndne_f64_e32 v[89:90], v[91:92]
	v_cndmask_b32_e64 v91, 0x7ff00000, v52, s15
	s_and_b32 s15, s16, s15
	v_cvt_i32_f64_e32 v93, v[63:64]
	v_mul_f64 v[63:64], v[28:29], s[24:25]
	v_ldexp_f64 v[38:39], v[38:39], v95
	v_cndmask_b32_e64 v50, 0x7ff00000, v50, s17
	v_fma_f64 v[77:78], v[61:62], s[26:27], v[77:78]
	s_and_b32 s17, s18, s17
	v_cvt_i32_f64_e32 v62, v[61:62]
	v_fma_f64 v[52:53], v[67:68], s[26:27], v[53:54]
	v_fma_f64 v[54:55], v[75:76], v[55:56], 1.0
	v_rndne_f64_e32 v[69:70], v[69:70]
	v_fma_f64 v[75:76], v[79:80], v[83:84], 1.0
	v_mul_f64 v[79:80], v[32:33], s[24:25]
	v_fma_f64 v[81:82], v[89:90], s[22:23], v[26:27]
	v_fma_f64 v[56:57], v[85:86], s[26:27], v[57:58]
	v_cndmask_b32_e64 v83, 0, v51, s15
	v_cmp_nlt_f64_e64 s15, 0x40900000, v[6:7]
	v_cndmask_b32_e64 v84, 0, v91, s16
	v_cmp_ngt_f64_e64 s16, 0xc090cc00, v[6:7]
	v_cndmask_b32_e64 v50, 0, v50, s18
	v_cndmask_b32_e64 v49, 0, v49, s17
	v_ldexp_f64 v[40:41], v[40:41], v94
	v_cmp_nlt_f64_e64 s17, 0x40900000, v[8:9]
	v_cmp_ngt_f64_e64 s18, 0xc090cc00, v[8:9]
	v_rndne_f64_e32 v[63:64], v[63:64]
	v_add_f64 v[49:50], v[49:50], v[83:84]
	v_fma_f64 v[71:72], v[77:78], s[30:31], s[28:29]
	v_fma_f64 v[91:92], v[52:53], s[30:31], s[28:29]
	v_ldexp_f64 v[54:55], v[54:55], v96
	v_fma_f64 v[83:84], v[69:70], s[22:23], v[30:31]
	v_ldexp_f64 v[75:76], v[75:76], v93
	v_rndne_f64_e32 v[79:80], v[79:80]
	v_fma_f64 v[81:82], v[89:90], s[26:27], v[81:82]
	v_fma_f64 v[87:88], v[56:57], s[30:31], s[28:29]
	v_cndmask_b32_e64 v51, 0x7ff00000, v60, s15
	s_and_b32 s15, s16, s15
	s_delay_alu instid0(SALU_CYCLE_1) | instskip(NEXT) | instid1(VALU_DEP_2)
	v_cndmask_b32_e64 v59, 0, v59, s15
	v_cndmask_b32_e64 v60, 0, v51, s16
	v_cvt_i32_f64_e32 v51, v[65:66]
	v_cndmask_b32_e64 v41, 0x7ff00000, v41, s17
	s_and_b32 s17, s18, s17
	v_fma_f64 v[73:74], v[63:64], s[22:23], v[28:29]
	v_add_f64 v[49:50], v[49:50], v[59:60]
	v_cndmask_b32_e64 v40, 0, v40, s17
	v_cndmask_b32_e64 v41, 0, v41, s18
	v_cmp_nlt_f64_e64 s15, 0x40900000, v[10:11]
	v_cmp_ngt_f64_e64 s16, 0xc090cc00, v[10:11]
	v_cmp_nlt_f64_e64 s17, 0x40900000, v[16:17]
	v_cmp_ngt_f64_e64 s18, 0xc090cc00, v[16:17]
	v_fma_f64 v[71:72], v[77:78], v[71:72], s[34:35]
	v_fma_f64 v[91:92], v[52:53], v[91:92], s[34:35]
	;; [unrolled: 1-line block ×6, first 2 shown]
	v_ldexp_f64 v[34:35], v[34:35], v51
	v_fma_f64 v[73:74], v[63:64], s[26:27], v[73:74]
	v_add_f64 v[40:41], v[49:50], v[40:41]
	v_cndmask_b32_e64 v37, 0x7ff00000, v37, s15
	s_and_b32 s15, s16, s15
	s_delay_alu instid0(SALU_CYCLE_1) | instskip(SKIP_1) | instid1(VALU_DEP_3)
	v_cndmask_b32_e64 v36, 0, v36, s15
	v_cmp_nlt_f64_e64 s15, 0x40900000, v[12:13]
	v_cndmask_b32_e64 v37, 0, v37, s16
	v_cmp_ngt_f64_e64 s16, 0xc090cc00, v[12:13]
	v_fma_f64 v[71:72], v[77:78], v[71:72], s[36:37]
	v_fma_f64 v[91:92], v[52:53], v[91:92], s[36:37]
	;; [unrolled: 1-line block ×6, first 2 shown]
	v_add_f64 v[36:37], v[40:41], v[36:37]
	v_fma_f64 v[40:41], v[73:74], s[30:31], s[28:29]
	v_cndmask_b32_e64 v55, 0x7ff00000, v55, s15
	s_and_b32 s15, s16, s15
	s_delay_alu instid0(SALU_CYCLE_1) | instskip(SKIP_1) | instid1(VALU_DEP_3)
	v_cndmask_b32_e64 v54, 0, v54, s15
	v_cmp_nlt_f64_e64 s15, 0x40900000, v[14:15]
	v_cndmask_b32_e64 v55, 0, v55, s16
	v_cmp_ngt_f64_e64 s16, 0xc090cc00, v[14:15]
	v_fma_f64 v[71:72], v[77:78], v[71:72], s[40:41]
	v_fma_f64 v[91:92], v[52:53], v[91:92], s[40:41]
	;; [unrolled: 1-line block ×6, first 2 shown]
	v_add_f64 v[36:37], v[36:37], v[54:55]
	v_fma_f64 v[40:41], v[73:74], v[40:41], s[34:35]
	v_cndmask_b32_e64 v51, 0x7ff00000, v76, s15
	s_and_b32 s15, s16, s15
	s_delay_alu instid0(SALU_CYCLE_1) | instskip(SKIP_1) | instid1(VALU_DEP_3)
	v_cndmask_b32_e64 v75, 0, v75, s15
	v_fma_f64 v[71:72], v[77:78], v[71:72], s[38:39]
	v_cndmask_b32_e64 v76, 0, v51, s16
	v_cmp_nlt_f64_e64 s15, 0x40900000, v[18:19]
	v_fma_f64 v[91:92], v[52:53], v[91:92], s[38:39]
	v_cmp_ngt_f64_e64 s16, 0xc090cc00, v[18:19]
	v_fma_f64 v[49:50], v[65:66], v[49:50], s[36:37]
	v_fma_f64 v[93:94], v[58:59], v[93:94], s[34:35]
	;; [unrolled: 1-line block ×32, first 2 shown]
	v_fma_f64 v[71:72], v[77:78], v[71:72], 1.0
	v_fma_f64 v[87:88], v[52:53], v[91:92], 1.0
	v_fma_f64 v[49:50], v[65:66], v[49:50], s[44:45]
	v_fma_f64 v[54:55], v[58:59], v[54:55], s[46:47]
	;; [unrolled: 1-line block ×3, first 2 shown]
	v_fma_f64 v[71:72], v[77:78], v[71:72], 1.0
	v_cndmask_b32_e64 v77, 0x7ff00000, v35, s17
	v_add_f64 v[35:36], v[36:37], v[75:76]
	s_and_b32 s17, s18, s17
	v_cvt_i32_f64_e32 v78, v[67:68]
	v_fma_f64 v[67:68], v[56:57], v[83:84], 1.0
	v_cndmask_b32_e64 v76, 0, v77, s18
	v_cndmask_b32_e64 v75, 0, v34, s17
	v_fma_f64 v[51:52], v[52:53], v[87:88], 1.0
	v_cmp_nlt_f64_e64 s17, 0x40900000, v[20:21]
	v_cmp_ngt_f64_e64 s18, 0xc090cc00, v[20:21]
	v_fma_f64 v[49:50], v[65:66], v[49:50], s[42:43]
	v_ldexp_f64 v[71:72], v[71:72], v62
	v_cndmask_b32_e64 v62, 0x7ff00000, v39, s15
	v_add_f64 v[34:35], v[35:36], v[75:76]
	s_and_b32 s15, s16, s15
	v_cvt_i32_f64_e32 v75, v[85:86]
	v_fma_f64 v[36:37], v[73:74], v[40:41], s[46:47]
	v_fma_f64 v[39:40], v[58:59], v[54:55], s[44:45]
	v_fma_f64 v[53:54], v[81:82], v[60:61], 1.0
	v_fma_f64 v[55:56], v[56:57], v[67:68], 1.0
	v_cndmask_b32_e64 v61, 0, v62, s16
	v_cndmask_b32_e64 v60, 0, v38, s15
	v_ldexp_f64 v[51:52], v[51:52], v78
	v_cmp_nlt_f64_e64 s15, 0x40900000, v[22:23]
	v_cmp_ngt_f64_e64 s16, 0xc090cc00, v[22:23]
	v_cndmask_b32_e64 v57, 0x7ff00000, v72, s17
	s_and_b32 s17, s18, s17
	v_add_f64 v[34:35], v[34:35], v[60:61]
	v_cvt_i32_f64_e32 v60, v[89:90]
	v_fma_f64 v[36:37], v[73:74], v[36:37], s[44:45]
	v_fma_f64 v[38:39], v[58:59], v[39:40], s[42:43]
	v_fma_f64 v[40:41], v[65:66], v[49:50], 1.0
	v_fma_f64 v[49:50], v[81:82], v[53:54], 1.0
	v_ldexp_f64 v[53:54], v[55:56], v75
	v_cndmask_b32_e64 v56, 0, v57, s18
	v_cndmask_b32_e64 v55, 0, v71, s17
	;; [unrolled: 1-line block ×3, first 2 shown]
	v_cmp_nlt_f64_e64 s17, 0x40900000, v[24:25]
	v_cmp_ngt_f64_e64 s18, 0xc090cc00, v[24:25]
	s_and_b32 s15, s16, s15
	s_delay_alu instid0(VALU_DEP_3)
	v_cndmask_b32_e64 v52, 0, v52, s16
	v_cndmask_b32_e64 v51, 0, v51, s15
	v_cmp_nlt_f64_e64 s15, 0x40900000, v[26:27]
	v_cmp_ngt_f64_e64 s16, 0xc090cc00, v[26:27]
	v_add_f64 v[34:35], v[34:35], v[55:56]
	v_cvt_i32_f64_e32 v55, v[69:70]
	v_fma_f64 v[36:37], v[73:74], v[36:37], s[42:43]
	v_fma_f64 v[38:39], v[58:59], v[38:39], 1.0
	v_fma_f64 v[40:41], v[65:66], v[40:41], 1.0
	v_ldexp_f64 v[49:50], v[49:50], v60
	v_cndmask_b32_e64 v54, 0x7ff00000, v54, s17
	s_and_b32 s17, s18, s17
	v_add_f64 v[34:35], v[34:35], v[51:52]
	s_delay_alu instid0(VALU_DEP_2)
	v_cndmask_b32_e64 v51, 0, v54, s18
	v_cvt_i32_f64_e32 v52, v[79:80]
	v_fma_f64 v[36:37], v[73:74], v[36:37], 1.0
	v_fma_f64 v[38:39], v[58:59], v[38:39], 1.0
	v_ldexp_f64 v[40:41], v[40:41], v55
	v_cndmask_b32_e64 v55, 0x7ff00000, v50, s15
	v_cndmask_b32_e64 v50, 0, v53, s17
	v_cmp_nlt_f64_e64 s17, 0x40900000, v[30:31]
	v_cmp_ngt_f64_e64 s18, 0xc090cc00, v[30:31]
	s_and_b32 s15, s16, s15
	s_delay_alu instid0(SALU_CYCLE_1)
	v_cndmask_b32_e64 v49, 0, v49, s15
	v_cmp_nlt_f64_e64 s15, 0x40900000, v[32:33]
	v_add_f64 v[34:35], v[34:35], v[50:51]
	v_cndmask_b32_e64 v50, 0, v55, s16
	v_cvt_i32_f64_e32 v51, v[63:64]
	v_fma_f64 v[36:37], v[73:74], v[36:37], 1.0
	v_ldexp_f64 v[38:39], v[38:39], v52
	v_cmp_ngt_f64_e64 s16, 0xc090cc00, v[32:33]
	v_cndmask_b32_e64 v41, 0x7ff00000, v41, s17
	s_and_b32 s17, s18, s17
	s_delay_alu instid0(SALU_CYCLE_1) | instskip(SKIP_1) | instid1(VALU_DEP_3)
	v_cndmask_b32_e64 v40, 0, v40, s17
	v_cmp_nlt_f64_e64 s17, 0x40900000, v[28:29]
	v_cndmask_b32_e64 v41, 0, v41, s18
	v_cmp_ngt_f64_e64 s18, 0xc090cc00, v[28:29]
	v_add_f64 v[34:35], v[34:35], v[49:50]
	v_ldexp_f64 v[36:37], v[36:37], v51
	v_cndmask_b32_e64 v39, 0x7ff00000, v39, s15
	s_and_b32 s15, s16, s15
	s_delay_alu instid0(SALU_CYCLE_1) | instskip(NEXT) | instid1(VALU_DEP_2)
	v_cndmask_b32_e64 v38, 0, v38, s15
	v_cndmask_b32_e64 v39, 0, v39, s16
	s_mov_b32 s16, exec_lo
	s_and_b32 s15, s18, s17
	v_add_f64 v[34:35], v[34:35], v[40:41]
	v_cndmask_b32_e64 v37, 0x7ff00000, v37, s17
	v_cndmask_b32_e64 v36, 0, v36, s15
	s_delay_alu instid0(VALU_DEP_2) | instskip(NEXT) | instid1(VALU_DEP_4)
	v_cndmask_b32_e64 v37, 0, v37, s18
	v_add_f64 v[34:35], v[34:35], v[38:39]
	s_delay_alu instid0(VALU_DEP_1)
	v_add_f64 v[34:35], v[34:35], v[36:37]
	ds_bpermute_b32 v36, v43, v34
	ds_bpermute_b32 v37, v43, v35
	s_waitcnt lgkmcnt(0)
	v_add_f64 v[34:35], v[34:35], v[36:37]
	ds_bpermute_b32 v36, v44, v34
	ds_bpermute_b32 v37, v44, v35
	s_waitcnt lgkmcnt(0)
	;; [unrolled: 4-line block ×5, first 2 shown]
	v_add_f64 v[34:35], v[34:35], v[36:37]
	ds_bpermute_b32 v36, v48, v34
	ds_bpermute_b32 v37, v48, v35
	v_cmpx_lt_i32_e32 0, v42
	s_cbranch_execz .LBB20_50
; %bb.33:
	s_and_b32 exec_lo, exec_lo, s14
	s_cbranch_execz .LBB20_50
; %bb.34:
	s_waitcnt lgkmcnt(0)
	v_add_f64 v[35:36], v[34:35], v[36:37]
	s_mov_b32 s17, 0x3fe55555
	s_mov_b32 s16, 0x55555555
	v_mov_b32_e32 v39, 0
	s_mov_b32 s18, 0x6b47b09a
	s_mov_b32 s22, 0xbf559e2b
	;; [unrolled: 1-line block ×4, first 2 shown]
	s_delay_alu instid0(VALU_DEP_2) | instskip(SKIP_1) | instid1(VALU_DEP_2)
	v_frexp_mant_f64_e32 v[37:38], v[35:36]
	v_frexp_exp_i32_f64_e32 v34, v[35:36]
	v_cmp_gt_f64_e64 s14, s[16:17], v[37:38]
	s_mov_b32 s16, 0x55555780
	s_delay_alu instid0(VALU_DEP_1) | instskip(NEXT) | instid1(VALU_DEP_3)
	v_cndmask_b32_e64 v40, 0x3ff00000, 2.0, s14
	v_subrev_co_ci_u32_e64 v34, s14, 0, v34, s14
	s_mov_b32 s14, 0xfefa39ef
	s_mov_b32 s15, 0x3fe62e42
	s_delay_alu instid0(VALU_DEP_2) | instskip(NEXT) | instid1(VALU_DEP_1)
	v_mul_f64 v[37:38], v[37:38], v[39:40]
	v_add_f64 v[39:40], v[37:38], 1.0
	v_add_f64 v[45:46], v[37:38], -1.0
	s_delay_alu instid0(VALU_DEP_2) | instskip(SKIP_1) | instid1(VALU_DEP_1)
	v_rcp_f64_e32 v[41:42], v[39:40]
	v_add_f64 v[47:48], v[39:40], -1.0
	v_add_f64 v[37:38], v[37:38], -v[47:48]
	s_waitcnt_depctr 0xfff
	v_fma_f64 v[43:44], -v[39:40], v[41:42], 1.0
	s_delay_alu instid0(VALU_DEP_1) | instskip(NEXT) | instid1(VALU_DEP_1)
	v_fma_f64 v[41:42], v[43:44], v[41:42], v[41:42]
	v_fma_f64 v[43:44], -v[39:40], v[41:42], 1.0
	s_delay_alu instid0(VALU_DEP_1) | instskip(NEXT) | instid1(VALU_DEP_1)
	v_fma_f64 v[41:42], v[43:44], v[41:42], v[41:42]
	v_mul_f64 v[43:44], v[45:46], v[41:42]
	s_delay_alu instid0(VALU_DEP_1) | instskip(NEXT) | instid1(VALU_DEP_1)
	v_mul_f64 v[49:50], v[39:40], v[43:44]
	v_fma_f64 v[39:40], v[43:44], v[39:40], -v[49:50]
	s_delay_alu instid0(VALU_DEP_1) | instskip(NEXT) | instid1(VALU_DEP_1)
	v_fma_f64 v[37:38], v[43:44], v[37:38], v[39:40]
	v_add_f64 v[39:40], v[49:50], v[37:38]
	s_delay_alu instid0(VALU_DEP_1) | instskip(SKIP_1) | instid1(VALU_DEP_2)
	v_add_f64 v[47:48], v[45:46], -v[39:40]
	v_add_f64 v[49:50], v[39:40], -v[49:50]
	;; [unrolled: 1-line block ×3, first 2 shown]
	s_delay_alu instid0(VALU_DEP_2) | instskip(NEXT) | instid1(VALU_DEP_2)
	v_add_f64 v[37:38], v[49:50], -v[37:38]
	v_add_f64 v[39:40], v[45:46], -v[39:40]
	s_delay_alu instid0(VALU_DEP_1) | instskip(NEXT) | instid1(VALU_DEP_1)
	v_add_f64 v[37:38], v[37:38], v[39:40]
	v_add_f64 v[37:38], v[47:48], v[37:38]
	s_delay_alu instid0(VALU_DEP_1) | instskip(NEXT) | instid1(VALU_DEP_1)
	v_mul_f64 v[37:38], v[41:42], v[37:38]
	v_add_f64 v[39:40], v[43:44], v[37:38]
	s_delay_alu instid0(VALU_DEP_1) | instskip(NEXT) | instid1(VALU_DEP_1)
	v_mul_f64 v[41:42], v[39:40], v[39:40]
	v_fma_f64 v[45:46], v[41:42], s[22:23], s[18:19]
	s_mov_b32 s18, 0xd7f4df2e
	s_mov_b32 s19, 0x3fc7474d
	v_mul_f64 v[47:48], v[39:40], v[41:42]
	s_delay_alu instid0(VALU_DEP_2)
	v_fma_f64 v[45:46], v[41:42], v[45:46], s[18:19]
	s_mov_b32 s18, 0x16291751
	s_mov_b32 s19, 0x3fcc71c0
	s_delay_alu instid0(VALU_DEP_1) | instid1(SALU_CYCLE_1)
	v_fma_f64 v[45:46], v[41:42], v[45:46], s[18:19]
	s_mov_b32 s18, 0x9b27acf1
	s_mov_b32 s19, 0x3fd24924
	s_delay_alu instid0(VALU_DEP_1) | instid1(SALU_CYCLE_1)
	;; [unrolled: 4-line block ×3, first 2 shown]
	v_fma_f64 v[45:46], v[41:42], v[45:46], s[18:19]
	s_delay_alu instid0(VALU_DEP_1) | instskip(SKIP_2) | instid1(VALU_DEP_3)
	v_fma_f64 v[41:42], v[41:42], v[45:46], s[16:17]
	v_ldexp_f64 v[45:46], v[39:40], 1
	v_add_f64 v[39:40], v[39:40], -v[43:44]
	v_mul_f64 v[41:42], v[47:48], v[41:42]
	v_cvt_f64_i32_e32 v[47:48], v34
	s_delay_alu instid0(VALU_DEP_3) | instskip(NEXT) | instid1(VALU_DEP_3)
	v_add_f64 v[37:38], v[37:38], -v[39:40]
	v_add_f64 v[43:44], v[45:46], v[41:42]
	s_delay_alu instid0(VALU_DEP_3) | instskip(NEXT) | instid1(VALU_DEP_3)
	v_mul_f64 v[49:50], v[47:48], s[14:15]
	v_ldexp_f64 v[37:38], v[37:38], 1
	s_delay_alu instid0(VALU_DEP_3) | instskip(NEXT) | instid1(VALU_DEP_3)
	v_add_f64 v[39:40], v[43:44], -v[45:46]
	v_fma_f64 v[45:46], v[47:48], s[14:15], -v[49:50]
	s_mov_b32 s14, 0x3b39803f
	s_mov_b32 s15, 0x3c7abc9e
	s_delay_alu instid0(VALU_DEP_2) | instskip(NEXT) | instid1(VALU_DEP_2)
	v_add_f64 v[39:40], v[41:42], -v[39:40]
	v_fma_f64 v[41:42], v[47:48], s[14:15], v[45:46]
	v_cmp_class_f64_e64 s14, v[35:36], 0x204
	s_delay_alu instid0(VALU_DEP_3) | instskip(NEXT) | instid1(VALU_DEP_3)
	v_add_f64 v[37:38], v[37:38], v[39:40]
	v_add_f64 v[39:40], v[49:50], v[41:42]
	s_delay_alu instid0(VALU_DEP_2) | instskip(NEXT) | instid1(VALU_DEP_2)
	v_add_f64 v[45:46], v[43:44], v[37:38]
	v_add_f64 v[49:50], v[39:40], -v[49:50]
	s_delay_alu instid0(VALU_DEP_2) | instskip(SKIP_1) | instid1(VALU_DEP_3)
	v_add_f64 v[47:48], v[39:40], v[45:46]
	v_add_f64 v[43:44], v[45:46], -v[43:44]
	v_add_f64 v[41:42], v[41:42], -v[49:50]
	s_delay_alu instid0(VALU_DEP_3) | instskip(NEXT) | instid1(VALU_DEP_3)
	v_add_f64 v[51:52], v[47:48], -v[39:40]
	v_add_f64 v[37:38], v[37:38], -v[43:44]
	s_delay_alu instid0(VALU_DEP_2) | instskip(SKIP_1) | instid1(VALU_DEP_3)
	v_add_f64 v[53:54], v[47:48], -v[51:52]
	v_add_f64 v[43:44], v[45:46], -v[51:52]
	v_add_f64 v[45:46], v[41:42], v[37:38]
	s_delay_alu instid0(VALU_DEP_3) | instskip(NEXT) | instid1(VALU_DEP_1)
	v_add_f64 v[39:40], v[39:40], -v[53:54]
	v_add_f64 v[39:40], v[43:44], v[39:40]
	s_delay_alu instid0(VALU_DEP_3) | instskip(NEXT) | instid1(VALU_DEP_2)
	v_add_f64 v[43:44], v[45:46], -v[41:42]
	v_add_f64 v[39:40], v[45:46], v[39:40]
	s_delay_alu instid0(VALU_DEP_2) | instskip(SKIP_1) | instid1(VALU_DEP_3)
	v_add_f64 v[45:46], v[45:46], -v[43:44]
	v_add_f64 v[37:38], v[37:38], -v[43:44]
	v_add_f64 v[49:50], v[47:48], v[39:40]
	s_delay_alu instid0(VALU_DEP_3) | instskip(NEXT) | instid1(VALU_DEP_2)
	v_add_f64 v[41:42], v[41:42], -v[45:46]
	v_add_f64 v[43:44], v[49:50], -v[47:48]
	s_delay_alu instid0(VALU_DEP_2) | instskip(NEXT) | instid1(VALU_DEP_2)
	v_add_f64 v[37:38], v[37:38], v[41:42]
	v_add_f64 v[39:40], v[39:40], -v[43:44]
	s_delay_alu instid0(VALU_DEP_1) | instskip(NEXT) | instid1(VALU_DEP_1)
	v_add_f64 v[37:38], v[37:38], v[39:40]
	v_add_f64 v[37:38], v[49:50], v[37:38]
	s_delay_alu instid0(VALU_DEP_1) | instskip(NEXT) | instid1(VALU_DEP_2)
	v_cndmask_b32_e64 v34, v37, v35, s14
	v_cndmask_b32_e64 v37, v38, v36, s14
	v_cmp_ngt_f64_e64 s14, 0, v[35:36]
	s_delay_alu instid0(VALU_DEP_1) | instskip(SKIP_1) | instid1(VALU_DEP_1)
	v_cndmask_b32_e64 v37, 0x7ff80000, v37, s14
	v_cmp_nge_f64_e64 s14, 0, v[35:36]
	v_cndmask_b32_e64 v34, 0, v34, s14
	v_cmp_neq_f64_e64 s14, 0, v[35:36]
	s_delay_alu instid0(VALU_DEP_1) | instskip(SKIP_1) | instid1(VALU_DEP_1)
	v_cndmask_b32_e64 v35, 0xfff00000, v37, s14
	v_add_co_u32 v0, s14, s20, v0
	v_add_co_ci_u32_e64 v1, s14, s21, v1, s14
	s_delay_alu instid0(VALU_DEP_3)
	v_add_f64 v[2:3], v[2:3], -v[34:35]
	global_store_b64 v[0:1], v[2:3], off
	s_and_b32 exec_lo, exec_lo, vcc_lo
	s_cbranch_execz .LBB20_50
; %bb.35:
	v_add_f64 v[2:3], v[4:5], -v[34:35]
	global_store_b64 v[0:1], v[2:3], off offset:512
	s_and_b32 exec_lo, exec_lo, s0
	s_cbranch_execz .LBB20_50
; %bb.36:
	v_add_f64 v[2:3], v[6:7], -v[34:35]
	global_store_b64 v[0:1], v[2:3], off offset:1024
	s_and_b32 exec_lo, exec_lo, s1
	;; [unrolled: 5-line block ×7, first 2 shown]
	s_cbranch_execz .LBB20_50
; %bb.42:
	v_add_f64 v[2:3], v[18:19], -v[34:35]
	v_add_co_u32 v0, vcc_lo, 0x1000, v0
	v_add_co_ci_u32_e32 v1, vcc_lo, 0, v1, vcc_lo
	global_store_b64 v[0:1], v[2:3], off
	s_and_b32 exec_lo, exec_lo, s7
	s_cbranch_execz .LBB20_50
; %bb.43:
	v_add_f64 v[2:3], v[20:21], -v[34:35]
	global_store_b64 v[0:1], v[2:3], off offset:512
	s_and_b32 exec_lo, exec_lo, s8
	s_cbranch_execz .LBB20_50
; %bb.44:
	v_add_f64 v[2:3], v[22:23], -v[34:35]
	global_store_b64 v[0:1], v[2:3], off offset:1024
	;; [unrolled: 5-line block ×7, first 2 shown]
.LBB20_50:
	s_nop 0
	s_sendmsg sendmsg(MSG_DEALLOC_VGPRS)
	s_endpgm
	.section	.rodata,"a",@progbits
	.p2align	6, 0x0
	.amdhsa_kernel _ZN12_GLOBAL__N_120softmax_warp_forwardIdddLi10ELb1ELb0ELi64EEEvPT0_PKT_iiiPKbib
		.amdhsa_group_segment_fixed_size 0
		.amdhsa_private_segment_fixed_size 0
		.amdhsa_kernarg_size 304
		.amdhsa_user_sgpr_count 15
		.amdhsa_user_sgpr_dispatch_ptr 0
		.amdhsa_user_sgpr_queue_ptr 0
		.amdhsa_user_sgpr_kernarg_segment_ptr 1
		.amdhsa_user_sgpr_dispatch_id 0
		.amdhsa_user_sgpr_private_segment_size 0
		.amdhsa_wavefront_size32 1
		.amdhsa_uses_dynamic_stack 0
		.amdhsa_enable_private_segment 0
		.amdhsa_system_sgpr_workgroup_id_x 1
		.amdhsa_system_sgpr_workgroup_id_y 0
		.amdhsa_system_sgpr_workgroup_id_z 0
		.amdhsa_system_sgpr_workgroup_info 0
		.amdhsa_system_vgpr_workitem_id 1
		.amdhsa_next_free_vgpr 97
		.amdhsa_next_free_sgpr 50
		.amdhsa_reserve_vcc 1
		.amdhsa_float_round_mode_32 0
		.amdhsa_float_round_mode_16_64 0
		.amdhsa_float_denorm_mode_32 3
		.amdhsa_float_denorm_mode_16_64 3
		.amdhsa_dx10_clamp 1
		.amdhsa_ieee_mode 1
		.amdhsa_fp16_overflow 0
		.amdhsa_workgroup_processor_mode 1
		.amdhsa_memory_ordered 1
		.amdhsa_forward_progress 0
		.amdhsa_shared_vgpr_count 0
		.amdhsa_exception_fp_ieee_invalid_op 0
		.amdhsa_exception_fp_denorm_src 0
		.amdhsa_exception_fp_ieee_div_zero 0
		.amdhsa_exception_fp_ieee_overflow 0
		.amdhsa_exception_fp_ieee_underflow 0
		.amdhsa_exception_fp_ieee_inexact 0
		.amdhsa_exception_int_div_zero 0
	.end_amdhsa_kernel
	.section	.text._ZN12_GLOBAL__N_120softmax_warp_forwardIdddLi10ELb1ELb0ELi64EEEvPT0_PKT_iiiPKbib,"axG",@progbits,_ZN12_GLOBAL__N_120softmax_warp_forwardIdddLi10ELb1ELb0ELi64EEEvPT0_PKT_iiiPKbib,comdat
.Lfunc_end20:
	.size	_ZN12_GLOBAL__N_120softmax_warp_forwardIdddLi10ELb1ELb0ELi64EEEvPT0_PKT_iiiPKbib, .Lfunc_end20-_ZN12_GLOBAL__N_120softmax_warp_forwardIdddLi10ELb1ELb0ELi64EEEvPT0_PKT_iiiPKbib
                                        ; -- End function
	.section	.AMDGPU.csdata,"",@progbits
; Kernel info:
; codeLenInByte = 7112
; NumSgprs: 52
; NumVgprs: 97
; ScratchSize: 0
; MemoryBound: 0
; FloatMode: 240
; IeeeMode: 1
; LDSByteSize: 0 bytes/workgroup (compile time only)
; SGPRBlocks: 6
; VGPRBlocks: 12
; NumSGPRsForWavesPerEU: 52
; NumVGPRsForWavesPerEU: 97
; Occupancy: 12
; WaveLimiterHint : 0
; COMPUTE_PGM_RSRC2:SCRATCH_EN: 0
; COMPUTE_PGM_RSRC2:USER_SGPR: 15
; COMPUTE_PGM_RSRC2:TRAP_HANDLER: 0
; COMPUTE_PGM_RSRC2:TGID_X_EN: 1
; COMPUTE_PGM_RSRC2:TGID_Y_EN: 0
; COMPUTE_PGM_RSRC2:TGID_Z_EN: 0
; COMPUTE_PGM_RSRC2:TIDIG_COMP_CNT: 1
	.section	.text._ZN12_GLOBAL__N_120softmax_warp_forwardIdddLi10ELb1ELb0ELi32EEEvPT0_PKT_iiiPKbib,"axG",@progbits,_ZN12_GLOBAL__N_120softmax_warp_forwardIdddLi10ELb1ELb0ELi32EEEvPT0_PKT_iiiPKbib,comdat
	.globl	_ZN12_GLOBAL__N_120softmax_warp_forwardIdddLi10ELb1ELb0ELi32EEEvPT0_PKT_iiiPKbib ; -- Begin function _ZN12_GLOBAL__N_120softmax_warp_forwardIdddLi10ELb1ELb0ELi32EEEvPT0_PKT_iiiPKbib
	.p2align	8
	.type	_ZN12_GLOBAL__N_120softmax_warp_forwardIdddLi10ELb1ELb0ELi32EEEvPT0_PKT_iiiPKbib,@function
_ZN12_GLOBAL__N_120softmax_warp_forwardIdddLi10ELb1ELb0ELi32EEEvPT0_PKT_iiiPKbib: ; @_ZN12_GLOBAL__N_120softmax_warp_forwardIdddLi10ELb1ELb0ELi32EEEvPT0_PKT_iiiPKbib
; %bb.0:
	s_clause 0x1
	s_load_b32 s2, s[0:1], 0x3c
	s_load_b256 s[36:43], s[0:1], 0x0
	v_bfe_u32 v1, v0, 10, 10
	v_mov_b32_e32 v4, 0
	v_mov_b32_e32 v5, 0xfff00000
	v_and_b32_e32 v62, 0x3ff, v0
	s_waitcnt lgkmcnt(0)
	s_lshr_b32 s0, s2, 16
	s_delay_alu instid0(SALU_CYCLE_1) | instskip(NEXT) | instid1(VALU_DEP_1)
	v_mad_u64_u32 v[2:3], null, s15, s0, v[1:2]
	v_mad_u64_u32 v[0:1], null, v2, s41, v[62:63]
	v_sub_nc_u32_e32 v70, s40, v2
	v_dual_mov_b32 v2, v4 :: v_dual_mov_b32 v3, v5
	v_cmp_gt_i32_e64 s18, s42, v62
	s_delay_alu instid0(VALU_DEP_3) | instskip(SKIP_1) | instid1(VALU_DEP_2)
	v_cmp_lt_i32_e64 s31, 0, v70
	v_ashrrev_i32_e32 v1, 31, v0
	s_and_b32 s1, s31, s18
	s_delay_alu instid0(VALU_DEP_1) | instskip(NEXT) | instid1(VALU_DEP_1)
	v_lshlrev_b64 v[0:1], 3, v[0:1]
	v_add_co_u32 v68, vcc_lo, s38, v0
	s_delay_alu instid0(VALU_DEP_2)
	v_add_co_ci_u32_e32 v69, vcc_lo, s39, v1, vcc_lo
	s_and_saveexec_b32 s0, s1
	s_cbranch_execz .LBB21_2
; %bb.1:
	global_load_b64 v[2:3], v[68:69], off
.LBB21_2:
	s_or_b32 exec_lo, exec_lo, s0
	v_add_nc_u32_e32 v6, 32, v62
	s_delay_alu instid0(VALU_DEP_1) | instskip(SKIP_1) | instid1(SALU_CYCLE_1)
	v_cmp_gt_i32_e32 vcc_lo, s42, v6
	s_and_b32 s1, s31, vcc_lo
	s_and_saveexec_b32 s0, s1
	s_cbranch_execz .LBB21_4
; %bb.3:
	global_load_b64 v[4:5], v[68:69], off offset:256
.LBB21_4:
	s_or_b32 exec_lo, exec_lo, s0
	v_add_nc_u32_e32 v6, 64, v62
	v_mov_b32_e32 v8, 0
	v_mov_b32_e32 v9, 0xfff00000
	s_delay_alu instid0(VALU_DEP_3) | instskip(NEXT) | instid1(VALU_DEP_2)
	v_cmp_gt_i32_e64 s0, s42, v6
	v_dual_mov_b32 v6, v8 :: v_dual_mov_b32 v7, v9
	s_delay_alu instid0(VALU_DEP_2) | instskip(NEXT) | instid1(SALU_CYCLE_1)
	s_and_b32 s2, s31, s0
	s_and_saveexec_b32 s1, s2
	s_cbranch_execz .LBB21_6
; %bb.5:
	global_load_b64 v[6:7], v[68:69], off offset:512
.LBB21_6:
	s_or_b32 exec_lo, exec_lo, s1
	v_add_nc_u32_e32 v10, 0x60, v62
	s_delay_alu instid0(VALU_DEP_1) | instskip(NEXT) | instid1(VALU_DEP_1)
	v_cmp_gt_i32_e64 s1, s42, v10
	s_and_b32 s3, s31, s1
	s_delay_alu instid0(SALU_CYCLE_1)
	s_and_saveexec_b32 s2, s3
	s_cbranch_execz .LBB21_8
; %bb.7:
	global_load_b64 v[8:9], v[68:69], off offset:768
.LBB21_8:
	s_or_b32 exec_lo, exec_lo, s2
	v_mov_b32_e32 v12, 0
	v_mov_b32_e32 v13, 0xfff00000
	v_add_nc_u32_e32 v10, 0x80, v62
	s_delay_alu instid0(VALU_DEP_1) | instskip(NEXT) | instid1(VALU_DEP_3)
	v_cmp_gt_i32_e64 s2, s42, v10
	v_dual_mov_b32 v10, v12 :: v_dual_mov_b32 v11, v13
	s_delay_alu instid0(VALU_DEP_2) | instskip(NEXT) | instid1(SALU_CYCLE_1)
	s_and_b32 s4, s31, s2
	s_and_saveexec_b32 s3, s4
	s_cbranch_execz .LBB21_10
; %bb.9:
	global_load_b64 v[10:11], v[68:69], off offset:1024
.LBB21_10:
	s_or_b32 exec_lo, exec_lo, s3
	v_add_nc_u32_e32 v14, 0xa0, v62
	s_delay_alu instid0(VALU_DEP_1) | instskip(NEXT) | instid1(VALU_DEP_1)
	v_cmp_gt_i32_e64 s3, s42, v14
	s_and_b32 s5, s31, s3
	s_delay_alu instid0(SALU_CYCLE_1)
	s_and_saveexec_b32 s4, s5
	s_cbranch_execz .LBB21_12
; %bb.11:
	global_load_b64 v[12:13], v[68:69], off offset:1280
.LBB21_12:
	s_or_b32 exec_lo, exec_lo, s4
	v_mov_b32_e32 v16, 0
	v_mov_b32_e32 v17, 0xfff00000
	v_add_nc_u32_e32 v14, 0xc0, v62
	s_delay_alu instid0(VALU_DEP_1) | instskip(NEXT) | instid1(VALU_DEP_3)
	;; [unrolled: 25-line block ×5, first 2 shown]
	v_cmp_gt_i32_e64 s10, s42, v26
	v_dual_mov_b32 v26, v28 :: v_dual_mov_b32 v27, v29
	s_delay_alu instid0(VALU_DEP_2) | instskip(NEXT) | instid1(SALU_CYCLE_1)
	s_and_b32 s12, s31, s10
	s_and_saveexec_b32 s11, s12
	s_cbranch_execz .LBB21_26
; %bb.25:
	global_load_b64 v[26:27], v[68:69], off offset:3072
.LBB21_26:
	s_or_b32 exec_lo, exec_lo, s11
	v_add_nc_u32_e32 v30, 0x1a0, v62
	s_delay_alu instid0(VALU_DEP_1) | instskip(NEXT) | instid1(VALU_DEP_1)
	v_cmp_gt_i32_e64 s11, s42, v30
	s_and_b32 s13, s31, s11
	s_delay_alu instid0(SALU_CYCLE_1)
	s_and_saveexec_b32 s12, s13
	s_cbranch_execz .LBB21_28
; %bb.27:
	global_load_b64 v[28:29], v[68:69], off offset:3328
.LBB21_28:
	s_or_b32 exec_lo, exec_lo, s12
	v_mov_b32_e32 v34, 0
	v_mov_b32_e32 v35, 0xfff00000
	v_add_nc_u32_e32 v30, 0x1c0, v62
	s_delay_alu instid0(VALU_DEP_2) | instskip(NEXT) | instid1(VALU_DEP_2)
	v_dual_mov_b32 v32, v34 :: v_dual_mov_b32 v33, v35
	v_cmp_gt_i32_e64 s12, s42, v30
	s_delay_alu instid0(VALU_DEP_1) | instskip(NEXT) | instid1(SALU_CYCLE_1)
	s_and_b32 s14, s31, s12
	s_and_saveexec_b32 s13, s14
	s_cbranch_execz .LBB21_30
; %bb.29:
	global_load_b64 v[32:33], v[68:69], off offset:3584
.LBB21_30:
	s_or_b32 exec_lo, exec_lo, s13
	v_add_nc_u32_e32 v30, 0x1e0, v62
	s_delay_alu instid0(VALU_DEP_1) | instskip(NEXT) | instid1(VALU_DEP_1)
	v_cmp_gt_i32_e64 s13, s42, v30
	s_and_b32 s15, s31, s13
	s_delay_alu instid0(SALU_CYCLE_1)
	s_and_saveexec_b32 s14, s15
	s_cbranch_execz .LBB21_32
; %bb.31:
	global_load_b64 v[34:35], v[68:69], off offset:3840
.LBB21_32:
	s_or_b32 exec_lo, exec_lo, s14
	v_mov_b32_e32 v46, 0
	v_mov_b32_e32 v47, 0xfff00000
	v_add_nc_u32_e32 v30, 0x200, v62
	s_delay_alu instid0(VALU_DEP_2) | instskip(NEXT) | instid1(VALU_DEP_2)
	v_dual_mov_b32 v40, v46 :: v_dual_mov_b32 v41, v47
	v_cmp_gt_i32_e64 s14, s42, v30
	s_delay_alu instid0(VALU_DEP_1) | instskip(NEXT) | instid1(SALU_CYCLE_1)
	s_and_b32 s15, s31, s14
	s_and_saveexec_b32 s16, s15
	s_cbranch_execz .LBB21_34
; %bb.33:
	v_add_co_u32 v30, s15, 0x1000, v68
	s_delay_alu instid0(VALU_DEP_1)
	v_add_co_ci_u32_e64 v31, s15, 0, v69, s15
	global_load_b64 v[40:41], v[30:31], off
.LBB21_34:
	s_or_b32 exec_lo, exec_lo, s16
	v_add_nc_u32_e32 v30, 0x220, v62
	s_delay_alu instid0(VALU_DEP_1) | instskip(NEXT) | instid1(VALU_DEP_1)
	v_cmp_gt_i32_e64 s15, s42, v30
	s_and_b32 s16, s31, s15
	s_delay_alu instid0(SALU_CYCLE_1)
	s_and_saveexec_b32 s17, s16
	s_cbranch_execz .LBB21_36
; %bb.35:
	v_add_co_u32 v30, s16, 0x1000, v68
	s_delay_alu instid0(VALU_DEP_1)
	v_add_co_ci_u32_e64 v31, s16, 0, v69, s16
	global_load_b64 v[46:47], v[30:31], off offset:256
.LBB21_36:
	s_or_b32 exec_lo, exec_lo, s17
	v_mov_b32_e32 v54, 0
	v_mov_b32_e32 v55, 0xfff00000
	v_add_nc_u32_e32 v30, 0x240, v62
	s_delay_alu instid0(VALU_DEP_2) | instskip(NEXT) | instid1(VALU_DEP_2)
	v_dual_mov_b32 v50, v54 :: v_dual_mov_b32 v51, v55
	v_cmp_gt_i32_e64 s16, s42, v30
	s_delay_alu instid0(VALU_DEP_1) | instskip(NEXT) | instid1(SALU_CYCLE_1)
	s_and_b32 s17, s31, s16
	s_and_saveexec_b32 s19, s17
	s_cbranch_execz .LBB21_38
; %bb.37:
	v_add_co_u32 v30, s17, 0x1000, v68
	s_delay_alu instid0(VALU_DEP_1)
	v_add_co_ci_u32_e64 v31, s17, 0, v69, s17
	global_load_b64 v[50:51], v[30:31], off offset:512
.LBB21_38:
	s_or_b32 exec_lo, exec_lo, s19
	v_add_nc_u32_e32 v30, 0x260, v62
	s_delay_alu instid0(VALU_DEP_1) | instskip(NEXT) | instid1(VALU_DEP_1)
	v_cmp_gt_i32_e64 s17, s42, v30
	s_and_b32 s19, s31, s17
	s_delay_alu instid0(SALU_CYCLE_1)
	s_and_saveexec_b32 s20, s19
	s_cbranch_execz .LBB21_40
; %bb.39:
	v_add_co_u32 v30, s19, 0x1000, v68
	s_delay_alu instid0(VALU_DEP_1)
	v_add_co_ci_u32_e64 v31, s19, 0, v69, s19
	global_load_b64 v[54:55], v[30:31], off offset:768
.LBB21_40:
	s_or_b32 exec_lo, exec_lo, s20
	v_mov_b32_e32 v66, 0
	v_mov_b32_e32 v67, 0xfff00000
	v_add_nc_u32_e32 v30, 0x280, v62
	s_delay_alu instid0(VALU_DEP_2) | instskip(NEXT) | instid1(VALU_DEP_2)
	v_dual_mov_b32 v60, v66 :: v_dual_mov_b32 v61, v67
	v_cmp_gt_i32_e64 s19, s42, v30
	s_delay_alu instid0(VALU_DEP_1) | instskip(NEXT) | instid1(SALU_CYCLE_1)
	s_and_b32 s20, s31, s19
	s_and_saveexec_b32 s21, s20
	s_cbranch_execz .LBB21_42
; %bb.41:
	v_add_co_u32 v30, s20, 0x1000, v68
	s_delay_alu instid0(VALU_DEP_1)
	v_add_co_ci_u32_e64 v31, s20, 0, v69, s20
	global_load_b64 v[60:61], v[30:31], off offset:1024
.LBB21_42:
	s_or_b32 exec_lo, exec_lo, s21
	v_add_nc_u32_e32 v30, 0x2a0, v62
	s_delay_alu instid0(VALU_DEP_1) | instskip(NEXT) | instid1(VALU_DEP_1)
	v_cmp_gt_i32_e64 s20, s42, v30
	s_and_b32 s21, s31, s20
	s_delay_alu instid0(SALU_CYCLE_1)
	s_and_saveexec_b32 s22, s21
	s_cbranch_execz .LBB21_44
; %bb.43:
	v_add_co_u32 v30, s21, 0x1000, v68
	s_delay_alu instid0(VALU_DEP_1)
	v_add_co_ci_u32_e64 v31, s21, 0, v69, s21
	global_load_b64 v[66:67], v[30:31], off offset:1280
.LBB21_44:
	s_or_b32 exec_lo, exec_lo, s22
	v_mov_b32_e32 v58, 0
	v_mov_b32_e32 v59, 0xfff00000
	s_delay_alu instid0(VALU_DEP_1) | instskip(NEXT) | instid1(VALU_DEP_1)
	v_dual_mov_b32 v65, v59 :: v_dual_add_nc_u32 v30, 0x2c0, v62
	v_cmp_gt_i32_e64 s21, s42, v30
	s_delay_alu instid0(VALU_DEP_4) | instskip(NEXT) | instid1(VALU_DEP_2)
	v_mov_b32_e32 v64, v58
	s_and_b32 s22, s31, s21
	s_delay_alu instid0(SALU_CYCLE_1)
	s_and_saveexec_b32 s23, s22
	s_cbranch_execz .LBB21_46
; %bb.45:
	v_add_co_u32 v30, s22, 0x1000, v68
	s_delay_alu instid0(VALU_DEP_1)
	v_add_co_ci_u32_e64 v31, s22, 0, v69, s22
	global_load_b64 v[64:65], v[30:31], off offset:1536
.LBB21_46:
	s_or_b32 exec_lo, exec_lo, s23
	v_add_nc_u32_e32 v30, 0x2e0, v62
	s_delay_alu instid0(VALU_DEP_1) | instskip(NEXT) | instid1(VALU_DEP_1)
	v_cmp_gt_i32_e64 s22, s42, v30
	s_and_b32 s23, s31, s22
	s_delay_alu instid0(SALU_CYCLE_1)
	s_and_saveexec_b32 s24, s23
	s_cbranch_execz .LBB21_48
; %bb.47:
	v_add_co_u32 v30, s23, 0x1000, v68
	s_delay_alu instid0(VALU_DEP_1)
	v_add_co_ci_u32_e64 v31, s23, 0, v69, s23
	global_load_b64 v[58:59], v[30:31], off offset:1792
.LBB21_48:
	s_or_b32 exec_lo, exec_lo, s24
	v_mov_b32_e32 v52, 0
	v_mov_b32_e32 v53, 0xfff00000
	s_delay_alu instid0(VALU_DEP_1) | instskip(NEXT) | instid1(VALU_DEP_1)
	v_dual_mov_b32 v57, v53 :: v_dual_add_nc_u32 v30, 0x300, v62
	v_cmp_gt_i32_e64 s23, s42, v30
	s_delay_alu instid0(VALU_DEP_4) | instskip(NEXT) | instid1(VALU_DEP_2)
	v_mov_b32_e32 v56, v52
	s_and_b32 s24, s31, s23
	s_delay_alu instid0(SALU_CYCLE_1)
	;; [unrolled: 32-line block ×4, first 2 shown]
	s_and_saveexec_b32 s29, s28
	s_cbranch_execz .LBB21_58
; %bb.57:
	v_add_co_u32 v30, s28, 0x1000, v68
	s_delay_alu instid0(VALU_DEP_1)
	v_add_co_ci_u32_e64 v31, s28, 0, v69, s28
	global_load_b64 v[42:43], v[30:31], off offset:3072
.LBB21_58:
	s_or_b32 exec_lo, exec_lo, s29
	v_add_nc_u32_e32 v30, 0x3a0, v62
	s_delay_alu instid0(VALU_DEP_1) | instskip(NEXT) | instid1(VALU_DEP_1)
	v_cmp_gt_i32_e64 s28, s42, v30
	s_and_b32 s29, s31, s28
	s_delay_alu instid0(SALU_CYCLE_1)
	s_and_saveexec_b32 s30, s29
	s_cbranch_execz .LBB21_60
; %bb.59:
	v_add_co_u32 v30, s29, 0x1000, v68
	s_delay_alu instid0(VALU_DEP_1)
	v_add_co_ci_u32_e64 v31, s29, 0, v69, s29
	global_load_b64 v[38:39], v[30:31], off offset:3328
.LBB21_60:
	s_or_b32 exec_lo, exec_lo, s30
	v_add_nc_u32_e32 v36, 0x3c0, v62
	v_mov_b32_e32 v30, 0
	v_mov_b32_e32 v31, 0xfff00000
	s_delay_alu instid0(VALU_DEP_3) | instskip(NEXT) | instid1(VALU_DEP_2)
	v_cmp_gt_i32_e64 s29, s42, v36
	v_dual_mov_b32 v37, v31 :: v_dual_mov_b32 v36, v30
	s_delay_alu instid0(VALU_DEP_2) | instskip(NEXT) | instid1(SALU_CYCLE_1)
	s_and_b32 s30, s31, s29
	s_and_saveexec_b32 s33, s30
	s_cbranch_execz .LBB21_62
; %bb.61:
	v_add_co_u32 v36, s30, 0x1000, v68
	s_delay_alu instid0(VALU_DEP_1)
	v_add_co_ci_u32_e64 v37, s30, 0, v69, s30
	global_load_b64 v[36:37], v[36:37], off offset:3584
.LBB21_62:
	s_or_b32 exec_lo, exec_lo, s33
	v_add_nc_u32_e32 v62, 0x3e0, v62
	s_delay_alu instid0(VALU_DEP_1) | instskip(NEXT) | instid1(VALU_DEP_1)
	v_cmp_gt_i32_e64 s30, s42, v62
	s_and_b32 s31, s31, s30
	s_delay_alu instid0(SALU_CYCLE_1)
	s_and_saveexec_b32 s33, s31
	s_cbranch_execz .LBB21_64
; %bb.63:
	v_add_co_u32 v30, s31, 0x1000, v68
	s_delay_alu instid0(VALU_DEP_1)
	v_add_co_ci_u32_e64 v31, s31, 0, v69, s31
	global_load_b64 v[30:31], v[30:31], off offset:3840
.LBB21_64:
	s_or_b32 exec_lo, exec_lo, s33
	s_waitcnt vmcnt(0)
	v_cmp_gt_f64_e64 s31, v[2:3], v[4:5]
	v_mbcnt_lo_u32_b32 v75, -1, 0
	s_mov_b32 s44, 0x652b82fe
	s_mov_b32 s45, 0x3ff71547
	;; [unrolled: 1-line block ×4, first 2 shown]
	v_xor_b32_e32 v68, 16, v75
	s_mov_b32 s40, 0x3b39803f
	s_mov_b32 s41, 0xbc7abc9e
	;; [unrolled: 1-line block ×22, first 2 shown]
	s_delay_alu instid0(VALU_DEP_3) | instskip(SKIP_1) | instid1(VALU_DEP_1)
	v_cndmask_b32_e64 v63, v5, v3, s31
	v_cndmask_b32_e64 v62, v4, v2, s31
	v_cmp_gt_f64_e64 s31, v[62:63], v[6:7]
	s_delay_alu instid0(VALU_DEP_1) | instskip(SKIP_1) | instid1(VALU_DEP_1)
	v_cndmask_b32_e64 v63, v7, v63, s31
	v_cndmask_b32_e64 v62, v6, v62, s31
	v_cmp_gt_f64_e64 s31, v[62:63], v[8:9]
	s_delay_alu instid0(VALU_DEP_1) | instskip(SKIP_1) | instid1(VALU_DEP_1)
	;; [unrolled: 4-line block ×29, first 2 shown]
	v_cndmask_b32_e64 v63, v37, v63, s31
	v_cndmask_b32_e64 v62, v36, v62, s31
	v_cmp_gt_f64_e64 s31, v[62:63], v[30:31]
	s_delay_alu instid0(VALU_DEP_1) | instskip(SKIP_2) | instid1(VALU_DEP_1)
	v_cndmask_b32_e64 v63, v31, v63, s31
	v_cndmask_b32_e64 v62, v30, v62, s31
	v_cmp_gt_i32_e64 s31, 32, v68
	v_cndmask_b32_e64 v68, v75, v68, s31
	s_delay_alu instid0(VALU_DEP_1) | instskip(SKIP_4) | instid1(VALU_DEP_1)
	v_lshlrev_b32_e32 v71, 2, v68
	ds_bpermute_b32 v68, v71, v62
	ds_bpermute_b32 v69, v71, v63
	s_waitcnt lgkmcnt(0)
	v_cmp_lt_f64_e64 s31, v[62:63], v[68:69]
	v_cndmask_b32_e64 v62, v62, v68, s31
	v_xor_b32_e32 v68, 8, v75
	v_cndmask_b32_e64 v63, v63, v69, s31
	s_delay_alu instid0(VALU_DEP_2) | instskip(NEXT) | instid1(VALU_DEP_1)
	v_cmp_gt_i32_e64 s31, 32, v68
	v_cndmask_b32_e64 v68, v75, v68, s31
	s_delay_alu instid0(VALU_DEP_1) | instskip(SKIP_4) | instid1(VALU_DEP_1)
	v_lshlrev_b32_e32 v72, 2, v68
	ds_bpermute_b32 v68, v72, v62
	ds_bpermute_b32 v69, v72, v63
	s_waitcnt lgkmcnt(0)
	v_cmp_lt_f64_e64 s31, v[62:63], v[68:69]
	v_cndmask_b32_e64 v62, v62, v68, s31
	v_xor_b32_e32 v68, 4, v75
	v_cndmask_b32_e64 v63, v63, v69, s31
	s_delay_alu instid0(VALU_DEP_2) | instskip(NEXT) | instid1(VALU_DEP_1)
	;; [unrolled: 12-line block ×4, first 2 shown]
	v_cmp_gt_i32_e64 s31, 32, v68
	v_cndmask_b32_e64 v68, v75, v68, s31
	s_delay_alu instid0(VALU_DEP_1) | instskip(SKIP_4) | instid1(VALU_DEP_1)
	v_lshlrev_b32_e32 v75, 2, v68
	ds_bpermute_b32 v68, v75, v62
	ds_bpermute_b32 v69, v75, v63
	s_waitcnt lgkmcnt(0)
	v_cmp_lt_f64_e64 s31, v[62:63], v[68:69]
	v_cndmask_b32_e64 v63, v63, v69, s31
	v_cndmask_b32_e64 v62, v62, v68, s31
	s_delay_alu instid0(VALU_DEP_1)
	v_add_f64 v[2:3], v[2:3], -v[62:63]
	v_add_f64 v[4:5], v[4:5], -v[62:63]
	;; [unrolled: 1-line block ×32, first 2 shown]
	v_mul_f64 v[68:69], v[2:3], s[44:45]
	v_cmp_nlt_f64_e64 s31, 0x40900000, v[2:3]
	v_cmp_ngt_f64_e64 s33, 0xc090cc00, v[2:3]
	s_delay_alu instid0(VALU_DEP_4) | instskip(NEXT) | instid1(VALU_DEP_4)
	v_mul_f64 v[62:63], v[30:31], s[44:45]
	v_rndne_f64_e32 v[68:69], v[68:69]
	s_delay_alu instid0(VALU_DEP_2) | instskip(NEXT) | instid1(VALU_DEP_2)
	v_rndne_f64_e32 v[62:63], v[62:63]
	v_fma_f64 v[76:77], v[68:69], s[34:35], v[2:3]
	s_delay_alu instid0(VALU_DEP_1) | instskip(SKIP_1) | instid1(VALU_DEP_2)
	v_fma_f64 v[76:77], v[68:69], s[40:41], v[76:77]
	v_cvt_i32_f64_e32 v68, v[68:69]
	v_fma_f64 v[78:79], v[76:77], s[42:43], s[38:39]
	s_delay_alu instid0(VALU_DEP_1) | instskip(NEXT) | instid1(VALU_DEP_1)
	v_fma_f64 v[78:79], v[76:77], v[78:79], s[46:47]
	v_fma_f64 v[78:79], v[76:77], v[78:79], s[48:49]
	s_delay_alu instid0(VALU_DEP_1) | instskip(NEXT) | instid1(VALU_DEP_1)
	v_fma_f64 v[78:79], v[76:77], v[78:79], s[50:51]
	;; [unrolled: 3-line block ×4, first 2 shown]
	v_fma_f64 v[78:79], v[76:77], v[78:79], s[60:61]
	s_delay_alu instid0(VALU_DEP_1) | instskip(NEXT) | instid1(VALU_DEP_1)
	v_fma_f64 v[78:79], v[76:77], v[78:79], 1.0
	v_fma_f64 v[76:77], v[76:77], v[78:79], 1.0
	s_delay_alu instid0(VALU_DEP_1) | instskip(SKIP_1) | instid1(VALU_DEP_2)
	v_ldexp_f64 v[68:69], v[76:77], v68
	v_mul_f64 v[76:77], v[4:5], s[44:45]
	v_add_f64 v[68:69], v[68:69], 0
	s_delay_alu instid0(VALU_DEP_2) | instskip(NEXT) | instid1(VALU_DEP_2)
	v_rndne_f64_e32 v[76:77], v[76:77]
	v_cndmask_b32_e64 v69, 0x7ff00000, v69, s31
	s_delay_alu instid0(VALU_DEP_2)
	v_fma_f64 v[78:79], v[76:77], s[34:35], v[4:5]
	s_and_b32 s31, s33, s31
	s_delay_alu instid0(VALU_DEP_4) | instid1(SALU_CYCLE_1)
	v_cndmask_b32_e64 v68, 0, v68, s31
	v_cmp_nlt_f64_e64 s31, 0x40900000, v[4:5]
	v_cndmask_b32_e64 v69, 0, v69, s33
	v_cmp_ngt_f64_e64 s33, 0xc090cc00, v[4:5]
	v_fma_f64 v[78:79], v[76:77], s[40:41], v[78:79]
	v_cvt_i32_f64_e32 v76, v[76:77]
	s_delay_alu instid0(VALU_DEP_2) | instskip(NEXT) | instid1(VALU_DEP_1)
	v_fma_f64 v[80:81], v[78:79], s[42:43], s[38:39]
	v_fma_f64 v[80:81], v[78:79], v[80:81], s[46:47]
	s_delay_alu instid0(VALU_DEP_1) | instskip(NEXT) | instid1(VALU_DEP_1)
	v_fma_f64 v[80:81], v[78:79], v[80:81], s[48:49]
	v_fma_f64 v[80:81], v[78:79], v[80:81], s[50:51]
	s_delay_alu instid0(VALU_DEP_1) | instskip(NEXT) | instid1(VALU_DEP_1)
	;; [unrolled: 3-line block ×4, first 2 shown]
	v_fma_f64 v[80:81], v[78:79], v[80:81], s[60:61]
	v_fma_f64 v[80:81], v[78:79], v[80:81], 1.0
	s_delay_alu instid0(VALU_DEP_1) | instskip(NEXT) | instid1(VALU_DEP_1)
	v_fma_f64 v[78:79], v[78:79], v[80:81], 1.0
	v_ldexp_f64 v[76:77], v[78:79], v76
	s_delay_alu instid0(VALU_DEP_1)
	v_cndmask_b32_e64 v77, 0x7ff00000, v77, s31
	s_and_b32 s31, s33, s31
	s_delay_alu instid0(VALU_DEP_2) | instid1(SALU_CYCLE_1)
	v_cndmask_b32_e64 v76, 0, v76, s31
	v_cmp_nlt_f64_e64 s31, 0x40900000, v[6:7]
	s_delay_alu instid0(VALU_DEP_3) | instskip(SKIP_1) | instid1(VALU_DEP_2)
	v_cndmask_b32_e64 v77, 0, v77, s33
	v_cmp_ngt_f64_e64 s33, 0xc090cc00, v[6:7]
	v_add_f64 v[68:69], v[68:69], v[76:77]
	v_mul_f64 v[76:77], v[6:7], s[44:45]
	s_delay_alu instid0(VALU_DEP_1) | instskip(NEXT) | instid1(VALU_DEP_1)
	v_rndne_f64_e32 v[76:77], v[76:77]
	v_fma_f64 v[78:79], v[76:77], s[34:35], v[6:7]
	s_delay_alu instid0(VALU_DEP_1) | instskip(SKIP_1) | instid1(VALU_DEP_2)
	v_fma_f64 v[78:79], v[76:77], s[40:41], v[78:79]
	v_cvt_i32_f64_e32 v76, v[76:77]
	v_fma_f64 v[80:81], v[78:79], s[42:43], s[38:39]
	s_delay_alu instid0(VALU_DEP_1) | instskip(NEXT) | instid1(VALU_DEP_1)
	v_fma_f64 v[80:81], v[78:79], v[80:81], s[46:47]
	v_fma_f64 v[80:81], v[78:79], v[80:81], s[48:49]
	s_delay_alu instid0(VALU_DEP_1) | instskip(NEXT) | instid1(VALU_DEP_1)
	v_fma_f64 v[80:81], v[78:79], v[80:81], s[50:51]
	v_fma_f64 v[80:81], v[78:79], v[80:81], s[52:53]
	s_delay_alu instid0(VALU_DEP_1) | instskip(NEXT) | instid1(VALU_DEP_1)
	v_fma_f64 v[80:81], v[78:79], v[80:81], s[54:55]
	v_fma_f64 v[80:81], v[78:79], v[80:81], s[56:57]
	s_delay_alu instid0(VALU_DEP_1) | instskip(NEXT) | instid1(VALU_DEP_1)
	v_fma_f64 v[80:81], v[78:79], v[80:81], s[58:59]
	v_fma_f64 v[80:81], v[78:79], v[80:81], s[60:61]
	s_delay_alu instid0(VALU_DEP_1) | instskip(NEXT) | instid1(VALU_DEP_1)
	v_fma_f64 v[80:81], v[78:79], v[80:81], 1.0
	v_fma_f64 v[78:79], v[78:79], v[80:81], 1.0
	s_delay_alu instid0(VALU_DEP_1) | instskip(NEXT) | instid1(VALU_DEP_1)
	v_ldexp_f64 v[76:77], v[78:79], v76
	v_cndmask_b32_e64 v77, 0x7ff00000, v77, s31
	s_and_b32 s31, s33, s31
	s_delay_alu instid0(VALU_DEP_2) | instid1(SALU_CYCLE_1)
	v_cndmask_b32_e64 v76, 0, v76, s31
	v_cmp_nlt_f64_e64 s31, 0x40900000, v[8:9]
	s_delay_alu instid0(VALU_DEP_3) | instskip(SKIP_1) | instid1(VALU_DEP_2)
	v_cndmask_b32_e64 v77, 0, v77, s33
	v_cmp_ngt_f64_e64 s33, 0xc090cc00, v[8:9]
	v_add_f64 v[68:69], v[68:69], v[76:77]
	v_mul_f64 v[76:77], v[8:9], s[44:45]
	s_delay_alu instid0(VALU_DEP_1) | instskip(NEXT) | instid1(VALU_DEP_1)
	v_rndne_f64_e32 v[76:77], v[76:77]
	v_fma_f64 v[78:79], v[76:77], s[34:35], v[8:9]
	s_delay_alu instid0(VALU_DEP_1) | instskip(SKIP_1) | instid1(VALU_DEP_2)
	v_fma_f64 v[78:79], v[76:77], s[40:41], v[78:79]
	v_cvt_i32_f64_e32 v76, v[76:77]
	v_fma_f64 v[80:81], v[78:79], s[42:43], s[38:39]
	s_delay_alu instid0(VALU_DEP_1) | instskip(NEXT) | instid1(VALU_DEP_1)
	v_fma_f64 v[80:81], v[78:79], v[80:81], s[46:47]
	v_fma_f64 v[80:81], v[78:79], v[80:81], s[48:49]
	s_delay_alu instid0(VALU_DEP_1) | instskip(NEXT) | instid1(VALU_DEP_1)
	v_fma_f64 v[80:81], v[78:79], v[80:81], s[50:51]
	v_fma_f64 v[80:81], v[78:79], v[80:81], s[52:53]
	s_delay_alu instid0(VALU_DEP_1) | instskip(NEXT) | instid1(VALU_DEP_1)
	v_fma_f64 v[80:81], v[78:79], v[80:81], s[54:55]
	v_fma_f64 v[80:81], v[78:79], v[80:81], s[56:57]
	s_delay_alu instid0(VALU_DEP_1) | instskip(NEXT) | instid1(VALU_DEP_1)
	v_fma_f64 v[80:81], v[78:79], v[80:81], s[58:59]
	v_fma_f64 v[80:81], v[78:79], v[80:81], s[60:61]
	s_delay_alu instid0(VALU_DEP_1) | instskip(NEXT) | instid1(VALU_DEP_1)
	v_fma_f64 v[80:81], v[78:79], v[80:81], 1.0
	v_fma_f64 v[78:79], v[78:79], v[80:81], 1.0
	s_delay_alu instid0(VALU_DEP_1) | instskip(NEXT) | instid1(VALU_DEP_1)
	v_ldexp_f64 v[76:77], v[78:79], v76
	;; [unrolled: 34-line block ×29, first 2 shown]
	v_cndmask_b32_e64 v77, 0x7ff00000, v77, s31
	s_and_b32 s31, s33, s31
	s_delay_alu instid0(VALU_DEP_2) | instid1(SALU_CYCLE_1)
	v_cndmask_b32_e64 v76, 0, v76, s31
	v_cmp_nlt_f64_e64 s31, 0x40900000, v[30:31]
	s_delay_alu instid0(VALU_DEP_3) | instskip(SKIP_1) | instid1(VALU_DEP_2)
	v_cndmask_b32_e64 v77, 0, v77, s33
	v_cmp_ngt_f64_e64 s33, 0xc090cc00, v[30:31]
	v_add_f64 v[68:69], v[68:69], v[76:77]
	v_fma_f64 v[76:77], v[62:63], s[34:35], v[30:31]
	s_delay_alu instid0(VALU_DEP_1) | instskip(SKIP_1) | instid1(VALU_DEP_2)
	v_fma_f64 v[76:77], v[62:63], s[40:41], v[76:77]
	v_cvt_i32_f64_e32 v62, v[62:63]
	v_fma_f64 v[78:79], v[76:77], s[42:43], s[38:39]
	s_delay_alu instid0(VALU_DEP_1) | instskip(NEXT) | instid1(VALU_DEP_1)
	v_fma_f64 v[78:79], v[76:77], v[78:79], s[46:47]
	v_fma_f64 v[78:79], v[76:77], v[78:79], s[48:49]
	s_delay_alu instid0(VALU_DEP_1) | instskip(NEXT) | instid1(VALU_DEP_1)
	v_fma_f64 v[78:79], v[76:77], v[78:79], s[50:51]
	;; [unrolled: 3-line block ×4, first 2 shown]
	v_fma_f64 v[78:79], v[76:77], v[78:79], s[60:61]
	s_delay_alu instid0(VALU_DEP_1) | instskip(NEXT) | instid1(VALU_DEP_1)
	v_fma_f64 v[78:79], v[76:77], v[78:79], 1.0
	v_fma_f64 v[76:77], v[76:77], v[78:79], 1.0
	s_delay_alu instid0(VALU_DEP_1) | instskip(NEXT) | instid1(VALU_DEP_1)
	v_ldexp_f64 v[62:63], v[76:77], v62
	v_cndmask_b32_e64 v63, 0x7ff00000, v63, s31
	s_and_b32 s31, s33, s31
	s_delay_alu instid0(VALU_DEP_2) | instid1(SALU_CYCLE_1)
	v_cndmask_b32_e64 v62, 0, v62, s31
	s_delay_alu instid0(VALU_DEP_2) | instskip(SKIP_1) | instid1(VALU_DEP_1)
	v_cndmask_b32_e64 v63, 0, v63, s33
	s_mov_b32 s33, exec_lo
	v_add_f64 v[62:63], v[68:69], v[62:63]
	ds_bpermute_b32 v68, v71, v62
	ds_bpermute_b32 v69, v71, v63
	s_waitcnt lgkmcnt(0)
	v_add_f64 v[62:63], v[62:63], v[68:69]
	ds_bpermute_b32 v68, v72, v62
	ds_bpermute_b32 v69, v72, v63
	s_waitcnt lgkmcnt(0)
	;; [unrolled: 4-line block ×4, first 2 shown]
	v_add_f64 v[62:63], v[62:63], v[68:69]
	ds_bpermute_b32 v68, v75, v62
	ds_bpermute_b32 v69, v75, v63
	v_cmpx_lt_i32_e32 0, v70
	s_cbranch_execz .LBB21_98
; %bb.65:
	s_and_b32 exec_lo, exec_lo, s18
	s_cbranch_execz .LBB21_98
; %bb.66:
	s_waitcnt lgkmcnt(0)
	v_add_f64 v[68:69], v[62:63], v[68:69]
	s_mov_b32 s35, 0x3fe55555
	s_mov_b32 s34, 0x55555555
	v_mov_b32_e32 v70, 0
	s_mov_b32 s38, 0x6b47b09a
	s_mov_b32 s40, 0xbf559e2b
	;; [unrolled: 1-line block ×4, first 2 shown]
	s_delay_alu instid0(VALU_DEP_2) | instskip(NEXT) | instid1(VALU_DEP_1)
	v_frexp_mant_f64_e32 v[62:63], v[68:69]
	v_cmp_gt_f64_e64 s18, s[34:35], v[62:63]
	s_mov_b32 s34, 0x55555780
	s_delay_alu instid0(VALU_DEP_1) | instskip(NEXT) | instid1(VALU_DEP_1)
	v_cndmask_b32_e64 v71, 0x3ff00000, 2.0, s18
	v_mul_f64 v[62:63], v[62:63], v[70:71]
	s_delay_alu instid0(VALU_DEP_1) | instskip(SKIP_1) | instid1(VALU_DEP_2)
	v_add_f64 v[70:71], v[62:63], 1.0
	v_add_f64 v[76:77], v[62:63], -1.0
	v_rcp_f64_e32 v[72:73], v[70:71]
	v_add_f64 v[78:79], v[70:71], -1.0
	s_delay_alu instid0(VALU_DEP_1) | instskip(SKIP_2) | instid1(VALU_DEP_1)
	v_add_f64 v[62:63], v[62:63], -v[78:79]
	s_waitcnt_depctr 0xfff
	v_fma_f64 v[74:75], -v[70:71], v[72:73], 1.0
	v_fma_f64 v[72:73], v[74:75], v[72:73], v[72:73]
	s_delay_alu instid0(VALU_DEP_1) | instskip(NEXT) | instid1(VALU_DEP_1)
	v_fma_f64 v[74:75], -v[70:71], v[72:73], 1.0
	v_fma_f64 v[72:73], v[74:75], v[72:73], v[72:73]
	s_delay_alu instid0(VALU_DEP_1) | instskip(NEXT) | instid1(VALU_DEP_1)
	v_mul_f64 v[74:75], v[76:77], v[72:73]
	v_mul_f64 v[80:81], v[70:71], v[74:75]
	s_delay_alu instid0(VALU_DEP_1) | instskip(NEXT) | instid1(VALU_DEP_1)
	v_fma_f64 v[70:71], v[74:75], v[70:71], -v[80:81]
	v_fma_f64 v[62:63], v[74:75], v[62:63], v[70:71]
	s_delay_alu instid0(VALU_DEP_1) | instskip(NEXT) | instid1(VALU_DEP_1)
	v_add_f64 v[70:71], v[80:81], v[62:63]
	v_add_f64 v[78:79], v[76:77], -v[70:71]
	v_add_f64 v[80:81], v[70:71], -v[80:81]
	s_delay_alu instid0(VALU_DEP_2) | instskip(NEXT) | instid1(VALU_DEP_2)
	v_add_f64 v[76:77], v[76:77], -v[78:79]
	v_add_f64 v[62:63], v[80:81], -v[62:63]
	v_frexp_exp_i32_f64_e32 v80, v[68:69]
	s_delay_alu instid0(VALU_DEP_3) | instskip(NEXT) | instid1(VALU_DEP_1)
	v_add_f64 v[70:71], v[76:77], -v[70:71]
	v_add_f64 v[62:63], v[62:63], v[70:71]
	s_delay_alu instid0(VALU_DEP_1) | instskip(NEXT) | instid1(VALU_DEP_1)
	v_add_f64 v[62:63], v[78:79], v[62:63]
	v_mul_f64 v[62:63], v[72:73], v[62:63]
	s_delay_alu instid0(VALU_DEP_1) | instskip(NEXT) | instid1(VALU_DEP_1)
	v_add_f64 v[70:71], v[74:75], v[62:63]
	v_mul_f64 v[72:73], v[70:71], v[70:71]
	s_delay_alu instid0(VALU_DEP_1) | instskip(SKIP_3) | instid1(VALU_DEP_2)
	v_fma_f64 v[76:77], v[72:73], s[40:41], s[38:39]
	s_mov_b32 s38, 0xd7f4df2e
	s_mov_b32 s39, 0x3fc7474d
	v_mul_f64 v[78:79], v[70:71], v[72:73]
	v_fma_f64 v[76:77], v[72:73], v[76:77], s[38:39]
	s_mov_b32 s38, 0x16291751
	s_mov_b32 s39, 0x3fcc71c0
	s_delay_alu instid0(VALU_DEP_1) | instid1(SALU_CYCLE_1)
	v_fma_f64 v[76:77], v[72:73], v[76:77], s[38:39]
	s_mov_b32 s38, 0x9b27acf1
	s_mov_b32 s39, 0x3fd24924
	s_delay_alu instid0(VALU_DEP_1) | instid1(SALU_CYCLE_1)
	;; [unrolled: 4-line block ×3, first 2 shown]
	v_fma_f64 v[76:77], v[72:73], v[76:77], s[38:39]
	s_delay_alu instid0(VALU_DEP_1) | instskip(SKIP_4) | instid1(VALU_DEP_3)
	v_fma_f64 v[72:73], v[72:73], v[76:77], s[34:35]
	v_ldexp_f64 v[76:77], v[70:71], 1
	v_add_f64 v[70:71], v[70:71], -v[74:75]
	s_mov_b32 s34, 0xfefa39ef
	s_mov_b32 s35, 0x3fe62e42
	v_mul_f64 v[72:73], v[78:79], v[72:73]
	v_subrev_co_ci_u32_e64 v78, s18, 0, v80, s18
	s_delay_alu instid0(VALU_DEP_3) | instskip(SKIP_1) | instid1(VALU_DEP_3)
	v_add_f64 v[62:63], v[62:63], -v[70:71]
	v_cmp_class_f64_e64 s18, v[68:69], 0x204
	v_cvt_f64_i32_e32 v[78:79], v78
	v_add_f64 v[74:75], v[76:77], v[72:73]
	s_delay_alu instid0(VALU_DEP_4) | instskip(NEXT) | instid1(VALU_DEP_3)
	v_ldexp_f64 v[62:63], v[62:63], 1
	v_mul_f64 v[80:81], v[78:79], s[34:35]
	s_delay_alu instid0(VALU_DEP_3) | instskip(NEXT) | instid1(VALU_DEP_2)
	v_add_f64 v[70:71], v[74:75], -v[76:77]
	v_fma_f64 v[76:77], v[78:79], s[34:35], -v[80:81]
	s_mov_b32 s34, 0x3b39803f
	s_mov_b32 s35, 0x3c7abc9e
	s_delay_alu instid0(VALU_DEP_2) | instskip(NEXT) | instid1(VALU_DEP_2)
	v_add_f64 v[70:71], v[72:73], -v[70:71]
	v_fma_f64 v[72:73], v[78:79], s[34:35], v[76:77]
	s_delay_alu instid0(VALU_DEP_2) | instskip(NEXT) | instid1(VALU_DEP_2)
	v_add_f64 v[62:63], v[62:63], v[70:71]
	v_add_f64 v[70:71], v[80:81], v[72:73]
	s_delay_alu instid0(VALU_DEP_2) | instskip(NEXT) | instid1(VALU_DEP_2)
	v_add_f64 v[76:77], v[74:75], v[62:63]
	v_add_f64 v[80:81], v[70:71], -v[80:81]
	s_delay_alu instid0(VALU_DEP_2) | instskip(SKIP_1) | instid1(VALU_DEP_3)
	v_add_f64 v[78:79], v[70:71], v[76:77]
	v_add_f64 v[74:75], v[76:77], -v[74:75]
	v_add_f64 v[72:73], v[72:73], -v[80:81]
	s_delay_alu instid0(VALU_DEP_3) | instskip(NEXT) | instid1(VALU_DEP_3)
	v_add_f64 v[82:83], v[78:79], -v[70:71]
	v_add_f64 v[62:63], v[62:63], -v[74:75]
	s_delay_alu instid0(VALU_DEP_2) | instskip(SKIP_1) | instid1(VALU_DEP_3)
	v_add_f64 v[84:85], v[78:79], -v[82:83]
	v_add_f64 v[74:75], v[76:77], -v[82:83]
	v_add_f64 v[76:77], v[72:73], v[62:63]
	s_delay_alu instid0(VALU_DEP_3) | instskip(NEXT) | instid1(VALU_DEP_1)
	v_add_f64 v[70:71], v[70:71], -v[84:85]
	v_add_f64 v[70:71], v[74:75], v[70:71]
	s_delay_alu instid0(VALU_DEP_3) | instskip(NEXT) | instid1(VALU_DEP_2)
	v_add_f64 v[74:75], v[76:77], -v[72:73]
	v_add_f64 v[70:71], v[76:77], v[70:71]
	s_delay_alu instid0(VALU_DEP_2) | instskip(SKIP_1) | instid1(VALU_DEP_3)
	v_add_f64 v[76:77], v[76:77], -v[74:75]
	v_add_f64 v[62:63], v[62:63], -v[74:75]
	v_add_f64 v[80:81], v[78:79], v[70:71]
	s_delay_alu instid0(VALU_DEP_3) | instskip(NEXT) | instid1(VALU_DEP_2)
	v_add_f64 v[72:73], v[72:73], -v[76:77]
	v_add_f64 v[74:75], v[80:81], -v[78:79]
	s_delay_alu instid0(VALU_DEP_2) | instskip(NEXT) | instid1(VALU_DEP_2)
	v_add_f64 v[62:63], v[62:63], v[72:73]
	v_add_f64 v[70:71], v[70:71], -v[74:75]
	s_delay_alu instid0(VALU_DEP_1) | instskip(NEXT) | instid1(VALU_DEP_1)
	v_add_f64 v[62:63], v[62:63], v[70:71]
	v_add_f64 v[62:63], v[80:81], v[62:63]
	s_delay_alu instid0(VALU_DEP_1) | instskip(NEXT) | instid1(VALU_DEP_2)
	v_cndmask_b32_e64 v62, v62, v68, s18
	v_cndmask_b32_e64 v63, v63, v69, s18
	v_cmp_ngt_f64_e64 s18, 0, v[68:69]
	s_delay_alu instid0(VALU_DEP_1) | instskip(SKIP_1) | instid1(VALU_DEP_1)
	v_cndmask_b32_e64 v63, 0x7ff80000, v63, s18
	v_cmp_nge_f64_e64 s18, 0, v[68:69]
	v_cndmask_b32_e64 v62, 0, v62, s18
	v_cmp_neq_f64_e64 s18, 0, v[68:69]
	s_delay_alu instid0(VALU_DEP_1) | instskip(SKIP_1) | instid1(VALU_DEP_1)
	v_cndmask_b32_e64 v63, 0xfff00000, v63, s18
	v_add_co_u32 v0, s18, s36, v0
	v_add_co_ci_u32_e64 v1, s18, s37, v1, s18
	s_delay_alu instid0(VALU_DEP_3)
	v_add_f64 v[2:3], v[2:3], -v[62:63]
	global_store_b64 v[0:1], v[2:3], off
	s_and_b32 exec_lo, exec_lo, vcc_lo
	s_cbranch_execz .LBB21_98
; %bb.67:
	v_add_f64 v[2:3], v[4:5], -v[62:63]
	global_store_b64 v[0:1], v[2:3], off offset:256
	s_and_b32 exec_lo, exec_lo, s0
	s_cbranch_execz .LBB21_98
; %bb.68:
	v_add_f64 v[2:3], v[6:7], -v[62:63]
	global_store_b64 v[0:1], v[2:3], off offset:512
	s_and_b32 exec_lo, exec_lo, s1
	;; [unrolled: 5-line block ×15, first 2 shown]
	s_cbranch_execz .LBB21_98
; %bb.82:
	v_add_f64 v[2:3], v[40:41], -v[62:63]
	v_add_co_u32 v0, vcc_lo, 0x1000, v0
	v_add_co_ci_u32_e32 v1, vcc_lo, 0, v1, vcc_lo
	global_store_b64 v[0:1], v[2:3], off
	s_and_b32 exec_lo, exec_lo, s15
	s_cbranch_execz .LBB21_98
; %bb.83:
	v_add_f64 v[2:3], v[46:47], -v[62:63]
	global_store_b64 v[0:1], v[2:3], off offset:256
	s_and_b32 exec_lo, exec_lo, s16
	s_cbranch_execz .LBB21_98
; %bb.84:
	v_add_f64 v[2:3], v[50:51], -v[62:63]
	global_store_b64 v[0:1], v[2:3], off offset:512
	;; [unrolled: 5-line block ×15, first 2 shown]
.LBB21_98:
	s_nop 0
	s_sendmsg sendmsg(MSG_DEALLOC_VGPRS)
	s_endpgm
	.section	.rodata,"a",@progbits
	.p2align	6, 0x0
	.amdhsa_kernel _ZN12_GLOBAL__N_120softmax_warp_forwardIdddLi10ELb1ELb0ELi32EEEvPT0_PKT_iiiPKbib
		.amdhsa_group_segment_fixed_size 0
		.amdhsa_private_segment_fixed_size 0
		.amdhsa_kernarg_size 304
		.amdhsa_user_sgpr_count 15
		.amdhsa_user_sgpr_dispatch_ptr 0
		.amdhsa_user_sgpr_queue_ptr 0
		.amdhsa_user_sgpr_kernarg_segment_ptr 1
		.amdhsa_user_sgpr_dispatch_id 0
		.amdhsa_user_sgpr_private_segment_size 0
		.amdhsa_wavefront_size32 1
		.amdhsa_uses_dynamic_stack 0
		.amdhsa_enable_private_segment 0
		.amdhsa_system_sgpr_workgroup_id_x 1
		.amdhsa_system_sgpr_workgroup_id_y 0
		.amdhsa_system_sgpr_workgroup_id_z 0
		.amdhsa_system_sgpr_workgroup_info 0
		.amdhsa_system_vgpr_workitem_id 1
		.amdhsa_next_free_vgpr 86
		.amdhsa_next_free_sgpr 62
		.amdhsa_reserve_vcc 1
		.amdhsa_float_round_mode_32 0
		.amdhsa_float_round_mode_16_64 0
		.amdhsa_float_denorm_mode_32 3
		.amdhsa_float_denorm_mode_16_64 3
		.amdhsa_dx10_clamp 1
		.amdhsa_ieee_mode 1
		.amdhsa_fp16_overflow 0
		.amdhsa_workgroup_processor_mode 1
		.amdhsa_memory_ordered 1
		.amdhsa_forward_progress 0
		.amdhsa_shared_vgpr_count 0
		.amdhsa_exception_fp_ieee_invalid_op 0
		.amdhsa_exception_fp_denorm_src 0
		.amdhsa_exception_fp_ieee_div_zero 0
		.amdhsa_exception_fp_ieee_overflow 0
		.amdhsa_exception_fp_ieee_underflow 0
		.amdhsa_exception_fp_ieee_inexact 0
		.amdhsa_exception_int_div_zero 0
	.end_amdhsa_kernel
	.section	.text._ZN12_GLOBAL__N_120softmax_warp_forwardIdddLi10ELb1ELb0ELi32EEEvPT0_PKT_iiiPKbib,"axG",@progbits,_ZN12_GLOBAL__N_120softmax_warp_forwardIdddLi10ELb1ELb0ELi32EEEvPT0_PKT_iiiPKbib,comdat
.Lfunc_end21:
	.size	_ZN12_GLOBAL__N_120softmax_warp_forwardIdddLi10ELb1ELb0ELi32EEEvPT0_PKT_iiiPKbib, .Lfunc_end21-_ZN12_GLOBAL__N_120softmax_warp_forwardIdddLi10ELb1ELb0ELi32EEEvPT0_PKT_iiiPKbib
                                        ; -- End function
	.section	.AMDGPU.csdata,"",@progbits
; Kernel info:
; codeLenInByte = 13412
; NumSgprs: 64
; NumVgprs: 86
; ScratchSize: 0
; MemoryBound: 0
; FloatMode: 240
; IeeeMode: 1
; LDSByteSize: 0 bytes/workgroup (compile time only)
; SGPRBlocks: 7
; VGPRBlocks: 10
; NumSGPRsForWavesPerEU: 64
; NumVGPRsForWavesPerEU: 86
; Occupancy: 16
; WaveLimiterHint : 0
; COMPUTE_PGM_RSRC2:SCRATCH_EN: 0
; COMPUTE_PGM_RSRC2:USER_SGPR: 15
; COMPUTE_PGM_RSRC2:TRAP_HANDLER: 0
; COMPUTE_PGM_RSRC2:TGID_X_EN: 1
; COMPUTE_PGM_RSRC2:TGID_Y_EN: 0
; COMPUTE_PGM_RSRC2:TGID_Z_EN: 0
; COMPUTE_PGM_RSRC2:TIDIG_COMP_CNT: 1
	.section	.text._ZN12_GLOBAL__N_120softmax_warp_forwardIdddLi11ELb1ELb0ELi64EEEvPT0_PKT_iiiPKbib,"axG",@progbits,_ZN12_GLOBAL__N_120softmax_warp_forwardIdddLi11ELb1ELb0ELi64EEEvPT0_PKT_iiiPKbib,comdat
	.globl	_ZN12_GLOBAL__N_120softmax_warp_forwardIdddLi11ELb1ELb0ELi64EEEvPT0_PKT_iiiPKbib ; -- Begin function _ZN12_GLOBAL__N_120softmax_warp_forwardIdddLi11ELb1ELb0ELi64EEEvPT0_PKT_iiiPKbib
	.p2align	8
	.type	_ZN12_GLOBAL__N_120softmax_warp_forwardIdddLi11ELb1ELb0ELi64EEEvPT0_PKT_iiiPKbib,@function
_ZN12_GLOBAL__N_120softmax_warp_forwardIdddLi11ELb1ELb0ELi64EEEvPT0_PKT_iiiPKbib: ; @_ZN12_GLOBAL__N_120softmax_warp_forwardIdddLi11ELb1ELb0ELi64EEEvPT0_PKT_iiiPKbib
; %bb.0:
	s_clause 0x1
	s_load_b32 s2, s[0:1], 0x3c
	s_load_b256 s[36:43], s[0:1], 0x0
	v_bfe_u32 v1, v0, 10, 10
	v_mov_b32_e32 v4, 0
	v_mov_b32_e32 v5, 0xfff00000
	v_and_b32_e32 v64, 0x3ff, v0
	s_waitcnt lgkmcnt(0)
	s_lshr_b32 s0, s2, 16
	s_delay_alu instid0(SALU_CYCLE_1) | instskip(NEXT) | instid1(VALU_DEP_1)
	v_mad_u64_u32 v[2:3], null, s15, s0, v[1:2]
	v_mad_u64_u32 v[0:1], null, v2, s41, v[64:65]
	v_sub_nc_u32_e32 v70, s40, v2
	v_dual_mov_b32 v2, v4 :: v_dual_mov_b32 v3, v5
	v_cmp_gt_i32_e64 s16, s42, v64
	s_delay_alu instid0(VALU_DEP_3) | instskip(SKIP_1) | instid1(VALU_DEP_2)
	v_cmp_lt_i32_e64 s31, 0, v70
	v_ashrrev_i32_e32 v1, 31, v0
	s_and_b32 s1, s31, s16
	s_delay_alu instid0(VALU_DEP_1) | instskip(NEXT) | instid1(VALU_DEP_1)
	v_lshlrev_b64 v[0:1], 3, v[0:1]
	v_add_co_u32 v68, vcc_lo, s38, v0
	s_delay_alu instid0(VALU_DEP_2)
	v_add_co_ci_u32_e32 v69, vcc_lo, s39, v1, vcc_lo
	s_and_saveexec_b32 s0, s1
	s_cbranch_execz .LBB22_2
; %bb.1:
	global_load_b64 v[2:3], v[68:69], off
.LBB22_2:
	s_or_b32 exec_lo, exec_lo, s0
	v_add_nc_u32_e32 v6, 64, v64
	s_delay_alu instid0(VALU_DEP_1) | instskip(SKIP_1) | instid1(SALU_CYCLE_1)
	v_cmp_gt_i32_e32 vcc_lo, s42, v6
	s_and_b32 s1, s31, vcc_lo
	s_and_saveexec_b32 s0, s1
	s_cbranch_execz .LBB22_4
; %bb.3:
	global_load_b64 v[4:5], v[68:69], off offset:512
.LBB22_4:
	s_or_b32 exec_lo, exec_lo, s0
	v_mov_b32_e32 v8, 0
	v_mov_b32_e32 v9, 0xfff00000
	v_add_nc_u32_e32 v6, 0x80, v64
	s_delay_alu instid0(VALU_DEP_1) | instskip(NEXT) | instid1(VALU_DEP_3)
	v_cmp_gt_i32_e64 s0, s42, v6
	v_dual_mov_b32 v6, v8 :: v_dual_mov_b32 v7, v9
	s_delay_alu instid0(VALU_DEP_2) | instskip(NEXT) | instid1(SALU_CYCLE_1)
	s_and_b32 s2, s31, s0
	s_and_saveexec_b32 s1, s2
	s_cbranch_execz .LBB22_6
; %bb.5:
	global_load_b64 v[6:7], v[68:69], off offset:1024
.LBB22_6:
	s_or_b32 exec_lo, exec_lo, s1
	v_add_nc_u32_e32 v10, 0xc0, v64
	s_delay_alu instid0(VALU_DEP_1) | instskip(NEXT) | instid1(VALU_DEP_1)
	v_cmp_gt_i32_e64 s1, s42, v10
	s_and_b32 s3, s31, s1
	s_delay_alu instid0(SALU_CYCLE_1)
	s_and_saveexec_b32 s2, s3
	s_cbranch_execz .LBB22_8
; %bb.7:
	global_load_b64 v[8:9], v[68:69], off offset:1536
.LBB22_8:
	s_or_b32 exec_lo, exec_lo, s2
	v_mov_b32_e32 v12, 0
	v_mov_b32_e32 v13, 0xfff00000
	v_add_nc_u32_e32 v10, 0x100, v64
	s_delay_alu instid0(VALU_DEP_1) | instskip(NEXT) | instid1(VALU_DEP_3)
	v_cmp_gt_i32_e64 s2, s42, v10
	v_dual_mov_b32 v10, v12 :: v_dual_mov_b32 v11, v13
	s_delay_alu instid0(VALU_DEP_2) | instskip(NEXT) | instid1(SALU_CYCLE_1)
	s_and_b32 s4, s31, s2
	s_and_saveexec_b32 s3, s4
	s_cbranch_execz .LBB22_10
; %bb.9:
	global_load_b64 v[10:11], v[68:69], off offset:2048
.LBB22_10:
	s_or_b32 exec_lo, exec_lo, s3
	v_add_nc_u32_e32 v14, 0x140, v64
	s_delay_alu instid0(VALU_DEP_1) | instskip(NEXT) | instid1(VALU_DEP_1)
	v_cmp_gt_i32_e64 s3, s42, v14
	s_and_b32 s5, s31, s3
	s_delay_alu instid0(SALU_CYCLE_1)
	;; [unrolled: 25-line block ×3, first 2 shown]
	s_and_saveexec_b32 s6, s7
	s_cbranch_execz .LBB22_16
; %bb.15:
	global_load_b64 v[16:17], v[68:69], off offset:3584
.LBB22_16:
	s_or_b32 exec_lo, exec_lo, s6
	v_mov_b32_e32 v20, 0
	v_mov_b32_e32 v21, 0xfff00000
	v_add_nc_u32_e32 v18, 0x200, v64
	s_delay_alu instid0(VALU_DEP_1) | instskip(NEXT) | instid1(VALU_DEP_3)
	v_cmp_gt_i32_e64 s6, s42, v18
	v_dual_mov_b32 v18, v20 :: v_dual_mov_b32 v19, v21
	s_delay_alu instid0(VALU_DEP_2) | instskip(NEXT) | instid1(SALU_CYCLE_1)
	s_and_b32 s7, s31, s6
	s_and_saveexec_b32 s8, s7
	s_cbranch_execz .LBB22_18
; %bb.17:
	v_add_co_u32 v18, s7, 0x1000, v68
	s_delay_alu instid0(VALU_DEP_1)
	v_add_co_ci_u32_e64 v19, s7, 0, v69, s7
	global_load_b64 v[18:19], v[18:19], off
.LBB22_18:
	s_or_b32 exec_lo, exec_lo, s8
	v_add_nc_u32_e32 v22, 0x240, v64
	s_delay_alu instid0(VALU_DEP_1) | instskip(NEXT) | instid1(VALU_DEP_1)
	v_cmp_gt_i32_e64 s7, s42, v22
	s_and_b32 s8, s31, s7
	s_delay_alu instid0(SALU_CYCLE_1)
	s_and_saveexec_b32 s9, s8
	s_cbranch_execz .LBB22_20
; %bb.19:
	v_add_co_u32 v20, s8, 0x1000, v68
	s_delay_alu instid0(VALU_DEP_1)
	v_add_co_ci_u32_e64 v21, s8, 0, v69, s8
	global_load_b64 v[20:21], v[20:21], off offset:512
.LBB22_20:
	s_or_b32 exec_lo, exec_lo, s9
	v_mov_b32_e32 v24, 0
	v_mov_b32_e32 v25, 0xfff00000
	v_add_nc_u32_e32 v22, 0x280, v64
	s_delay_alu instid0(VALU_DEP_1) | instskip(NEXT) | instid1(VALU_DEP_3)
	v_cmp_gt_i32_e64 s8, s42, v22
	v_dual_mov_b32 v22, v24 :: v_dual_mov_b32 v23, v25
	s_delay_alu instid0(VALU_DEP_2) | instskip(NEXT) | instid1(SALU_CYCLE_1)
	s_and_b32 s9, s31, s8
	s_and_saveexec_b32 s10, s9
	s_cbranch_execz .LBB22_22
; %bb.21:
	v_add_co_u32 v22, s9, 0x1000, v68
	s_delay_alu instid0(VALU_DEP_1)
	v_add_co_ci_u32_e64 v23, s9, 0, v69, s9
	global_load_b64 v[22:23], v[22:23], off offset:1024
.LBB22_22:
	s_or_b32 exec_lo, exec_lo, s10
	v_add_nc_u32_e32 v26, 0x2c0, v64
	s_delay_alu instid0(VALU_DEP_1) | instskip(NEXT) | instid1(VALU_DEP_1)
	v_cmp_gt_i32_e64 s9, s42, v26
	s_and_b32 s10, s31, s9
	s_delay_alu instid0(SALU_CYCLE_1)
	s_and_saveexec_b32 s11, s10
	s_cbranch_execz .LBB22_24
; %bb.23:
	v_add_co_u32 v24, s10, 0x1000, v68
	s_delay_alu instid0(VALU_DEP_1)
	v_add_co_ci_u32_e64 v25, s10, 0, v69, s10
	global_load_b64 v[24:25], v[24:25], off offset:1536
.LBB22_24:
	s_or_b32 exec_lo, exec_lo, s11
	v_mov_b32_e32 v28, 0
	v_mov_b32_e32 v29, 0xfff00000
	v_add_nc_u32_e32 v26, 0x300, v64
	s_delay_alu instid0(VALU_DEP_1) | instskip(NEXT) | instid1(VALU_DEP_3)
	v_cmp_gt_i32_e64 s10, s42, v26
	v_dual_mov_b32 v26, v28 :: v_dual_mov_b32 v27, v29
	s_delay_alu instid0(VALU_DEP_2) | instskip(NEXT) | instid1(SALU_CYCLE_1)
	s_and_b32 s11, s31, s10
	s_and_saveexec_b32 s12, s11
	s_cbranch_execz .LBB22_26
; %bb.25:
	v_add_co_u32 v26, s11, 0x1000, v68
	s_delay_alu instid0(VALU_DEP_1)
	v_add_co_ci_u32_e64 v27, s11, 0, v69, s11
	global_load_b64 v[26:27], v[26:27], off offset:2048
.LBB22_26:
	s_or_b32 exec_lo, exec_lo, s12
	v_add_nc_u32_e32 v30, 0x340, v64
	s_delay_alu instid0(VALU_DEP_1) | instskip(NEXT) | instid1(VALU_DEP_1)
	v_cmp_gt_i32_e64 s11, s42, v30
	s_and_b32 s12, s31, s11
	s_delay_alu instid0(SALU_CYCLE_1)
	s_and_saveexec_b32 s13, s12
	s_cbranch_execz .LBB22_28
; %bb.27:
	v_add_co_u32 v28, s12, 0x1000, v68
	s_delay_alu instid0(VALU_DEP_1)
	v_add_co_ci_u32_e64 v29, s12, 0, v69, s12
	global_load_b64 v[28:29], v[28:29], off offset:2560
.LBB22_28:
	s_or_b32 exec_lo, exec_lo, s13
	v_mov_b32_e32 v32, 0
	v_mov_b32_e32 v33, 0xfff00000
	v_add_nc_u32_e32 v30, 0x380, v64
	s_delay_alu instid0(VALU_DEP_1) | instskip(NEXT) | instid1(VALU_DEP_3)
	v_cmp_gt_i32_e64 s12, s42, v30
	v_dual_mov_b32 v30, v32 :: v_dual_mov_b32 v31, v33
	s_delay_alu instid0(VALU_DEP_2) | instskip(NEXT) | instid1(SALU_CYCLE_1)
	s_and_b32 s13, s31, s12
	s_and_saveexec_b32 s14, s13
	s_cbranch_execz .LBB22_30
; %bb.29:
	v_add_co_u32 v30, s13, 0x1000, v68
	s_delay_alu instid0(VALU_DEP_1)
	v_add_co_ci_u32_e64 v31, s13, 0, v69, s13
	global_load_b64 v[30:31], v[30:31], off offset:3072
.LBB22_30:
	s_or_b32 exec_lo, exec_lo, s14
	v_add_nc_u32_e32 v34, 0x3c0, v64
	s_delay_alu instid0(VALU_DEP_1) | instskip(NEXT) | instid1(VALU_DEP_1)
	v_cmp_gt_i32_e64 s13, s42, v34
	s_and_b32 s14, s31, s13
	s_delay_alu instid0(SALU_CYCLE_1)
	s_and_saveexec_b32 s15, s14
	s_cbranch_execz .LBB22_32
; %bb.31:
	v_add_co_u32 v32, s14, 0x1000, v68
	s_delay_alu instid0(VALU_DEP_1)
	v_add_co_ci_u32_e64 v33, s14, 0, v69, s14
	global_load_b64 v[32:33], v[32:33], off offset:3584
.LBB22_32:
	s_or_b32 exec_lo, exec_lo, s15
	v_or_b32_e32 v34, 0x400, v64
	v_mov_b32_e32 v36, 0
	v_mov_b32_e32 v37, 0xfff00000
	s_delay_alu instid0(VALU_DEP_3) | instskip(NEXT) | instid1(VALU_DEP_2)
	v_cmp_gt_i32_e64 s14, s42, v34
	v_dual_mov_b32 v34, v36 :: v_dual_mov_b32 v35, v37
	s_delay_alu instid0(VALU_DEP_2) | instskip(NEXT) | instid1(SALU_CYCLE_1)
	s_and_b32 s15, s31, s14
	s_and_saveexec_b32 s17, s15
	s_cbranch_execz .LBB22_34
; %bb.33:
	v_add_co_u32 v34, s15, 0x2000, v68
	s_delay_alu instid0(VALU_DEP_1)
	v_add_co_ci_u32_e64 v35, s15, 0, v69, s15
	global_load_b64 v[34:35], v[34:35], off
.LBB22_34:
	s_or_b32 exec_lo, exec_lo, s17
	v_add_nc_u32_e32 v38, 0x440, v64
	s_delay_alu instid0(VALU_DEP_1) | instskip(NEXT) | instid1(VALU_DEP_1)
	v_cmp_gt_i32_e64 s15, s42, v38
	s_and_b32 s17, s31, s15
	s_delay_alu instid0(SALU_CYCLE_1)
	s_and_saveexec_b32 s18, s17
	s_cbranch_execz .LBB22_36
; %bb.35:
	v_add_co_u32 v36, s17, 0x2000, v68
	s_delay_alu instid0(VALU_DEP_1)
	v_add_co_ci_u32_e64 v37, s17, 0, v69, s17
	global_load_b64 v[36:37], v[36:37], off offset:512
.LBB22_36:
	s_or_b32 exec_lo, exec_lo, s18
	v_mov_b32_e32 v40, 0
	v_mov_b32_e32 v41, 0xfff00000
	v_add_nc_u32_e32 v38, 0x480, v64
	s_delay_alu instid0(VALU_DEP_1) | instskip(NEXT) | instid1(VALU_DEP_3)
	v_cmp_gt_i32_e64 s17, s42, v38
	v_dual_mov_b32 v38, v40 :: v_dual_mov_b32 v39, v41
	s_delay_alu instid0(VALU_DEP_2) | instskip(NEXT) | instid1(SALU_CYCLE_1)
	s_and_b32 s18, s31, s17
	s_and_saveexec_b32 s19, s18
	s_cbranch_execz .LBB22_38
; %bb.37:
	v_add_co_u32 v38, s18, 0x2000, v68
	s_delay_alu instid0(VALU_DEP_1)
	v_add_co_ci_u32_e64 v39, s18, 0, v69, s18
	global_load_b64 v[38:39], v[38:39], off offset:1024
.LBB22_38:
	s_or_b32 exec_lo, exec_lo, s19
	v_add_nc_u32_e32 v42, 0x4c0, v64
	s_delay_alu instid0(VALU_DEP_1) | instskip(NEXT) | instid1(VALU_DEP_1)
	v_cmp_gt_i32_e64 s18, s42, v42
	s_and_b32 s19, s31, s18
	s_delay_alu instid0(SALU_CYCLE_1)
	s_and_saveexec_b32 s20, s19
	s_cbranch_execz .LBB22_40
; %bb.39:
	v_add_co_u32 v40, s19, 0x2000, v68
	s_delay_alu instid0(VALU_DEP_1)
	v_add_co_ci_u32_e64 v41, s19, 0, v69, s19
	global_load_b64 v[40:41], v[40:41], off offset:1536
.LBB22_40:
	s_or_b32 exec_lo, exec_lo, s20
	v_mov_b32_e32 v48, 0
	v_mov_b32_e32 v49, 0xfff00000
	v_add_nc_u32_e32 v42, 0x500, v64
	s_delay_alu instid0(VALU_DEP_2) | instskip(NEXT) | instid1(VALU_DEP_2)
	v_dual_mov_b32 v44, v48 :: v_dual_mov_b32 v45, v49
	v_cmp_gt_i32_e64 s19, s42, v42
	s_delay_alu instid0(VALU_DEP_1) | instskip(NEXT) | instid1(SALU_CYCLE_1)
	s_and_b32 s20, s31, s19
	s_and_saveexec_b32 s21, s20
	s_cbranch_execz .LBB22_42
; %bb.41:
	v_add_co_u32 v42, s20, 0x2000, v68
	s_delay_alu instid0(VALU_DEP_1)
	v_add_co_ci_u32_e64 v43, s20, 0, v69, s20
	global_load_b64 v[44:45], v[42:43], off offset:2048
.LBB22_42:
	s_or_b32 exec_lo, exec_lo, s21
	v_add_nc_u32_e32 v42, 0x540, v64
	s_delay_alu instid0(VALU_DEP_1) | instskip(NEXT) | instid1(VALU_DEP_1)
	v_cmp_gt_i32_e64 s20, s42, v42
	s_and_b32 s21, s31, s20
	s_delay_alu instid0(SALU_CYCLE_1)
	s_and_saveexec_b32 s22, s21
	s_cbranch_execz .LBB22_44
; %bb.43:
	v_add_co_u32 v42, s21, 0x2000, v68
	s_delay_alu instid0(VALU_DEP_1)
	v_add_co_ci_u32_e64 v43, s21, 0, v69, s21
	global_load_b64 v[48:49], v[42:43], off offset:2560
.LBB22_44:
	s_or_b32 exec_lo, exec_lo, s22
	v_mov_b32_e32 v56, 0
	v_mov_b32_e32 v57, 0xfff00000
	v_add_nc_u32_e32 v42, 0x580, v64
	s_delay_alu instid0(VALU_DEP_2) | instskip(NEXT) | instid1(VALU_DEP_2)
	v_dual_mov_b32 v52, v56 :: v_dual_mov_b32 v53, v57
	v_cmp_gt_i32_e64 s21, s42, v42
	s_delay_alu instid0(VALU_DEP_1) | instskip(NEXT) | instid1(SALU_CYCLE_1)
	;; [unrolled: 31-line block ×3, first 2 shown]
	s_and_b32 s24, s31, s23
	s_and_saveexec_b32 s25, s24
	s_cbranch_execz .LBB22_50
; %bb.49:
	v_add_co_u32 v42, s24, 0x3000, v68
	s_delay_alu instid0(VALU_DEP_1)
	v_add_co_ci_u32_e64 v43, s24, 0, v69, s24
	global_load_b64 v[60:61], v[42:43], off
.LBB22_50:
	s_or_b32 exec_lo, exec_lo, s25
	v_add_nc_u32_e32 v42, 0x640, v64
	s_delay_alu instid0(VALU_DEP_1) | instskip(NEXT) | instid1(VALU_DEP_1)
	v_cmp_gt_i32_e64 s24, s42, v42
	s_and_b32 s25, s31, s24
	s_delay_alu instid0(SALU_CYCLE_1)
	s_and_saveexec_b32 s26, s25
	s_cbranch_execz .LBB22_52
; %bb.51:
	v_add_co_u32 v42, s25, 0x3000, v68
	s_delay_alu instid0(VALU_DEP_1)
	v_add_co_ci_u32_e64 v43, s25, 0, v69, s25
	global_load_b64 v[66:67], v[42:43], off offset:512
.LBB22_52:
	s_or_b32 exec_lo, exec_lo, s26
	v_mov_b32_e32 v58, 0
	v_mov_b32_e32 v59, 0xfff00000
	s_delay_alu instid0(VALU_DEP_1) | instskip(NEXT) | instid1(VALU_DEP_1)
	v_dual_mov_b32 v63, v59 :: v_dual_add_nc_u32 v42, 0x680, v64
	v_cmp_gt_i32_e64 s25, s42, v42
	s_delay_alu instid0(VALU_DEP_4) | instskip(NEXT) | instid1(VALU_DEP_2)
	v_mov_b32_e32 v62, v58
	s_and_b32 s26, s31, s25
	s_delay_alu instid0(SALU_CYCLE_1)
	s_and_saveexec_b32 s27, s26
	s_cbranch_execz .LBB22_54
; %bb.53:
	v_add_co_u32 v42, s26, 0x3000, v68
	s_delay_alu instid0(VALU_DEP_1)
	v_add_co_ci_u32_e64 v43, s26, 0, v69, s26
	global_load_b64 v[62:63], v[42:43], off offset:1024
.LBB22_54:
	s_or_b32 exec_lo, exec_lo, s27
	v_add_nc_u32_e32 v42, 0x6c0, v64
	s_delay_alu instid0(VALU_DEP_1) | instskip(NEXT) | instid1(VALU_DEP_1)
	v_cmp_gt_i32_e64 s26, s42, v42
	s_and_b32 s27, s31, s26
	s_delay_alu instid0(SALU_CYCLE_1)
	s_and_saveexec_b32 s28, s27
	s_cbranch_execz .LBB22_56
; %bb.55:
	v_add_co_u32 v42, s27, 0x3000, v68
	s_delay_alu instid0(VALU_DEP_1)
	v_add_co_ci_u32_e64 v43, s27, 0, v69, s27
	global_load_b64 v[58:59], v[42:43], off offset:1536
.LBB22_56:
	s_or_b32 exec_lo, exec_lo, s28
	v_mov_b32_e32 v50, 0
	v_mov_b32_e32 v51, 0xfff00000
	s_delay_alu instid0(VALU_DEP_1) | instskip(NEXT) | instid1(VALU_DEP_1)
	v_dual_mov_b32 v55, v51 :: v_dual_add_nc_u32 v42, 0x700, v64
	v_cmp_gt_i32_e64 s27, s42, v42
	s_delay_alu instid0(VALU_DEP_4) | instskip(NEXT) | instid1(VALU_DEP_2)
	v_mov_b32_e32 v54, v50
	s_and_b32 s28, s31, s27
	s_delay_alu instid0(SALU_CYCLE_1)
	s_and_saveexec_b32 s29, s28
	s_cbranch_execz .LBB22_58
; %bb.57:
	v_add_co_u32 v42, s28, 0x3000, v68
	s_delay_alu instid0(VALU_DEP_1)
	v_add_co_ci_u32_e64 v43, s28, 0, v69, s28
	global_load_b64 v[54:55], v[42:43], off offset:2048
.LBB22_58:
	s_or_b32 exec_lo, exec_lo, s29
	v_add_nc_u32_e32 v42, 0x740, v64
	s_delay_alu instid0(VALU_DEP_1) | instskip(NEXT) | instid1(VALU_DEP_1)
	v_cmp_gt_i32_e64 s28, s42, v42
	s_and_b32 s29, s31, s28
	s_delay_alu instid0(SALU_CYCLE_1)
	s_and_saveexec_b32 s30, s29
	s_cbranch_execz .LBB22_60
; %bb.59:
	v_add_co_u32 v42, s29, 0x3000, v68
	s_delay_alu instid0(VALU_DEP_1)
	v_add_co_ci_u32_e64 v43, s29, 0, v69, s29
	global_load_b64 v[50:51], v[42:43], off offset:2560
.LBB22_60:
	s_or_b32 exec_lo, exec_lo, s30
	v_add_nc_u32_e32 v46, 0x780, v64
	v_mov_b32_e32 v42, 0
	v_mov_b32_e32 v43, 0xfff00000
	s_delay_alu instid0(VALU_DEP_3) | instskip(NEXT) | instid1(VALU_DEP_2)
	v_cmp_gt_i32_e64 s29, s42, v46
	v_dual_mov_b32 v47, v43 :: v_dual_mov_b32 v46, v42
	s_delay_alu instid0(VALU_DEP_2) | instskip(NEXT) | instid1(SALU_CYCLE_1)
	s_and_b32 s30, s31, s29
	s_and_saveexec_b32 s33, s30
	s_cbranch_execz .LBB22_62
; %bb.61:
	v_add_co_u32 v46, s30, 0x3000, v68
	s_delay_alu instid0(VALU_DEP_1)
	v_add_co_ci_u32_e64 v47, s30, 0, v69, s30
	global_load_b64 v[46:47], v[46:47], off offset:3072
.LBB22_62:
	s_or_b32 exec_lo, exec_lo, s33
	v_add_nc_u32_e32 v64, 0x7c0, v64
	s_delay_alu instid0(VALU_DEP_1) | instskip(NEXT) | instid1(VALU_DEP_1)
	v_cmp_gt_i32_e64 s30, s42, v64
	s_and_b32 s31, s31, s30
	s_delay_alu instid0(SALU_CYCLE_1)
	s_and_saveexec_b32 s33, s31
	s_cbranch_execz .LBB22_64
; %bb.63:
	v_add_co_u32 v42, s31, 0x3000, v68
	s_delay_alu instid0(VALU_DEP_1)
	v_add_co_ci_u32_e64 v43, s31, 0, v69, s31
	global_load_b64 v[42:43], v[42:43], off offset:3584
.LBB22_64:
	s_or_b32 exec_lo, exec_lo, s33
	s_waitcnt vmcnt(0)
	v_cmp_gt_f64_e64 s31, v[2:3], v[4:5]
	v_mbcnt_lo_u32_b32 v76, -1, 0
	s_mov_b32 s60, 0x652b82fe
	s_mov_b32 s61, 0x3ff71547
	;; [unrolled: 1-line block ×4, first 2 shown]
	v_or_b32_e32 v68, 32, v76
	s_mov_b32 s56, 0x3b39803f
	s_mov_b32 s57, 0xbc7abc9e
	;; [unrolled: 1-line block ×22, first 2 shown]
	s_delay_alu instid0(VALU_DEP_3) | instskip(SKIP_1) | instid1(VALU_DEP_1)
	v_cndmask_b32_e64 v65, v5, v3, s31
	v_cndmask_b32_e64 v64, v4, v2, s31
	v_cmp_gt_f64_e64 s31, v[64:65], v[6:7]
	s_delay_alu instid0(VALU_DEP_1) | instskip(SKIP_1) | instid1(VALU_DEP_1)
	v_cndmask_b32_e64 v65, v7, v65, s31
	v_cndmask_b32_e64 v64, v6, v64, s31
	v_cmp_gt_f64_e64 s31, v[64:65], v[8:9]
	s_delay_alu instid0(VALU_DEP_1) | instskip(SKIP_1) | instid1(VALU_DEP_1)
	;; [unrolled: 4-line block ×29, first 2 shown]
	v_cndmask_b32_e64 v65, v47, v65, s31
	v_cndmask_b32_e64 v64, v46, v64, s31
	v_cmp_gt_f64_e64 s31, v[64:65], v[42:43]
	s_delay_alu instid0(VALU_DEP_1) | instskip(SKIP_2) | instid1(VALU_DEP_1)
	v_cndmask_b32_e64 v65, v43, v65, s31
	v_cndmask_b32_e64 v64, v42, v64, s31
	v_cmp_gt_i32_e64 s31, 64, v68
	v_cndmask_b32_e64 v68, v76, v68, s31
	s_delay_alu instid0(VALU_DEP_1) | instskip(SKIP_4) | instid1(VALU_DEP_1)
	v_lshlrev_b32_e32 v71, 2, v68
	ds_bpermute_b32 v68, v71, v64
	ds_bpermute_b32 v69, v71, v65
	s_waitcnt lgkmcnt(0)
	v_cmp_lt_f64_e64 s31, v[64:65], v[68:69]
	v_cndmask_b32_e64 v64, v64, v68, s31
	v_xor_b32_e32 v68, 16, v76
	v_cndmask_b32_e64 v65, v65, v69, s31
	s_delay_alu instid0(VALU_DEP_2) | instskip(NEXT) | instid1(VALU_DEP_1)
	v_cmp_gt_i32_e64 s31, 64, v68
	v_cndmask_b32_e64 v68, v76, v68, s31
	s_delay_alu instid0(VALU_DEP_1) | instskip(SKIP_4) | instid1(VALU_DEP_1)
	v_lshlrev_b32_e32 v72, 2, v68
	ds_bpermute_b32 v68, v72, v64
	ds_bpermute_b32 v69, v72, v65
	s_waitcnt lgkmcnt(0)
	v_cmp_lt_f64_e64 s31, v[64:65], v[68:69]
	v_cndmask_b32_e64 v64, v64, v68, s31
	v_xor_b32_e32 v68, 8, v76
	v_cndmask_b32_e64 v65, v65, v69, s31
	s_delay_alu instid0(VALU_DEP_2) | instskip(NEXT) | instid1(VALU_DEP_1)
	;; [unrolled: 12-line block ×5, first 2 shown]
	v_cmp_gt_i32_e64 s31, 64, v68
	v_cndmask_b32_e64 v68, v76, v68, s31
	s_delay_alu instid0(VALU_DEP_1) | instskip(SKIP_4) | instid1(VALU_DEP_1)
	v_lshlrev_b32_e32 v76, 2, v68
	ds_bpermute_b32 v68, v76, v64
	ds_bpermute_b32 v69, v76, v65
	s_waitcnt lgkmcnt(0)
	v_cmp_lt_f64_e64 s31, v[64:65], v[68:69]
	v_cndmask_b32_e64 v65, v65, v69, s31
	v_cndmask_b32_e64 v64, v64, v68, s31
	s_delay_alu instid0(VALU_DEP_1)
	v_add_f64 v[2:3], v[2:3], -v[64:65]
	v_add_f64 v[4:5], v[4:5], -v[64:65]
	;; [unrolled: 1-line block ×32, first 2 shown]
	v_mul_f64 v[68:69], v[2:3], s[60:61]
	v_cmp_nlt_f64_e64 s31, 0x40900000, v[2:3]
	v_cmp_ngt_f64_e64 s33, 0xc090cc00, v[2:3]
	s_delay_alu instid0(VALU_DEP_4) | instskip(NEXT) | instid1(VALU_DEP_4)
	v_mul_f64 v[64:65], v[42:43], s[60:61]
	v_rndne_f64_e32 v[68:69], v[68:69]
	s_delay_alu instid0(VALU_DEP_2) | instskip(NEXT) | instid1(VALU_DEP_2)
	v_rndne_f64_e32 v[64:65], v[64:65]
	v_fma_f64 v[77:78], v[68:69], s[58:59], v[2:3]
	s_delay_alu instid0(VALU_DEP_1) | instskip(SKIP_1) | instid1(VALU_DEP_2)
	v_fma_f64 v[77:78], v[68:69], s[56:57], v[77:78]
	v_cvt_i32_f64_e32 v68, v[68:69]
	v_fma_f64 v[79:80], v[77:78], s[38:39], s[34:35]
	s_delay_alu instid0(VALU_DEP_1) | instskip(NEXT) | instid1(VALU_DEP_1)
	v_fma_f64 v[79:80], v[77:78], v[79:80], s[40:41]
	v_fma_f64 v[79:80], v[77:78], v[79:80], s[42:43]
	s_delay_alu instid0(VALU_DEP_1) | instskip(NEXT) | instid1(VALU_DEP_1)
	v_fma_f64 v[79:80], v[77:78], v[79:80], s[44:45]
	;; [unrolled: 3-line block ×4, first 2 shown]
	v_fma_f64 v[79:80], v[77:78], v[79:80], s[54:55]
	s_delay_alu instid0(VALU_DEP_1) | instskip(NEXT) | instid1(VALU_DEP_1)
	v_fma_f64 v[79:80], v[77:78], v[79:80], 1.0
	v_fma_f64 v[77:78], v[77:78], v[79:80], 1.0
	s_delay_alu instid0(VALU_DEP_1) | instskip(SKIP_1) | instid1(VALU_DEP_2)
	v_ldexp_f64 v[68:69], v[77:78], v68
	v_mul_f64 v[77:78], v[4:5], s[60:61]
	v_add_f64 v[68:69], v[68:69], 0
	s_delay_alu instid0(VALU_DEP_2) | instskip(NEXT) | instid1(VALU_DEP_2)
	v_rndne_f64_e32 v[77:78], v[77:78]
	v_cndmask_b32_e64 v69, 0x7ff00000, v69, s31
	s_delay_alu instid0(VALU_DEP_2)
	v_fma_f64 v[79:80], v[77:78], s[58:59], v[4:5]
	s_and_b32 s31, s33, s31
	s_delay_alu instid0(VALU_DEP_4) | instid1(SALU_CYCLE_1)
	v_cndmask_b32_e64 v68, 0, v68, s31
	v_cmp_nlt_f64_e64 s31, 0x40900000, v[4:5]
	v_cndmask_b32_e64 v69, 0, v69, s33
	v_cmp_ngt_f64_e64 s33, 0xc090cc00, v[4:5]
	v_fma_f64 v[79:80], v[77:78], s[56:57], v[79:80]
	v_cvt_i32_f64_e32 v77, v[77:78]
	s_delay_alu instid0(VALU_DEP_2) | instskip(NEXT) | instid1(VALU_DEP_1)
	v_fma_f64 v[81:82], v[79:80], s[38:39], s[34:35]
	v_fma_f64 v[81:82], v[79:80], v[81:82], s[40:41]
	s_delay_alu instid0(VALU_DEP_1) | instskip(NEXT) | instid1(VALU_DEP_1)
	v_fma_f64 v[81:82], v[79:80], v[81:82], s[42:43]
	v_fma_f64 v[81:82], v[79:80], v[81:82], s[44:45]
	s_delay_alu instid0(VALU_DEP_1) | instskip(NEXT) | instid1(VALU_DEP_1)
	;; [unrolled: 3-line block ×4, first 2 shown]
	v_fma_f64 v[81:82], v[79:80], v[81:82], s[54:55]
	v_fma_f64 v[81:82], v[79:80], v[81:82], 1.0
	s_delay_alu instid0(VALU_DEP_1) | instskip(NEXT) | instid1(VALU_DEP_1)
	v_fma_f64 v[79:80], v[79:80], v[81:82], 1.0
	v_ldexp_f64 v[77:78], v[79:80], v77
	s_delay_alu instid0(VALU_DEP_1)
	v_cndmask_b32_e64 v78, 0x7ff00000, v78, s31
	s_and_b32 s31, s33, s31
	s_delay_alu instid0(VALU_DEP_2) | instid1(SALU_CYCLE_1)
	v_cndmask_b32_e64 v77, 0, v77, s31
	v_cmp_nlt_f64_e64 s31, 0x40900000, v[6:7]
	s_delay_alu instid0(VALU_DEP_3) | instskip(SKIP_1) | instid1(VALU_DEP_2)
	v_cndmask_b32_e64 v78, 0, v78, s33
	v_cmp_ngt_f64_e64 s33, 0xc090cc00, v[6:7]
	v_add_f64 v[68:69], v[68:69], v[77:78]
	v_mul_f64 v[77:78], v[6:7], s[60:61]
	s_delay_alu instid0(VALU_DEP_1) | instskip(NEXT) | instid1(VALU_DEP_1)
	v_rndne_f64_e32 v[77:78], v[77:78]
	v_fma_f64 v[79:80], v[77:78], s[58:59], v[6:7]
	s_delay_alu instid0(VALU_DEP_1) | instskip(SKIP_1) | instid1(VALU_DEP_2)
	v_fma_f64 v[79:80], v[77:78], s[56:57], v[79:80]
	v_cvt_i32_f64_e32 v77, v[77:78]
	v_fma_f64 v[81:82], v[79:80], s[38:39], s[34:35]
	s_delay_alu instid0(VALU_DEP_1) | instskip(NEXT) | instid1(VALU_DEP_1)
	v_fma_f64 v[81:82], v[79:80], v[81:82], s[40:41]
	v_fma_f64 v[81:82], v[79:80], v[81:82], s[42:43]
	s_delay_alu instid0(VALU_DEP_1) | instskip(NEXT) | instid1(VALU_DEP_1)
	v_fma_f64 v[81:82], v[79:80], v[81:82], s[44:45]
	v_fma_f64 v[81:82], v[79:80], v[81:82], s[46:47]
	s_delay_alu instid0(VALU_DEP_1) | instskip(NEXT) | instid1(VALU_DEP_1)
	v_fma_f64 v[81:82], v[79:80], v[81:82], s[48:49]
	v_fma_f64 v[81:82], v[79:80], v[81:82], s[50:51]
	s_delay_alu instid0(VALU_DEP_1) | instskip(NEXT) | instid1(VALU_DEP_1)
	v_fma_f64 v[81:82], v[79:80], v[81:82], s[52:53]
	v_fma_f64 v[81:82], v[79:80], v[81:82], s[54:55]
	s_delay_alu instid0(VALU_DEP_1) | instskip(NEXT) | instid1(VALU_DEP_1)
	v_fma_f64 v[81:82], v[79:80], v[81:82], 1.0
	v_fma_f64 v[79:80], v[79:80], v[81:82], 1.0
	s_delay_alu instid0(VALU_DEP_1) | instskip(NEXT) | instid1(VALU_DEP_1)
	v_ldexp_f64 v[77:78], v[79:80], v77
	v_cndmask_b32_e64 v78, 0x7ff00000, v78, s31
	s_and_b32 s31, s33, s31
	s_delay_alu instid0(VALU_DEP_2) | instid1(SALU_CYCLE_1)
	v_cndmask_b32_e64 v77, 0, v77, s31
	v_cmp_nlt_f64_e64 s31, 0x40900000, v[8:9]
	s_delay_alu instid0(VALU_DEP_3) | instskip(SKIP_1) | instid1(VALU_DEP_2)
	v_cndmask_b32_e64 v78, 0, v78, s33
	v_cmp_ngt_f64_e64 s33, 0xc090cc00, v[8:9]
	v_add_f64 v[68:69], v[68:69], v[77:78]
	v_mul_f64 v[77:78], v[8:9], s[60:61]
	s_delay_alu instid0(VALU_DEP_1) | instskip(NEXT) | instid1(VALU_DEP_1)
	v_rndne_f64_e32 v[77:78], v[77:78]
	v_fma_f64 v[79:80], v[77:78], s[58:59], v[8:9]
	s_delay_alu instid0(VALU_DEP_1) | instskip(SKIP_1) | instid1(VALU_DEP_2)
	v_fma_f64 v[79:80], v[77:78], s[56:57], v[79:80]
	v_cvt_i32_f64_e32 v77, v[77:78]
	v_fma_f64 v[81:82], v[79:80], s[38:39], s[34:35]
	s_delay_alu instid0(VALU_DEP_1) | instskip(NEXT) | instid1(VALU_DEP_1)
	v_fma_f64 v[81:82], v[79:80], v[81:82], s[40:41]
	v_fma_f64 v[81:82], v[79:80], v[81:82], s[42:43]
	s_delay_alu instid0(VALU_DEP_1) | instskip(NEXT) | instid1(VALU_DEP_1)
	v_fma_f64 v[81:82], v[79:80], v[81:82], s[44:45]
	v_fma_f64 v[81:82], v[79:80], v[81:82], s[46:47]
	s_delay_alu instid0(VALU_DEP_1) | instskip(NEXT) | instid1(VALU_DEP_1)
	v_fma_f64 v[81:82], v[79:80], v[81:82], s[48:49]
	v_fma_f64 v[81:82], v[79:80], v[81:82], s[50:51]
	s_delay_alu instid0(VALU_DEP_1) | instskip(NEXT) | instid1(VALU_DEP_1)
	v_fma_f64 v[81:82], v[79:80], v[81:82], s[52:53]
	v_fma_f64 v[81:82], v[79:80], v[81:82], s[54:55]
	s_delay_alu instid0(VALU_DEP_1) | instskip(NEXT) | instid1(VALU_DEP_1)
	v_fma_f64 v[81:82], v[79:80], v[81:82], 1.0
	v_fma_f64 v[79:80], v[79:80], v[81:82], 1.0
	s_delay_alu instid0(VALU_DEP_1) | instskip(NEXT) | instid1(VALU_DEP_1)
	v_ldexp_f64 v[77:78], v[79:80], v77
	;; [unrolled: 34-line block ×29, first 2 shown]
	v_cndmask_b32_e64 v78, 0x7ff00000, v78, s31
	s_and_b32 s31, s33, s31
	s_delay_alu instid0(VALU_DEP_2) | instid1(SALU_CYCLE_1)
	v_cndmask_b32_e64 v77, 0, v77, s31
	v_cmp_nlt_f64_e64 s31, 0x40900000, v[42:43]
	s_delay_alu instid0(VALU_DEP_3) | instskip(SKIP_1) | instid1(VALU_DEP_2)
	v_cndmask_b32_e64 v78, 0, v78, s33
	v_cmp_ngt_f64_e64 s33, 0xc090cc00, v[42:43]
	v_add_f64 v[68:69], v[68:69], v[77:78]
	v_fma_f64 v[77:78], v[64:65], s[58:59], v[42:43]
	s_delay_alu instid0(VALU_DEP_1) | instskip(SKIP_1) | instid1(VALU_DEP_2)
	v_fma_f64 v[77:78], v[64:65], s[56:57], v[77:78]
	v_cvt_i32_f64_e32 v64, v[64:65]
	v_fma_f64 v[79:80], v[77:78], s[38:39], s[34:35]
	s_delay_alu instid0(VALU_DEP_1) | instskip(NEXT) | instid1(VALU_DEP_1)
	v_fma_f64 v[79:80], v[77:78], v[79:80], s[40:41]
	v_fma_f64 v[79:80], v[77:78], v[79:80], s[42:43]
	s_delay_alu instid0(VALU_DEP_1) | instskip(NEXT) | instid1(VALU_DEP_1)
	v_fma_f64 v[79:80], v[77:78], v[79:80], s[44:45]
	;; [unrolled: 3-line block ×4, first 2 shown]
	v_fma_f64 v[79:80], v[77:78], v[79:80], s[54:55]
	s_delay_alu instid0(VALU_DEP_1) | instskip(NEXT) | instid1(VALU_DEP_1)
	v_fma_f64 v[79:80], v[77:78], v[79:80], 1.0
	v_fma_f64 v[77:78], v[77:78], v[79:80], 1.0
	s_delay_alu instid0(VALU_DEP_1) | instskip(NEXT) | instid1(VALU_DEP_1)
	v_ldexp_f64 v[64:65], v[77:78], v64
	v_cndmask_b32_e64 v65, 0x7ff00000, v65, s31
	s_and_b32 s31, s33, s31
	s_delay_alu instid0(VALU_DEP_2) | instid1(SALU_CYCLE_1)
	v_cndmask_b32_e64 v64, 0, v64, s31
	s_delay_alu instid0(VALU_DEP_2) | instskip(SKIP_1) | instid1(VALU_DEP_1)
	v_cndmask_b32_e64 v65, 0, v65, s33
	s_mov_b32 s33, exec_lo
	v_add_f64 v[64:65], v[68:69], v[64:65]
	ds_bpermute_b32 v68, v71, v64
	ds_bpermute_b32 v69, v71, v65
	s_waitcnt lgkmcnt(0)
	v_add_f64 v[64:65], v[64:65], v[68:69]
	ds_bpermute_b32 v68, v72, v64
	ds_bpermute_b32 v69, v72, v65
	s_waitcnt lgkmcnt(0)
	;; [unrolled: 4-line block ×5, first 2 shown]
	v_add_f64 v[64:65], v[64:65], v[68:69]
	ds_bpermute_b32 v68, v76, v64
	ds_bpermute_b32 v69, v76, v65
	v_cmpx_lt_i32_e32 0, v70
	s_cbranch_execz .LBB22_98
; %bb.65:
	s_and_b32 exec_lo, exec_lo, s16
	s_cbranch_execz .LBB22_98
; %bb.66:
	s_waitcnt lgkmcnt(0)
	v_add_f64 v[68:69], v[64:65], v[68:69]
	s_mov_b32 s35, 0x3fe55555
	s_mov_b32 s34, 0x55555555
	v_mov_b32_e32 v70, 0
	s_mov_b32 s38, 0x6b47b09a
	s_mov_b32 s40, 0xbf559e2b
	;; [unrolled: 1-line block ×4, first 2 shown]
	s_delay_alu instid0(VALU_DEP_2) | instskip(NEXT) | instid1(VALU_DEP_1)
	v_frexp_mant_f64_e32 v[64:65], v[68:69]
	v_cmp_gt_f64_e64 s16, s[34:35], v[64:65]
	s_mov_b32 s34, 0x55555780
	s_delay_alu instid0(VALU_DEP_1) | instskip(NEXT) | instid1(VALU_DEP_1)
	v_cndmask_b32_e64 v71, 0x3ff00000, 2.0, s16
	v_mul_f64 v[64:65], v[64:65], v[70:71]
	s_delay_alu instid0(VALU_DEP_1) | instskip(SKIP_1) | instid1(VALU_DEP_2)
	v_add_f64 v[70:71], v[64:65], 1.0
	v_add_f64 v[76:77], v[64:65], -1.0
	v_rcp_f64_e32 v[72:73], v[70:71]
	v_add_f64 v[78:79], v[70:71], -1.0
	s_delay_alu instid0(VALU_DEP_1) | instskip(SKIP_2) | instid1(VALU_DEP_1)
	v_add_f64 v[64:65], v[64:65], -v[78:79]
	s_waitcnt_depctr 0xfff
	v_fma_f64 v[74:75], -v[70:71], v[72:73], 1.0
	v_fma_f64 v[72:73], v[74:75], v[72:73], v[72:73]
	s_delay_alu instid0(VALU_DEP_1) | instskip(NEXT) | instid1(VALU_DEP_1)
	v_fma_f64 v[74:75], -v[70:71], v[72:73], 1.0
	v_fma_f64 v[72:73], v[74:75], v[72:73], v[72:73]
	s_delay_alu instid0(VALU_DEP_1) | instskip(NEXT) | instid1(VALU_DEP_1)
	v_mul_f64 v[74:75], v[76:77], v[72:73]
	v_mul_f64 v[80:81], v[70:71], v[74:75]
	s_delay_alu instid0(VALU_DEP_1) | instskip(NEXT) | instid1(VALU_DEP_1)
	v_fma_f64 v[70:71], v[74:75], v[70:71], -v[80:81]
	v_fma_f64 v[64:65], v[74:75], v[64:65], v[70:71]
	s_delay_alu instid0(VALU_DEP_1) | instskip(NEXT) | instid1(VALU_DEP_1)
	v_add_f64 v[70:71], v[80:81], v[64:65]
	v_add_f64 v[78:79], v[76:77], -v[70:71]
	v_add_f64 v[80:81], v[70:71], -v[80:81]
	s_delay_alu instid0(VALU_DEP_2) | instskip(NEXT) | instid1(VALU_DEP_2)
	v_add_f64 v[76:77], v[76:77], -v[78:79]
	v_add_f64 v[64:65], v[80:81], -v[64:65]
	v_frexp_exp_i32_f64_e32 v80, v[68:69]
	s_delay_alu instid0(VALU_DEP_3) | instskip(NEXT) | instid1(VALU_DEP_1)
	v_add_f64 v[70:71], v[76:77], -v[70:71]
	v_add_f64 v[64:65], v[64:65], v[70:71]
	s_delay_alu instid0(VALU_DEP_1) | instskip(NEXT) | instid1(VALU_DEP_1)
	v_add_f64 v[64:65], v[78:79], v[64:65]
	v_mul_f64 v[64:65], v[72:73], v[64:65]
	s_delay_alu instid0(VALU_DEP_1) | instskip(NEXT) | instid1(VALU_DEP_1)
	v_add_f64 v[70:71], v[74:75], v[64:65]
	v_mul_f64 v[72:73], v[70:71], v[70:71]
	s_delay_alu instid0(VALU_DEP_1) | instskip(SKIP_3) | instid1(VALU_DEP_2)
	v_fma_f64 v[76:77], v[72:73], s[40:41], s[38:39]
	s_mov_b32 s38, 0xd7f4df2e
	s_mov_b32 s39, 0x3fc7474d
	v_mul_f64 v[78:79], v[70:71], v[72:73]
	v_fma_f64 v[76:77], v[72:73], v[76:77], s[38:39]
	s_mov_b32 s38, 0x16291751
	s_mov_b32 s39, 0x3fcc71c0
	s_delay_alu instid0(VALU_DEP_1) | instid1(SALU_CYCLE_1)
	v_fma_f64 v[76:77], v[72:73], v[76:77], s[38:39]
	s_mov_b32 s38, 0x9b27acf1
	s_mov_b32 s39, 0x3fd24924
	s_delay_alu instid0(VALU_DEP_1) | instid1(SALU_CYCLE_1)
	;; [unrolled: 4-line block ×3, first 2 shown]
	v_fma_f64 v[76:77], v[72:73], v[76:77], s[38:39]
	s_delay_alu instid0(VALU_DEP_1) | instskip(SKIP_4) | instid1(VALU_DEP_3)
	v_fma_f64 v[72:73], v[72:73], v[76:77], s[34:35]
	v_ldexp_f64 v[76:77], v[70:71], 1
	v_add_f64 v[70:71], v[70:71], -v[74:75]
	s_mov_b32 s34, 0xfefa39ef
	s_mov_b32 s35, 0x3fe62e42
	v_mul_f64 v[72:73], v[78:79], v[72:73]
	v_subrev_co_ci_u32_e64 v78, s16, 0, v80, s16
	s_delay_alu instid0(VALU_DEP_3) | instskip(SKIP_1) | instid1(VALU_DEP_3)
	v_add_f64 v[64:65], v[64:65], -v[70:71]
	v_cmp_class_f64_e64 s16, v[68:69], 0x204
	v_cvt_f64_i32_e32 v[78:79], v78
	v_add_f64 v[74:75], v[76:77], v[72:73]
	s_delay_alu instid0(VALU_DEP_4) | instskip(NEXT) | instid1(VALU_DEP_3)
	v_ldexp_f64 v[64:65], v[64:65], 1
	v_mul_f64 v[80:81], v[78:79], s[34:35]
	s_delay_alu instid0(VALU_DEP_3) | instskip(NEXT) | instid1(VALU_DEP_2)
	v_add_f64 v[70:71], v[74:75], -v[76:77]
	v_fma_f64 v[76:77], v[78:79], s[34:35], -v[80:81]
	s_mov_b32 s34, 0x3b39803f
	s_mov_b32 s35, 0x3c7abc9e
	s_delay_alu instid0(VALU_DEP_2) | instskip(NEXT) | instid1(VALU_DEP_2)
	v_add_f64 v[70:71], v[72:73], -v[70:71]
	v_fma_f64 v[72:73], v[78:79], s[34:35], v[76:77]
	s_delay_alu instid0(VALU_DEP_2) | instskip(NEXT) | instid1(VALU_DEP_2)
	v_add_f64 v[64:65], v[64:65], v[70:71]
	v_add_f64 v[70:71], v[80:81], v[72:73]
	s_delay_alu instid0(VALU_DEP_2) | instskip(NEXT) | instid1(VALU_DEP_2)
	v_add_f64 v[76:77], v[74:75], v[64:65]
	v_add_f64 v[80:81], v[70:71], -v[80:81]
	s_delay_alu instid0(VALU_DEP_2) | instskip(SKIP_1) | instid1(VALU_DEP_3)
	v_add_f64 v[78:79], v[70:71], v[76:77]
	v_add_f64 v[74:75], v[76:77], -v[74:75]
	v_add_f64 v[72:73], v[72:73], -v[80:81]
	s_delay_alu instid0(VALU_DEP_3) | instskip(NEXT) | instid1(VALU_DEP_3)
	v_add_f64 v[82:83], v[78:79], -v[70:71]
	v_add_f64 v[64:65], v[64:65], -v[74:75]
	s_delay_alu instid0(VALU_DEP_2) | instskip(SKIP_1) | instid1(VALU_DEP_3)
	v_add_f64 v[84:85], v[78:79], -v[82:83]
	v_add_f64 v[74:75], v[76:77], -v[82:83]
	v_add_f64 v[76:77], v[72:73], v[64:65]
	s_delay_alu instid0(VALU_DEP_3) | instskip(NEXT) | instid1(VALU_DEP_1)
	v_add_f64 v[70:71], v[70:71], -v[84:85]
	v_add_f64 v[70:71], v[74:75], v[70:71]
	s_delay_alu instid0(VALU_DEP_3) | instskip(NEXT) | instid1(VALU_DEP_2)
	v_add_f64 v[74:75], v[76:77], -v[72:73]
	v_add_f64 v[70:71], v[76:77], v[70:71]
	s_delay_alu instid0(VALU_DEP_2) | instskip(SKIP_1) | instid1(VALU_DEP_3)
	v_add_f64 v[76:77], v[76:77], -v[74:75]
	v_add_f64 v[64:65], v[64:65], -v[74:75]
	v_add_f64 v[80:81], v[78:79], v[70:71]
	s_delay_alu instid0(VALU_DEP_3) | instskip(NEXT) | instid1(VALU_DEP_2)
	v_add_f64 v[72:73], v[72:73], -v[76:77]
	v_add_f64 v[74:75], v[80:81], -v[78:79]
	s_delay_alu instid0(VALU_DEP_2) | instskip(NEXT) | instid1(VALU_DEP_2)
	v_add_f64 v[64:65], v[64:65], v[72:73]
	v_add_f64 v[70:71], v[70:71], -v[74:75]
	s_delay_alu instid0(VALU_DEP_1) | instskip(NEXT) | instid1(VALU_DEP_1)
	v_add_f64 v[64:65], v[64:65], v[70:71]
	v_add_f64 v[64:65], v[80:81], v[64:65]
	s_delay_alu instid0(VALU_DEP_1) | instskip(NEXT) | instid1(VALU_DEP_2)
	v_cndmask_b32_e64 v64, v64, v68, s16
	v_cndmask_b32_e64 v65, v65, v69, s16
	v_cmp_ngt_f64_e64 s16, 0, v[68:69]
	s_delay_alu instid0(VALU_DEP_1) | instskip(SKIP_1) | instid1(VALU_DEP_1)
	v_cndmask_b32_e64 v65, 0x7ff80000, v65, s16
	v_cmp_nge_f64_e64 s16, 0, v[68:69]
	v_cndmask_b32_e64 v64, 0, v64, s16
	v_cmp_neq_f64_e64 s16, 0, v[68:69]
	s_delay_alu instid0(VALU_DEP_1) | instskip(SKIP_1) | instid1(VALU_DEP_1)
	v_cndmask_b32_e64 v65, 0xfff00000, v65, s16
	v_add_co_u32 v0, s16, s36, v0
	v_add_co_ci_u32_e64 v1, s16, s37, v1, s16
	s_delay_alu instid0(VALU_DEP_3)
	v_add_f64 v[2:3], v[2:3], -v[64:65]
	global_store_b64 v[0:1], v[2:3], off
	s_and_b32 exec_lo, exec_lo, vcc_lo
	s_cbranch_execz .LBB22_98
; %bb.67:
	v_add_f64 v[2:3], v[4:5], -v[64:65]
	global_store_b64 v[0:1], v[2:3], off offset:512
	s_and_b32 exec_lo, exec_lo, s0
	s_cbranch_execz .LBB22_98
; %bb.68:
	v_add_f64 v[2:3], v[6:7], -v[64:65]
	global_store_b64 v[0:1], v[2:3], off offset:1024
	s_and_b32 exec_lo, exec_lo, s1
	s_cbranch_execz .LBB22_98
; %bb.69:
	v_add_f64 v[2:3], v[8:9], -v[64:65]
	global_store_b64 v[0:1], v[2:3], off offset:1536
	s_and_b32 exec_lo, exec_lo, s2
	s_cbranch_execz .LBB22_98
; %bb.70:
	v_add_f64 v[2:3], v[10:11], -v[64:65]
	global_store_b64 v[0:1], v[2:3], off offset:2048
	s_and_b32 exec_lo, exec_lo, s3
	s_cbranch_execz .LBB22_98
; %bb.71:
	v_add_f64 v[2:3], v[12:13], -v[64:65]
	global_store_b64 v[0:1], v[2:3], off offset:2560
	s_and_b32 exec_lo, exec_lo, s4
	s_cbranch_execz .LBB22_98
; %bb.72:
	v_add_f64 v[2:3], v[14:15], -v[64:65]
	global_store_b64 v[0:1], v[2:3], off offset:3072
	s_and_b32 exec_lo, exec_lo, s5
	s_cbranch_execz .LBB22_98
; %bb.73:
	v_add_f64 v[2:3], v[16:17], -v[64:65]
	global_store_b64 v[0:1], v[2:3], off offset:3584
	s_and_b32 exec_lo, exec_lo, s6
	s_cbranch_execz .LBB22_98
; %bb.74:
	v_add_f64 v[4:5], v[18:19], -v[64:65]
	v_add_co_u32 v2, vcc_lo, 0x1000, v0
	v_add_co_ci_u32_e32 v3, vcc_lo, 0, v1, vcc_lo
	global_store_b64 v[2:3], v[4:5], off
	s_and_b32 exec_lo, exec_lo, s7
	s_cbranch_execz .LBB22_98
; %bb.75:
	v_add_f64 v[4:5], v[20:21], -v[64:65]
	global_store_b64 v[2:3], v[4:5], off offset:512
	s_and_b32 exec_lo, exec_lo, s8
	s_cbranch_execz .LBB22_98
; %bb.76:
	v_add_f64 v[4:5], v[22:23], -v[64:65]
	global_store_b64 v[2:3], v[4:5], off offset:1024
	s_and_b32 exec_lo, exec_lo, s9
	s_cbranch_execz .LBB22_98
; %bb.77:
	v_add_f64 v[4:5], v[24:25], -v[64:65]
	global_store_b64 v[2:3], v[4:5], off offset:1536
	s_and_b32 exec_lo, exec_lo, s10
	s_cbranch_execz .LBB22_98
; %bb.78:
	v_add_f64 v[4:5], v[26:27], -v[64:65]
	global_store_b64 v[2:3], v[4:5], off offset:2048
	s_and_b32 exec_lo, exec_lo, s11
	s_cbranch_execz .LBB22_98
; %bb.79:
	v_add_f64 v[4:5], v[28:29], -v[64:65]
	global_store_b64 v[2:3], v[4:5], off offset:2560
	s_and_b32 exec_lo, exec_lo, s12
	s_cbranch_execz .LBB22_98
; %bb.80:
	v_add_f64 v[4:5], v[30:31], -v[64:65]
	global_store_b64 v[2:3], v[4:5], off offset:3072
	s_and_b32 exec_lo, exec_lo, s13
	s_cbranch_execz .LBB22_98
; %bb.81:
	v_add_f64 v[4:5], v[32:33], -v[64:65]
	global_store_b64 v[2:3], v[4:5], off offset:3584
	s_and_b32 exec_lo, exec_lo, s14
	s_cbranch_execz .LBB22_98
; %bb.82:
	v_add_f64 v[4:5], v[34:35], -v[64:65]
	v_add_co_u32 v2, vcc_lo, 0x2000, v0
	v_add_co_ci_u32_e32 v3, vcc_lo, 0, v1, vcc_lo
	global_store_b64 v[2:3], v[4:5], off
	s_and_b32 exec_lo, exec_lo, s15
	;; [unrolled: 42-line block ×3, first 2 shown]
	s_cbranch_execz .LBB22_98
; %bb.91:
	v_add_f64 v[2:3], v[66:67], -v[64:65]
	global_store_b64 v[0:1], v[2:3], off offset:512
	s_and_b32 exec_lo, exec_lo, s25
	s_cbranch_execz .LBB22_98
; %bb.92:
	v_add_f64 v[2:3], v[62:63], -v[64:65]
	global_store_b64 v[0:1], v[2:3], off offset:1024
	s_and_b32 exec_lo, exec_lo, s26
	;; [unrolled: 5-line block ×6, first 2 shown]
	s_cbranch_execz .LBB22_98
; %bb.97:
	v_add_f64 v[2:3], v[42:43], -v[64:65]
	global_store_b64 v[0:1], v[2:3], off offset:3584
.LBB22_98:
	s_nop 0
	s_sendmsg sendmsg(MSG_DEALLOC_VGPRS)
	s_endpgm
	.section	.rodata,"a",@progbits
	.p2align	6, 0x0
	.amdhsa_kernel _ZN12_GLOBAL__N_120softmax_warp_forwardIdddLi11ELb1ELb0ELi64EEEvPT0_PKT_iiiPKbib
		.amdhsa_group_segment_fixed_size 0
		.amdhsa_private_segment_fixed_size 0
		.amdhsa_kernarg_size 304
		.amdhsa_user_sgpr_count 15
		.amdhsa_user_sgpr_dispatch_ptr 0
		.amdhsa_user_sgpr_queue_ptr 0
		.amdhsa_user_sgpr_kernarg_segment_ptr 1
		.amdhsa_user_sgpr_dispatch_id 0
		.amdhsa_user_sgpr_private_segment_size 0
		.amdhsa_wavefront_size32 1
		.amdhsa_uses_dynamic_stack 0
		.amdhsa_enable_private_segment 0
		.amdhsa_system_sgpr_workgroup_id_x 1
		.amdhsa_system_sgpr_workgroup_id_y 0
		.amdhsa_system_sgpr_workgroup_id_z 0
		.amdhsa_system_sgpr_workgroup_info 0
		.amdhsa_system_vgpr_workitem_id 1
		.amdhsa_next_free_vgpr 86
		.amdhsa_next_free_sgpr 62
		.amdhsa_reserve_vcc 1
		.amdhsa_float_round_mode_32 0
		.amdhsa_float_round_mode_16_64 0
		.amdhsa_float_denorm_mode_32 3
		.amdhsa_float_denorm_mode_16_64 3
		.amdhsa_dx10_clamp 1
		.amdhsa_ieee_mode 1
		.amdhsa_fp16_overflow 0
		.amdhsa_workgroup_processor_mode 1
		.amdhsa_memory_ordered 1
		.amdhsa_forward_progress 0
		.amdhsa_shared_vgpr_count 0
		.amdhsa_exception_fp_ieee_invalid_op 0
		.amdhsa_exception_fp_denorm_src 0
		.amdhsa_exception_fp_ieee_div_zero 0
		.amdhsa_exception_fp_ieee_overflow 0
		.amdhsa_exception_fp_ieee_underflow 0
		.amdhsa_exception_fp_ieee_inexact 0
		.amdhsa_exception_int_div_zero 0
	.end_amdhsa_kernel
	.section	.text._ZN12_GLOBAL__N_120softmax_warp_forwardIdddLi11ELb1ELb0ELi64EEEvPT0_PKT_iiiPKbib,"axG",@progbits,_ZN12_GLOBAL__N_120softmax_warp_forwardIdddLi11ELb1ELb0ELi64EEEvPT0_PKT_iiiPKbib,comdat
.Lfunc_end22:
	.size	_ZN12_GLOBAL__N_120softmax_warp_forwardIdddLi11ELb1ELb0ELi64EEEvPT0_PKT_iiiPKbib, .Lfunc_end22-_ZN12_GLOBAL__N_120softmax_warp_forwardIdddLi11ELb1ELb0ELi64EEEvPT0_PKT_iiiPKbib
                                        ; -- End function
	.section	.AMDGPU.csdata,"",@progbits
; Kernel info:
; codeLenInByte = 13736
; NumSgprs: 64
; NumVgprs: 86
; ScratchSize: 0
; MemoryBound: 0
; FloatMode: 240
; IeeeMode: 1
; LDSByteSize: 0 bytes/workgroup (compile time only)
; SGPRBlocks: 7
; VGPRBlocks: 10
; NumSGPRsForWavesPerEU: 64
; NumVGPRsForWavesPerEU: 86
; Occupancy: 16
; WaveLimiterHint : 0
; COMPUTE_PGM_RSRC2:SCRATCH_EN: 0
; COMPUTE_PGM_RSRC2:USER_SGPR: 15
; COMPUTE_PGM_RSRC2:TRAP_HANDLER: 0
; COMPUTE_PGM_RSRC2:TGID_X_EN: 1
; COMPUTE_PGM_RSRC2:TGID_Y_EN: 0
; COMPUTE_PGM_RSRC2:TGID_Z_EN: 0
; COMPUTE_PGM_RSRC2:TIDIG_COMP_CNT: 1
	.section	.text._ZN12_GLOBAL__N_120softmax_warp_forwardIdddLi11ELb1ELb0ELi32EEEvPT0_PKT_iiiPKbib,"axG",@progbits,_ZN12_GLOBAL__N_120softmax_warp_forwardIdddLi11ELb1ELb0ELi32EEEvPT0_PKT_iiiPKbib,comdat
	.globl	_ZN12_GLOBAL__N_120softmax_warp_forwardIdddLi11ELb1ELb0ELi32EEEvPT0_PKT_iiiPKbib ; -- Begin function _ZN12_GLOBAL__N_120softmax_warp_forwardIdddLi11ELb1ELb0ELi32EEEvPT0_PKT_iiiPKbib
	.p2align	8
	.type	_ZN12_GLOBAL__N_120softmax_warp_forwardIdddLi11ELb1ELb0ELi32EEEvPT0_PKT_iiiPKbib,@function
_ZN12_GLOBAL__N_120softmax_warp_forwardIdddLi11ELb1ELb0ELi32EEEvPT0_PKT_iiiPKbib: ; @_ZN12_GLOBAL__N_120softmax_warp_forwardIdddLi11ELb1ELb0ELi32EEEvPT0_PKT_iiiPKbib
; %bb.0:
	s_clause 0x1
	s_load_b32 s2, s[0:1], 0x3c
	s_load_b256 s[68:75], s[0:1], 0x0
	v_bfe_u32 v1, v0, 10, 10
	v_mov_b32_e32 v4, 0
	v_mov_b32_e32 v5, 0xfff00000
	v_and_b32_e32 v120, 0x3ff, v0
	s_waitcnt lgkmcnt(0)
	s_lshr_b32 s0, s2, 16
	s_delay_alu instid0(SALU_CYCLE_1) | instskip(NEXT) | instid1(VALU_DEP_1)
	v_mad_u64_u32 v[2:3], null, s15, s0, v[1:2]
	v_mad_u64_u32 v[0:1], null, v2, s73, v[120:121]
	v_sub_nc_u32_e32 v136, s72, v2
	v_dual_mov_b32 v2, v4 :: v_dual_mov_b32 v3, v5
	v_cmp_gt_i32_e64 s18, s74, v120
	s_delay_alu instid0(VALU_DEP_3) | instskip(SKIP_1) | instid1(VALU_DEP_2)
	v_cmp_lt_i32_e64 s64, 0, v136
	v_ashrrev_i32_e32 v1, 31, v0
	s_and_b32 s1, s64, s18
	s_delay_alu instid0(VALU_DEP_1) | instskip(NEXT) | instid1(VALU_DEP_1)
	v_lshlrev_b64 v[0:1], 3, v[0:1]
	v_add_co_u32 v132, vcc_lo, s70, v0
	s_delay_alu instid0(VALU_DEP_2)
	v_add_co_ci_u32_e32 v133, vcc_lo, s71, v1, vcc_lo
	s_and_saveexec_b32 s0, s1
	s_cbranch_execz .LBB23_2
; %bb.1:
	global_load_b64 v[2:3], v[132:133], off
.LBB23_2:
	s_or_b32 exec_lo, exec_lo, s0
	v_add_nc_u32_e32 v6, 32, v120
	s_delay_alu instid0(VALU_DEP_1) | instskip(SKIP_1) | instid1(SALU_CYCLE_1)
	v_cmp_gt_i32_e32 vcc_lo, s74, v6
	s_and_b32 s1, s64, vcc_lo
	s_and_saveexec_b32 s0, s1
	s_cbranch_execz .LBB23_4
; %bb.3:
	global_load_b64 v[4:5], v[132:133], off offset:256
.LBB23_4:
	s_or_b32 exec_lo, exec_lo, s0
	v_add_nc_u32_e32 v6, 64, v120
	v_mov_b32_e32 v8, 0
	v_mov_b32_e32 v9, 0xfff00000
	s_delay_alu instid0(VALU_DEP_3) | instskip(NEXT) | instid1(VALU_DEP_2)
	v_cmp_gt_i32_e64 s0, s74, v6
	v_dual_mov_b32 v6, v8 :: v_dual_mov_b32 v7, v9
	s_delay_alu instid0(VALU_DEP_2) | instskip(NEXT) | instid1(SALU_CYCLE_1)
	s_and_b32 s2, s64, s0
	s_and_saveexec_b32 s1, s2
	s_cbranch_execz .LBB23_6
; %bb.5:
	global_load_b64 v[6:7], v[132:133], off offset:512
.LBB23_6:
	s_or_b32 exec_lo, exec_lo, s1
	v_add_nc_u32_e32 v10, 0x60, v120
	s_delay_alu instid0(VALU_DEP_1) | instskip(NEXT) | instid1(VALU_DEP_1)
	v_cmp_gt_i32_e64 s1, s74, v10
	s_and_b32 s3, s64, s1
	s_delay_alu instid0(SALU_CYCLE_1)
	s_and_saveexec_b32 s2, s3
	s_cbranch_execz .LBB23_8
; %bb.7:
	global_load_b64 v[8:9], v[132:133], off offset:768
.LBB23_8:
	s_or_b32 exec_lo, exec_lo, s2
	v_mov_b32_e32 v12, 0
	v_mov_b32_e32 v13, 0xfff00000
	v_add_nc_u32_e32 v10, 0x80, v120
	s_delay_alu instid0(VALU_DEP_1) | instskip(NEXT) | instid1(VALU_DEP_3)
	v_cmp_gt_i32_e64 s2, s74, v10
	v_dual_mov_b32 v10, v12 :: v_dual_mov_b32 v11, v13
	s_delay_alu instid0(VALU_DEP_2) | instskip(NEXT) | instid1(SALU_CYCLE_1)
	s_and_b32 s4, s64, s2
	s_and_saveexec_b32 s3, s4
	s_cbranch_execz .LBB23_10
; %bb.9:
	global_load_b64 v[10:11], v[132:133], off offset:1024
.LBB23_10:
	s_or_b32 exec_lo, exec_lo, s3
	v_add_nc_u32_e32 v14, 0xa0, v120
	s_delay_alu instid0(VALU_DEP_1) | instskip(NEXT) | instid1(VALU_DEP_1)
	v_cmp_gt_i32_e64 s3, s74, v14
	s_and_b32 s5, s64, s3
	s_delay_alu instid0(SALU_CYCLE_1)
	s_and_saveexec_b32 s4, s5
	s_cbranch_execz .LBB23_12
; %bb.11:
	global_load_b64 v[12:13], v[132:133], off offset:1280
.LBB23_12:
	s_or_b32 exec_lo, exec_lo, s4
	v_mov_b32_e32 v16, 0
	v_mov_b32_e32 v17, 0xfff00000
	v_add_nc_u32_e32 v14, 0xc0, v120
	s_delay_alu instid0(VALU_DEP_1) | instskip(NEXT) | instid1(VALU_DEP_3)
	;; [unrolled: 25-line block ×7, first 2 shown]
	v_cmp_gt_i32_e64 s14, s74, v34
	v_dual_mov_b32 v34, v36 :: v_dual_mov_b32 v35, v37
	s_delay_alu instid0(VALU_DEP_2) | instskip(NEXT) | instid1(SALU_CYCLE_1)
	s_and_b32 s15, s64, s14
	s_and_saveexec_b32 s16, s15
	s_cbranch_execz .LBB23_34
; %bb.33:
	v_add_co_u32 v34, s15, 0x1000, v132
	s_delay_alu instid0(VALU_DEP_1)
	v_add_co_ci_u32_e64 v35, s15, 0, v133, s15
	global_load_b64 v[34:35], v[34:35], off
.LBB23_34:
	s_or_b32 exec_lo, exec_lo, s16
	v_add_nc_u32_e32 v38, 0x220, v120
	s_delay_alu instid0(VALU_DEP_1) | instskip(NEXT) | instid1(VALU_DEP_1)
	v_cmp_gt_i32_e64 s15, s74, v38
	s_and_b32 s16, s64, s15
	s_delay_alu instid0(SALU_CYCLE_1)
	s_and_saveexec_b32 s17, s16
	s_cbranch_execz .LBB23_36
; %bb.35:
	v_add_co_u32 v36, s16, 0x1000, v132
	s_delay_alu instid0(VALU_DEP_1)
	v_add_co_ci_u32_e64 v37, s16, 0, v133, s16
	global_load_b64 v[36:37], v[36:37], off offset:256
.LBB23_36:
	s_or_b32 exec_lo, exec_lo, s17
	v_mov_b32_e32 v40, 0
	v_mov_b32_e32 v41, 0xfff00000
	v_add_nc_u32_e32 v38, 0x240, v120
	s_delay_alu instid0(VALU_DEP_1) | instskip(NEXT) | instid1(VALU_DEP_3)
	v_cmp_gt_i32_e64 s16, s74, v38
	v_dual_mov_b32 v38, v40 :: v_dual_mov_b32 v39, v41
	s_delay_alu instid0(VALU_DEP_2) | instskip(NEXT) | instid1(SALU_CYCLE_1)
	s_and_b32 s17, s64, s16
	s_and_saveexec_b32 s19, s17
	s_cbranch_execz .LBB23_38
; %bb.37:
	v_add_co_u32 v38, s17, 0x1000, v132
	s_delay_alu instid0(VALU_DEP_1)
	v_add_co_ci_u32_e64 v39, s17, 0, v133, s17
	global_load_b64 v[38:39], v[38:39], off offset:512
.LBB23_38:
	s_or_b32 exec_lo, exec_lo, s19
	v_add_nc_u32_e32 v42, 0x260, v120
	s_delay_alu instid0(VALU_DEP_1) | instskip(NEXT) | instid1(VALU_DEP_1)
	v_cmp_gt_i32_e64 s17, s74, v42
	s_and_b32 s19, s64, s17
	s_delay_alu instid0(SALU_CYCLE_1)
	s_and_saveexec_b32 s20, s19
	s_cbranch_execz .LBB23_40
; %bb.39:
	v_add_co_u32 v40, s19, 0x1000, v132
	s_delay_alu instid0(VALU_DEP_1)
	v_add_co_ci_u32_e64 v41, s19, 0, v133, s19
	global_load_b64 v[40:41], v[40:41], off offset:768
.LBB23_40:
	s_or_b32 exec_lo, exec_lo, s20
	v_mov_b32_e32 v44, 0
	v_mov_b32_e32 v45, 0xfff00000
	v_add_nc_u32_e32 v42, 0x280, v120
	s_delay_alu instid0(VALU_DEP_1) | instskip(NEXT) | instid1(VALU_DEP_3)
	v_cmp_gt_i32_e64 s19, s74, v42
	v_dual_mov_b32 v42, v44 :: v_dual_mov_b32 v43, v45
	s_delay_alu instid0(VALU_DEP_2) | instskip(NEXT) | instid1(SALU_CYCLE_1)
	s_and_b32 s20, s64, s19
	s_and_saveexec_b32 s21, s20
	s_cbranch_execz .LBB23_42
; %bb.41:
	v_add_co_u32 v42, s20, 0x1000, v132
	s_delay_alu instid0(VALU_DEP_1)
	v_add_co_ci_u32_e64 v43, s20, 0, v133, s20
	global_load_b64 v[42:43], v[42:43], off offset:1024
.LBB23_42:
	;; [unrolled: 31-line block ×7, first 2 shown]
	s_or_b32 exec_lo, exec_lo, s31
	v_add_nc_u32_e32 v66, 0x3e0, v120
	s_delay_alu instid0(VALU_DEP_1) | instskip(NEXT) | instid1(VALU_DEP_1)
	v_cmp_gt_i32_e64 s30, s74, v66
	s_and_b32 s31, s64, s30
	s_delay_alu instid0(SALU_CYCLE_1)
	s_and_saveexec_b32 s33, s31
	s_cbranch_execz .LBB23_64
; %bb.63:
	v_add_co_u32 v64, s31, 0x1000, v132
	s_delay_alu instid0(VALU_DEP_1)
	v_add_co_ci_u32_e64 v65, s31, 0, v133, s31
	global_load_b64 v[64:65], v[64:65], off offset:3840
.LBB23_64:
	s_or_b32 exec_lo, exec_lo, s33
	v_or_b32_e32 v66, 0x400, v120
	v_mov_b32_e32 v68, 0
	v_mov_b32_e32 v69, 0xfff00000
	s_delay_alu instid0(VALU_DEP_3) | instskip(NEXT) | instid1(VALU_DEP_2)
	v_cmp_gt_i32_e64 s31, s74, v66
	v_dual_mov_b32 v66, v68 :: v_dual_mov_b32 v67, v69
	s_delay_alu instid0(VALU_DEP_2) | instskip(NEXT) | instid1(SALU_CYCLE_1)
	s_and_b32 s33, s64, s31
	s_and_saveexec_b32 s34, s33
	s_cbranch_execz .LBB23_66
; %bb.65:
	v_add_co_u32 v66, s33, 0x2000, v132
	s_delay_alu instid0(VALU_DEP_1)
	v_add_co_ci_u32_e64 v67, s33, 0, v133, s33
	global_load_b64 v[66:67], v[66:67], off
.LBB23_66:
	s_or_b32 exec_lo, exec_lo, s34
	v_add_nc_u32_e32 v70, 0x420, v120
	s_delay_alu instid0(VALU_DEP_1) | instskip(NEXT) | instid1(VALU_DEP_1)
	v_cmp_gt_i32_e64 s33, s74, v70
	s_and_b32 s34, s64, s33
	s_delay_alu instid0(SALU_CYCLE_1)
	s_and_saveexec_b32 s35, s34
	s_cbranch_execz .LBB23_68
; %bb.67:
	v_add_co_u32 v68, s34, 0x2000, v132
	s_delay_alu instid0(VALU_DEP_1)
	v_add_co_ci_u32_e64 v69, s34, 0, v133, s34
	global_load_b64 v[68:69], v[68:69], off offset:256
.LBB23_68:
	s_or_b32 exec_lo, exec_lo, s35
	v_mov_b32_e32 v72, 0
	v_mov_b32_e32 v73, 0xfff00000
	v_add_nc_u32_e32 v70, 0x440, v120
	s_delay_alu instid0(VALU_DEP_1) | instskip(NEXT) | instid1(VALU_DEP_3)
	v_cmp_gt_i32_e64 s34, s74, v70
	v_dual_mov_b32 v70, v72 :: v_dual_mov_b32 v71, v73
	s_delay_alu instid0(VALU_DEP_2) | instskip(NEXT) | instid1(SALU_CYCLE_1)
	s_and_b32 s35, s64, s34
	s_and_saveexec_b32 s36, s35
	s_cbranch_execz .LBB23_70
; %bb.69:
	v_add_co_u32 v70, s35, 0x2000, v132
	s_delay_alu instid0(VALU_DEP_1)
	v_add_co_ci_u32_e64 v71, s35, 0, v133, s35
	global_load_b64 v[70:71], v[70:71], off offset:512
.LBB23_70:
	s_or_b32 exec_lo, exec_lo, s36
	v_add_nc_u32_e32 v74, 0x460, v120
	s_delay_alu instid0(VALU_DEP_1) | instskip(NEXT) | instid1(VALU_DEP_1)
	v_cmp_gt_i32_e64 s35, s74, v74
	s_and_b32 s36, s64, s35
	s_delay_alu instid0(SALU_CYCLE_1)
	s_and_saveexec_b32 s37, s36
	s_cbranch_execz .LBB23_72
; %bb.71:
	v_add_co_u32 v72, s36, 0x2000, v132
	s_delay_alu instid0(VALU_DEP_1)
	v_add_co_ci_u32_e64 v73, s36, 0, v133, s36
	global_load_b64 v[72:73], v[72:73], off offset:768
.LBB23_72:
	s_or_b32 exec_lo, exec_lo, s37
	v_mov_b32_e32 v76, 0
	v_mov_b32_e32 v77, 0xfff00000
	v_add_nc_u32_e32 v74, 0x480, v120
	s_delay_alu instid0(VALU_DEP_1) | instskip(NEXT) | instid1(VALU_DEP_3)
	v_cmp_gt_i32_e64 s36, s74, v74
	v_dual_mov_b32 v74, v76 :: v_dual_mov_b32 v75, v77
	s_delay_alu instid0(VALU_DEP_2) | instskip(NEXT) | instid1(SALU_CYCLE_1)
	s_and_b32 s37, s64, s36
	s_and_saveexec_b32 s38, s37
	s_cbranch_execz .LBB23_74
; %bb.73:
	v_add_co_u32 v74, s37, 0x2000, v132
	s_delay_alu instid0(VALU_DEP_1)
	v_add_co_ci_u32_e64 v75, s37, 0, v133, s37
	global_load_b64 v[74:75], v[74:75], off offset:1024
.LBB23_74:
	;; [unrolled: 31-line block ×7, first 2 shown]
	s_or_b32 exec_lo, exec_lo, s48
	v_add_nc_u32_e32 v98, 0x5e0, v120
	s_delay_alu instid0(VALU_DEP_1) | instskip(NEXT) | instid1(VALU_DEP_1)
	v_cmp_gt_i32_e64 s47, s74, v98
	s_and_b32 s48, s64, s47
	s_delay_alu instid0(SALU_CYCLE_1)
	s_and_saveexec_b32 s49, s48
	s_cbranch_execz .LBB23_96
; %bb.95:
	v_add_co_u32 v96, s48, 0x2000, v132
	s_delay_alu instid0(VALU_DEP_1)
	v_add_co_ci_u32_e64 v97, s48, 0, v133, s48
	global_load_b64 v[96:97], v[96:97], off offset:3840
.LBB23_96:
	s_or_b32 exec_lo, exec_lo, s49
	v_mov_b32_e32 v106, 0
	v_mov_b32_e32 v107, 0xfff00000
	v_add_nc_u32_e32 v98, 0x600, v120
	s_delay_alu instid0(VALU_DEP_2) | instskip(NEXT) | instid1(VALU_DEP_2)
	v_dual_mov_b32 v100, v106 :: v_dual_mov_b32 v101, v107
	v_cmp_gt_i32_e64 s48, s74, v98
	s_delay_alu instid0(VALU_DEP_1) | instskip(NEXT) | instid1(SALU_CYCLE_1)
	s_and_b32 s49, s64, s48
	s_and_saveexec_b32 s50, s49
	s_cbranch_execz .LBB23_98
; %bb.97:
	v_add_co_u32 v98, s49, 0x3000, v132
	s_delay_alu instid0(VALU_DEP_1)
	v_add_co_ci_u32_e64 v99, s49, 0, v133, s49
	global_load_b64 v[100:101], v[98:99], off
.LBB23_98:
	s_or_b32 exec_lo, exec_lo, s50
	v_add_nc_u32_e32 v98, 0x620, v120
	s_delay_alu instid0(VALU_DEP_1) | instskip(NEXT) | instid1(VALU_DEP_1)
	v_cmp_gt_i32_e64 s49, s74, v98
	s_and_b32 s50, s64, s49
	s_delay_alu instid0(SALU_CYCLE_1)
	s_and_saveexec_b32 s51, s50
	s_cbranch_execz .LBB23_100
; %bb.99:
	v_add_co_u32 v98, s50, 0x3000, v132
	s_delay_alu instid0(VALU_DEP_1)
	v_add_co_ci_u32_e64 v99, s50, 0, v133, s50
	global_load_b64 v[106:107], v[98:99], off offset:256
.LBB23_100:
	s_or_b32 exec_lo, exec_lo, s51
	v_mov_b32_e32 v114, 0
	v_mov_b32_e32 v115, 0xfff00000
	v_add_nc_u32_e32 v98, 0x640, v120
	s_delay_alu instid0(VALU_DEP_2) | instskip(NEXT) | instid1(VALU_DEP_2)
	v_dual_mov_b32 v108, v114 :: v_dual_mov_b32 v109, v115
	v_cmp_gt_i32_e64 s50, s74, v98
	s_delay_alu instid0(VALU_DEP_1) | instskip(NEXT) | instid1(SALU_CYCLE_1)
	s_and_b32 s51, s64, s50
	s_and_saveexec_b32 s52, s51
	s_cbranch_execz .LBB23_102
; %bb.101:
	v_add_co_u32 v98, s51, 0x3000, v132
	s_delay_alu instid0(VALU_DEP_1)
	v_add_co_ci_u32_e64 v99, s51, 0, v133, s51
	global_load_b64 v[108:109], v[98:99], off offset:512
.LBB23_102:
	s_or_b32 exec_lo, exec_lo, s52
	v_add_nc_u32_e32 v98, 0x660, v120
	s_delay_alu instid0(VALU_DEP_1) | instskip(NEXT) | instid1(VALU_DEP_1)
	v_cmp_gt_i32_e64 s51, s74, v98
	s_and_b32 s52, s64, s51
	s_delay_alu instid0(SALU_CYCLE_1)
	s_and_saveexec_b32 s53, s52
	s_cbranch_execz .LBB23_104
; %bb.103:
	v_add_co_u32 v98, s52, 0x3000, v132
	s_delay_alu instid0(VALU_DEP_1)
	v_add_co_ci_u32_e64 v99, s52, 0, v133, s52
	global_load_b64 v[114:115], v[98:99], off offset:768
.LBB23_104:
	s_or_b32 exec_lo, exec_lo, s53
	v_mov_b32_e32 v124, 0
	v_mov_b32_e32 v125, 0xfff00000
	v_add_nc_u32_e32 v98, 0x680, v120
	s_delay_alu instid0(VALU_DEP_2) | instskip(NEXT) | instid1(VALU_DEP_2)
	v_dual_mov_b32 v118, v124 :: v_dual_mov_b32 v119, v125
	v_cmp_gt_i32_e64 s52, s74, v98
	s_delay_alu instid0(VALU_DEP_1) | instskip(NEXT) | instid1(SALU_CYCLE_1)
	s_and_b32 s53, s64, s52
	s_and_saveexec_b32 s54, s53
	s_cbranch_execz .LBB23_106
; %bb.105:
	v_add_co_u32 v98, s53, 0x3000, v132
	s_delay_alu instid0(VALU_DEP_1)
	v_add_co_ci_u32_e64 v99, s53, 0, v133, s53
	global_load_b64 v[118:119], v[98:99], off offset:1024
.LBB23_106:
	s_or_b32 exec_lo, exec_lo, s54
	v_add_nc_u32_e32 v98, 0x6a0, v120
	s_delay_alu instid0(VALU_DEP_1) | instskip(NEXT) | instid1(VALU_DEP_1)
	v_cmp_gt_i32_e64 s53, s74, v98
	s_and_b32 s54, s64, s53
	s_delay_alu instid0(SALU_CYCLE_1)
	s_and_saveexec_b32 s55, s54
	s_cbranch_execz .LBB23_108
; %bb.107:
	v_add_co_u32 v98, s54, 0x3000, v132
	s_delay_alu instid0(VALU_DEP_1)
	v_add_co_ci_u32_e64 v99, s54, 0, v133, s54
	global_load_b64 v[124:125], v[98:99], off offset:1280
.LBB23_108:
	s_or_b32 exec_lo, exec_lo, s55
	v_mov_b32_e32 v130, 0
	v_mov_b32_e32 v131, 0xfff00000
	v_add_nc_u32_e32 v98, 0x6c0, v120
	s_delay_alu instid0(VALU_DEP_2) | instskip(NEXT) | instid1(VALU_DEP_2)
	v_dual_mov_b32 v128, v130 :: v_dual_mov_b32 v129, v131
	v_cmp_gt_i32_e64 s54, s74, v98
	s_delay_alu instid0(VALU_DEP_1) | instskip(NEXT) | instid1(SALU_CYCLE_1)
	s_and_b32 s55, s64, s54
	s_and_saveexec_b32 s56, s55
	s_cbranch_execz .LBB23_110
; %bb.109:
	v_add_co_u32 v98, s55, 0x3000, v132
	s_delay_alu instid0(VALU_DEP_1)
	v_add_co_ci_u32_e64 v99, s55, 0, v133, s55
	global_load_b64 v[128:129], v[98:99], off offset:1536
.LBB23_110:
	s_or_b32 exec_lo, exec_lo, s56
	v_add_nc_u32_e32 v98, 0x6e0, v120
	s_delay_alu instid0(VALU_DEP_1) | instskip(NEXT) | instid1(VALU_DEP_1)
	v_cmp_gt_i32_e64 s55, s74, v98
	s_and_b32 s56, s64, s55
	s_delay_alu instid0(SALU_CYCLE_1)
	s_and_saveexec_b32 s57, s56
	s_cbranch_execz .LBB23_112
; %bb.111:
	v_add_co_u32 v98, s56, 0x3000, v132
	s_delay_alu instid0(VALU_DEP_1)
	v_add_co_ci_u32_e64 v99, s56, 0, v133, s56
	global_load_b64 v[130:131], v[98:99], off offset:1792
.LBB23_112:
	s_or_b32 exec_lo, exec_lo, s57
	v_mov_b32_e32 v122, 0
	v_mov_b32_e32 v123, 0xfff00000
	s_delay_alu instid0(VALU_DEP_1) | instskip(NEXT) | instid1(VALU_DEP_1)
	v_dual_mov_b32 v127, v123 :: v_dual_add_nc_u32 v98, 0x700, v120
	v_cmp_gt_i32_e64 s56, s74, v98
	s_delay_alu instid0(VALU_DEP_4) | instskip(NEXT) | instid1(VALU_DEP_2)
	v_mov_b32_e32 v126, v122
	s_and_b32 s57, s64, s56
	s_delay_alu instid0(SALU_CYCLE_1)
	s_and_saveexec_b32 s58, s57
	s_cbranch_execz .LBB23_114
; %bb.113:
	v_add_co_u32 v98, s57, 0x3000, v132
	s_delay_alu instid0(VALU_DEP_1)
	v_add_co_ci_u32_e64 v99, s57, 0, v133, s57
	global_load_b64 v[126:127], v[98:99], off offset:2048
.LBB23_114:
	s_or_b32 exec_lo, exec_lo, s58
	v_add_nc_u32_e32 v98, 0x720, v120
	s_delay_alu instid0(VALU_DEP_1) | instskip(NEXT) | instid1(VALU_DEP_1)
	v_cmp_gt_i32_e64 s57, s74, v98
	s_and_b32 s58, s64, s57
	s_delay_alu instid0(SALU_CYCLE_1)
	s_and_saveexec_b32 s59, s58
	s_cbranch_execz .LBB23_116
; %bb.115:
	v_add_co_u32 v98, s58, 0x3000, v132
	s_delay_alu instid0(VALU_DEP_1)
	v_add_co_ci_u32_e64 v99, s58, 0, v133, s58
	global_load_b64 v[122:123], v[98:99], off offset:2304
.LBB23_116:
	s_or_b32 exec_lo, exec_lo, s59
	v_mov_b32_e32 v112, 0
	v_mov_b32_e32 v113, 0xfff00000
	s_delay_alu instid0(VALU_DEP_1) | instskip(NEXT) | instid1(VALU_DEP_1)
	v_dual_mov_b32 v117, v113 :: v_dual_add_nc_u32 v98, 0x740, v120
	v_cmp_gt_i32_e64 s58, s74, v98
	s_delay_alu instid0(VALU_DEP_4) | instskip(NEXT) | instid1(VALU_DEP_2)
	v_mov_b32_e32 v116, v112
	s_and_b32 s59, s64, s58
	s_delay_alu instid0(SALU_CYCLE_1)
	s_and_saveexec_b32 s60, s59
	s_cbranch_execz .LBB23_118
; %bb.117:
	v_add_co_u32 v98, s59, 0x3000, v132
	s_delay_alu instid0(VALU_DEP_1)
	v_add_co_ci_u32_e64 v99, s59, 0, v133, s59
	global_load_b64 v[116:117], v[98:99], off offset:2560
.LBB23_118:
	;; [unrolled: 32-line block ×3, first 2 shown]
	s_or_b32 exec_lo, exec_lo, s62
	v_add_nc_u32_e32 v98, 0x7a0, v120
	s_delay_alu instid0(VALU_DEP_1) | instskip(NEXT) | instid1(VALU_DEP_1)
	v_cmp_gt_i32_e64 s61, s74, v98
	s_and_b32 s62, s64, s61
	s_delay_alu instid0(SALU_CYCLE_1)
	s_and_saveexec_b32 s63, s62
	s_cbranch_execz .LBB23_124
; %bb.123:
	v_add_co_u32 v98, s62, 0x3000, v132
	s_delay_alu instid0(VALU_DEP_1)
	v_add_co_ci_u32_e64 v99, s62, 0, v133, s62
	global_load_b64 v[104:105], v[98:99], off offset:3328
.LBB23_124:
	s_or_b32 exec_lo, exec_lo, s63
	v_add_nc_u32_e32 v102, 0x7c0, v120
	v_mov_b32_e32 v98, 0
	v_mov_b32_e32 v99, 0xfff00000
	s_delay_alu instid0(VALU_DEP_3) | instskip(NEXT) | instid1(VALU_DEP_2)
	v_cmp_gt_i32_e64 s62, s74, v102
	v_dual_mov_b32 v103, v99 :: v_dual_mov_b32 v102, v98
	s_delay_alu instid0(VALU_DEP_2) | instskip(NEXT) | instid1(SALU_CYCLE_1)
	s_and_b32 s63, s64, s62
	s_and_saveexec_b32 s65, s63
	s_cbranch_execz .LBB23_126
; %bb.125:
	v_add_co_u32 v102, s63, 0x3000, v132
	s_delay_alu instid0(VALU_DEP_1)
	v_add_co_ci_u32_e64 v103, s63, 0, v133, s63
	global_load_b64 v[102:103], v[102:103], off offset:3584
.LBB23_126:
	s_or_b32 exec_lo, exec_lo, s65
	v_add_nc_u32_e32 v120, 0x7e0, v120
	s_delay_alu instid0(VALU_DEP_1) | instskip(NEXT) | instid1(VALU_DEP_1)
	v_cmp_gt_i32_e64 s63, s74, v120
	s_and_b32 s64, s64, s63
	s_delay_alu instid0(SALU_CYCLE_1)
	s_and_saveexec_b32 s65, s64
	s_cbranch_execz .LBB23_128
; %bb.127:
	v_add_co_u32 v98, s64, 0x3000, v132
	s_delay_alu instid0(VALU_DEP_1)
	v_add_co_ci_u32_e64 v99, s64, 0, v133, s64
	global_load_b64 v[98:99], v[98:99], off offset:3840
.LBB23_128:
	s_or_b32 exec_lo, exec_lo, s65
	s_waitcnt vmcnt(0)
	v_cmp_gt_f64_e64 s64, v[2:3], v[4:5]
	v_mbcnt_lo_u32_b32 v134, -1, 0
	s_mov_b32 s66, 0x652b82fe
	s_mov_b32 s67, 0x3ff71547
	;; [unrolled: 1-line block ×4, first 2 shown]
	v_xor_b32_e32 v132, 16, v134
	s_mov_b32 s72, 0x3b39803f
	s_mov_b32 s73, 0xbc7abc9e
	;; [unrolled: 1-line block ×22, first 2 shown]
	s_delay_alu instid0(VALU_DEP_3) | instskip(SKIP_1) | instid1(VALU_DEP_1)
	v_cndmask_b32_e64 v121, v5, v3, s64
	v_cndmask_b32_e64 v120, v4, v2, s64
	v_cmp_gt_f64_e64 s64, v[120:121], v[6:7]
	s_delay_alu instid0(VALU_DEP_1) | instskip(SKIP_1) | instid1(VALU_DEP_1)
	v_cndmask_b32_e64 v121, v7, v121, s64
	v_cndmask_b32_e64 v120, v6, v120, s64
	v_cmp_gt_f64_e64 s64, v[120:121], v[8:9]
	s_delay_alu instid0(VALU_DEP_1) | instskip(SKIP_1) | instid1(VALU_DEP_1)
	;; [unrolled: 4-line block ×61, first 2 shown]
	v_cndmask_b32_e64 v121, v103, v121, s64
	v_cndmask_b32_e64 v120, v102, v120, s64
	v_cmp_gt_f64_e64 s64, v[120:121], v[98:99]
	s_delay_alu instid0(VALU_DEP_1) | instskip(SKIP_2) | instid1(VALU_DEP_1)
	v_cndmask_b32_e64 v121, v99, v121, s64
	v_cndmask_b32_e64 v120, v98, v120, s64
	v_cmp_gt_i32_e64 s64, 32, v132
	v_cndmask_b32_e64 v132, v134, v132, s64
	s_delay_alu instid0(VALU_DEP_1) | instskip(SKIP_4) | instid1(VALU_DEP_1)
	v_lshlrev_b32_e32 v137, 2, v132
	ds_bpermute_b32 v132, v137, v120
	ds_bpermute_b32 v133, v137, v121
	s_waitcnt lgkmcnt(0)
	v_cmp_lt_f64_e64 s64, v[120:121], v[132:133]
	v_cndmask_b32_e64 v120, v120, v132, s64
	v_xor_b32_e32 v132, 8, v134
	v_cndmask_b32_e64 v121, v121, v133, s64
	s_delay_alu instid0(VALU_DEP_2) | instskip(NEXT) | instid1(VALU_DEP_1)
	v_cmp_gt_i32_e64 s64, 32, v132
	v_cndmask_b32_e64 v132, v134, v132, s64
	s_delay_alu instid0(VALU_DEP_1) | instskip(SKIP_4) | instid1(VALU_DEP_1)
	v_lshlrev_b32_e32 v138, 2, v132
	ds_bpermute_b32 v132, v138, v120
	ds_bpermute_b32 v133, v138, v121
	s_waitcnt lgkmcnt(0)
	v_cmp_lt_f64_e64 s64, v[120:121], v[132:133]
	v_cndmask_b32_e64 v120, v120, v132, s64
	v_xor_b32_e32 v132, 4, v134
	v_cndmask_b32_e64 v121, v121, v133, s64
	s_delay_alu instid0(VALU_DEP_2) | instskip(NEXT) | instid1(VALU_DEP_1)
	;; [unrolled: 12-line block ×4, first 2 shown]
	v_cmp_gt_i32_e64 s64, 32, v132
	v_cndmask_b32_e64 v132, v134, v132, s64
	s_delay_alu instid0(VALU_DEP_1) | instskip(SKIP_4) | instid1(VALU_DEP_1)
	v_lshlrev_b32_e32 v141, 2, v132
	ds_bpermute_b32 v132, v141, v120
	ds_bpermute_b32 v133, v141, v121
	s_waitcnt lgkmcnt(0)
	v_cmp_lt_f64_e64 s64, v[120:121], v[132:133]
	v_cndmask_b32_e64 v121, v121, v133, s64
	v_cndmask_b32_e64 v120, v120, v132, s64
	s_delay_alu instid0(VALU_DEP_1)
	v_add_f64 v[2:3], v[2:3], -v[120:121]
	v_add_f64 v[4:5], v[4:5], -v[120:121]
	v_add_f64 v[6:7], v[6:7], -v[120:121]
	v_add_f64 v[8:9], v[8:9], -v[120:121]
	v_add_f64 v[10:11], v[10:11], -v[120:121]
	v_add_f64 v[12:13], v[12:13], -v[120:121]
	v_add_f64 v[14:15], v[14:15], -v[120:121]
	v_add_f64 v[16:17], v[16:17], -v[120:121]
	v_add_f64 v[18:19], v[18:19], -v[120:121]
	v_add_f64 v[20:21], v[20:21], -v[120:121]
	v_add_f64 v[22:23], v[22:23], -v[120:121]
	v_add_f64 v[24:25], v[24:25], -v[120:121]
	v_add_f64 v[26:27], v[26:27], -v[120:121]
	v_add_f64 v[28:29], v[28:29], -v[120:121]
	v_add_f64 v[30:31], v[30:31], -v[120:121]
	v_add_f64 v[32:33], v[32:33], -v[120:121]
	v_add_f64 v[34:35], v[34:35], -v[120:121]
	v_add_f64 v[36:37], v[36:37], -v[120:121]
	v_add_f64 v[38:39], v[38:39], -v[120:121]
	v_add_f64 v[40:41], v[40:41], -v[120:121]
	v_add_f64 v[42:43], v[42:43], -v[120:121]
	v_add_f64 v[44:45], v[44:45], -v[120:121]
	v_add_f64 v[46:47], v[46:47], -v[120:121]
	v_add_f64 v[48:49], v[48:49], -v[120:121]
	v_add_f64 v[50:51], v[50:51], -v[120:121]
	v_add_f64 v[52:53], v[52:53], -v[120:121]
	v_add_f64 v[54:55], v[54:55], -v[120:121]
	v_add_f64 v[56:57], v[56:57], -v[120:121]
	v_add_f64 v[58:59], v[58:59], -v[120:121]
	v_add_f64 v[60:61], v[60:61], -v[120:121]
	v_add_f64 v[62:63], v[62:63], -v[120:121]
	v_add_f64 v[64:65], v[64:65], -v[120:121]
	v_add_f64 v[66:67], v[66:67], -v[120:121]
	v_add_f64 v[68:69], v[68:69], -v[120:121]
	v_add_f64 v[70:71], v[70:71], -v[120:121]
	v_add_f64 v[72:73], v[72:73], -v[120:121]
	v_add_f64 v[74:75], v[74:75], -v[120:121]
	v_add_f64 v[76:77], v[76:77], -v[120:121]
	v_mul_f64 v[132:133], v[2:3], s[66:67]
	v_cmp_nlt_f64_e64 s64, 0x40900000, v[2:3]
	v_cmp_ngt_f64_e64 s65, 0xc090cc00, v[2:3]
	v_add_f64 v[78:79], v[78:79], -v[120:121]
	v_add_f64 v[80:81], v[80:81], -v[120:121]
	v_add_f64 v[82:83], v[82:83], -v[120:121]
	v_add_f64 v[84:85], v[84:85], -v[120:121]
	v_add_f64 v[86:87], v[86:87], -v[120:121]
	v_add_f64 v[88:89], v[88:89], -v[120:121]
	v_add_f64 v[90:91], v[90:91], -v[120:121]
	v_add_f64 v[92:93], v[92:93], -v[120:121]
	v_add_f64 v[94:95], v[94:95], -v[120:121]
	v_add_f64 v[96:97], v[96:97], -v[120:121]
	v_add_f64 v[100:101], v[100:101], -v[120:121]
	v_add_f64 v[106:107], v[106:107], -v[120:121]
	v_add_f64 v[108:109], v[108:109], -v[120:121]
	v_add_f64 v[114:115], v[114:115], -v[120:121]
	v_add_f64 v[118:119], v[118:119], -v[120:121]
	v_add_f64 v[124:125], v[124:125], -v[120:121]
	v_add_f64 v[128:129], v[128:129], -v[120:121]
	v_add_f64 v[130:131], v[130:131], -v[120:121]
	v_add_f64 v[126:127], v[126:127], -v[120:121]
	v_add_f64 v[122:123], v[122:123], -v[120:121]
	v_add_f64 v[116:117], v[116:117], -v[120:121]
	v_add_f64 v[112:113], v[112:113], -v[120:121]
	v_add_f64 v[110:111], v[110:111], -v[120:121]
	v_add_f64 v[104:105], v[104:105], -v[120:121]
	v_add_f64 v[102:103], v[102:103], -v[120:121]
	v_add_f64 v[98:99], v[98:99], -v[120:121]
	v_rndne_f64_e32 v[132:133], v[132:133]
	s_delay_alu instid0(VALU_DEP_2) | instskip(NEXT) | instid1(VALU_DEP_2)
	v_mul_f64 v[120:121], v[98:99], s[66:67]
	v_fma_f64 v[134:135], v[132:133], s[70:71], v[2:3]
	s_delay_alu instid0(VALU_DEP_2) | instskip(NEXT) | instid1(VALU_DEP_2)
	v_rndne_f64_e32 v[120:121], v[120:121]
	v_fma_f64 v[134:135], v[132:133], s[72:73], v[134:135]
	v_cvt_i32_f64_e32 v132, v[132:133]
	s_delay_alu instid0(VALU_DEP_2) | instskip(NEXT) | instid1(VALU_DEP_1)
	v_fma_f64 v[142:143], v[134:135], s[76:77], s[74:75]
	v_fma_f64 v[142:143], v[134:135], v[142:143], s[78:79]
	s_delay_alu instid0(VALU_DEP_1) | instskip(NEXT) | instid1(VALU_DEP_1)
	v_fma_f64 v[142:143], v[134:135], v[142:143], s[80:81]
	v_fma_f64 v[142:143], v[134:135], v[142:143], s[82:83]
	s_delay_alu instid0(VALU_DEP_1) | instskip(NEXT) | instid1(VALU_DEP_1)
	;; [unrolled: 3-line block ×4, first 2 shown]
	v_fma_f64 v[142:143], v[134:135], v[142:143], s[92:93]
	v_fma_f64 v[142:143], v[134:135], v[142:143], 1.0
	s_delay_alu instid0(VALU_DEP_1) | instskip(NEXT) | instid1(VALU_DEP_1)
	v_fma_f64 v[134:135], v[134:135], v[142:143], 1.0
	v_ldexp_f64 v[132:133], v[134:135], v132
	v_mul_f64 v[134:135], v[4:5], s[66:67]
	s_delay_alu instid0(VALU_DEP_2) | instskip(NEXT) | instid1(VALU_DEP_2)
	v_add_f64 v[132:133], v[132:133], 0
	v_rndne_f64_e32 v[134:135], v[134:135]
	s_delay_alu instid0(VALU_DEP_2) | instskip(NEXT) | instid1(VALU_DEP_2)
	v_cndmask_b32_e64 v133, 0x7ff00000, v133, s64
	v_fma_f64 v[142:143], v[134:135], s[70:71], v[4:5]
	s_and_b32 s64, s65, s64
	s_delay_alu instid0(VALU_DEP_4) | instid1(SALU_CYCLE_1)
	v_cndmask_b32_e64 v132, 0, v132, s64
	v_cmp_nlt_f64_e64 s64, 0x40900000, v[4:5]
	v_cndmask_b32_e64 v133, 0, v133, s65
	v_cmp_ngt_f64_e64 s65, 0xc090cc00, v[4:5]
	v_fma_f64 v[142:143], v[134:135], s[72:73], v[142:143]
	v_cvt_i32_f64_e32 v134, v[134:135]
	s_delay_alu instid0(VALU_DEP_2) | instskip(NEXT) | instid1(VALU_DEP_1)
	v_fma_f64 v[144:145], v[142:143], s[76:77], s[74:75]
	v_fma_f64 v[144:145], v[142:143], v[144:145], s[78:79]
	s_delay_alu instid0(VALU_DEP_1) | instskip(NEXT) | instid1(VALU_DEP_1)
	v_fma_f64 v[144:145], v[142:143], v[144:145], s[80:81]
	v_fma_f64 v[144:145], v[142:143], v[144:145], s[82:83]
	s_delay_alu instid0(VALU_DEP_1) | instskip(NEXT) | instid1(VALU_DEP_1)
	;; [unrolled: 3-line block ×4, first 2 shown]
	v_fma_f64 v[144:145], v[142:143], v[144:145], s[92:93]
	v_fma_f64 v[144:145], v[142:143], v[144:145], 1.0
	s_delay_alu instid0(VALU_DEP_1) | instskip(NEXT) | instid1(VALU_DEP_1)
	v_fma_f64 v[142:143], v[142:143], v[144:145], 1.0
	v_ldexp_f64 v[134:135], v[142:143], v134
	s_delay_alu instid0(VALU_DEP_1)
	v_cndmask_b32_e64 v135, 0x7ff00000, v135, s64
	s_and_b32 s64, s65, s64
	s_delay_alu instid0(VALU_DEP_2) | instid1(SALU_CYCLE_1)
	v_cndmask_b32_e64 v134, 0, v134, s64
	v_cmp_nlt_f64_e64 s64, 0x40900000, v[6:7]
	s_delay_alu instid0(VALU_DEP_3) | instskip(SKIP_1) | instid1(VALU_DEP_2)
	v_cndmask_b32_e64 v135, 0, v135, s65
	v_cmp_ngt_f64_e64 s65, 0xc090cc00, v[6:7]
	v_add_f64 v[132:133], v[132:133], v[134:135]
	v_mul_f64 v[134:135], v[6:7], s[66:67]
	s_delay_alu instid0(VALU_DEP_1) | instskip(NEXT) | instid1(VALU_DEP_1)
	v_rndne_f64_e32 v[134:135], v[134:135]
	v_fma_f64 v[142:143], v[134:135], s[70:71], v[6:7]
	s_delay_alu instid0(VALU_DEP_1) | instskip(SKIP_1) | instid1(VALU_DEP_2)
	v_fma_f64 v[142:143], v[134:135], s[72:73], v[142:143]
	v_cvt_i32_f64_e32 v134, v[134:135]
	v_fma_f64 v[144:145], v[142:143], s[76:77], s[74:75]
	s_delay_alu instid0(VALU_DEP_1) | instskip(NEXT) | instid1(VALU_DEP_1)
	v_fma_f64 v[144:145], v[142:143], v[144:145], s[78:79]
	v_fma_f64 v[144:145], v[142:143], v[144:145], s[80:81]
	s_delay_alu instid0(VALU_DEP_1) | instskip(NEXT) | instid1(VALU_DEP_1)
	v_fma_f64 v[144:145], v[142:143], v[144:145], s[82:83]
	v_fma_f64 v[144:145], v[142:143], v[144:145], s[84:85]
	s_delay_alu instid0(VALU_DEP_1) | instskip(NEXT) | instid1(VALU_DEP_1)
	v_fma_f64 v[144:145], v[142:143], v[144:145], s[86:87]
	v_fma_f64 v[144:145], v[142:143], v[144:145], s[88:89]
	s_delay_alu instid0(VALU_DEP_1) | instskip(NEXT) | instid1(VALU_DEP_1)
	v_fma_f64 v[144:145], v[142:143], v[144:145], s[90:91]
	v_fma_f64 v[144:145], v[142:143], v[144:145], s[92:93]
	s_delay_alu instid0(VALU_DEP_1) | instskip(NEXT) | instid1(VALU_DEP_1)
	v_fma_f64 v[144:145], v[142:143], v[144:145], 1.0
	v_fma_f64 v[142:143], v[142:143], v[144:145], 1.0
	s_delay_alu instid0(VALU_DEP_1) | instskip(NEXT) | instid1(VALU_DEP_1)
	v_ldexp_f64 v[134:135], v[142:143], v134
	v_cndmask_b32_e64 v135, 0x7ff00000, v135, s64
	s_and_b32 s64, s65, s64
	s_delay_alu instid0(VALU_DEP_2) | instid1(SALU_CYCLE_1)
	v_cndmask_b32_e64 v134, 0, v134, s64
	v_cmp_nlt_f64_e64 s64, 0x40900000, v[8:9]
	s_delay_alu instid0(VALU_DEP_3) | instskip(SKIP_1) | instid1(VALU_DEP_2)
	v_cndmask_b32_e64 v135, 0, v135, s65
	v_cmp_ngt_f64_e64 s65, 0xc090cc00, v[8:9]
	v_add_f64 v[132:133], v[132:133], v[134:135]
	v_mul_f64 v[134:135], v[8:9], s[66:67]
	s_delay_alu instid0(VALU_DEP_1) | instskip(NEXT) | instid1(VALU_DEP_1)
	v_rndne_f64_e32 v[134:135], v[134:135]
	v_fma_f64 v[142:143], v[134:135], s[70:71], v[8:9]
	s_delay_alu instid0(VALU_DEP_1) | instskip(SKIP_1) | instid1(VALU_DEP_2)
	v_fma_f64 v[142:143], v[134:135], s[72:73], v[142:143]
	v_cvt_i32_f64_e32 v134, v[134:135]
	v_fma_f64 v[144:145], v[142:143], s[76:77], s[74:75]
	s_delay_alu instid0(VALU_DEP_1) | instskip(NEXT) | instid1(VALU_DEP_1)
	v_fma_f64 v[144:145], v[142:143], v[144:145], s[78:79]
	v_fma_f64 v[144:145], v[142:143], v[144:145], s[80:81]
	s_delay_alu instid0(VALU_DEP_1) | instskip(NEXT) | instid1(VALU_DEP_1)
	v_fma_f64 v[144:145], v[142:143], v[144:145], s[82:83]
	v_fma_f64 v[144:145], v[142:143], v[144:145], s[84:85]
	s_delay_alu instid0(VALU_DEP_1) | instskip(NEXT) | instid1(VALU_DEP_1)
	v_fma_f64 v[144:145], v[142:143], v[144:145], s[86:87]
	v_fma_f64 v[144:145], v[142:143], v[144:145], s[88:89]
	s_delay_alu instid0(VALU_DEP_1) | instskip(NEXT) | instid1(VALU_DEP_1)
	v_fma_f64 v[144:145], v[142:143], v[144:145], s[90:91]
	v_fma_f64 v[144:145], v[142:143], v[144:145], s[92:93]
	s_delay_alu instid0(VALU_DEP_1) | instskip(NEXT) | instid1(VALU_DEP_1)
	v_fma_f64 v[144:145], v[142:143], v[144:145], 1.0
	v_fma_f64 v[142:143], v[142:143], v[144:145], 1.0
	s_delay_alu instid0(VALU_DEP_1) | instskip(NEXT) | instid1(VALU_DEP_1)
	v_ldexp_f64 v[134:135], v[142:143], v134
	;; [unrolled: 34-line block ×61, first 2 shown]
	v_cndmask_b32_e64 v135, 0x7ff00000, v135, s64
	s_and_b32 s64, s65, s64
	s_delay_alu instid0(VALU_DEP_2) | instid1(SALU_CYCLE_1)
	v_cndmask_b32_e64 v134, 0, v134, s64
	v_cmp_nlt_f64_e64 s64, 0x40900000, v[98:99]
	s_delay_alu instid0(VALU_DEP_3) | instskip(SKIP_1) | instid1(VALU_DEP_2)
	v_cndmask_b32_e64 v135, 0, v135, s65
	v_cmp_ngt_f64_e64 s65, 0xc090cc00, v[98:99]
	v_add_f64 v[132:133], v[132:133], v[134:135]
	v_fma_f64 v[134:135], v[120:121], s[70:71], v[98:99]
	s_delay_alu instid0(VALU_DEP_1) | instskip(SKIP_1) | instid1(VALU_DEP_2)
	v_fma_f64 v[134:135], v[120:121], s[72:73], v[134:135]
	v_cvt_i32_f64_e32 v120, v[120:121]
	v_fma_f64 v[142:143], v[134:135], s[76:77], s[74:75]
	s_delay_alu instid0(VALU_DEP_1) | instskip(NEXT) | instid1(VALU_DEP_1)
	v_fma_f64 v[142:143], v[134:135], v[142:143], s[78:79]
	v_fma_f64 v[142:143], v[134:135], v[142:143], s[80:81]
	s_delay_alu instid0(VALU_DEP_1) | instskip(NEXT) | instid1(VALU_DEP_1)
	v_fma_f64 v[142:143], v[134:135], v[142:143], s[82:83]
	;; [unrolled: 3-line block ×4, first 2 shown]
	v_fma_f64 v[142:143], v[134:135], v[142:143], s[92:93]
	s_delay_alu instid0(VALU_DEP_1) | instskip(NEXT) | instid1(VALU_DEP_1)
	v_fma_f64 v[142:143], v[134:135], v[142:143], 1.0
	v_fma_f64 v[134:135], v[134:135], v[142:143], 1.0
	s_delay_alu instid0(VALU_DEP_1) | instskip(NEXT) | instid1(VALU_DEP_1)
	v_ldexp_f64 v[120:121], v[134:135], v120
	v_cndmask_b32_e64 v121, 0x7ff00000, v121, s64
	s_and_b32 s64, s65, s64
	s_delay_alu instid0(VALU_DEP_2) | instid1(SALU_CYCLE_1)
	v_cndmask_b32_e64 v120, 0, v120, s64
	s_delay_alu instid0(VALU_DEP_2) | instskip(SKIP_1) | instid1(VALU_DEP_1)
	v_cndmask_b32_e64 v121, 0, v121, s65
	s_mov_b32 s65, exec_lo
	v_add_f64 v[120:121], v[132:133], v[120:121]
	ds_bpermute_b32 v132, v137, v120
	ds_bpermute_b32 v133, v137, v121
	s_waitcnt lgkmcnt(0)
	v_add_f64 v[120:121], v[120:121], v[132:133]
	ds_bpermute_b32 v132, v138, v120
	ds_bpermute_b32 v133, v138, v121
	s_waitcnt lgkmcnt(0)
	;; [unrolled: 4-line block ×4, first 2 shown]
	v_add_f64 v[120:121], v[120:121], v[132:133]
	ds_bpermute_b32 v132, v141, v120
	ds_bpermute_b32 v133, v141, v121
	v_cmpx_lt_i32_e32 0, v136
	s_cbranch_execz .LBB23_194
; %bb.129:
	s_and_b32 exec_lo, exec_lo, s18
	s_cbranch_execz .LBB23_194
; %bb.130:
	s_waitcnt lgkmcnt(0)
	v_add_f64 v[132:133], v[120:121], v[132:133]
	s_mov_b32 s65, 0x3fe55555
	s_mov_b32 s64, 0x55555555
	v_mov_b32_e32 v134, 0
	s_mov_b32 s66, 0x6b47b09a
	s_mov_b32 s70, 0xbf559e2b
	;; [unrolled: 1-line block ×4, first 2 shown]
	s_delay_alu instid0(VALU_DEP_2) | instskip(NEXT) | instid1(VALU_DEP_1)
	v_frexp_mant_f64_e32 v[120:121], v[132:133]
	v_cmp_gt_f64_e64 s18, s[64:65], v[120:121]
	s_mov_b32 s64, 0x55555780
	s_delay_alu instid0(VALU_DEP_1) | instskip(NEXT) | instid1(VALU_DEP_1)
	v_cndmask_b32_e64 v135, 0x3ff00000, 2.0, s18
	v_mul_f64 v[120:121], v[120:121], v[134:135]
	s_delay_alu instid0(VALU_DEP_1) | instskip(SKIP_1) | instid1(VALU_DEP_2)
	v_add_f64 v[134:135], v[120:121], 1.0
	v_add_f64 v[140:141], v[120:121], -1.0
	v_rcp_f64_e32 v[136:137], v[134:135]
	v_add_f64 v[142:143], v[134:135], -1.0
	s_delay_alu instid0(VALU_DEP_1) | instskip(SKIP_2) | instid1(VALU_DEP_1)
	v_add_f64 v[120:121], v[120:121], -v[142:143]
	s_waitcnt_depctr 0xfff
	v_fma_f64 v[138:139], -v[134:135], v[136:137], 1.0
	v_fma_f64 v[136:137], v[138:139], v[136:137], v[136:137]
	s_delay_alu instid0(VALU_DEP_1) | instskip(NEXT) | instid1(VALU_DEP_1)
	v_fma_f64 v[138:139], -v[134:135], v[136:137], 1.0
	v_fma_f64 v[136:137], v[138:139], v[136:137], v[136:137]
	s_delay_alu instid0(VALU_DEP_1) | instskip(NEXT) | instid1(VALU_DEP_1)
	v_mul_f64 v[138:139], v[140:141], v[136:137]
	v_mul_f64 v[144:145], v[134:135], v[138:139]
	s_delay_alu instid0(VALU_DEP_1) | instskip(NEXT) | instid1(VALU_DEP_1)
	v_fma_f64 v[134:135], v[138:139], v[134:135], -v[144:145]
	v_fma_f64 v[120:121], v[138:139], v[120:121], v[134:135]
	s_delay_alu instid0(VALU_DEP_1) | instskip(NEXT) | instid1(VALU_DEP_1)
	v_add_f64 v[134:135], v[144:145], v[120:121]
	v_add_f64 v[142:143], v[140:141], -v[134:135]
	v_add_f64 v[144:145], v[134:135], -v[144:145]
	s_delay_alu instid0(VALU_DEP_2) | instskip(NEXT) | instid1(VALU_DEP_2)
	v_add_f64 v[140:141], v[140:141], -v[142:143]
	v_add_f64 v[120:121], v[144:145], -v[120:121]
	v_frexp_exp_i32_f64_e32 v144, v[132:133]
	s_delay_alu instid0(VALU_DEP_3) | instskip(NEXT) | instid1(VALU_DEP_1)
	v_add_f64 v[134:135], v[140:141], -v[134:135]
	v_add_f64 v[120:121], v[120:121], v[134:135]
	s_delay_alu instid0(VALU_DEP_1) | instskip(NEXT) | instid1(VALU_DEP_1)
	v_add_f64 v[120:121], v[142:143], v[120:121]
	v_mul_f64 v[120:121], v[136:137], v[120:121]
	s_delay_alu instid0(VALU_DEP_1) | instskip(NEXT) | instid1(VALU_DEP_1)
	v_add_f64 v[134:135], v[138:139], v[120:121]
	v_mul_f64 v[136:137], v[134:135], v[134:135]
	s_delay_alu instid0(VALU_DEP_1) | instskip(SKIP_3) | instid1(VALU_DEP_2)
	v_fma_f64 v[140:141], v[136:137], s[70:71], s[66:67]
	s_mov_b32 s66, 0xd7f4df2e
	s_mov_b32 s67, 0x3fc7474d
	v_mul_f64 v[142:143], v[134:135], v[136:137]
	v_fma_f64 v[140:141], v[136:137], v[140:141], s[66:67]
	s_mov_b32 s66, 0x16291751
	s_mov_b32 s67, 0x3fcc71c0
	s_delay_alu instid0(VALU_DEP_1) | instid1(SALU_CYCLE_1)
	v_fma_f64 v[140:141], v[136:137], v[140:141], s[66:67]
	s_mov_b32 s66, 0x9b27acf1
	s_mov_b32 s67, 0x3fd24924
	s_delay_alu instid0(VALU_DEP_1) | instid1(SALU_CYCLE_1)
	;; [unrolled: 4-line block ×3, first 2 shown]
	v_fma_f64 v[140:141], v[136:137], v[140:141], s[66:67]
	s_delay_alu instid0(VALU_DEP_1) | instskip(SKIP_4) | instid1(VALU_DEP_3)
	v_fma_f64 v[136:137], v[136:137], v[140:141], s[64:65]
	v_ldexp_f64 v[140:141], v[134:135], 1
	v_add_f64 v[134:135], v[134:135], -v[138:139]
	s_mov_b32 s64, 0xfefa39ef
	s_mov_b32 s65, 0x3fe62e42
	v_mul_f64 v[136:137], v[142:143], v[136:137]
	v_subrev_co_ci_u32_e64 v142, s18, 0, v144, s18
	s_delay_alu instid0(VALU_DEP_3) | instskip(SKIP_1) | instid1(VALU_DEP_3)
	v_add_f64 v[120:121], v[120:121], -v[134:135]
	v_cmp_class_f64_e64 s18, v[132:133], 0x204
	v_cvt_f64_i32_e32 v[142:143], v142
	v_add_f64 v[138:139], v[140:141], v[136:137]
	s_delay_alu instid0(VALU_DEP_4) | instskip(NEXT) | instid1(VALU_DEP_3)
	v_ldexp_f64 v[120:121], v[120:121], 1
	v_mul_f64 v[144:145], v[142:143], s[64:65]
	s_delay_alu instid0(VALU_DEP_3) | instskip(NEXT) | instid1(VALU_DEP_2)
	v_add_f64 v[134:135], v[138:139], -v[140:141]
	v_fma_f64 v[140:141], v[142:143], s[64:65], -v[144:145]
	s_mov_b32 s64, 0x3b39803f
	s_mov_b32 s65, 0x3c7abc9e
	s_delay_alu instid0(VALU_DEP_2) | instskip(NEXT) | instid1(VALU_DEP_2)
	v_add_f64 v[134:135], v[136:137], -v[134:135]
	v_fma_f64 v[136:137], v[142:143], s[64:65], v[140:141]
	s_delay_alu instid0(VALU_DEP_2) | instskip(NEXT) | instid1(VALU_DEP_2)
	v_add_f64 v[120:121], v[120:121], v[134:135]
	v_add_f64 v[134:135], v[144:145], v[136:137]
	s_delay_alu instid0(VALU_DEP_2) | instskip(NEXT) | instid1(VALU_DEP_2)
	v_add_f64 v[140:141], v[138:139], v[120:121]
	v_add_f64 v[144:145], v[134:135], -v[144:145]
	s_delay_alu instid0(VALU_DEP_2) | instskip(SKIP_1) | instid1(VALU_DEP_3)
	v_add_f64 v[142:143], v[134:135], v[140:141]
	v_add_f64 v[138:139], v[140:141], -v[138:139]
	v_add_f64 v[136:137], v[136:137], -v[144:145]
	s_delay_alu instid0(VALU_DEP_3) | instskip(NEXT) | instid1(VALU_DEP_3)
	v_add_f64 v[146:147], v[142:143], -v[134:135]
	v_add_f64 v[120:121], v[120:121], -v[138:139]
	s_delay_alu instid0(VALU_DEP_2) | instskip(SKIP_1) | instid1(VALU_DEP_3)
	v_add_f64 v[148:149], v[142:143], -v[146:147]
	v_add_f64 v[138:139], v[140:141], -v[146:147]
	v_add_f64 v[140:141], v[136:137], v[120:121]
	s_delay_alu instid0(VALU_DEP_3) | instskip(NEXT) | instid1(VALU_DEP_1)
	v_add_f64 v[134:135], v[134:135], -v[148:149]
	v_add_f64 v[134:135], v[138:139], v[134:135]
	s_delay_alu instid0(VALU_DEP_3) | instskip(NEXT) | instid1(VALU_DEP_2)
	v_add_f64 v[138:139], v[140:141], -v[136:137]
	v_add_f64 v[134:135], v[140:141], v[134:135]
	s_delay_alu instid0(VALU_DEP_2) | instskip(SKIP_1) | instid1(VALU_DEP_3)
	v_add_f64 v[140:141], v[140:141], -v[138:139]
	v_add_f64 v[120:121], v[120:121], -v[138:139]
	v_add_f64 v[144:145], v[142:143], v[134:135]
	s_delay_alu instid0(VALU_DEP_3) | instskip(NEXT) | instid1(VALU_DEP_2)
	v_add_f64 v[136:137], v[136:137], -v[140:141]
	v_add_f64 v[138:139], v[144:145], -v[142:143]
	s_delay_alu instid0(VALU_DEP_2) | instskip(NEXT) | instid1(VALU_DEP_2)
	v_add_f64 v[120:121], v[120:121], v[136:137]
	v_add_f64 v[134:135], v[134:135], -v[138:139]
	s_delay_alu instid0(VALU_DEP_1) | instskip(NEXT) | instid1(VALU_DEP_1)
	v_add_f64 v[120:121], v[120:121], v[134:135]
	v_add_f64 v[120:121], v[144:145], v[120:121]
	s_delay_alu instid0(VALU_DEP_1) | instskip(NEXT) | instid1(VALU_DEP_2)
	v_cndmask_b32_e64 v120, v120, v132, s18
	v_cndmask_b32_e64 v121, v121, v133, s18
	v_cmp_ngt_f64_e64 s18, 0, v[132:133]
	s_delay_alu instid0(VALU_DEP_1) | instskip(SKIP_1) | instid1(VALU_DEP_1)
	v_cndmask_b32_e64 v121, 0x7ff80000, v121, s18
	v_cmp_nge_f64_e64 s18, 0, v[132:133]
	v_cndmask_b32_e64 v120, 0, v120, s18
	v_cmp_neq_f64_e64 s18, 0, v[132:133]
	s_delay_alu instid0(VALU_DEP_1) | instskip(SKIP_1) | instid1(VALU_DEP_1)
	v_cndmask_b32_e64 v121, 0xfff00000, v121, s18
	v_add_co_u32 v0, s18, s68, v0
	v_add_co_ci_u32_e64 v1, s18, s69, v1, s18
	s_delay_alu instid0(VALU_DEP_3)
	v_add_f64 v[2:3], v[2:3], -v[120:121]
	global_store_b64 v[0:1], v[2:3], off
	s_and_b32 exec_lo, exec_lo, vcc_lo
	s_cbranch_execz .LBB23_194
; %bb.131:
	v_add_f64 v[2:3], v[4:5], -v[120:121]
	global_store_b64 v[0:1], v[2:3], off offset:256
	s_and_b32 exec_lo, exec_lo, s0
	s_cbranch_execz .LBB23_194
; %bb.132:
	v_add_f64 v[2:3], v[6:7], -v[120:121]
	global_store_b64 v[0:1], v[2:3], off offset:512
	s_and_b32 exec_lo, exec_lo, s1
	;; [unrolled: 5-line block ×15, first 2 shown]
	s_cbranch_execz .LBB23_194
; %bb.146:
	v_add_f64 v[4:5], v[34:35], -v[120:121]
	v_add_co_u32 v2, vcc_lo, 0x1000, v0
	v_add_co_ci_u32_e32 v3, vcc_lo, 0, v1, vcc_lo
	global_store_b64 v[2:3], v[4:5], off
	s_and_b32 exec_lo, exec_lo, s15
	s_cbranch_execz .LBB23_194
; %bb.147:
	v_add_f64 v[4:5], v[36:37], -v[120:121]
	global_store_b64 v[2:3], v[4:5], off offset:256
	s_and_b32 exec_lo, exec_lo, s16
	s_cbranch_execz .LBB23_194
; %bb.148:
	v_add_f64 v[4:5], v[38:39], -v[120:121]
	global_store_b64 v[2:3], v[4:5], off offset:512
	;; [unrolled: 5-line block ×15, first 2 shown]
	s_and_b32 exec_lo, exec_lo, s31
	s_cbranch_execz .LBB23_194
; %bb.162:
	v_add_f64 v[4:5], v[66:67], -v[120:121]
	v_add_co_u32 v2, vcc_lo, 0x2000, v0
	v_add_co_ci_u32_e32 v3, vcc_lo, 0, v1, vcc_lo
	global_store_b64 v[2:3], v[4:5], off
	s_and_b32 exec_lo, exec_lo, s33
	s_cbranch_execz .LBB23_194
; %bb.163:
	v_add_f64 v[4:5], v[68:69], -v[120:121]
	global_store_b64 v[2:3], v[4:5], off offset:256
	s_and_b32 exec_lo, exec_lo, s34
	s_cbranch_execz .LBB23_194
; %bb.164:
	v_add_f64 v[4:5], v[70:71], -v[120:121]
	global_store_b64 v[2:3], v[4:5], off offset:512
	;; [unrolled: 5-line block ×15, first 2 shown]
	s_and_b32 exec_lo, exec_lo, s48
	s_cbranch_execz .LBB23_194
; %bb.178:
	v_add_f64 v[2:3], v[100:101], -v[120:121]
	v_add_co_u32 v0, vcc_lo, 0x3000, v0
	v_add_co_ci_u32_e32 v1, vcc_lo, 0, v1, vcc_lo
	global_store_b64 v[0:1], v[2:3], off
	s_and_b32 exec_lo, exec_lo, s49
	s_cbranch_execz .LBB23_194
; %bb.179:
	v_add_f64 v[2:3], v[106:107], -v[120:121]
	global_store_b64 v[0:1], v[2:3], off offset:256
	s_and_b32 exec_lo, exec_lo, s50
	s_cbranch_execz .LBB23_194
; %bb.180:
	v_add_f64 v[2:3], v[108:109], -v[120:121]
	global_store_b64 v[0:1], v[2:3], off offset:512
	;; [unrolled: 5-line block ×15, first 2 shown]
.LBB23_194:
	s_nop 0
	s_sendmsg sendmsg(MSG_DEALLOC_VGPRS)
	s_endpgm
	.section	.rodata,"a",@progbits
	.p2align	6, 0x0
	.amdhsa_kernel _ZN12_GLOBAL__N_120softmax_warp_forwardIdddLi11ELb1ELb0ELi32EEEvPT0_PKT_iiiPKbib
		.amdhsa_group_segment_fixed_size 0
		.amdhsa_private_segment_fixed_size 0
		.amdhsa_kernarg_size 304
		.amdhsa_user_sgpr_count 15
		.amdhsa_user_sgpr_dispatch_ptr 0
		.amdhsa_user_sgpr_queue_ptr 0
		.amdhsa_user_sgpr_kernarg_segment_ptr 1
		.amdhsa_user_sgpr_dispatch_id 0
		.amdhsa_user_sgpr_private_segment_size 0
		.amdhsa_wavefront_size32 1
		.amdhsa_uses_dynamic_stack 0
		.amdhsa_enable_private_segment 0
		.amdhsa_system_sgpr_workgroup_id_x 1
		.amdhsa_system_sgpr_workgroup_id_y 0
		.amdhsa_system_sgpr_workgroup_id_z 0
		.amdhsa_system_sgpr_workgroup_info 0
		.amdhsa_system_vgpr_workitem_id 1
		.amdhsa_next_free_vgpr 150
		.amdhsa_next_free_sgpr 94
		.amdhsa_reserve_vcc 1
		.amdhsa_float_round_mode_32 0
		.amdhsa_float_round_mode_16_64 0
		.amdhsa_float_denorm_mode_32 3
		.amdhsa_float_denorm_mode_16_64 3
		.amdhsa_dx10_clamp 1
		.amdhsa_ieee_mode 1
		.amdhsa_fp16_overflow 0
		.amdhsa_workgroup_processor_mode 1
		.amdhsa_memory_ordered 1
		.amdhsa_forward_progress 0
		.amdhsa_shared_vgpr_count 0
		.amdhsa_exception_fp_ieee_invalid_op 0
		.amdhsa_exception_fp_denorm_src 0
		.amdhsa_exception_fp_ieee_div_zero 0
		.amdhsa_exception_fp_ieee_overflow 0
		.amdhsa_exception_fp_ieee_underflow 0
		.amdhsa_exception_fp_ieee_inexact 0
		.amdhsa_exception_int_div_zero 0
	.end_amdhsa_kernel
	.section	.text._ZN12_GLOBAL__N_120softmax_warp_forwardIdddLi11ELb1ELb0ELi32EEEvPT0_PKT_iiiPKbib,"axG",@progbits,_ZN12_GLOBAL__N_120softmax_warp_forwardIdddLi11ELb1ELb0ELi32EEEvPT0_PKT_iiiPKbib,comdat
.Lfunc_end23:
	.size	_ZN12_GLOBAL__N_120softmax_warp_forwardIdddLi11ELb1ELb0ELi32EEEvPT0_PKT_iiiPKbib, .Lfunc_end23-_ZN12_GLOBAL__N_120softmax_warp_forwardIdddLi11ELb1ELb0ELi32EEEvPT0_PKT_iiiPKbib
                                        ; -- End function
	.section	.AMDGPU.csdata,"",@progbits
; Kernel info:
; codeLenInByte = 25404
; NumSgprs: 96
; NumVgprs: 150
; ScratchSize: 0
; MemoryBound: 0
; FloatMode: 240
; IeeeMode: 1
; LDSByteSize: 0 bytes/workgroup (compile time only)
; SGPRBlocks: 11
; VGPRBlocks: 18
; NumSGPRsForWavesPerEU: 96
; NumVGPRsForWavesPerEU: 150
; Occupancy: 9
; WaveLimiterHint : 0
; COMPUTE_PGM_RSRC2:SCRATCH_EN: 0
; COMPUTE_PGM_RSRC2:USER_SGPR: 15
; COMPUTE_PGM_RSRC2:TRAP_HANDLER: 0
; COMPUTE_PGM_RSRC2:TGID_X_EN: 1
; COMPUTE_PGM_RSRC2:TGID_Y_EN: 0
; COMPUTE_PGM_RSRC2:TGID_Z_EN: 0
; COMPUTE_PGM_RSRC2:TIDIG_COMP_CNT: 1
	.section	.text._ZN2at6native12_GLOBAL__N_122cunn_SoftMaxForwardRegIdddNS1_25LogSoftMaxForwardEpilogueElLi1EEEvPT1_PKT_T3_,"axG",@progbits,_ZN2at6native12_GLOBAL__N_122cunn_SoftMaxForwardRegIdddNS1_25LogSoftMaxForwardEpilogueElLi1EEEvPT1_PKT_T3_,comdat
	.globl	_ZN2at6native12_GLOBAL__N_122cunn_SoftMaxForwardRegIdddNS1_25LogSoftMaxForwardEpilogueElLi1EEEvPT1_PKT_T3_ ; -- Begin function _ZN2at6native12_GLOBAL__N_122cunn_SoftMaxForwardRegIdddNS1_25LogSoftMaxForwardEpilogueElLi1EEEvPT1_PKT_T3_
	.p2align	8
	.type	_ZN2at6native12_GLOBAL__N_122cunn_SoftMaxForwardRegIdddNS1_25LogSoftMaxForwardEpilogueElLi1EEEvPT1_PKT_T3_,@function
_ZN2at6native12_GLOBAL__N_122cunn_SoftMaxForwardRegIdddNS1_25LogSoftMaxForwardEpilogueElLi1EEEvPT1_PKT_T3_: ; @_ZN2at6native12_GLOBAL__N_122cunn_SoftMaxForwardRegIdddNS1_25LogSoftMaxForwardEpilogueElLi1EEEvPT1_PKT_T3_
; %bb.0:
	s_clause 0x1
	s_load_b64 s[4:5], s[0:1], 0x10
	s_load_b128 s[8:11], s[0:1], 0x0
	s_mov_b32 s2, -1
	s_mov_b32 s3, 0xffefffff
	s_delay_alu instid0(SALU_CYCLE_1) | instskip(SKIP_3) | instid1(VALU_DEP_3)
	v_dual_mov_b32 v1, 0 :: v_dual_mov_b32 v4, s3
	v_mov_b32_e32 v3, s2
	v_lshlrev_b32_e32 v7, 3, v0
	s_waitcnt lgkmcnt(0)
	v_cmp_gt_i64_e32 vcc_lo, s[4:5], v[0:1]
	s_mul_i32 s6, s15, s5
	s_mul_hi_u32 s7, s15, s4
                                        ; implicit-def: $vgpr1_vgpr2
	s_delay_alu instid0(SALU_CYCLE_1)
	s_add_i32 s7, s7, s6
	s_mul_i32 s6, s15, s4
	s_and_saveexec_b32 s4, vcc_lo
	s_cbranch_execz .LBB24_2
; %bb.1:
	s_lshl_b64 s[12:13], s[6:7], 3
	s_delay_alu instid0(SALU_CYCLE_1) | instskip(SKIP_4) | instid1(VALU_DEP_1)
	s_add_u32 s10, s10, s12
	s_addc_u32 s11, s11, s13
	global_load_b64 v[1:2], v7, s[10:11]
	s_waitcnt vmcnt(0)
	v_max_f64 v[3:4], v[1:2], v[1:2]
	v_max_f64 v[3:4], v[3:4], s[2:3]
.LBB24_2:
	s_or_b32 exec_lo, exec_lo, s4
	v_mbcnt_lo_u32_b32 v12, -1, 0
	v_and_b32_e32 v14, 31, v0
	v_lshrrev_b32_e32 v13, 2, v0
	s_barrier
	s_delay_alu instid0(VALU_DEP_3)
	v_cmp_gt_u32_e64 s2, 16, v12
	v_cmp_gt_u32_e64 s3, 24, v12
	buffer_gl0_inv
	v_cndmask_b32_e64 v5, 0, 1, s2
	v_cndmask_b32_e64 v9, 0, 1, s3
	v_cmp_gt_u32_e64 s3, 28, v12
	s_delay_alu instid0(VALU_DEP_3) | instskip(NEXT) | instid1(VALU_DEP_3)
	v_lshlrev_b32_e32 v5, 4, v5
	v_lshlrev_b32_e32 v9, 3, v9
	s_delay_alu instid0(VALU_DEP_3) | instskip(SKIP_1) | instid1(VALU_DEP_4)
	v_cndmask_b32_e64 v10, 0, 1, s3
	v_cmp_gt_u32_e64 s3, 30, v12
	v_add_lshl_u32 v8, v5, v12, 2
	s_delay_alu instid0(VALU_DEP_4) | instskip(NEXT) | instid1(VALU_DEP_4)
	v_add_lshl_u32 v9, v9, v12, 2
	v_lshlrev_b32_e32 v10, 2, v10
	s_delay_alu instid0(VALU_DEP_4)
	v_cndmask_b32_e64 v11, 0, 1, s3
	v_cmp_ne_u32_e64 s3, 31, v12
	ds_bpermute_b32 v5, v8, v3
	ds_bpermute_b32 v6, v8, v4
	v_add_lshl_u32 v10, v10, v12, 2
	v_lshlrev_b32_e32 v11, 1, v11
	s_delay_alu instid0(VALU_DEP_1) | instskip(SKIP_1) | instid1(VALU_DEP_1)
	v_add_lshl_u32 v11, v11, v12, 2
	v_add_co_ci_u32_e64 v12, s3, 0, v12, s3
	v_lshlrev_b32_e32 v12, 2, v12
	s_waitcnt lgkmcnt(0)
	v_cmp_lt_f64_e64 s2, v[3:4], v[5:6]
	s_delay_alu instid0(VALU_DEP_1)
	v_cndmask_b32_e64 v4, v4, v6, s2
	v_cndmask_b32_e64 v3, v3, v5, s2
	ds_bpermute_b32 v6, v9, v4
	ds_bpermute_b32 v5, v9, v3
	s_waitcnt lgkmcnt(0)
	v_cmp_lt_f64_e64 s2, v[3:4], v[5:6]
	s_delay_alu instid0(VALU_DEP_1)
	v_cndmask_b32_e64 v4, v4, v6, s2
	v_cndmask_b32_e64 v3, v3, v5, s2
	ds_bpermute_b32 v6, v10, v4
	ds_bpermute_b32 v5, v10, v3
	s_waitcnt lgkmcnt(0)
	v_cmp_lt_f64_e64 s2, v[3:4], v[5:6]
	s_delay_alu instid0(VALU_DEP_1)
	v_cndmask_b32_e64 v4, v4, v6, s2
	v_cndmask_b32_e64 v3, v3, v5, s2
	ds_bpermute_b32 v6, v11, v4
	ds_bpermute_b32 v5, v11, v3
	s_waitcnt lgkmcnt(0)
	v_cmp_lt_f64_e64 s2, v[3:4], v[5:6]
	s_delay_alu instid0(VALU_DEP_1)
	v_cndmask_b32_e64 v4, v4, v6, s2
	v_cndmask_b32_e64 v3, v3, v5, s2
	v_cmp_eq_u32_e64 s2, 0, v14
	ds_bpermute_b32 v6, v12, v4
	ds_bpermute_b32 v5, v12, v3
	s_and_saveexec_b32 s3, s2
	s_delay_alu instid0(SALU_CYCLE_1)
	s_xor_b32 s4, exec_lo, s3
	s_cbranch_execz .LBB24_4
; %bb.3:
	s_waitcnt lgkmcnt(0)
	v_cmp_lt_f64_e64 s3, v[3:4], v[5:6]
	v_add_nc_u32_e32 v15, 0, v13
	s_delay_alu instid0(VALU_DEP_2)
	v_cndmask_b32_e64 v4, v4, v6, s3
	v_cndmask_b32_e64 v3, v3, v5, s3
	ds_store_b64 v15, v[3:4]
.LBB24_4:
	s_or_b32 exec_lo, exec_lo, s4
	s_waitcnt lgkmcnt(0)
	s_barrier
	buffer_gl0_inv
	s_load_b32 s3, s[0:1], 0x24
	s_mov_b32 s0, -1
	s_mov_b32 s1, 0xffefffff
	v_lshl_add_u32 v6, v14, 3, 0
	v_dual_mov_b32 v4, s1 :: v_dual_mov_b32 v3, s0
	s_waitcnt lgkmcnt(0)
	s_bfe_u32 s3, s3, 0xb0005
	s_delay_alu instid0(SALU_CYCLE_1) | instskip(NEXT) | instid1(VALU_DEP_1)
	v_cmp_gt_u32_e64 s0, s3, v0
	s_and_saveexec_b32 s1, s0
	s_cbranch_execnz .LBB24_17
; %bb.5:
	s_or_b32 exec_lo, exec_lo, s1
	v_cmp_gt_u32_e64 s1, 32, v0
	s_delay_alu instid0(VALU_DEP_1)
	s_and_saveexec_b32 s4, s1
	s_cbranch_execnz .LBB24_18
.LBB24_6:
	s_or_b32 exec_lo, exec_lo, s4
	v_cmp_eq_u32_e64 s3, 0, v0
	s_delay_alu instid0(VALU_DEP_1)
	s_and_saveexec_b32 s4, s3
	s_cbranch_execz .LBB24_8
.LBB24_7:
	v_mov_b32_e32 v0, 0
	s_waitcnt lgkmcnt(0)
	ds_store_b64 v0, v[3:4]
.LBB24_8:
	s_or_b32 exec_lo, exec_lo, s4
	v_mov_b32_e32 v0, 0
	s_waitcnt lgkmcnt(0)
	s_barrier
	buffer_gl0_inv
	s_mov_b32 s4, 0x652b82fe
	ds_load_b64 v[3:4], v0
	s_mov_b32 s5, 0x3ff71547
	s_mov_b32 s10, 0x6a5dcb37
	s_mov_b32 s11, 0x3e5ade15
	s_waitcnt lgkmcnt(0)
	s_barrier
	buffer_gl0_inv
	v_add_f64 v[0:1], v[1:2], -v[3:4]
	s_delay_alu instid0(VALU_DEP_1) | instskip(SKIP_2) | instid1(VALU_DEP_1)
	v_mul_f64 v[2:3], v[0:1], s[4:5]
	s_mov_b32 s4, 0xfefa39ef
	s_mov_b32 s5, 0xbfe62e42
	v_rndne_f64_e32 v[2:3], v[2:3]
	s_delay_alu instid0(VALU_DEP_1) | instskip(SKIP_3) | instid1(VALU_DEP_2)
	v_fma_f64 v[4:5], v[2:3], s[4:5], v[0:1]
	s_mov_b32 s4, 0x3b39803f
	s_mov_b32 s5, 0xbc7abc9e
	v_cvt_i32_f64_e32 v16, v[2:3]
	v_fma_f64 v[4:5], v[2:3], s[4:5], v[4:5]
	s_mov_b32 s4, 0xfca7ab0c
	s_mov_b32 s5, 0x3e928af3
	s_delay_alu instid0(VALU_DEP_1) | instid1(SALU_CYCLE_1)
	v_fma_f64 v[14:15], v[4:5], s[10:11], s[4:5]
	s_mov_b32 s4, 0x623fde64
	s_mov_b32 s5, 0x3ec71dee
	s_delay_alu instid0(VALU_DEP_1) | instid1(SALU_CYCLE_1)
	;; [unrolled: 4-line block ×9, first 2 shown]
	v_fma_f64 v[14:15], v[4:5], v[14:15], s[4:5]
	v_cmp_nlt_f64_e64 s5, 0x40900000, v[0:1]
	v_cmp_ngt_f64_e64 s4, 0xc090cc00, v[0:1]
	s_delay_alu instid0(VALU_DEP_3) | instskip(NEXT) | instid1(VALU_DEP_2)
	v_fma_f64 v[14:15], v[4:5], v[14:15], 1.0
	s_and_b32 s4, vcc_lo, s4
	s_delay_alu instid0(VALU_DEP_1) | instskip(NEXT) | instid1(VALU_DEP_1)
	v_fma_f64 v[2:3], v[4:5], v[14:15], 1.0
	v_ldexp_f64 v[2:3], v[2:3], v16
	s_delay_alu instid0(VALU_DEP_1) | instskip(NEXT) | instid1(VALU_DEP_1)
	v_add_f64 v[2:3], v[2:3], 0
	v_cndmask_b32_e64 v3, 0x7ff00000, v3, s5
	s_delay_alu instid0(VALU_DEP_1)
	v_cndmask_b32_e64 v3, 0, v3, s4
	s_and_b32 s4, s4, s5
	s_delay_alu instid0(VALU_DEP_3) | instid1(SALU_CYCLE_1)
	v_cndmask_b32_e64 v2, 0, v2, s4
	ds_bpermute_b32 v5, v8, v3
	ds_bpermute_b32 v4, v8, v2
	s_waitcnt lgkmcnt(0)
	v_add_f64 v[2:3], v[2:3], v[4:5]
	ds_bpermute_b32 v4, v9, v2
	ds_bpermute_b32 v5, v9, v3
	s_waitcnt lgkmcnt(0)
	v_add_f64 v[2:3], v[2:3], v[4:5]
	ds_bpermute_b32 v4, v10, v2
	ds_bpermute_b32 v5, v10, v3
	s_waitcnt lgkmcnt(0)
	v_add_f64 v[2:3], v[2:3], v[4:5]
	ds_bpermute_b32 v4, v11, v2
	ds_bpermute_b32 v5, v11, v3
	s_waitcnt lgkmcnt(0)
	v_add_f64 v[2:3], v[2:3], v[4:5]
	ds_bpermute_b32 v4, v12, v2
	ds_bpermute_b32 v5, v12, v3
	s_and_saveexec_b32 s4, s2
	s_cbranch_execz .LBB24_10
; %bb.9:
	s_waitcnt lgkmcnt(0)
	v_add_f64 v[2:3], v[2:3], v[4:5]
	v_add_nc_u32_e32 v4, 0, v13
	ds_store_b64 v4, v[2:3]
.LBB24_10:
	s_or_b32 exec_lo, exec_lo, s4
	v_mov_b32_e32 v2, 0
	v_mov_b32_e32 v3, 0
	s_waitcnt lgkmcnt(0)
	s_barrier
	buffer_gl0_inv
	s_and_saveexec_b32 s2, s0
	s_cbranch_execnz .LBB24_19
; %bb.11:
	s_or_b32 exec_lo, exec_lo, s2
	s_and_saveexec_b32 s0, s1
	s_cbranch_execnz .LBB24_20
.LBB24_12:
	s_or_b32 exec_lo, exec_lo, s0
	s_and_saveexec_b32 s0, s3
	s_cbranch_execz .LBB24_14
.LBB24_13:
	v_mov_b32_e32 v4, 0
	s_waitcnt lgkmcnt(0)
	ds_store_b64 v4, v[2:3]
.LBB24_14:
	s_or_b32 exec_lo, exec_lo, s0
	s_waitcnt lgkmcnt(0)
	s_barrier
	buffer_gl0_inv
	s_and_saveexec_b32 s0, vcc_lo
	s_cbranch_execz .LBB24_16
; %bb.15:
	v_mov_b32_e32 v2, 0
	s_mov_b32 s1, 0x3fe55555
	s_mov_b32 s0, 0x55555555
	s_lshl_b64 s[2:3], s[6:7], 3
	s_mov_b32 s4, 0
	ds_load_b64 v[2:3], v2
	s_add_u32 s2, s8, s2
	s_addc_u32 s3, s9, s3
	s_mov_b32 s6, 0xbf559e2b
	s_mov_b32 s7, 0x3fc3ab76
	s_waitcnt lgkmcnt(0)
	v_frexp_mant_f64_e32 v[4:5], v[2:3]
	v_frexp_exp_i32_f64_e32 v6, v[2:3]
	s_delay_alu instid0(VALU_DEP_2) | instskip(SKIP_2) | instid1(VALU_DEP_2)
	v_cmp_gt_f64_e32 vcc_lo, s[0:1], v[4:5]
	s_and_b32 s0, vcc_lo, exec_lo
	s_cselect_b32 s5, 2.0, 0x3ff00000
	v_subrev_co_ci_u32_e64 v6, s0, 0, v6, vcc_lo
	v_mul_f64 v[4:5], v[4:5], s[4:5]
	s_mov_b32 s4, 0x6b47b09a
	s_mov_b32 s5, 0x3fc38538
	;; [unrolled: 1-line block ×3, first 2 shown]
	v_cmp_class_f64_e64 vcc_lo, v[2:3], 0x204
	s_delay_alu instid0(VALU_DEP_2) | instskip(SKIP_1) | instid1(VALU_DEP_2)
	v_add_f64 v[8:9], v[4:5], 1.0
	v_add_f64 v[14:15], v[4:5], -1.0
	v_rcp_f64_e32 v[10:11], v[8:9]
	v_add_f64 v[16:17], v[8:9], -1.0
	s_delay_alu instid0(VALU_DEP_1) | instskip(SKIP_2) | instid1(VALU_DEP_1)
	v_add_f64 v[4:5], v[4:5], -v[16:17]
	s_waitcnt_depctr 0xfff
	v_fma_f64 v[12:13], -v[8:9], v[10:11], 1.0
	v_fma_f64 v[10:11], v[12:13], v[10:11], v[10:11]
	s_delay_alu instid0(VALU_DEP_1) | instskip(NEXT) | instid1(VALU_DEP_1)
	v_fma_f64 v[12:13], -v[8:9], v[10:11], 1.0
	v_fma_f64 v[10:11], v[12:13], v[10:11], v[10:11]
	s_delay_alu instid0(VALU_DEP_1) | instskip(NEXT) | instid1(VALU_DEP_1)
	v_mul_f64 v[12:13], v[14:15], v[10:11]
	v_mul_f64 v[18:19], v[8:9], v[12:13]
	s_delay_alu instid0(VALU_DEP_1) | instskip(NEXT) | instid1(VALU_DEP_1)
	v_fma_f64 v[8:9], v[12:13], v[8:9], -v[18:19]
	v_fma_f64 v[4:5], v[12:13], v[4:5], v[8:9]
	s_delay_alu instid0(VALU_DEP_1) | instskip(NEXT) | instid1(VALU_DEP_1)
	v_add_f64 v[8:9], v[18:19], v[4:5]
	v_add_f64 v[16:17], v[14:15], -v[8:9]
	v_add_f64 v[18:19], v[8:9], -v[18:19]
	s_delay_alu instid0(VALU_DEP_2) | instskip(NEXT) | instid1(VALU_DEP_2)
	v_add_f64 v[14:15], v[14:15], -v[16:17]
	v_add_f64 v[4:5], v[18:19], -v[4:5]
	s_delay_alu instid0(VALU_DEP_2) | instskip(NEXT) | instid1(VALU_DEP_1)
	v_add_f64 v[8:9], v[14:15], -v[8:9]
	v_add_f64 v[4:5], v[4:5], v[8:9]
	s_delay_alu instid0(VALU_DEP_1) | instskip(NEXT) | instid1(VALU_DEP_1)
	v_add_f64 v[4:5], v[16:17], v[4:5]
	v_mul_f64 v[4:5], v[10:11], v[4:5]
	s_delay_alu instid0(VALU_DEP_1) | instskip(NEXT) | instid1(VALU_DEP_1)
	v_add_f64 v[8:9], v[12:13], v[4:5]
	v_mul_f64 v[10:11], v[8:9], v[8:9]
	s_delay_alu instid0(VALU_DEP_1) | instskip(SKIP_3) | instid1(VALU_DEP_2)
	v_fma_f64 v[14:15], v[10:11], s[6:7], s[4:5]
	s_mov_b32 s4, 0xd7f4df2e
	s_mov_b32 s5, 0x3fc7474d
	v_mul_f64 v[16:17], v[8:9], v[10:11]
	v_fma_f64 v[14:15], v[10:11], v[14:15], s[4:5]
	s_mov_b32 s4, 0x16291751
	s_mov_b32 s5, 0x3fcc71c0
	s_delay_alu instid0(VALU_DEP_1) | instid1(SALU_CYCLE_1)
	v_fma_f64 v[14:15], v[10:11], v[14:15], s[4:5]
	s_mov_b32 s4, 0x9b27acf1
	s_mov_b32 s5, 0x3fd24924
	s_delay_alu instid0(VALU_DEP_1) | instid1(SALU_CYCLE_1)
	;; [unrolled: 4-line block ×3, first 2 shown]
	v_fma_f64 v[14:15], v[10:11], v[14:15], s[4:5]
	s_delay_alu instid0(VALU_DEP_1) | instskip(SKIP_4) | instid1(VALU_DEP_3)
	v_fma_f64 v[10:11], v[10:11], v[14:15], s[0:1]
	v_ldexp_f64 v[14:15], v[8:9], 1
	v_add_f64 v[8:9], v[8:9], -v[12:13]
	s_mov_b32 s0, 0xfefa39ef
	s_mov_b32 s1, 0x3fe62e42
	v_mul_f64 v[10:11], v[16:17], v[10:11]
	v_cvt_f64_i32_e32 v[16:17], v6
	s_delay_alu instid0(VALU_DEP_3) | instskip(NEXT) | instid1(VALU_DEP_3)
	v_add_f64 v[4:5], v[4:5], -v[8:9]
	v_add_f64 v[12:13], v[14:15], v[10:11]
	s_delay_alu instid0(VALU_DEP_3) | instskip(NEXT) | instid1(VALU_DEP_3)
	v_mul_f64 v[18:19], v[16:17], s[0:1]
	v_ldexp_f64 v[4:5], v[4:5], 1
	s_delay_alu instid0(VALU_DEP_3) | instskip(NEXT) | instid1(VALU_DEP_3)
	v_add_f64 v[8:9], v[12:13], -v[14:15]
	v_fma_f64 v[14:15], v[16:17], s[0:1], -v[18:19]
	s_mov_b32 s0, 0x3b39803f
	s_mov_b32 s1, 0x3c7abc9e
	s_delay_alu instid0(VALU_DEP_2) | instskip(NEXT) | instid1(VALU_DEP_2)
	v_add_f64 v[8:9], v[10:11], -v[8:9]
	v_fma_f64 v[10:11], v[16:17], s[0:1], v[14:15]
	s_delay_alu instid0(VALU_DEP_2) | instskip(NEXT) | instid1(VALU_DEP_2)
	v_add_f64 v[4:5], v[4:5], v[8:9]
	v_add_f64 v[8:9], v[18:19], v[10:11]
	s_delay_alu instid0(VALU_DEP_2) | instskip(NEXT) | instid1(VALU_DEP_2)
	v_add_f64 v[14:15], v[12:13], v[4:5]
	v_add_f64 v[18:19], v[8:9], -v[18:19]
	s_delay_alu instid0(VALU_DEP_2) | instskip(SKIP_1) | instid1(VALU_DEP_3)
	v_add_f64 v[16:17], v[8:9], v[14:15]
	v_add_f64 v[12:13], v[14:15], -v[12:13]
	v_add_f64 v[10:11], v[10:11], -v[18:19]
	s_delay_alu instid0(VALU_DEP_3) | instskip(NEXT) | instid1(VALU_DEP_3)
	v_add_f64 v[20:21], v[16:17], -v[8:9]
	v_add_f64 v[4:5], v[4:5], -v[12:13]
	s_delay_alu instid0(VALU_DEP_2) | instskip(SKIP_1) | instid1(VALU_DEP_3)
	v_add_f64 v[22:23], v[16:17], -v[20:21]
	v_add_f64 v[12:13], v[14:15], -v[20:21]
	v_add_f64 v[14:15], v[10:11], v[4:5]
	s_delay_alu instid0(VALU_DEP_3) | instskip(NEXT) | instid1(VALU_DEP_1)
	v_add_f64 v[8:9], v[8:9], -v[22:23]
	v_add_f64 v[8:9], v[12:13], v[8:9]
	s_delay_alu instid0(VALU_DEP_3) | instskip(NEXT) | instid1(VALU_DEP_2)
	v_add_f64 v[12:13], v[14:15], -v[10:11]
	v_add_f64 v[8:9], v[14:15], v[8:9]
	s_delay_alu instid0(VALU_DEP_2) | instskip(SKIP_1) | instid1(VALU_DEP_3)
	v_add_f64 v[14:15], v[14:15], -v[12:13]
	v_add_f64 v[4:5], v[4:5], -v[12:13]
	v_add_f64 v[18:19], v[16:17], v[8:9]
	s_delay_alu instid0(VALU_DEP_3) | instskip(NEXT) | instid1(VALU_DEP_2)
	v_add_f64 v[10:11], v[10:11], -v[14:15]
	v_add_f64 v[12:13], v[18:19], -v[16:17]
	s_delay_alu instid0(VALU_DEP_2) | instskip(NEXT) | instid1(VALU_DEP_2)
	v_add_f64 v[4:5], v[4:5], v[10:11]
	v_add_f64 v[8:9], v[8:9], -v[12:13]
	s_delay_alu instid0(VALU_DEP_1) | instskip(NEXT) | instid1(VALU_DEP_1)
	v_add_f64 v[4:5], v[4:5], v[8:9]
	v_add_f64 v[4:5], v[18:19], v[4:5]
	s_delay_alu instid0(VALU_DEP_1) | instskip(SKIP_1) | instid1(VALU_DEP_2)
	v_dual_cndmask_b32 v5, v5, v3 :: v_dual_cndmask_b32 v4, v4, v2
	v_cmp_ngt_f64_e32 vcc_lo, 0, v[2:3]
	v_cndmask_b32_e32 v5, 0x7ff80000, v5, vcc_lo
	v_cmp_nge_f64_e32 vcc_lo, 0, v[2:3]
	s_delay_alu instid0(VALU_DEP_4) | instskip(SKIP_1) | instid1(VALU_DEP_4)
	v_cndmask_b32_e32 v4, 0, v4, vcc_lo
	v_cmp_neq_f64_e32 vcc_lo, 0, v[2:3]
	v_cndmask_b32_e32 v5, 0xfff00000, v5, vcc_lo
	s_delay_alu instid0(VALU_DEP_1)
	v_add_f64 v[0:1], v[0:1], -v[4:5]
	global_store_b64 v7, v[0:1], s[2:3]
.LBB24_16:
	s_nop 0
	s_sendmsg sendmsg(MSG_DEALLOC_VGPRS)
	s_endpgm
.LBB24_17:
	ds_load_b64 v[3:4], v6
	s_or_b32 exec_lo, exec_lo, s1
	v_cmp_gt_u32_e64 s1, 32, v0
	s_delay_alu instid0(VALU_DEP_1)
	s_and_saveexec_b32 s4, s1
	s_cbranch_execz .LBB24_6
.LBB24_18:
	s_waitcnt lgkmcnt(0)
	ds_bpermute_b32 v14, v8, v3
	ds_bpermute_b32 v15, v8, v4
	s_waitcnt lgkmcnt(0)
	v_cmp_lt_f64_e64 s3, v[3:4], v[14:15]
	s_delay_alu instid0(VALU_DEP_1)
	v_cndmask_b32_e64 v4, v4, v15, s3
	v_cndmask_b32_e64 v3, v3, v14, s3
	ds_bpermute_b32 v15, v9, v4
	ds_bpermute_b32 v14, v9, v3
	s_waitcnt lgkmcnt(0)
	v_cmp_lt_f64_e64 s3, v[3:4], v[14:15]
	s_delay_alu instid0(VALU_DEP_1)
	v_cndmask_b32_e64 v4, v4, v15, s3
	v_cndmask_b32_e64 v3, v3, v14, s3
	;; [unrolled: 7-line block ×4, first 2 shown]
	ds_bpermute_b32 v15, v12, v4
	ds_bpermute_b32 v14, v12, v3
	s_waitcnt lgkmcnt(0)
	v_cmp_lt_f64_e64 s3, v[3:4], v[14:15]
	s_delay_alu instid0(VALU_DEP_1) | instskip(SKIP_3) | instid1(VALU_DEP_1)
	v_cndmask_b32_e64 v4, v4, v15, s3
	v_cndmask_b32_e64 v3, v3, v14, s3
	s_or_b32 exec_lo, exec_lo, s4
	v_cmp_eq_u32_e64 s3, 0, v0
	s_and_saveexec_b32 s4, s3
	s_cbranch_execnz .LBB24_7
	s_branch .LBB24_8
.LBB24_19:
	ds_load_b64 v[2:3], v6
	s_or_b32 exec_lo, exec_lo, s2
	s_and_saveexec_b32 s0, s1
	s_cbranch_execz .LBB24_12
.LBB24_20:
	s_waitcnt lgkmcnt(0)
	ds_bpermute_b32 v4, v8, v2
	ds_bpermute_b32 v5, v8, v3
	s_waitcnt lgkmcnt(0)
	v_add_f64 v[2:3], v[2:3], v[4:5]
	ds_bpermute_b32 v4, v9, v2
	ds_bpermute_b32 v5, v9, v3
	s_waitcnt lgkmcnt(0)
	v_add_f64 v[2:3], v[2:3], v[4:5]
	;; [unrolled: 4-line block ×5, first 2 shown]
	s_or_b32 exec_lo, exec_lo, s0
	s_and_saveexec_b32 s0, s3
	s_cbranch_execnz .LBB24_13
	s_branch .LBB24_14
	.section	.rodata,"a",@progbits
	.p2align	6, 0x0
	.amdhsa_kernel _ZN2at6native12_GLOBAL__N_122cunn_SoftMaxForwardRegIdddNS1_25LogSoftMaxForwardEpilogueElLi1EEEvPT1_PKT_T3_
		.amdhsa_group_segment_fixed_size 0
		.amdhsa_private_segment_fixed_size 0
		.amdhsa_kernarg_size 280
		.amdhsa_user_sgpr_count 15
		.amdhsa_user_sgpr_dispatch_ptr 0
		.amdhsa_user_sgpr_queue_ptr 0
		.amdhsa_user_sgpr_kernarg_segment_ptr 1
		.amdhsa_user_sgpr_dispatch_id 0
		.amdhsa_user_sgpr_private_segment_size 0
		.amdhsa_wavefront_size32 1
		.amdhsa_uses_dynamic_stack 0
		.amdhsa_enable_private_segment 0
		.amdhsa_system_sgpr_workgroup_id_x 1
		.amdhsa_system_sgpr_workgroup_id_y 0
		.amdhsa_system_sgpr_workgroup_id_z 0
		.amdhsa_system_sgpr_workgroup_info 0
		.amdhsa_system_vgpr_workitem_id 0
		.amdhsa_next_free_vgpr 24
		.amdhsa_next_free_sgpr 16
		.amdhsa_reserve_vcc 1
		.amdhsa_float_round_mode_32 0
		.amdhsa_float_round_mode_16_64 0
		.amdhsa_float_denorm_mode_32 3
		.amdhsa_float_denorm_mode_16_64 3
		.amdhsa_dx10_clamp 1
		.amdhsa_ieee_mode 1
		.amdhsa_fp16_overflow 0
		.amdhsa_workgroup_processor_mode 1
		.amdhsa_memory_ordered 1
		.amdhsa_forward_progress 0
		.amdhsa_shared_vgpr_count 0
		.amdhsa_exception_fp_ieee_invalid_op 0
		.amdhsa_exception_fp_denorm_src 0
		.amdhsa_exception_fp_ieee_div_zero 0
		.amdhsa_exception_fp_ieee_overflow 0
		.amdhsa_exception_fp_ieee_underflow 0
		.amdhsa_exception_fp_ieee_inexact 0
		.amdhsa_exception_int_div_zero 0
	.end_amdhsa_kernel
	.section	.text._ZN2at6native12_GLOBAL__N_122cunn_SoftMaxForwardRegIdddNS1_25LogSoftMaxForwardEpilogueElLi1EEEvPT1_PKT_T3_,"axG",@progbits,_ZN2at6native12_GLOBAL__N_122cunn_SoftMaxForwardRegIdddNS1_25LogSoftMaxForwardEpilogueElLi1EEEvPT1_PKT_T3_,comdat
.Lfunc_end24:
	.size	_ZN2at6native12_GLOBAL__N_122cunn_SoftMaxForwardRegIdddNS1_25LogSoftMaxForwardEpilogueElLi1EEEvPT1_PKT_T3_, .Lfunc_end24-_ZN2at6native12_GLOBAL__N_122cunn_SoftMaxForwardRegIdddNS1_25LogSoftMaxForwardEpilogueElLi1EEEvPT1_PKT_T3_
                                        ; -- End function
	.section	.AMDGPU.csdata,"",@progbits
; Kernel info:
; codeLenInByte = 2992
; NumSgprs: 18
; NumVgprs: 24
; ScratchSize: 0
; MemoryBound: 0
; FloatMode: 240
; IeeeMode: 1
; LDSByteSize: 0 bytes/workgroup (compile time only)
; SGPRBlocks: 2
; VGPRBlocks: 2
; NumSGPRsForWavesPerEU: 18
; NumVGPRsForWavesPerEU: 24
; Occupancy: 16
; WaveLimiterHint : 0
; COMPUTE_PGM_RSRC2:SCRATCH_EN: 0
; COMPUTE_PGM_RSRC2:USER_SGPR: 15
; COMPUTE_PGM_RSRC2:TRAP_HANDLER: 0
; COMPUTE_PGM_RSRC2:TGID_X_EN: 1
; COMPUTE_PGM_RSRC2:TGID_Y_EN: 0
; COMPUTE_PGM_RSRC2:TGID_Z_EN: 0
; COMPUTE_PGM_RSRC2:TIDIG_COMP_CNT: 0
	.section	.text._ZN2at6native12_GLOBAL__N_122cunn_SoftMaxForwardRegIdddNS1_25LogSoftMaxForwardEpilogueElLi2EEEvPT1_PKT_T3_,"axG",@progbits,_ZN2at6native12_GLOBAL__N_122cunn_SoftMaxForwardRegIdddNS1_25LogSoftMaxForwardEpilogueElLi2EEEvPT1_PKT_T3_,comdat
	.globl	_ZN2at6native12_GLOBAL__N_122cunn_SoftMaxForwardRegIdddNS1_25LogSoftMaxForwardEpilogueElLi2EEEvPT1_PKT_T3_ ; -- Begin function _ZN2at6native12_GLOBAL__N_122cunn_SoftMaxForwardRegIdddNS1_25LogSoftMaxForwardEpilogueElLi2EEEvPT1_PKT_T3_
	.p2align	8
	.type	_ZN2at6native12_GLOBAL__N_122cunn_SoftMaxForwardRegIdddNS1_25LogSoftMaxForwardEpilogueElLi2EEEvPT1_PKT_T3_,@function
_ZN2at6native12_GLOBAL__N_122cunn_SoftMaxForwardRegIdddNS1_25LogSoftMaxForwardEpilogueElLi2EEEvPT1_PKT_T3_: ; @_ZN2at6native12_GLOBAL__N_122cunn_SoftMaxForwardRegIdddNS1_25LogSoftMaxForwardEpilogueElLi2EEEvPT1_PKT_T3_
; %bb.0:
	s_clause 0x2
	s_load_b64 s[2:3], s[0:1], 0x10
	s_load_b128 s[8:11], s[0:1], 0x0
	s_load_b32 s6, s[0:1], 0x24
	s_mov_b32 s0, -1
	s_mov_b32 s1, 0xffefffff
	v_mov_b32_e32 v1, 0
	v_dual_mov_b32 v7, s1 :: v_dual_lshlrev_b32 v10, 3, v0
	v_mov_b32_e32 v6, s0
                                        ; implicit-def: $vgpr2_vgpr3_vgpr4_vgpr5
	s_waitcnt lgkmcnt(0)
	s_mul_i32 s5, s15, s3
	s_mul_hi_u32 s7, s15, s2
	s_mul_i32 s4, s15, s2
	s_add_i32 s5, s7, s5
	v_cmp_gt_i64_e32 vcc_lo, s[2:3], v[0:1]
	s_lshl_b64 s[12:13], s[4:5], 3
	s_delay_alu instid0(SALU_CYCLE_1)
	s_add_u32 s4, s10, s12
	s_addc_u32 s5, s11, s13
	s_and_saveexec_b32 s7, vcc_lo
	s_cbranch_execz .LBB25_2
; %bb.1:
	global_load_b64 v[2:3], v10, s[4:5]
	s_waitcnt vmcnt(0)
	v_max_f64 v[4:5], v[2:3], v[2:3]
	s_delay_alu instid0(VALU_DEP_1)
	v_max_f64 v[6:7], v[4:5], s[0:1]
.LBB25_2:
	s_or_b32 exec_lo, exec_lo, s7
	s_and_b32 s6, 0xffff, s6
	s_delay_alu instid0(SALU_CYCLE_1) | instskip(NEXT) | instid1(VALU_DEP_1)
	v_dual_mov_b32 v9, v1 :: v_dual_add_nc_u32 v8, s6, v0
	v_cmp_gt_i64_e64 s0, s[2:3], v[8:9]
	v_lshlrev_b32_e32 v11, 3, v8
	s_delay_alu instid0(VALU_DEP_2)
	s_and_saveexec_b32 s1, s0
	s_cbranch_execz .LBB25_4
; %bb.3:
	global_load_b64 v[4:5], v11, s[4:5]
	v_max_f64 v[6:7], v[6:7], v[6:7]
	s_waitcnt vmcnt(0)
	v_max_f64 v[8:9], v[4:5], v[4:5]
	s_delay_alu instid0(VALU_DEP_1)
	v_max_f64 v[6:7], v[6:7], v[8:9]
.LBB25_4:
	s_or_b32 exec_lo, exec_lo, s1
	v_mbcnt_lo_u32_b32 v1, -1, 0
	v_lshrrev_b32_e32 v17, 2, v0
	s_mov_b32 s4, -1
	s_barrier
	s_delay_alu instid0(VALU_DEP_2)
	v_cmp_gt_u32_e64 s1, 16, v1
	v_cmp_gt_u32_e64 s2, 24, v1
	buffer_gl0_inv
	v_cndmask_b32_e64 v8, 0, 1, s1
	v_cndmask_b32_e64 v13, 0, 1, s2
	v_cmp_gt_u32_e64 s2, 28, v1
	s_delay_alu instid0(VALU_DEP_3) | instskip(NEXT) | instid1(VALU_DEP_3)
	v_lshlrev_b32_e32 v8, 4, v8
	v_lshlrev_b32_e32 v13, 3, v13
	s_delay_alu instid0(VALU_DEP_3) | instskip(SKIP_1) | instid1(VALU_DEP_4)
	v_cndmask_b32_e64 v14, 0, 1, s2
	v_cmp_gt_u32_e64 s2, 30, v1
	v_add_lshl_u32 v12, v8, v1, 2
	s_delay_alu instid0(VALU_DEP_4) | instskip(NEXT) | instid1(VALU_DEP_4)
	v_add_lshl_u32 v13, v13, v1, 2
	v_lshlrev_b32_e32 v14, 2, v14
	s_delay_alu instid0(VALU_DEP_4)
	v_cndmask_b32_e64 v15, 0, 1, s2
	v_cmp_ne_u32_e64 s2, 31, v1
	ds_bpermute_b32 v8, v12, v6
	ds_bpermute_b32 v9, v12, v7
	v_add_lshl_u32 v14, v14, v1, 2
	v_lshlrev_b32_e32 v15, 1, v15
	s_delay_alu instid0(VALU_DEP_1) | instskip(SKIP_1) | instid1(VALU_DEP_1)
	v_add_lshl_u32 v15, v15, v1, 2
	v_add_co_ci_u32_e64 v1, s2, 0, v1, s2
	v_lshlrev_b32_e32 v16, 2, v1
	v_and_b32_e32 v1, 31, v0
	s_waitcnt lgkmcnt(0)
	v_cmp_lt_f64_e64 s1, v[6:7], v[8:9]
	s_delay_alu instid0(VALU_DEP_1)
	v_cndmask_b32_e64 v7, v7, v9, s1
	v_cndmask_b32_e64 v6, v6, v8, s1
	ds_bpermute_b32 v9, v13, v7
	ds_bpermute_b32 v8, v13, v6
	s_waitcnt lgkmcnt(0)
	v_cmp_lt_f64_e64 s1, v[6:7], v[8:9]
	s_delay_alu instid0(VALU_DEP_1)
	v_cndmask_b32_e64 v7, v7, v9, s1
	v_cndmask_b32_e64 v6, v6, v8, s1
	ds_bpermute_b32 v9, v14, v7
	ds_bpermute_b32 v8, v14, v6
	;; [unrolled: 7-line block ×3, first 2 shown]
	s_waitcnt lgkmcnt(0)
	v_cmp_lt_f64_e64 s1, v[6:7], v[8:9]
	s_delay_alu instid0(VALU_DEP_1)
	v_cndmask_b32_e64 v7, v7, v9, s1
	v_cndmask_b32_e64 v6, v6, v8, s1
	v_cmp_eq_u32_e64 s1, 0, v1
	ds_bpermute_b32 v9, v16, v7
	ds_bpermute_b32 v8, v16, v6
	s_and_saveexec_b32 s2, s1
	s_delay_alu instid0(SALU_CYCLE_1)
	s_xor_b32 s3, exec_lo, s2
	s_cbranch_execz .LBB25_6
; %bb.5:
	s_waitcnt lgkmcnt(0)
	v_cmp_lt_f64_e64 s2, v[6:7], v[8:9]
	v_add_nc_u32_e32 v18, 0, v17
	s_delay_alu instid0(VALU_DEP_2)
	v_cndmask_b32_e64 v7, v7, v9, s2
	v_cndmask_b32_e64 v6, v6, v8, s2
	ds_store_b64 v18, v[6:7]
.LBB25_6:
	s_or_b32 exec_lo, exec_lo, s3
	s_lshr_b32 s2, s6, 5
	s_mov_b32 s5, 0xffefffff
	v_cmp_gt_u32_e64 s2, s2, v0
	v_dual_mov_b32 v7, s5 :: v_dual_mov_b32 v6, s4
	v_lshl_add_u32 v18, v1, 3, 0
	s_waitcnt lgkmcnt(0)
	s_barrier
	buffer_gl0_inv
	s_and_saveexec_b32 s3, s2
	s_cbranch_execnz .LBB25_23
; %bb.7:
	s_or_b32 exec_lo, exec_lo, s3
	v_cmp_gt_u32_e64 s3, 32, v0
	s_delay_alu instid0(VALU_DEP_1)
	s_and_saveexec_b32 s5, s3
	s_cbranch_execnz .LBB25_24
.LBB25_8:
	s_or_b32 exec_lo, exec_lo, s5
	v_cmp_eq_u32_e64 s4, 0, v0
	s_delay_alu instid0(VALU_DEP_1)
	s_and_saveexec_b32 s5, s4
	s_cbranch_execz .LBB25_10
.LBB25_9:
	v_mov_b32_e32 v0, 0
	s_waitcnt lgkmcnt(0)
	ds_store_b64 v0, v[6:7]
.LBB25_10:
	s_or_b32 exec_lo, exec_lo, s5
	v_mov_b32_e32 v0, 0
	s_waitcnt lgkmcnt(0)
	v_mov_b32_e32 v6, 0
	v_mov_b32_e32 v7, 0
	s_barrier
	buffer_gl0_inv
	ds_load_b64 v[0:1], v0
	s_and_saveexec_b32 s7, vcc_lo
	s_cbranch_execz .LBB25_12
; %bb.11:
	s_waitcnt lgkmcnt(0)
	v_add_f64 v[6:7], v[2:3], -v[0:1]
	s_mov_b32 s10, 0x652b82fe
	s_mov_b32 s11, 0x3ff71547
	;; [unrolled: 1-line block ×4, first 2 shown]
	s_delay_alu instid0(VALU_DEP_1) | instskip(SKIP_4) | instid1(VALU_DEP_3)
	v_mul_f64 v[8:9], v[6:7], s[10:11]
	s_mov_b32 s10, 0xfefa39ef
	s_mov_b32 s11, 0xbfe62e42
	v_cmp_nlt_f64_e64 s5, 0x40900000, v[6:7]
	v_cmp_ngt_f64_e64 s6, 0xc090cc00, v[6:7]
	v_rndne_f64_e32 v[8:9], v[8:9]
	s_delay_alu instid0(VALU_DEP_1) | instskip(SKIP_3) | instid1(VALU_DEP_2)
	v_fma_f64 v[19:20], v[8:9], s[10:11], v[6:7]
	s_mov_b32 s10, 0x3b39803f
	s_mov_b32 s11, 0xbc7abc9e
	v_cvt_i32_f64_e32 v23, v[8:9]
	v_fma_f64 v[19:20], v[8:9], s[10:11], v[19:20]
	s_mov_b32 s10, 0xfca7ab0c
	s_mov_b32 s11, 0x3e928af3
	s_delay_alu instid0(VALU_DEP_1) | instid1(SALU_CYCLE_1)
	v_fma_f64 v[21:22], v[19:20], s[14:15], s[10:11]
	s_mov_b32 s10, 0x623fde64
	s_mov_b32 s11, 0x3ec71dee
	s_delay_alu instid0(VALU_DEP_1) | instid1(SALU_CYCLE_1)
	;; [unrolled: 4-line block ×9, first 2 shown]
	v_fma_f64 v[21:22], v[19:20], v[21:22], s[10:11]
	s_delay_alu instid0(VALU_DEP_1) | instskip(NEXT) | instid1(VALU_DEP_1)
	v_fma_f64 v[21:22], v[19:20], v[21:22], 1.0
	v_fma_f64 v[8:9], v[19:20], v[21:22], 1.0
	s_delay_alu instid0(VALU_DEP_1) | instskip(NEXT) | instid1(VALU_DEP_1)
	v_ldexp_f64 v[8:9], v[8:9], v23
	v_add_f64 v[8:9], v[8:9], 0
	s_delay_alu instid0(VALU_DEP_1)
	v_cndmask_b32_e64 v9, 0x7ff00000, v9, s5
	s_and_b32 s5, s6, s5
	s_delay_alu instid0(VALU_DEP_2) | instid1(SALU_CYCLE_1)
	v_cndmask_b32_e64 v6, 0, v8, s5
	s_delay_alu instid0(VALU_DEP_2)
	v_cndmask_b32_e64 v7, 0, v9, s6
.LBB25_12:
	s_or_b32 exec_lo, exec_lo, s7
	s_and_saveexec_b32 s7, s0
	s_cbranch_execz .LBB25_14
; %bb.13:
	s_waitcnt lgkmcnt(0)
	v_add_f64 v[8:9], v[4:5], -v[0:1]
	s_mov_b32 s10, 0x652b82fe
	s_mov_b32 s11, 0x3ff71547
	;; [unrolled: 1-line block ×4, first 2 shown]
	s_delay_alu instid0(VALU_DEP_1) | instskip(SKIP_4) | instid1(VALU_DEP_3)
	v_mul_f64 v[19:20], v[8:9], s[10:11]
	s_mov_b32 s10, 0xfefa39ef
	s_mov_b32 s11, 0xbfe62e42
	v_cmp_nlt_f64_e64 s5, 0x40900000, v[8:9]
	v_cmp_ngt_f64_e64 s6, 0xc090cc00, v[8:9]
	v_rndne_f64_e32 v[19:20], v[19:20]
	s_delay_alu instid0(VALU_DEP_1) | instskip(SKIP_3) | instid1(VALU_DEP_2)
	v_fma_f64 v[21:22], v[19:20], s[10:11], v[8:9]
	s_mov_b32 s10, 0x3b39803f
	s_mov_b32 s11, 0xbc7abc9e
	v_cvt_i32_f64_e32 v25, v[19:20]
	v_fma_f64 v[21:22], v[19:20], s[10:11], v[21:22]
	s_mov_b32 s10, 0xfca7ab0c
	s_mov_b32 s11, 0x3e928af3
	s_delay_alu instid0(VALU_DEP_1) | instid1(SALU_CYCLE_1)
	v_fma_f64 v[23:24], v[21:22], s[14:15], s[10:11]
	s_mov_b32 s10, 0x623fde64
	s_mov_b32 s11, 0x3ec71dee
	s_delay_alu instid0(VALU_DEP_1) | instid1(SALU_CYCLE_1)
	;; [unrolled: 4-line block ×9, first 2 shown]
	v_fma_f64 v[23:24], v[21:22], v[23:24], s[10:11]
	s_delay_alu instid0(VALU_DEP_1) | instskip(NEXT) | instid1(VALU_DEP_1)
	v_fma_f64 v[23:24], v[21:22], v[23:24], 1.0
	v_fma_f64 v[19:20], v[21:22], v[23:24], 1.0
	s_delay_alu instid0(VALU_DEP_1) | instskip(NEXT) | instid1(VALU_DEP_1)
	v_ldexp_f64 v[19:20], v[19:20], v25
	v_cndmask_b32_e64 v20, 0x7ff00000, v20, s5
	s_and_b32 s5, s6, s5
	s_delay_alu instid0(VALU_DEP_2) | instid1(SALU_CYCLE_1)
	v_cndmask_b32_e64 v8, 0, v19, s5
	s_delay_alu instid0(VALU_DEP_2) | instskip(NEXT) | instid1(VALU_DEP_1)
	v_cndmask_b32_e64 v9, 0, v20, s6
	v_add_f64 v[6:7], v[6:7], v[8:9]
.LBB25_14:
	s_or_b32 exec_lo, exec_lo, s7
	ds_bpermute_b32 v8, v12, v6
	ds_bpermute_b32 v9, v12, v7
	s_waitcnt lgkmcnt(0)
	s_barrier
	buffer_gl0_inv
	v_add_f64 v[6:7], v[6:7], v[8:9]
	ds_bpermute_b32 v8, v13, v6
	ds_bpermute_b32 v9, v13, v7
	s_waitcnt lgkmcnt(0)
	v_add_f64 v[6:7], v[6:7], v[8:9]
	ds_bpermute_b32 v8, v14, v6
	ds_bpermute_b32 v9, v14, v7
	s_waitcnt lgkmcnt(0)
	;; [unrolled: 4-line block ×3, first 2 shown]
	v_add_f64 v[6:7], v[6:7], v[8:9]
	ds_bpermute_b32 v8, v16, v6
	ds_bpermute_b32 v9, v16, v7
	s_and_saveexec_b32 s5, s1
	s_delay_alu instid0(SALU_CYCLE_1)
	s_xor_b32 s1, exec_lo, s5
	s_cbranch_execz .LBB25_16
; %bb.15:
	s_waitcnt lgkmcnt(0)
	v_add_f64 v[6:7], v[6:7], v[8:9]
	v_add_nc_u32_e32 v8, 0, v17
	ds_store_b64 v8, v[6:7]
.LBB25_16:
	s_or_b32 exec_lo, exec_lo, s1
	v_mov_b32_e32 v6, 0
	v_mov_b32_e32 v7, 0
	s_waitcnt lgkmcnt(0)
	s_barrier
	buffer_gl0_inv
	s_and_saveexec_b32 s1, s2
	s_cbranch_execnz .LBB25_25
; %bb.17:
	s_or_b32 exec_lo, exec_lo, s1
	s_and_saveexec_b32 s1, s3
	s_cbranch_execnz .LBB25_26
.LBB25_18:
	s_or_b32 exec_lo, exec_lo, s1
	s_and_saveexec_b32 s1, s4
	s_cbranch_execz .LBB25_20
.LBB25_19:
	v_mov_b32_e32 v8, 0
	s_waitcnt lgkmcnt(0)
	ds_store_b64 v8, v[6:7]
.LBB25_20:
	s_or_b32 exec_lo, exec_lo, s1
	s_waitcnt lgkmcnt(0)
	v_mov_b32_e32 v6, 0
	s_barrier
	buffer_gl0_inv
	s_mov_b32 s3, 0x3fe55555
	ds_load_b64 v[7:8], v6
	s_mov_b32 s2, 0x55555555
	s_add_u32 s4, s8, s12
	s_addc_u32 s5, s9, s13
	s_mov_b32 s6, 0
	s_mov_b32 s8, 0xbf559e2b
	s_mov_b32 s9, 0x3fc3ab76
	s_waitcnt lgkmcnt(0)
	v_frexp_mant_f64_e32 v[12:13], v[7:8]
	v_frexp_exp_i32_f64_e32 v6, v[7:8]
	s_delay_alu instid0(VALU_DEP_2) | instskip(NEXT) | instid1(VALU_DEP_1)
	v_cmp_gt_f64_e64 s1, s[2:3], v[12:13]
	v_subrev_co_ci_u32_e64 v6, s2, 0, v6, s1
	s_and_b32 s1, s1, exec_lo
	s_cselect_b32 s7, 2.0, 0x3ff00000
	s_mov_b32 s2, 0x55555780
	v_mul_f64 v[12:13], v[12:13], s[6:7]
	s_mov_b32 s6, 0x6b47b09a
	s_mov_b32 s7, 0x3fc38538
	v_cmp_class_f64_e64 s1, v[7:8], 0x204
	s_delay_alu instid0(VALU_DEP_2) | instskip(SKIP_1) | instid1(VALU_DEP_2)
	v_add_f64 v[14:15], v[12:13], 1.0
	v_add_f64 v[20:21], v[12:13], -1.0
	v_rcp_f64_e32 v[16:17], v[14:15]
	v_add_f64 v[22:23], v[14:15], -1.0
	s_delay_alu instid0(VALU_DEP_1) | instskip(SKIP_2) | instid1(VALU_DEP_1)
	v_add_f64 v[12:13], v[12:13], -v[22:23]
	s_waitcnt_depctr 0xfff
	v_fma_f64 v[18:19], -v[14:15], v[16:17], 1.0
	v_fma_f64 v[16:17], v[18:19], v[16:17], v[16:17]
	s_delay_alu instid0(VALU_DEP_1) | instskip(NEXT) | instid1(VALU_DEP_1)
	v_fma_f64 v[18:19], -v[14:15], v[16:17], 1.0
	v_fma_f64 v[16:17], v[18:19], v[16:17], v[16:17]
	s_delay_alu instid0(VALU_DEP_1) | instskip(NEXT) | instid1(VALU_DEP_1)
	v_mul_f64 v[18:19], v[20:21], v[16:17]
	v_mul_f64 v[24:25], v[14:15], v[18:19]
	s_delay_alu instid0(VALU_DEP_1) | instskip(NEXT) | instid1(VALU_DEP_1)
	v_fma_f64 v[14:15], v[18:19], v[14:15], -v[24:25]
	v_fma_f64 v[12:13], v[18:19], v[12:13], v[14:15]
	s_delay_alu instid0(VALU_DEP_1) | instskip(NEXT) | instid1(VALU_DEP_1)
	v_add_f64 v[14:15], v[24:25], v[12:13]
	v_add_f64 v[22:23], v[20:21], -v[14:15]
	v_add_f64 v[24:25], v[14:15], -v[24:25]
	s_delay_alu instid0(VALU_DEP_2) | instskip(NEXT) | instid1(VALU_DEP_2)
	v_add_f64 v[20:21], v[20:21], -v[22:23]
	v_add_f64 v[12:13], v[24:25], -v[12:13]
	s_delay_alu instid0(VALU_DEP_2) | instskip(NEXT) | instid1(VALU_DEP_1)
	v_add_f64 v[14:15], v[20:21], -v[14:15]
	v_add_f64 v[12:13], v[12:13], v[14:15]
	s_delay_alu instid0(VALU_DEP_1) | instskip(NEXT) | instid1(VALU_DEP_1)
	v_add_f64 v[12:13], v[22:23], v[12:13]
	v_mul_f64 v[12:13], v[16:17], v[12:13]
	s_delay_alu instid0(VALU_DEP_1) | instskip(NEXT) | instid1(VALU_DEP_1)
	v_add_f64 v[14:15], v[18:19], v[12:13]
	v_mul_f64 v[16:17], v[14:15], v[14:15]
	s_delay_alu instid0(VALU_DEP_1) | instskip(SKIP_3) | instid1(VALU_DEP_2)
	v_fma_f64 v[20:21], v[16:17], s[8:9], s[6:7]
	s_mov_b32 s6, 0xd7f4df2e
	s_mov_b32 s7, 0x3fc7474d
	v_mul_f64 v[22:23], v[14:15], v[16:17]
	v_fma_f64 v[20:21], v[16:17], v[20:21], s[6:7]
	s_mov_b32 s6, 0x16291751
	s_mov_b32 s7, 0x3fcc71c0
	s_delay_alu instid0(VALU_DEP_1) | instid1(SALU_CYCLE_1)
	v_fma_f64 v[20:21], v[16:17], v[20:21], s[6:7]
	s_mov_b32 s6, 0x9b27acf1
	s_mov_b32 s7, 0x3fd24924
	s_delay_alu instid0(VALU_DEP_1) | instid1(SALU_CYCLE_1)
	;; [unrolled: 4-line block ×3, first 2 shown]
	v_fma_f64 v[20:21], v[16:17], v[20:21], s[6:7]
	s_delay_alu instid0(VALU_DEP_1) | instskip(SKIP_4) | instid1(VALU_DEP_3)
	v_fma_f64 v[16:17], v[16:17], v[20:21], s[2:3]
	v_ldexp_f64 v[20:21], v[14:15], 1
	v_add_f64 v[14:15], v[14:15], -v[18:19]
	s_mov_b32 s2, 0xfefa39ef
	s_mov_b32 s3, 0x3fe62e42
	v_mul_f64 v[16:17], v[22:23], v[16:17]
	v_cvt_f64_i32_e32 v[22:23], v6
	s_delay_alu instid0(VALU_DEP_3) | instskip(NEXT) | instid1(VALU_DEP_3)
	v_add_f64 v[12:13], v[12:13], -v[14:15]
	v_add_f64 v[18:19], v[20:21], v[16:17]
	s_delay_alu instid0(VALU_DEP_3) | instskip(NEXT) | instid1(VALU_DEP_3)
	v_mul_f64 v[24:25], v[22:23], s[2:3]
	v_ldexp_f64 v[12:13], v[12:13], 1
	s_delay_alu instid0(VALU_DEP_3) | instskip(NEXT) | instid1(VALU_DEP_3)
	v_add_f64 v[14:15], v[18:19], -v[20:21]
	v_fma_f64 v[20:21], v[22:23], s[2:3], -v[24:25]
	s_mov_b32 s2, 0x3b39803f
	s_mov_b32 s3, 0x3c7abc9e
	s_delay_alu instid0(VALU_DEP_2) | instskip(NEXT) | instid1(VALU_DEP_2)
	v_add_f64 v[14:15], v[16:17], -v[14:15]
	v_fma_f64 v[16:17], v[22:23], s[2:3], v[20:21]
	s_delay_alu instid0(VALU_DEP_2) | instskip(NEXT) | instid1(VALU_DEP_2)
	v_add_f64 v[12:13], v[12:13], v[14:15]
	v_add_f64 v[14:15], v[24:25], v[16:17]
	s_delay_alu instid0(VALU_DEP_2) | instskip(NEXT) | instid1(VALU_DEP_2)
	v_add_f64 v[20:21], v[18:19], v[12:13]
	v_add_f64 v[24:25], v[14:15], -v[24:25]
	s_delay_alu instid0(VALU_DEP_2) | instskip(SKIP_1) | instid1(VALU_DEP_3)
	v_add_f64 v[22:23], v[14:15], v[20:21]
	v_add_f64 v[18:19], v[20:21], -v[18:19]
	v_add_f64 v[16:17], v[16:17], -v[24:25]
	s_delay_alu instid0(VALU_DEP_3) | instskip(NEXT) | instid1(VALU_DEP_3)
	v_add_f64 v[26:27], v[22:23], -v[14:15]
	v_add_f64 v[12:13], v[12:13], -v[18:19]
	s_delay_alu instid0(VALU_DEP_2) | instskip(SKIP_1) | instid1(VALU_DEP_3)
	v_add_f64 v[28:29], v[22:23], -v[26:27]
	v_add_f64 v[18:19], v[20:21], -v[26:27]
	v_add_f64 v[20:21], v[16:17], v[12:13]
	s_delay_alu instid0(VALU_DEP_3) | instskip(NEXT) | instid1(VALU_DEP_1)
	v_add_f64 v[14:15], v[14:15], -v[28:29]
	v_add_f64 v[14:15], v[18:19], v[14:15]
	s_delay_alu instid0(VALU_DEP_3) | instskip(NEXT) | instid1(VALU_DEP_2)
	v_add_f64 v[18:19], v[20:21], -v[16:17]
	v_add_f64 v[14:15], v[20:21], v[14:15]
	s_delay_alu instid0(VALU_DEP_2) | instskip(SKIP_1) | instid1(VALU_DEP_3)
	v_add_f64 v[20:21], v[20:21], -v[18:19]
	v_add_f64 v[12:13], v[12:13], -v[18:19]
	v_add_f64 v[24:25], v[22:23], v[14:15]
	s_delay_alu instid0(VALU_DEP_3) | instskip(NEXT) | instid1(VALU_DEP_2)
	v_add_f64 v[16:17], v[16:17], -v[20:21]
	v_add_f64 v[18:19], v[24:25], -v[22:23]
	s_delay_alu instid0(VALU_DEP_2) | instskip(NEXT) | instid1(VALU_DEP_2)
	v_add_f64 v[12:13], v[12:13], v[16:17]
	v_add_f64 v[14:15], v[14:15], -v[18:19]
	s_delay_alu instid0(VALU_DEP_1) | instskip(NEXT) | instid1(VALU_DEP_1)
	v_add_f64 v[12:13], v[12:13], v[14:15]
	v_add_f64 v[12:13], v[24:25], v[12:13]
	s_delay_alu instid0(VALU_DEP_1) | instskip(NEXT) | instid1(VALU_DEP_2)
	v_cndmask_b32_e64 v6, v12, v7, s1
	v_cndmask_b32_e64 v9, v13, v8, s1
	v_cmp_ngt_f64_e64 s1, 0, v[7:8]
	s_delay_alu instid0(VALU_DEP_1) | instskip(SKIP_1) | instid1(VALU_DEP_1)
	v_cndmask_b32_e64 v9, 0x7ff80000, v9, s1
	v_cmp_nge_f64_e64 s1, 0, v[7:8]
	v_cndmask_b32_e64 v6, 0, v6, s1
	v_cmp_neq_f64_e64 s1, 0, v[7:8]
	s_delay_alu instid0(VALU_DEP_1)
	v_cndmask_b32_e64 v7, 0xfff00000, v9, s1
	s_and_saveexec_b32 s1, vcc_lo
	s_cbranch_execnz .LBB25_27
; %bb.21:
	s_or_b32 exec_lo, exec_lo, s1
	s_and_saveexec_b32 s1, s0
	s_cbranch_execnz .LBB25_28
.LBB25_22:
	s_nop 0
	s_sendmsg sendmsg(MSG_DEALLOC_VGPRS)
	s_endpgm
.LBB25_23:
	ds_load_b64 v[6:7], v18
	s_or_b32 exec_lo, exec_lo, s3
	v_cmp_gt_u32_e64 s3, 32, v0
	s_delay_alu instid0(VALU_DEP_1)
	s_and_saveexec_b32 s5, s3
	s_cbranch_execz .LBB25_8
.LBB25_24:
	s_waitcnt lgkmcnt(0)
	ds_bpermute_b32 v8, v12, v6
	ds_bpermute_b32 v9, v12, v7
	s_waitcnt lgkmcnt(0)
	v_cmp_lt_f64_e64 s4, v[6:7], v[8:9]
	s_delay_alu instid0(VALU_DEP_1)
	v_cndmask_b32_e64 v7, v7, v9, s4
	v_cndmask_b32_e64 v6, v6, v8, s4
	ds_bpermute_b32 v9, v13, v7
	ds_bpermute_b32 v8, v13, v6
	s_waitcnt lgkmcnt(0)
	v_cmp_lt_f64_e64 s4, v[6:7], v[8:9]
	s_delay_alu instid0(VALU_DEP_1)
	v_cndmask_b32_e64 v7, v7, v9, s4
	v_cndmask_b32_e64 v6, v6, v8, s4
	;; [unrolled: 7-line block ×4, first 2 shown]
	ds_bpermute_b32 v9, v16, v7
	ds_bpermute_b32 v8, v16, v6
	s_waitcnt lgkmcnt(0)
	v_cmp_lt_f64_e64 s4, v[6:7], v[8:9]
	s_delay_alu instid0(VALU_DEP_1) | instskip(SKIP_3) | instid1(VALU_DEP_1)
	v_cndmask_b32_e64 v7, v7, v9, s4
	v_cndmask_b32_e64 v6, v6, v8, s4
	s_or_b32 exec_lo, exec_lo, s5
	v_cmp_eq_u32_e64 s4, 0, v0
	s_and_saveexec_b32 s5, s4
	s_cbranch_execnz .LBB25_9
	s_branch .LBB25_10
.LBB25_25:
	ds_load_b64 v[6:7], v18
	s_or_b32 exec_lo, exec_lo, s1
	s_and_saveexec_b32 s1, s3
	s_cbranch_execz .LBB25_18
.LBB25_26:
	s_waitcnt lgkmcnt(0)
	ds_bpermute_b32 v8, v12, v6
	ds_bpermute_b32 v9, v12, v7
	s_waitcnt lgkmcnt(0)
	v_add_f64 v[6:7], v[6:7], v[8:9]
	ds_bpermute_b32 v8, v13, v6
	ds_bpermute_b32 v9, v13, v7
	s_waitcnt lgkmcnt(0)
	v_add_f64 v[6:7], v[6:7], v[8:9]
	;; [unrolled: 4-line block ×5, first 2 shown]
	s_or_b32 exec_lo, exec_lo, s1
	s_and_saveexec_b32 s1, s4
	s_cbranch_execnz .LBB25_19
	s_branch .LBB25_20
.LBB25_27:
	v_add_f64 v[2:3], v[2:3], -v[0:1]
	s_delay_alu instid0(VALU_DEP_1)
	v_add_f64 v[2:3], v[2:3], -v[6:7]
	global_store_b64 v10, v[2:3], s[4:5]
	s_or_b32 exec_lo, exec_lo, s1
	s_and_saveexec_b32 s1, s0
	s_cbranch_execz .LBB25_22
.LBB25_28:
	v_add_f64 v[0:1], v[4:5], -v[0:1]
	s_delay_alu instid0(VALU_DEP_1)
	v_add_f64 v[0:1], v[0:1], -v[6:7]
	global_store_b64 v11, v[0:1], s[4:5]
	s_nop 0
	s_sendmsg sendmsg(MSG_DEALLOC_VGPRS)
	s_endpgm
	.section	.rodata,"a",@progbits
	.p2align	6, 0x0
	.amdhsa_kernel _ZN2at6native12_GLOBAL__N_122cunn_SoftMaxForwardRegIdddNS1_25LogSoftMaxForwardEpilogueElLi2EEEvPT1_PKT_T3_
		.amdhsa_group_segment_fixed_size 0
		.amdhsa_private_segment_fixed_size 0
		.amdhsa_kernarg_size 280
		.amdhsa_user_sgpr_count 15
		.amdhsa_user_sgpr_dispatch_ptr 0
		.amdhsa_user_sgpr_queue_ptr 0
		.amdhsa_user_sgpr_kernarg_segment_ptr 1
		.amdhsa_user_sgpr_dispatch_id 0
		.amdhsa_user_sgpr_private_segment_size 0
		.amdhsa_wavefront_size32 1
		.amdhsa_uses_dynamic_stack 0
		.amdhsa_enable_private_segment 0
		.amdhsa_system_sgpr_workgroup_id_x 1
		.amdhsa_system_sgpr_workgroup_id_y 0
		.amdhsa_system_sgpr_workgroup_id_z 0
		.amdhsa_system_sgpr_workgroup_info 0
		.amdhsa_system_vgpr_workitem_id 0
		.amdhsa_next_free_vgpr 30
		.amdhsa_next_free_sgpr 16
		.amdhsa_reserve_vcc 1
		.amdhsa_float_round_mode_32 0
		.amdhsa_float_round_mode_16_64 0
		.amdhsa_float_denorm_mode_32 3
		.amdhsa_float_denorm_mode_16_64 3
		.amdhsa_dx10_clamp 1
		.amdhsa_ieee_mode 1
		.amdhsa_fp16_overflow 0
		.amdhsa_workgroup_processor_mode 1
		.amdhsa_memory_ordered 1
		.amdhsa_forward_progress 0
		.amdhsa_shared_vgpr_count 0
		.amdhsa_exception_fp_ieee_invalid_op 0
		.amdhsa_exception_fp_denorm_src 0
		.amdhsa_exception_fp_ieee_div_zero 0
		.amdhsa_exception_fp_ieee_overflow 0
		.amdhsa_exception_fp_ieee_underflow 0
		.amdhsa_exception_fp_ieee_inexact 0
		.amdhsa_exception_int_div_zero 0
	.end_amdhsa_kernel
	.section	.text._ZN2at6native12_GLOBAL__N_122cunn_SoftMaxForwardRegIdddNS1_25LogSoftMaxForwardEpilogueElLi2EEEvPT1_PKT_T3_,"axG",@progbits,_ZN2at6native12_GLOBAL__N_122cunn_SoftMaxForwardRegIdddNS1_25LogSoftMaxForwardEpilogueElLi2EEEvPT1_PKT_T3_,comdat
.Lfunc_end25:
	.size	_ZN2at6native12_GLOBAL__N_122cunn_SoftMaxForwardRegIdddNS1_25LogSoftMaxForwardEpilogueElLi2EEEvPT1_PKT_T3_, .Lfunc_end25-_ZN2at6native12_GLOBAL__N_122cunn_SoftMaxForwardRegIdddNS1_25LogSoftMaxForwardEpilogueElLi2EEEvPT1_PKT_T3_
                                        ; -- End function
	.section	.AMDGPU.csdata,"",@progbits
; Kernel info:
; codeLenInByte = 3676
; NumSgprs: 18
; NumVgprs: 30
; ScratchSize: 0
; MemoryBound: 0
; FloatMode: 240
; IeeeMode: 1
; LDSByteSize: 0 bytes/workgroup (compile time only)
; SGPRBlocks: 2
; VGPRBlocks: 3
; NumSGPRsForWavesPerEU: 18
; NumVGPRsForWavesPerEU: 30
; Occupancy: 16
; WaveLimiterHint : 0
; COMPUTE_PGM_RSRC2:SCRATCH_EN: 0
; COMPUTE_PGM_RSRC2:USER_SGPR: 15
; COMPUTE_PGM_RSRC2:TRAP_HANDLER: 0
; COMPUTE_PGM_RSRC2:TGID_X_EN: 1
; COMPUTE_PGM_RSRC2:TGID_Y_EN: 0
; COMPUTE_PGM_RSRC2:TGID_Z_EN: 0
; COMPUTE_PGM_RSRC2:TIDIG_COMP_CNT: 0
	.section	.text._ZN2at6native12_GLOBAL__N_122cunn_SoftMaxForwardRegIdddNS1_25LogSoftMaxForwardEpilogueElLi3EEEvPT1_PKT_T3_,"axG",@progbits,_ZN2at6native12_GLOBAL__N_122cunn_SoftMaxForwardRegIdddNS1_25LogSoftMaxForwardEpilogueElLi3EEEvPT1_PKT_T3_,comdat
	.globl	_ZN2at6native12_GLOBAL__N_122cunn_SoftMaxForwardRegIdddNS1_25LogSoftMaxForwardEpilogueElLi3EEEvPT1_PKT_T3_ ; -- Begin function _ZN2at6native12_GLOBAL__N_122cunn_SoftMaxForwardRegIdddNS1_25LogSoftMaxForwardEpilogueElLi3EEEvPT1_PKT_T3_
	.p2align	8
	.type	_ZN2at6native12_GLOBAL__N_122cunn_SoftMaxForwardRegIdddNS1_25LogSoftMaxForwardEpilogueElLi3EEEvPT1_PKT_T3_,@function
_ZN2at6native12_GLOBAL__N_122cunn_SoftMaxForwardRegIdddNS1_25LogSoftMaxForwardEpilogueElLi3EEEvPT1_PKT_T3_: ; @_ZN2at6native12_GLOBAL__N_122cunn_SoftMaxForwardRegIdddNS1_25LogSoftMaxForwardEpilogueElLi3EEEvPT1_PKT_T3_
; %bb.0:
	s_clause 0x2
	s_load_b64 s[2:3], s[0:1], 0x10
	s_load_b128 s[8:11], s[0:1], 0x0
	s_load_b32 s6, s[0:1], 0x24
	s_mov_b32 s0, -1
	s_mov_b32 s1, 0xffefffff
	v_mov_b32_e32 v10, 0
	v_dual_mov_b32 v8, s1 :: v_dual_mov_b32 v7, s0
	v_lshlrev_b32_e32 v13, 3, v0
	s_delay_alu instid0(VALU_DEP_3)
	v_mov_b32_e32 v1, v10
	s_waitcnt lgkmcnt(0)
	s_mul_i32 s5, s15, s3
	s_mul_hi_u32 s7, s15, s2
	s_mul_i32 s4, s15, s2
	s_add_i32 s5, s7, s5
	v_cmp_gt_i64_e32 vcc_lo, s[2:3], v[0:1]
	s_lshl_b64 s[12:13], s[4:5], 3
                                        ; implicit-def: $vgpr1_vgpr2_vgpr3_vgpr4_vgpr5_vgpr6
	s_delay_alu instid0(SALU_CYCLE_1)
	s_add_u32 s4, s10, s12
	s_addc_u32 s5, s11, s13
	s_and_saveexec_b32 s7, vcc_lo
	s_cbranch_execz .LBB26_2
; %bb.1:
	global_load_b64 v[1:2], v13, s[4:5]
	s_waitcnt vmcnt(0)
	v_max_f64 v[3:4], v[1:2], v[1:2]
	s_delay_alu instid0(VALU_DEP_1)
	v_max_f64 v[7:8], v[3:4], s[0:1]
.LBB26_2:
	s_or_b32 exec_lo, exec_lo, s7
	s_and_b32 s6, 0xffff, s6
	s_delay_alu instid0(SALU_CYCLE_1) | instskip(NEXT) | instid1(VALU_DEP_1)
	v_add_nc_u32_e32 v9, s6, v0
	v_cmp_gt_i64_e64 s0, s[2:3], v[9:10]
	v_lshlrev_b32_e32 v14, 3, v9
	s_delay_alu instid0(VALU_DEP_2)
	s_and_saveexec_b32 s1, s0
	s_cbranch_execz .LBB26_4
; %bb.3:
	global_load_b64 v[3:4], v14, s[4:5]
	v_max_f64 v[7:8], v[7:8], v[7:8]
	s_waitcnt vmcnt(0)
	v_max_f64 v[10:11], v[3:4], v[3:4]
	s_delay_alu instid0(VALU_DEP_1)
	v_max_f64 v[7:8], v[7:8], v[10:11]
.LBB26_4:
	s_or_b32 exec_lo, exec_lo, s1
	v_dual_mov_b32 v10, 0 :: v_dual_add_nc_u32 v9, s6, v9
	s_delay_alu instid0(VALU_DEP_1) | instskip(NEXT) | instid1(VALU_DEP_2)
	v_lshlrev_b32_e32 v15, 3, v9
	v_cmp_gt_i64_e64 s1, s[2:3], v[9:10]
	s_delay_alu instid0(VALU_DEP_1)
	s_and_saveexec_b32 s2, s1
	s_cbranch_execz .LBB26_6
; %bb.5:
	global_load_b64 v[5:6], v15, s[4:5]
	v_max_f64 v[7:8], v[7:8], v[7:8]
	s_waitcnt vmcnt(0)
	v_max_f64 v[9:10], v[5:6], v[5:6]
	s_delay_alu instid0(VALU_DEP_1)
	v_max_f64 v[7:8], v[7:8], v[9:10]
.LBB26_6:
	s_or_b32 exec_lo, exec_lo, s2
	v_mbcnt_lo_u32_b32 v11, -1, 0
	v_lshrrev_b32_e32 v21, 2, v0
	s_mov_b32 s4, -1
	s_barrier
	s_delay_alu instid0(VALU_DEP_2)
	v_cmp_gt_u32_e64 s2, 16, v11
	v_cmp_gt_u32_e64 s3, 24, v11
	buffer_gl0_inv
	v_cndmask_b32_e64 v9, 0, 1, s2
	v_cndmask_b32_e64 v12, 0, 1, s3
	v_cmp_gt_u32_e64 s3, 28, v11
	s_delay_alu instid0(VALU_DEP_3) | instskip(NEXT) | instid1(VALU_DEP_3)
	v_lshlrev_b32_e32 v9, 4, v9
	v_lshlrev_b32_e32 v12, 3, v12
	s_delay_alu instid0(VALU_DEP_2) | instskip(NEXT) | instid1(VALU_DEP_2)
	v_add_lshl_u32 v16, v9, v11, 2
	v_add_lshl_u32 v17, v12, v11, 2
	v_cndmask_b32_e64 v12, 0, 1, s3
	v_cmp_gt_u32_e64 s3, 30, v11
	ds_bpermute_b32 v9, v16, v7
	ds_bpermute_b32 v10, v16, v8
	v_lshlrev_b32_e32 v12, 2, v12
	s_delay_alu instid0(VALU_DEP_1) | instskip(SKIP_2) | instid1(VALU_DEP_2)
	v_add_lshl_u32 v18, v12, v11, 2
	v_cndmask_b32_e64 v12, 0, 1, s3
	v_cmp_ne_u32_e64 s3, 31, v11
	v_lshlrev_b32_e32 v12, 1, v12
	s_delay_alu instid0(VALU_DEP_1) | instskip(NEXT) | instid1(VALU_DEP_3)
	v_add_lshl_u32 v19, v12, v11, 2
	v_add_co_ci_u32_e64 v11, s3, 0, v11, s3
	s_waitcnt lgkmcnt(0)
	v_cmp_lt_f64_e64 s2, v[7:8], v[9:10]
	s_delay_alu instid0(VALU_DEP_2) | instskip(SKIP_1) | instid1(VALU_DEP_3)
	v_lshlrev_b32_e32 v20, 2, v11
	v_and_b32_e32 v11, 31, v0
	v_cndmask_b32_e64 v8, v8, v10, s2
	v_cndmask_b32_e64 v7, v7, v9, s2
	ds_bpermute_b32 v10, v17, v8
	ds_bpermute_b32 v9, v17, v7
	s_waitcnt lgkmcnt(0)
	v_cmp_lt_f64_e64 s2, v[7:8], v[9:10]
	s_delay_alu instid0(VALU_DEP_1)
	v_cndmask_b32_e64 v8, v8, v10, s2
	v_cndmask_b32_e64 v7, v7, v9, s2
	ds_bpermute_b32 v10, v18, v8
	ds_bpermute_b32 v9, v18, v7
	s_waitcnt lgkmcnt(0)
	v_cmp_lt_f64_e64 s2, v[7:8], v[9:10]
	s_delay_alu instid0(VALU_DEP_1)
	;; [unrolled: 7-line block ×3, first 2 shown]
	v_cndmask_b32_e64 v8, v8, v10, s2
	v_cndmask_b32_e64 v7, v7, v9, s2
	v_cmp_eq_u32_e64 s2, 0, v11
	ds_bpermute_b32 v10, v20, v8
	ds_bpermute_b32 v9, v20, v7
	s_and_saveexec_b32 s3, s2
	s_delay_alu instid0(SALU_CYCLE_1)
	s_xor_b32 s5, exec_lo, s3
	s_cbranch_execz .LBB26_8
; %bb.7:
	s_waitcnt lgkmcnt(0)
	v_cmp_lt_f64_e64 s3, v[7:8], v[9:10]
	v_add_nc_u32_e32 v12, 0, v21
	s_delay_alu instid0(VALU_DEP_2)
	v_cndmask_b32_e64 v8, v8, v10, s3
	v_cndmask_b32_e64 v7, v7, v9, s3
	ds_store_b64 v12, v[7:8]
.LBB26_8:
	s_or_b32 exec_lo, exec_lo, s5
	s_lshr_b32 s3, s6, 5
	s_mov_b32 s5, 0xffefffff
	v_cmp_gt_u32_e64 s3, s3, v0
	v_dual_mov_b32 v8, s5 :: v_dual_mov_b32 v7, s4
	v_lshl_add_u32 v22, v11, 3, 0
	s_waitcnt lgkmcnt(0)
	s_barrier
	buffer_gl0_inv
	s_and_saveexec_b32 s4, s3
	s_cbranch_execnz .LBB26_26
; %bb.9:
	s_or_b32 exec_lo, exec_lo, s4
	v_cmp_gt_u32_e64 s4, 32, v0
	s_delay_alu instid0(VALU_DEP_1)
	s_and_saveexec_b32 s6, s4
	s_cbranch_execnz .LBB26_27
.LBB26_10:
	s_or_b32 exec_lo, exec_lo, s6
	v_cmp_eq_u32_e64 s5, 0, v0
	s_delay_alu instid0(VALU_DEP_1)
	s_and_saveexec_b32 s6, s5
	s_cbranch_execz .LBB26_12
.LBB26_11:
	v_mov_b32_e32 v0, 0
	s_waitcnt lgkmcnt(0)
	ds_store_b64 v0, v[7:8]
.LBB26_12:
	s_or_b32 exec_lo, exec_lo, s6
	v_dual_mov_b32 v0, 0 :: v_dual_mov_b32 v9, 0
	s_waitcnt lgkmcnt(0)
	s_barrier
	buffer_gl0_inv
	ds_load_b64 v[7:8], v0
	v_mov_b32_e32 v10, 0
	s_and_saveexec_b32 s10, vcc_lo
	s_cbranch_execnz .LBB26_28
; %bb.13:
	s_or_b32 exec_lo, exec_lo, s10
	s_and_saveexec_b32 s10, s0
	s_cbranch_execnz .LBB26_29
.LBB26_14:
	s_or_b32 exec_lo, exec_lo, s10
	s_and_saveexec_b32 s10, s1
	s_cbranch_execz .LBB26_16
.LBB26_15:
	s_waitcnt lgkmcnt(0)
	v_add_f64 v[11:12], v[5:6], -v[7:8]
	s_mov_b32 s6, 0x652b82fe
	s_mov_b32 s7, 0x3ff71547
	;; [unrolled: 1-line block ×4, first 2 shown]
	s_delay_alu instid0(VALU_DEP_1) | instskip(SKIP_2) | instid1(VALU_DEP_1)
	v_mul_f64 v[23:24], v[11:12], s[6:7]
	s_mov_b32 s6, 0xfefa39ef
	s_mov_b32 s7, 0xbfe62e42
	v_rndne_f64_e32 v[23:24], v[23:24]
	s_delay_alu instid0(VALU_DEP_1) | instskip(SKIP_3) | instid1(VALU_DEP_2)
	v_fma_f64 v[25:26], v[23:24], s[6:7], v[11:12]
	s_mov_b32 s6, 0x3b39803f
	s_mov_b32 s7, 0xbc7abc9e
	v_cvt_i32_f64_e32 v0, v[23:24]
	v_fma_f64 v[25:26], v[23:24], s[6:7], v[25:26]
	s_mov_b32 s6, 0xfca7ab0c
	s_mov_b32 s7, 0x3e928af3
	s_delay_alu instid0(VALU_DEP_1) | instid1(SALU_CYCLE_1)
	v_fma_f64 v[27:28], v[25:26], s[14:15], s[6:7]
	s_mov_b32 s6, 0x623fde64
	s_mov_b32 s7, 0x3ec71dee
	s_delay_alu instid0(VALU_DEP_1) | instid1(SALU_CYCLE_1)
	;; [unrolled: 4-line block ×9, first 2 shown]
	v_fma_f64 v[27:28], v[25:26], v[27:28], s[6:7]
	v_cmp_nlt_f64_e64 s6, 0x40900000, v[11:12]
	v_cmp_ngt_f64_e64 s7, 0xc090cc00, v[11:12]
	s_delay_alu instid0(VALU_DEP_3) | instskip(NEXT) | instid1(VALU_DEP_1)
	v_fma_f64 v[27:28], v[25:26], v[27:28], 1.0
	v_fma_f64 v[23:24], v[25:26], v[27:28], 1.0
	s_delay_alu instid0(VALU_DEP_1) | instskip(NEXT) | instid1(VALU_DEP_1)
	v_ldexp_f64 v[23:24], v[23:24], v0
	v_cndmask_b32_e64 v0, 0x7ff00000, v24, s6
	s_and_b32 s6, s7, s6
	s_delay_alu instid0(VALU_DEP_2) | instid1(SALU_CYCLE_1)
	v_cndmask_b32_e64 v11, 0, v23, s6
	s_delay_alu instid0(VALU_DEP_2) | instskip(NEXT) | instid1(VALU_DEP_1)
	v_cndmask_b32_e64 v12, 0, v0, s7
	v_add_f64 v[9:10], v[9:10], v[11:12]
.LBB26_16:
	s_or_b32 exec_lo, exec_lo, s10
	ds_bpermute_b32 v11, v16, v9
	ds_bpermute_b32 v12, v16, v10
	s_waitcnt lgkmcnt(0)
	s_barrier
	buffer_gl0_inv
	v_add_f64 v[9:10], v[9:10], v[11:12]
	ds_bpermute_b32 v11, v17, v9
	ds_bpermute_b32 v12, v17, v10
	s_waitcnt lgkmcnt(0)
	v_add_f64 v[9:10], v[9:10], v[11:12]
	ds_bpermute_b32 v11, v18, v9
	ds_bpermute_b32 v12, v18, v10
	s_waitcnt lgkmcnt(0)
	;; [unrolled: 4-line block ×3, first 2 shown]
	v_add_f64 v[9:10], v[9:10], v[11:12]
	ds_bpermute_b32 v11, v20, v9
	ds_bpermute_b32 v12, v20, v10
	s_and_saveexec_b32 s6, s2
	s_delay_alu instid0(SALU_CYCLE_1)
	s_xor_b32 s2, exec_lo, s6
	s_cbranch_execz .LBB26_18
; %bb.17:
	s_waitcnt lgkmcnt(0)
	v_add_f64 v[9:10], v[9:10], v[11:12]
	v_add_nc_u32_e32 v0, 0, v21
	ds_store_b64 v0, v[9:10]
.LBB26_18:
	s_or_b32 exec_lo, exec_lo, s2
	v_mov_b32_e32 v9, 0
	v_mov_b32_e32 v10, 0
	s_waitcnt lgkmcnt(0)
	s_barrier
	buffer_gl0_inv
	s_and_saveexec_b32 s2, s3
	s_cbranch_execnz .LBB26_30
; %bb.19:
	s_or_b32 exec_lo, exec_lo, s2
	s_and_saveexec_b32 s2, s4
	s_cbranch_execnz .LBB26_31
.LBB26_20:
	s_or_b32 exec_lo, exec_lo, s2
	s_and_saveexec_b32 s2, s5
	s_cbranch_execz .LBB26_22
.LBB26_21:
	v_mov_b32_e32 v0, 0
	s_waitcnt lgkmcnt(0)
	ds_store_b64 v0, v[9:10]
.LBB26_22:
	s_or_b32 exec_lo, exec_lo, s2
	v_mov_b32_e32 v0, 0
	s_waitcnt lgkmcnt(0)
	s_barrier
	buffer_gl0_inv
	s_mov_b32 s7, 0x3fe55555
	ds_load_b64 v[10:11], v0
	s_mov_b32 s6, 0x55555555
	s_add_u32 s4, s8, s12
	s_addc_u32 s5, s9, s13
	s_mov_b32 s8, 0
	s_waitcnt lgkmcnt(0)
	v_frexp_mant_f64_e32 v[16:17], v[10:11]
	v_frexp_exp_i32_f64_e32 v0, v[10:11]
	s_delay_alu instid0(VALU_DEP_2) | instskip(SKIP_1) | instid1(VALU_DEP_1)
	v_cmp_gt_f64_e64 s2, s[6:7], v[16:17]
	s_mov_b32 s6, 0x55555780
	v_subrev_co_ci_u32_e64 v0, s3, 0, v0, s2
	s_and_b32 s2, s2, exec_lo
	s_cselect_b32 s9, 2.0, 0x3ff00000
	s_mov_b32 s2, 0x6b47b09a
	v_mul_f64 v[16:17], v[16:17], s[8:9]
	s_mov_b32 s8, 0xbf559e2b
	s_mov_b32 s3, 0x3fc38538
	;; [unrolled: 1-line block ×3, first 2 shown]
	s_delay_alu instid0(VALU_DEP_1) | instskip(SKIP_1) | instid1(VALU_DEP_2)
	v_add_f64 v[18:19], v[16:17], 1.0
	v_add_f64 v[24:25], v[16:17], -1.0
	v_rcp_f64_e32 v[20:21], v[18:19]
	v_add_f64 v[26:27], v[18:19], -1.0
	s_delay_alu instid0(VALU_DEP_1) | instskip(SKIP_2) | instid1(VALU_DEP_1)
	v_add_f64 v[16:17], v[16:17], -v[26:27]
	s_waitcnt_depctr 0xfff
	v_fma_f64 v[22:23], -v[18:19], v[20:21], 1.0
	v_fma_f64 v[20:21], v[22:23], v[20:21], v[20:21]
	s_delay_alu instid0(VALU_DEP_1) | instskip(NEXT) | instid1(VALU_DEP_1)
	v_fma_f64 v[22:23], -v[18:19], v[20:21], 1.0
	v_fma_f64 v[20:21], v[22:23], v[20:21], v[20:21]
	s_delay_alu instid0(VALU_DEP_1) | instskip(NEXT) | instid1(VALU_DEP_1)
	v_mul_f64 v[22:23], v[24:25], v[20:21]
	v_mul_f64 v[28:29], v[18:19], v[22:23]
	s_delay_alu instid0(VALU_DEP_1) | instskip(NEXT) | instid1(VALU_DEP_1)
	v_fma_f64 v[18:19], v[22:23], v[18:19], -v[28:29]
	v_fma_f64 v[16:17], v[22:23], v[16:17], v[18:19]
	s_delay_alu instid0(VALU_DEP_1) | instskip(NEXT) | instid1(VALU_DEP_1)
	v_add_f64 v[18:19], v[28:29], v[16:17]
	v_add_f64 v[26:27], v[24:25], -v[18:19]
	v_add_f64 v[28:29], v[18:19], -v[28:29]
	s_delay_alu instid0(VALU_DEP_2) | instskip(NEXT) | instid1(VALU_DEP_2)
	v_add_f64 v[24:25], v[24:25], -v[26:27]
	v_add_f64 v[16:17], v[28:29], -v[16:17]
	s_delay_alu instid0(VALU_DEP_2) | instskip(NEXT) | instid1(VALU_DEP_1)
	v_add_f64 v[18:19], v[24:25], -v[18:19]
	v_add_f64 v[16:17], v[16:17], v[18:19]
	s_delay_alu instid0(VALU_DEP_1) | instskip(NEXT) | instid1(VALU_DEP_1)
	v_add_f64 v[16:17], v[26:27], v[16:17]
	v_mul_f64 v[16:17], v[20:21], v[16:17]
	s_delay_alu instid0(VALU_DEP_1) | instskip(NEXT) | instid1(VALU_DEP_1)
	v_add_f64 v[18:19], v[22:23], v[16:17]
	v_mul_f64 v[20:21], v[18:19], v[18:19]
	s_delay_alu instid0(VALU_DEP_1) | instskip(SKIP_3) | instid1(VALU_DEP_2)
	v_fma_f64 v[24:25], v[20:21], s[8:9], s[2:3]
	s_mov_b32 s2, 0xd7f4df2e
	s_mov_b32 s3, 0x3fc7474d
	v_mul_f64 v[26:27], v[18:19], v[20:21]
	v_fma_f64 v[24:25], v[20:21], v[24:25], s[2:3]
	s_mov_b32 s2, 0x16291751
	s_mov_b32 s3, 0x3fcc71c0
	s_delay_alu instid0(VALU_DEP_1) | instid1(SALU_CYCLE_1)
	v_fma_f64 v[24:25], v[20:21], v[24:25], s[2:3]
	s_mov_b32 s2, 0x9b27acf1
	s_mov_b32 s3, 0x3fd24924
	s_delay_alu instid0(VALU_DEP_1) | instid1(SALU_CYCLE_1)
	;; [unrolled: 4-line block ×3, first 2 shown]
	v_fma_f64 v[24:25], v[20:21], v[24:25], s[2:3]
	s_mov_b32 s2, 0xfefa39ef
	s_mov_b32 s3, 0x3fe62e42
	s_delay_alu instid0(VALU_DEP_1) | instskip(SKIP_2) | instid1(VALU_DEP_3)
	v_fma_f64 v[20:21], v[20:21], v[24:25], s[6:7]
	v_ldexp_f64 v[24:25], v[18:19], 1
	v_add_f64 v[18:19], v[18:19], -v[22:23]
	v_mul_f64 v[20:21], v[26:27], v[20:21]
	v_cvt_f64_i32_e32 v[26:27], v0
	s_delay_alu instid0(VALU_DEP_3) | instskip(NEXT) | instid1(VALU_DEP_3)
	v_add_f64 v[16:17], v[16:17], -v[18:19]
	v_add_f64 v[22:23], v[24:25], v[20:21]
	s_delay_alu instid0(VALU_DEP_3) | instskip(NEXT) | instid1(VALU_DEP_3)
	v_mul_f64 v[28:29], v[26:27], s[2:3]
	v_ldexp_f64 v[16:17], v[16:17], 1
	s_delay_alu instid0(VALU_DEP_3) | instskip(NEXT) | instid1(VALU_DEP_3)
	v_add_f64 v[18:19], v[22:23], -v[24:25]
	v_fma_f64 v[24:25], v[26:27], s[2:3], -v[28:29]
	s_mov_b32 s2, 0x3b39803f
	s_mov_b32 s3, 0x3c7abc9e
	s_delay_alu instid0(VALU_DEP_2) | instskip(NEXT) | instid1(VALU_DEP_2)
	v_add_f64 v[18:19], v[20:21], -v[18:19]
	v_fma_f64 v[20:21], v[26:27], s[2:3], v[24:25]
	v_cmp_class_f64_e64 s2, v[10:11], 0x204
	s_delay_alu instid0(VALU_DEP_3) | instskip(NEXT) | instid1(VALU_DEP_3)
	v_add_f64 v[16:17], v[16:17], v[18:19]
	v_add_f64 v[18:19], v[28:29], v[20:21]
	s_delay_alu instid0(VALU_DEP_2) | instskip(NEXT) | instid1(VALU_DEP_2)
	v_add_f64 v[24:25], v[22:23], v[16:17]
	v_add_f64 v[28:29], v[18:19], -v[28:29]
	s_delay_alu instid0(VALU_DEP_2) | instskip(SKIP_1) | instid1(VALU_DEP_3)
	v_add_f64 v[26:27], v[18:19], v[24:25]
	v_add_f64 v[22:23], v[24:25], -v[22:23]
	v_add_f64 v[20:21], v[20:21], -v[28:29]
	s_delay_alu instid0(VALU_DEP_3) | instskip(NEXT) | instid1(VALU_DEP_3)
	v_add_f64 v[30:31], v[26:27], -v[18:19]
	v_add_f64 v[16:17], v[16:17], -v[22:23]
	s_delay_alu instid0(VALU_DEP_2) | instskip(SKIP_1) | instid1(VALU_DEP_3)
	v_add_f64 v[32:33], v[26:27], -v[30:31]
	v_add_f64 v[22:23], v[24:25], -v[30:31]
	v_add_f64 v[24:25], v[20:21], v[16:17]
	s_delay_alu instid0(VALU_DEP_3) | instskip(NEXT) | instid1(VALU_DEP_1)
	v_add_f64 v[18:19], v[18:19], -v[32:33]
	v_add_f64 v[18:19], v[22:23], v[18:19]
	s_delay_alu instid0(VALU_DEP_3) | instskip(NEXT) | instid1(VALU_DEP_2)
	v_add_f64 v[22:23], v[24:25], -v[20:21]
	v_add_f64 v[18:19], v[24:25], v[18:19]
	s_delay_alu instid0(VALU_DEP_2) | instskip(SKIP_1) | instid1(VALU_DEP_3)
	v_add_f64 v[24:25], v[24:25], -v[22:23]
	v_add_f64 v[16:17], v[16:17], -v[22:23]
	v_add_f64 v[28:29], v[26:27], v[18:19]
	s_delay_alu instid0(VALU_DEP_3) | instskip(NEXT) | instid1(VALU_DEP_2)
	v_add_f64 v[20:21], v[20:21], -v[24:25]
	v_add_f64 v[22:23], v[28:29], -v[26:27]
	s_delay_alu instid0(VALU_DEP_2) | instskip(NEXT) | instid1(VALU_DEP_2)
	v_add_f64 v[16:17], v[16:17], v[20:21]
	v_add_f64 v[18:19], v[18:19], -v[22:23]
	s_delay_alu instid0(VALU_DEP_1) | instskip(NEXT) | instid1(VALU_DEP_1)
	v_add_f64 v[16:17], v[16:17], v[18:19]
	v_add_f64 v[16:17], v[28:29], v[16:17]
	s_delay_alu instid0(VALU_DEP_1) | instskip(NEXT) | instid1(VALU_DEP_2)
	v_cndmask_b32_e64 v0, v16, v10, s2
	v_cndmask_b32_e64 v9, v17, v11, s2
	v_cmp_ngt_f64_e64 s2, 0, v[10:11]
	s_delay_alu instid0(VALU_DEP_1) | instskip(SKIP_1) | instid1(VALU_DEP_1)
	v_cndmask_b32_e64 v12, 0x7ff80000, v9, s2
	v_cmp_nge_f64_e64 s2, 0, v[10:11]
	v_cndmask_b32_e64 v9, 0, v0, s2
	v_cmp_neq_f64_e64 s2, 0, v[10:11]
	s_delay_alu instid0(VALU_DEP_1)
	v_cndmask_b32_e64 v10, 0xfff00000, v12, s2
	s_and_saveexec_b32 s2, vcc_lo
	s_cbranch_execnz .LBB26_32
; %bb.23:
	s_or_b32 exec_lo, exec_lo, s2
	s_and_saveexec_b32 s2, s0
	s_cbranch_execnz .LBB26_33
.LBB26_24:
	s_or_b32 exec_lo, exec_lo, s2
	s_and_saveexec_b32 s0, s1
	s_cbranch_execnz .LBB26_34
.LBB26_25:
	s_nop 0
	s_sendmsg sendmsg(MSG_DEALLOC_VGPRS)
	s_endpgm
.LBB26_26:
	ds_load_b64 v[7:8], v22
	s_or_b32 exec_lo, exec_lo, s4
	v_cmp_gt_u32_e64 s4, 32, v0
	s_delay_alu instid0(VALU_DEP_1)
	s_and_saveexec_b32 s6, s4
	s_cbranch_execz .LBB26_10
.LBB26_27:
	s_waitcnt lgkmcnt(0)
	ds_bpermute_b32 v9, v16, v7
	ds_bpermute_b32 v10, v16, v8
	s_waitcnt lgkmcnt(0)
	v_cmp_lt_f64_e64 s5, v[7:8], v[9:10]
	s_delay_alu instid0(VALU_DEP_1)
	v_cndmask_b32_e64 v8, v8, v10, s5
	v_cndmask_b32_e64 v7, v7, v9, s5
	ds_bpermute_b32 v10, v17, v8
	ds_bpermute_b32 v9, v17, v7
	s_waitcnt lgkmcnt(0)
	v_cmp_lt_f64_e64 s5, v[7:8], v[9:10]
	s_delay_alu instid0(VALU_DEP_1)
	v_cndmask_b32_e64 v8, v8, v10, s5
	v_cndmask_b32_e64 v7, v7, v9, s5
	;; [unrolled: 7-line block ×4, first 2 shown]
	ds_bpermute_b32 v10, v20, v8
	ds_bpermute_b32 v9, v20, v7
	s_waitcnt lgkmcnt(0)
	v_cmp_lt_f64_e64 s5, v[7:8], v[9:10]
	s_delay_alu instid0(VALU_DEP_1) | instskip(SKIP_3) | instid1(VALU_DEP_1)
	v_cndmask_b32_e64 v8, v8, v10, s5
	v_cndmask_b32_e64 v7, v7, v9, s5
	s_or_b32 exec_lo, exec_lo, s6
	v_cmp_eq_u32_e64 s5, 0, v0
	s_and_saveexec_b32 s6, s5
	s_cbranch_execnz .LBB26_11
	s_branch .LBB26_12
.LBB26_28:
	s_waitcnt lgkmcnt(0)
	v_add_f64 v[9:10], v[1:2], -v[7:8]
	s_mov_b32 s6, 0x652b82fe
	s_mov_b32 s7, 0x3ff71547
	;; [unrolled: 1-line block ×4, first 2 shown]
	s_delay_alu instid0(VALU_DEP_1) | instskip(SKIP_2) | instid1(VALU_DEP_1)
	v_mul_f64 v[11:12], v[9:10], s[6:7]
	s_mov_b32 s6, 0xfefa39ef
	s_mov_b32 s7, 0xbfe62e42
	v_rndne_f64_e32 v[11:12], v[11:12]
	s_delay_alu instid0(VALU_DEP_1) | instskip(SKIP_3) | instid1(VALU_DEP_2)
	v_fma_f64 v[23:24], v[11:12], s[6:7], v[9:10]
	s_mov_b32 s6, 0x3b39803f
	s_mov_b32 s7, 0xbc7abc9e
	v_cvt_i32_f64_e32 v0, v[11:12]
	v_fma_f64 v[23:24], v[11:12], s[6:7], v[23:24]
	s_mov_b32 s6, 0xfca7ab0c
	s_mov_b32 s7, 0x3e928af3
	s_delay_alu instid0(VALU_DEP_1) | instid1(SALU_CYCLE_1)
	v_fma_f64 v[25:26], v[23:24], s[14:15], s[6:7]
	s_mov_b32 s6, 0x623fde64
	s_mov_b32 s7, 0x3ec71dee
	s_delay_alu instid0(VALU_DEP_1) | instid1(SALU_CYCLE_1)
	;; [unrolled: 4-line block ×9, first 2 shown]
	v_fma_f64 v[25:26], v[23:24], v[25:26], s[6:7]
	v_cmp_nlt_f64_e64 s6, 0x40900000, v[9:10]
	v_cmp_ngt_f64_e64 s7, 0xc090cc00, v[9:10]
	s_delay_alu instid0(VALU_DEP_3) | instskip(NEXT) | instid1(VALU_DEP_1)
	v_fma_f64 v[25:26], v[23:24], v[25:26], 1.0
	v_fma_f64 v[11:12], v[23:24], v[25:26], 1.0
	s_delay_alu instid0(VALU_DEP_1) | instskip(NEXT) | instid1(VALU_DEP_1)
	v_ldexp_f64 v[11:12], v[11:12], v0
	v_add_f64 v[11:12], v[11:12], 0
	s_delay_alu instid0(VALU_DEP_1)
	v_cndmask_b32_e64 v0, 0x7ff00000, v12, s6
	s_and_b32 s6, s7, s6
	s_delay_alu instid0(VALU_DEP_2) | instid1(SALU_CYCLE_1)
	v_cndmask_b32_e64 v9, 0, v11, s6
	s_delay_alu instid0(VALU_DEP_2)
	v_cndmask_b32_e64 v10, 0, v0, s7
	s_or_b32 exec_lo, exec_lo, s10
	s_and_saveexec_b32 s10, s0
	s_cbranch_execz .LBB26_14
.LBB26_29:
	s_waitcnt lgkmcnt(0)
	v_add_f64 v[11:12], v[3:4], -v[7:8]
	s_mov_b32 s6, 0x652b82fe
	s_mov_b32 s7, 0x3ff71547
	;; [unrolled: 1-line block ×4, first 2 shown]
	s_delay_alu instid0(VALU_DEP_1) | instskip(SKIP_2) | instid1(VALU_DEP_1)
	v_mul_f64 v[23:24], v[11:12], s[6:7]
	s_mov_b32 s6, 0xfefa39ef
	s_mov_b32 s7, 0xbfe62e42
	v_rndne_f64_e32 v[23:24], v[23:24]
	s_delay_alu instid0(VALU_DEP_1) | instskip(SKIP_3) | instid1(VALU_DEP_2)
	v_fma_f64 v[25:26], v[23:24], s[6:7], v[11:12]
	s_mov_b32 s6, 0x3b39803f
	s_mov_b32 s7, 0xbc7abc9e
	v_cvt_i32_f64_e32 v0, v[23:24]
	v_fma_f64 v[25:26], v[23:24], s[6:7], v[25:26]
	s_mov_b32 s6, 0xfca7ab0c
	s_mov_b32 s7, 0x3e928af3
	s_delay_alu instid0(VALU_DEP_1) | instid1(SALU_CYCLE_1)
	v_fma_f64 v[27:28], v[25:26], s[14:15], s[6:7]
	s_mov_b32 s6, 0x623fde64
	s_mov_b32 s7, 0x3ec71dee
	s_delay_alu instid0(VALU_DEP_1) | instid1(SALU_CYCLE_1)
	;; [unrolled: 4-line block ×9, first 2 shown]
	v_fma_f64 v[27:28], v[25:26], v[27:28], s[6:7]
	v_cmp_nlt_f64_e64 s6, 0x40900000, v[11:12]
	v_cmp_ngt_f64_e64 s7, 0xc090cc00, v[11:12]
	s_delay_alu instid0(VALU_DEP_3) | instskip(NEXT) | instid1(VALU_DEP_1)
	v_fma_f64 v[27:28], v[25:26], v[27:28], 1.0
	v_fma_f64 v[23:24], v[25:26], v[27:28], 1.0
	s_delay_alu instid0(VALU_DEP_1) | instskip(NEXT) | instid1(VALU_DEP_1)
	v_ldexp_f64 v[23:24], v[23:24], v0
	v_cndmask_b32_e64 v0, 0x7ff00000, v24, s6
	s_and_b32 s6, s7, s6
	s_delay_alu instid0(VALU_DEP_2) | instid1(SALU_CYCLE_1)
	v_cndmask_b32_e64 v11, 0, v23, s6
	s_delay_alu instid0(VALU_DEP_2) | instskip(NEXT) | instid1(VALU_DEP_1)
	v_cndmask_b32_e64 v12, 0, v0, s7
	v_add_f64 v[9:10], v[9:10], v[11:12]
	s_or_b32 exec_lo, exec_lo, s10
	s_and_saveexec_b32 s10, s1
	s_cbranch_execnz .LBB26_15
	s_branch .LBB26_16
.LBB26_30:
	ds_load_b64 v[9:10], v22
	s_or_b32 exec_lo, exec_lo, s2
	s_and_saveexec_b32 s2, s4
	s_cbranch_execz .LBB26_20
.LBB26_31:
	s_waitcnt lgkmcnt(0)
	ds_bpermute_b32 v11, v16, v9
	ds_bpermute_b32 v12, v16, v10
	s_waitcnt lgkmcnt(0)
	v_add_f64 v[9:10], v[9:10], v[11:12]
	ds_bpermute_b32 v11, v17, v9
	ds_bpermute_b32 v12, v17, v10
	s_waitcnt lgkmcnt(0)
	v_add_f64 v[9:10], v[9:10], v[11:12]
	;; [unrolled: 4-line block ×5, first 2 shown]
	s_or_b32 exec_lo, exec_lo, s2
	s_and_saveexec_b32 s2, s5
	s_cbranch_execnz .LBB26_21
	s_branch .LBB26_22
.LBB26_32:
	v_add_f64 v[0:1], v[1:2], -v[7:8]
	s_delay_alu instid0(VALU_DEP_1)
	v_add_f64 v[0:1], v[0:1], -v[9:10]
	global_store_b64 v13, v[0:1], s[4:5]
	s_or_b32 exec_lo, exec_lo, s2
	s_and_saveexec_b32 s2, s0
	s_cbranch_execz .LBB26_24
.LBB26_33:
	v_add_f64 v[0:1], v[3:4], -v[7:8]
	s_delay_alu instid0(VALU_DEP_1)
	v_add_f64 v[0:1], v[0:1], -v[9:10]
	global_store_b64 v14, v[0:1], s[4:5]
	s_or_b32 exec_lo, exec_lo, s2
	s_and_saveexec_b32 s0, s1
	s_cbranch_execz .LBB26_25
.LBB26_34:
	v_add_f64 v[0:1], v[5:6], -v[7:8]
	s_delay_alu instid0(VALU_DEP_1)
	v_add_f64 v[0:1], v[0:1], -v[9:10]
	global_store_b64 v15, v[0:1], s[4:5]
	s_nop 0
	s_sendmsg sendmsg(MSG_DEALLOC_VGPRS)
	s_endpgm
	.section	.rodata,"a",@progbits
	.p2align	6, 0x0
	.amdhsa_kernel _ZN2at6native12_GLOBAL__N_122cunn_SoftMaxForwardRegIdddNS1_25LogSoftMaxForwardEpilogueElLi3EEEvPT1_PKT_T3_
		.amdhsa_group_segment_fixed_size 0
		.amdhsa_private_segment_fixed_size 0
		.amdhsa_kernarg_size 280
		.amdhsa_user_sgpr_count 15
		.amdhsa_user_sgpr_dispatch_ptr 0
		.amdhsa_user_sgpr_queue_ptr 0
		.amdhsa_user_sgpr_kernarg_segment_ptr 1
		.amdhsa_user_sgpr_dispatch_id 0
		.amdhsa_user_sgpr_private_segment_size 0
		.amdhsa_wavefront_size32 1
		.amdhsa_uses_dynamic_stack 0
		.amdhsa_enable_private_segment 0
		.amdhsa_system_sgpr_workgroup_id_x 1
		.amdhsa_system_sgpr_workgroup_id_y 0
		.amdhsa_system_sgpr_workgroup_id_z 0
		.amdhsa_system_sgpr_workgroup_info 0
		.amdhsa_system_vgpr_workitem_id 0
		.amdhsa_next_free_vgpr 34
		.amdhsa_next_free_sgpr 16
		.amdhsa_reserve_vcc 1
		.amdhsa_float_round_mode_32 0
		.amdhsa_float_round_mode_16_64 0
		.amdhsa_float_denorm_mode_32 3
		.amdhsa_float_denorm_mode_16_64 3
		.amdhsa_dx10_clamp 1
		.amdhsa_ieee_mode 1
		.amdhsa_fp16_overflow 0
		.amdhsa_workgroup_processor_mode 1
		.amdhsa_memory_ordered 1
		.amdhsa_forward_progress 0
		.amdhsa_shared_vgpr_count 0
		.amdhsa_exception_fp_ieee_invalid_op 0
		.amdhsa_exception_fp_denorm_src 0
		.amdhsa_exception_fp_ieee_div_zero 0
		.amdhsa_exception_fp_ieee_overflow 0
		.amdhsa_exception_fp_ieee_underflow 0
		.amdhsa_exception_fp_ieee_inexact 0
		.amdhsa_exception_int_div_zero 0
	.end_amdhsa_kernel
	.section	.text._ZN2at6native12_GLOBAL__N_122cunn_SoftMaxForwardRegIdddNS1_25LogSoftMaxForwardEpilogueElLi3EEEvPT1_PKT_T3_,"axG",@progbits,_ZN2at6native12_GLOBAL__N_122cunn_SoftMaxForwardRegIdddNS1_25LogSoftMaxForwardEpilogueElLi3EEEvPT1_PKT_T3_,comdat
.Lfunc_end26:
	.size	_ZN2at6native12_GLOBAL__N_122cunn_SoftMaxForwardRegIdddNS1_25LogSoftMaxForwardEpilogueElLi3EEEvPT1_PKT_T3_, .Lfunc_end26-_ZN2at6native12_GLOBAL__N_122cunn_SoftMaxForwardRegIdddNS1_25LogSoftMaxForwardEpilogueElLi3EEEvPT1_PKT_T3_
                                        ; -- End function
	.section	.AMDGPU.csdata,"",@progbits
; Kernel info:
; codeLenInByte = 4316
; NumSgprs: 18
; NumVgprs: 34
; ScratchSize: 0
; MemoryBound: 0
; FloatMode: 240
; IeeeMode: 1
; LDSByteSize: 0 bytes/workgroup (compile time only)
; SGPRBlocks: 2
; VGPRBlocks: 4
; NumSGPRsForWavesPerEU: 18
; NumVGPRsForWavesPerEU: 34
; Occupancy: 16
; WaveLimiterHint : 0
; COMPUTE_PGM_RSRC2:SCRATCH_EN: 0
; COMPUTE_PGM_RSRC2:USER_SGPR: 15
; COMPUTE_PGM_RSRC2:TRAP_HANDLER: 0
; COMPUTE_PGM_RSRC2:TGID_X_EN: 1
; COMPUTE_PGM_RSRC2:TGID_Y_EN: 0
; COMPUTE_PGM_RSRC2:TGID_Z_EN: 0
; COMPUTE_PGM_RSRC2:TIDIG_COMP_CNT: 0
	.section	.text._ZN2at6native12_GLOBAL__N_122cunn_SoftMaxForwardRegIdddNS1_25LogSoftMaxForwardEpilogueElLi4EEEvPT1_PKT_T3_,"axG",@progbits,_ZN2at6native12_GLOBAL__N_122cunn_SoftMaxForwardRegIdddNS1_25LogSoftMaxForwardEpilogueElLi4EEEvPT1_PKT_T3_,comdat
	.globl	_ZN2at6native12_GLOBAL__N_122cunn_SoftMaxForwardRegIdddNS1_25LogSoftMaxForwardEpilogueElLi4EEEvPT1_PKT_T3_ ; -- Begin function _ZN2at6native12_GLOBAL__N_122cunn_SoftMaxForwardRegIdddNS1_25LogSoftMaxForwardEpilogueElLi4EEEvPT1_PKT_T3_
	.p2align	8
	.type	_ZN2at6native12_GLOBAL__N_122cunn_SoftMaxForwardRegIdddNS1_25LogSoftMaxForwardEpilogueElLi4EEEvPT1_PKT_T3_,@function
_ZN2at6native12_GLOBAL__N_122cunn_SoftMaxForwardRegIdddNS1_25LogSoftMaxForwardEpilogueElLi4EEEvPT1_PKT_T3_: ; @_ZN2at6native12_GLOBAL__N_122cunn_SoftMaxForwardRegIdddNS1_25LogSoftMaxForwardEpilogueElLi4EEEvPT1_PKT_T3_
; %bb.0:
	s_clause 0x2
	s_load_b64 s[2:3], s[0:1], 0x10
	s_load_b128 s[16:19], s[0:1], 0x0
	s_load_b32 s6, s[0:1], 0x24
	s_mov_b32 s0, -1
	s_mov_b32 s1, 0xffefffff
	v_mov_b32_e32 v12, 0
	v_dual_mov_b32 v10, s1 :: v_dual_mov_b32 v9, s0
	v_lshlrev_b32_e32 v15, 3, v0
	s_delay_alu instid0(VALU_DEP_3)
	v_mov_b32_e32 v1, v12
	s_waitcnt lgkmcnt(0)
	s_mul_i32 s5, s15, s3
	s_mul_hi_u32 s7, s15, s2
	s_mul_i32 s4, s15, s2
	s_add_i32 s5, s7, s5
	v_cmp_gt_i64_e32 vcc_lo, s[2:3], v[0:1]
	s_lshl_b64 s[10:11], s[4:5], 3
                                        ; implicit-def: $vgpr1_vgpr2_vgpr3_vgpr4_vgpr5_vgpr6_vgpr7_vgpr8
	s_delay_alu instid0(SALU_CYCLE_1)
	s_add_u32 s4, s18, s10
	s_addc_u32 s5, s19, s11
	s_and_saveexec_b32 s7, vcc_lo
	s_cbranch_execz .LBB27_2
; %bb.1:
	global_load_b64 v[1:2], v15, s[4:5]
	s_waitcnt vmcnt(0)
	v_max_f64 v[3:4], v[1:2], v[1:2]
	s_delay_alu instid0(VALU_DEP_1)
	v_max_f64 v[9:10], v[3:4], s[0:1]
.LBB27_2:
	s_or_b32 exec_lo, exec_lo, s7
	s_and_b32 s7, 0xffff, s6
	s_delay_alu instid0(SALU_CYCLE_1) | instskip(NEXT) | instid1(VALU_DEP_1)
	v_add_nc_u32_e32 v11, s7, v0
	v_cmp_gt_i64_e64 s0, s[2:3], v[11:12]
	v_lshlrev_b32_e32 v16, 3, v11
	s_delay_alu instid0(VALU_DEP_2)
	s_and_saveexec_b32 s1, s0
	s_cbranch_execz .LBB27_4
; %bb.3:
	global_load_b64 v[3:4], v16, s[4:5]
	v_max_f64 v[9:10], v[9:10], v[9:10]
	s_waitcnt vmcnt(0)
	v_max_f64 v[12:13], v[3:4], v[3:4]
	s_delay_alu instid0(VALU_DEP_1)
	v_max_f64 v[9:10], v[9:10], v[12:13]
.LBB27_4:
	s_or_b32 exec_lo, exec_lo, s1
	v_dual_mov_b32 v12, 0 :: v_dual_add_nc_u32 v11, s7, v11
	s_delay_alu instid0(VALU_DEP_1) | instskip(NEXT) | instid1(VALU_DEP_2)
	v_lshlrev_b32_e32 v17, 3, v11
	v_cmp_gt_i64_e64 s1, s[2:3], v[11:12]
	s_delay_alu instid0(VALU_DEP_1)
	s_and_saveexec_b32 s6, s1
	s_cbranch_execz .LBB27_6
; %bb.5:
	global_load_b64 v[5:6], v17, s[4:5]
	v_max_f64 v[9:10], v[9:10], v[9:10]
	s_waitcnt vmcnt(0)
	v_max_f64 v[13:14], v[5:6], v[5:6]
	s_delay_alu instid0(VALU_DEP_1)
	v_max_f64 v[9:10], v[9:10], v[13:14]
.LBB27_6:
	s_or_b32 exec_lo, exec_lo, s6
	v_add_nc_u32_e32 v11, s7, v11
	s_delay_alu instid0(VALU_DEP_1) | instskip(SKIP_1) | instid1(VALU_DEP_2)
	v_cmp_gt_i64_e64 s2, s[2:3], v[11:12]
	v_lshlrev_b32_e32 v18, 3, v11
	s_and_saveexec_b32 s3, s2
	s_cbranch_execz .LBB27_8
; %bb.7:
	global_load_b64 v[7:8], v18, s[4:5]
	v_max_f64 v[9:10], v[9:10], v[9:10]
	s_waitcnt vmcnt(0)
	v_max_f64 v[11:12], v[7:8], v[7:8]
	s_delay_alu instid0(VALU_DEP_1)
	v_max_f64 v[9:10], v[9:10], v[11:12]
.LBB27_8:
	s_or_b32 exec_lo, exec_lo, s3
	v_mbcnt_lo_u32_b32 v13, -1, 0
	v_lshrrev_b32_e32 v24, 2, v0
	s_mov_b32 s6, -1
	s_barrier
	s_delay_alu instid0(VALU_DEP_2)
	v_cmp_gt_u32_e64 s3, 16, v13
	v_cmp_gt_u32_e64 s4, 24, v13
	buffer_gl0_inv
	v_cndmask_b32_e64 v11, 0, 1, s3
	v_cndmask_b32_e64 v14, 0, 1, s4
	v_cmp_gt_u32_e64 s4, 28, v13
	s_delay_alu instid0(VALU_DEP_3) | instskip(NEXT) | instid1(VALU_DEP_3)
	v_lshlrev_b32_e32 v11, 4, v11
	v_lshlrev_b32_e32 v14, 3, v14
	s_delay_alu instid0(VALU_DEP_2) | instskip(NEXT) | instid1(VALU_DEP_2)
	v_add_lshl_u32 v19, v11, v13, 2
	v_add_lshl_u32 v20, v14, v13, 2
	v_cndmask_b32_e64 v14, 0, 1, s4
	v_cmp_gt_u32_e64 s4, 30, v13
	ds_bpermute_b32 v11, v19, v9
	ds_bpermute_b32 v12, v19, v10
	v_lshlrev_b32_e32 v14, 2, v14
	s_delay_alu instid0(VALU_DEP_1) | instskip(SKIP_2) | instid1(VALU_DEP_2)
	v_add_lshl_u32 v21, v14, v13, 2
	v_cndmask_b32_e64 v14, 0, 1, s4
	v_cmp_ne_u32_e64 s4, 31, v13
	v_lshlrev_b32_e32 v14, 1, v14
	s_delay_alu instid0(VALU_DEP_1) | instskip(NEXT) | instid1(VALU_DEP_3)
	v_add_lshl_u32 v22, v14, v13, 2
	v_add_co_ci_u32_e64 v13, s4, 0, v13, s4
	s_waitcnt lgkmcnt(0)
	v_cmp_lt_f64_e64 s3, v[9:10], v[11:12]
	s_delay_alu instid0(VALU_DEP_2) | instskip(SKIP_1) | instid1(VALU_DEP_3)
	v_lshlrev_b32_e32 v23, 2, v13
	v_and_b32_e32 v13, 31, v0
	v_cndmask_b32_e64 v10, v10, v12, s3
	v_cndmask_b32_e64 v9, v9, v11, s3
	ds_bpermute_b32 v12, v20, v10
	ds_bpermute_b32 v11, v20, v9
	s_waitcnt lgkmcnt(0)
	v_cmp_lt_f64_e64 s3, v[9:10], v[11:12]
	s_delay_alu instid0(VALU_DEP_1)
	v_cndmask_b32_e64 v10, v10, v12, s3
	v_cndmask_b32_e64 v9, v9, v11, s3
	ds_bpermute_b32 v12, v21, v10
	ds_bpermute_b32 v11, v21, v9
	s_waitcnt lgkmcnt(0)
	v_cmp_lt_f64_e64 s3, v[9:10], v[11:12]
	s_delay_alu instid0(VALU_DEP_1)
	;; [unrolled: 7-line block ×3, first 2 shown]
	v_cndmask_b32_e64 v10, v10, v12, s3
	v_cndmask_b32_e64 v9, v9, v11, s3
	v_cmp_eq_u32_e64 s3, 0, v13
	ds_bpermute_b32 v12, v23, v10
	ds_bpermute_b32 v11, v23, v9
	s_and_saveexec_b32 s4, s3
	s_delay_alu instid0(SALU_CYCLE_1)
	s_xor_b32 s5, exec_lo, s4
	s_cbranch_execz .LBB27_10
; %bb.9:
	s_waitcnt lgkmcnt(0)
	v_cmp_lt_f64_e64 s4, v[9:10], v[11:12]
	v_add_nc_u32_e32 v14, 0, v24
	s_delay_alu instid0(VALU_DEP_2)
	v_cndmask_b32_e64 v10, v10, v12, s4
	v_cndmask_b32_e64 v9, v9, v11, s4
	ds_store_b64 v14, v[9:10]
.LBB27_10:
	s_or_b32 exec_lo, exec_lo, s5
	s_lshr_b32 s4, s7, 5
	s_mov_b32 s7, 0xffefffff
	v_cmp_gt_u32_e64 s4, s4, v0
	v_dual_mov_b32 v10, s7 :: v_dual_mov_b32 v9, s6
	v_lshl_add_u32 v25, v13, 3, 0
	s_waitcnt lgkmcnt(0)
	s_barrier
	buffer_gl0_inv
	s_and_saveexec_b32 s5, s4
	s_cbranch_execnz .LBB27_30
; %bb.11:
	s_or_b32 exec_lo, exec_lo, s5
	v_cmp_gt_u32_e64 s5, 32, v0
	s_delay_alu instid0(VALU_DEP_1)
	s_and_saveexec_b32 s7, s5
	s_cbranch_execnz .LBB27_31
.LBB27_12:
	s_or_b32 exec_lo, exec_lo, s7
	v_cmp_eq_u32_e64 s6, 0, v0
	s_delay_alu instid0(VALU_DEP_1)
	s_and_saveexec_b32 s7, s6
	s_cbranch_execz .LBB27_14
.LBB27_13:
	v_mov_b32_e32 v0, 0
	s_waitcnt lgkmcnt(0)
	ds_store_b64 v0, v[9:10]
.LBB27_14:
	s_or_b32 exec_lo, exec_lo, s7
	v_dual_mov_b32 v0, 0 :: v_dual_mov_b32 v11, 0
	s_waitcnt lgkmcnt(0)
	s_barrier
	buffer_gl0_inv
	ds_load_b64 v[9:10], v0
	v_mov_b32_e32 v12, 0
	s_and_saveexec_b32 s9, vcc_lo
	s_cbranch_execnz .LBB27_32
; %bb.15:
	s_or_b32 exec_lo, exec_lo, s9
	s_and_saveexec_b32 s9, s0
	s_cbranch_execnz .LBB27_33
.LBB27_16:
	s_or_b32 exec_lo, exec_lo, s9
	s_and_saveexec_b32 s9, s1
	s_cbranch_execnz .LBB27_34
.LBB27_17:
	s_or_b32 exec_lo, exec_lo, s9
	s_and_saveexec_b32 s9, s2
	s_cbranch_execz .LBB27_19
.LBB27_18:
	s_waitcnt lgkmcnt(0)
	v_add_f64 v[13:14], v[7:8], -v[9:10]
	s_mov_b32 s12, 0x652b82fe
	s_mov_b32 s13, 0x3ff71547
	;; [unrolled: 1-line block ×4, first 2 shown]
	s_delay_alu instid0(VALU_DEP_1) | instskip(SKIP_4) | instid1(VALU_DEP_3)
	v_mul_f64 v[26:27], v[13:14], s[12:13]
	s_mov_b32 s12, 0xfefa39ef
	s_mov_b32 s13, 0xbfe62e42
	v_cmp_nlt_f64_e64 s7, 0x40900000, v[13:14]
	v_cmp_ngt_f64_e64 s8, 0xc090cc00, v[13:14]
	v_rndne_f64_e32 v[26:27], v[26:27]
	s_delay_alu instid0(VALU_DEP_1) | instskip(SKIP_3) | instid1(VALU_DEP_2)
	v_fma_f64 v[28:29], v[26:27], s[12:13], v[13:14]
	s_mov_b32 s12, 0x3b39803f
	s_mov_b32 s13, 0xbc7abc9e
	v_cvt_i32_f64_e32 v0, v[26:27]
	v_fma_f64 v[28:29], v[26:27], s[12:13], v[28:29]
	s_mov_b32 s12, 0xfca7ab0c
	s_mov_b32 s13, 0x3e928af3
	s_delay_alu instid0(VALU_DEP_1) | instid1(SALU_CYCLE_1)
	v_fma_f64 v[30:31], v[28:29], s[14:15], s[12:13]
	s_mov_b32 s12, 0x623fde64
	s_mov_b32 s13, 0x3ec71dee
	s_delay_alu instid0(VALU_DEP_1) | instid1(SALU_CYCLE_1)
	;; [unrolled: 4-line block ×9, first 2 shown]
	v_fma_f64 v[30:31], v[28:29], v[30:31], s[12:13]
	s_delay_alu instid0(VALU_DEP_1) | instskip(NEXT) | instid1(VALU_DEP_1)
	v_fma_f64 v[30:31], v[28:29], v[30:31], 1.0
	v_fma_f64 v[26:27], v[28:29], v[30:31], 1.0
	s_delay_alu instid0(VALU_DEP_1) | instskip(NEXT) | instid1(VALU_DEP_1)
	v_ldexp_f64 v[26:27], v[26:27], v0
	v_cndmask_b32_e64 v0, 0x7ff00000, v27, s7
	s_and_b32 s7, s8, s7
	s_delay_alu instid0(VALU_DEP_2) | instid1(SALU_CYCLE_1)
	v_cndmask_b32_e64 v13, 0, v26, s7
	s_delay_alu instid0(VALU_DEP_2) | instskip(NEXT) | instid1(VALU_DEP_1)
	v_cndmask_b32_e64 v14, 0, v0, s8
	v_add_f64 v[11:12], v[11:12], v[13:14]
.LBB27_19:
	s_or_b32 exec_lo, exec_lo, s9
	ds_bpermute_b32 v13, v19, v11
	ds_bpermute_b32 v14, v19, v12
	s_waitcnt lgkmcnt(0)
	s_barrier
	buffer_gl0_inv
	v_add_f64 v[11:12], v[11:12], v[13:14]
	ds_bpermute_b32 v13, v20, v11
	ds_bpermute_b32 v14, v20, v12
	s_waitcnt lgkmcnt(0)
	v_add_f64 v[11:12], v[11:12], v[13:14]
	ds_bpermute_b32 v13, v21, v11
	ds_bpermute_b32 v14, v21, v12
	s_waitcnt lgkmcnt(0)
	;; [unrolled: 4-line block ×3, first 2 shown]
	v_add_f64 v[11:12], v[11:12], v[13:14]
	ds_bpermute_b32 v13, v23, v11
	ds_bpermute_b32 v14, v23, v12
	s_and_saveexec_b32 s7, s3
	s_delay_alu instid0(SALU_CYCLE_1)
	s_xor_b32 s3, exec_lo, s7
	s_cbranch_execz .LBB27_21
; %bb.20:
	s_waitcnt lgkmcnt(0)
	v_add_f64 v[11:12], v[11:12], v[13:14]
	v_add_nc_u32_e32 v0, 0, v24
	ds_store_b64 v0, v[11:12]
.LBB27_21:
	s_or_b32 exec_lo, exec_lo, s3
	v_mov_b32_e32 v11, 0
	v_mov_b32_e32 v12, 0
	s_waitcnt lgkmcnt(0)
	s_barrier
	buffer_gl0_inv
	s_and_saveexec_b32 s3, s4
	s_cbranch_execnz .LBB27_35
; %bb.22:
	s_or_b32 exec_lo, exec_lo, s3
	s_and_saveexec_b32 s3, s5
	s_cbranch_execnz .LBB27_36
.LBB27_23:
	s_or_b32 exec_lo, exec_lo, s3
	s_and_saveexec_b32 s3, s6
	s_cbranch_execz .LBB27_25
.LBB27_24:
	v_mov_b32_e32 v0, 0
	s_waitcnt lgkmcnt(0)
	ds_store_b64 v0, v[11:12]
.LBB27_25:
	s_or_b32 exec_lo, exec_lo, s3
	v_mov_b32_e32 v0, 0
	s_waitcnt lgkmcnt(0)
	s_barrier
	buffer_gl0_inv
	s_mov_b32 s5, 0x3fe55555
	ds_load_b64 v[12:13], v0
	s_mov_b32 s4, 0x55555555
	s_add_u32 s6, s16, s10
	s_addc_u32 s7, s17, s11
	s_mov_b32 s8, 0
	s_mov_b32 s10, 0xbf559e2b
	s_mov_b32 s11, 0x3fc3ab76
	s_waitcnt lgkmcnt(0)
	v_frexp_mant_f64_e32 v[19:20], v[12:13]
	v_frexp_exp_i32_f64_e32 v0, v[12:13]
	s_delay_alu instid0(VALU_DEP_2) | instskip(NEXT) | instid1(VALU_DEP_1)
	v_cmp_gt_f64_e64 s3, s[4:5], v[19:20]
	v_subrev_co_ci_u32_e64 v0, s4, 0, v0, s3
	s_and_b32 s3, s3, exec_lo
	s_cselect_b32 s9, 2.0, 0x3ff00000
	s_mov_b32 s4, 0x55555780
	v_mul_f64 v[19:20], v[19:20], s[8:9]
	s_mov_b32 s8, 0x6b47b09a
	s_mov_b32 s9, 0x3fc38538
	v_cmp_class_f64_e64 s3, v[12:13], 0x204
	s_delay_alu instid0(VALU_DEP_2) | instskip(SKIP_1) | instid1(VALU_DEP_2)
	v_add_f64 v[21:22], v[19:20], 1.0
	v_add_f64 v[27:28], v[19:20], -1.0
	v_rcp_f64_e32 v[23:24], v[21:22]
	v_add_f64 v[29:30], v[21:22], -1.0
	s_delay_alu instid0(VALU_DEP_1) | instskip(SKIP_2) | instid1(VALU_DEP_1)
	v_add_f64 v[19:20], v[19:20], -v[29:30]
	s_waitcnt_depctr 0xfff
	v_fma_f64 v[25:26], -v[21:22], v[23:24], 1.0
	v_fma_f64 v[23:24], v[25:26], v[23:24], v[23:24]
	s_delay_alu instid0(VALU_DEP_1) | instskip(NEXT) | instid1(VALU_DEP_1)
	v_fma_f64 v[25:26], -v[21:22], v[23:24], 1.0
	v_fma_f64 v[23:24], v[25:26], v[23:24], v[23:24]
	s_delay_alu instid0(VALU_DEP_1) | instskip(NEXT) | instid1(VALU_DEP_1)
	v_mul_f64 v[25:26], v[27:28], v[23:24]
	v_mul_f64 v[31:32], v[21:22], v[25:26]
	s_delay_alu instid0(VALU_DEP_1) | instskip(NEXT) | instid1(VALU_DEP_1)
	v_fma_f64 v[21:22], v[25:26], v[21:22], -v[31:32]
	v_fma_f64 v[19:20], v[25:26], v[19:20], v[21:22]
	s_delay_alu instid0(VALU_DEP_1) | instskip(NEXT) | instid1(VALU_DEP_1)
	v_add_f64 v[21:22], v[31:32], v[19:20]
	v_add_f64 v[29:30], v[27:28], -v[21:22]
	v_add_f64 v[31:32], v[21:22], -v[31:32]
	s_delay_alu instid0(VALU_DEP_2) | instskip(NEXT) | instid1(VALU_DEP_2)
	v_add_f64 v[27:28], v[27:28], -v[29:30]
	v_add_f64 v[19:20], v[31:32], -v[19:20]
	s_delay_alu instid0(VALU_DEP_2) | instskip(NEXT) | instid1(VALU_DEP_1)
	v_add_f64 v[21:22], v[27:28], -v[21:22]
	v_add_f64 v[19:20], v[19:20], v[21:22]
	s_delay_alu instid0(VALU_DEP_1) | instskip(NEXT) | instid1(VALU_DEP_1)
	v_add_f64 v[19:20], v[29:30], v[19:20]
	v_mul_f64 v[19:20], v[23:24], v[19:20]
	s_delay_alu instid0(VALU_DEP_1) | instskip(NEXT) | instid1(VALU_DEP_1)
	v_add_f64 v[21:22], v[25:26], v[19:20]
	v_mul_f64 v[23:24], v[21:22], v[21:22]
	s_delay_alu instid0(VALU_DEP_1) | instskip(SKIP_3) | instid1(VALU_DEP_2)
	v_fma_f64 v[27:28], v[23:24], s[10:11], s[8:9]
	s_mov_b32 s8, 0xd7f4df2e
	s_mov_b32 s9, 0x3fc7474d
	v_mul_f64 v[29:30], v[21:22], v[23:24]
	v_fma_f64 v[27:28], v[23:24], v[27:28], s[8:9]
	s_mov_b32 s8, 0x16291751
	s_mov_b32 s9, 0x3fcc71c0
	s_delay_alu instid0(VALU_DEP_1) | instid1(SALU_CYCLE_1)
	v_fma_f64 v[27:28], v[23:24], v[27:28], s[8:9]
	s_mov_b32 s8, 0x9b27acf1
	s_mov_b32 s9, 0x3fd24924
	s_delay_alu instid0(VALU_DEP_1) | instid1(SALU_CYCLE_1)
	v_fma_f64 v[27:28], v[23:24], v[27:28], s[8:9]
	s_mov_b32 s8, 0x998ef7b6
	s_mov_b32 s9, 0x3fd99999
	s_delay_alu instid0(VALU_DEP_1) | instid1(SALU_CYCLE_1)
	v_fma_f64 v[27:28], v[23:24], v[27:28], s[8:9]
	s_delay_alu instid0(VALU_DEP_1) | instskip(SKIP_4) | instid1(VALU_DEP_3)
	v_fma_f64 v[23:24], v[23:24], v[27:28], s[4:5]
	v_ldexp_f64 v[27:28], v[21:22], 1
	v_add_f64 v[21:22], v[21:22], -v[25:26]
	s_mov_b32 s4, 0xfefa39ef
	s_mov_b32 s5, 0x3fe62e42
	v_mul_f64 v[23:24], v[29:30], v[23:24]
	v_cvt_f64_i32_e32 v[29:30], v0
	s_delay_alu instid0(VALU_DEP_3) | instskip(NEXT) | instid1(VALU_DEP_3)
	v_add_f64 v[19:20], v[19:20], -v[21:22]
	v_add_f64 v[25:26], v[27:28], v[23:24]
	s_delay_alu instid0(VALU_DEP_3) | instskip(NEXT) | instid1(VALU_DEP_3)
	v_mul_f64 v[31:32], v[29:30], s[4:5]
	v_ldexp_f64 v[19:20], v[19:20], 1
	s_delay_alu instid0(VALU_DEP_3) | instskip(NEXT) | instid1(VALU_DEP_3)
	v_add_f64 v[21:22], v[25:26], -v[27:28]
	v_fma_f64 v[27:28], v[29:30], s[4:5], -v[31:32]
	s_mov_b32 s4, 0x3b39803f
	s_mov_b32 s5, 0x3c7abc9e
	s_delay_alu instid0(VALU_DEP_2) | instskip(NEXT) | instid1(VALU_DEP_2)
	v_add_f64 v[21:22], v[23:24], -v[21:22]
	v_fma_f64 v[23:24], v[29:30], s[4:5], v[27:28]
	s_delay_alu instid0(VALU_DEP_2) | instskip(NEXT) | instid1(VALU_DEP_2)
	v_add_f64 v[19:20], v[19:20], v[21:22]
	v_add_f64 v[21:22], v[31:32], v[23:24]
	s_delay_alu instid0(VALU_DEP_2) | instskip(NEXT) | instid1(VALU_DEP_2)
	v_add_f64 v[27:28], v[25:26], v[19:20]
	v_add_f64 v[31:32], v[21:22], -v[31:32]
	s_delay_alu instid0(VALU_DEP_2) | instskip(SKIP_1) | instid1(VALU_DEP_3)
	v_add_f64 v[29:30], v[21:22], v[27:28]
	v_add_f64 v[25:26], v[27:28], -v[25:26]
	v_add_f64 v[23:24], v[23:24], -v[31:32]
	s_delay_alu instid0(VALU_DEP_3) | instskip(NEXT) | instid1(VALU_DEP_3)
	v_add_f64 v[33:34], v[29:30], -v[21:22]
	v_add_f64 v[19:20], v[19:20], -v[25:26]
	s_delay_alu instid0(VALU_DEP_2) | instskip(SKIP_1) | instid1(VALU_DEP_3)
	v_add_f64 v[35:36], v[29:30], -v[33:34]
	v_add_f64 v[25:26], v[27:28], -v[33:34]
	v_add_f64 v[27:28], v[23:24], v[19:20]
	s_delay_alu instid0(VALU_DEP_3) | instskip(NEXT) | instid1(VALU_DEP_1)
	v_add_f64 v[21:22], v[21:22], -v[35:36]
	v_add_f64 v[21:22], v[25:26], v[21:22]
	s_delay_alu instid0(VALU_DEP_3) | instskip(NEXT) | instid1(VALU_DEP_2)
	v_add_f64 v[25:26], v[27:28], -v[23:24]
	v_add_f64 v[21:22], v[27:28], v[21:22]
	s_delay_alu instid0(VALU_DEP_2) | instskip(SKIP_1) | instid1(VALU_DEP_3)
	v_add_f64 v[27:28], v[27:28], -v[25:26]
	v_add_f64 v[19:20], v[19:20], -v[25:26]
	v_add_f64 v[31:32], v[29:30], v[21:22]
	s_delay_alu instid0(VALU_DEP_3) | instskip(NEXT) | instid1(VALU_DEP_2)
	v_add_f64 v[23:24], v[23:24], -v[27:28]
	v_add_f64 v[25:26], v[31:32], -v[29:30]
	s_delay_alu instid0(VALU_DEP_2) | instskip(NEXT) | instid1(VALU_DEP_2)
	v_add_f64 v[19:20], v[19:20], v[23:24]
	v_add_f64 v[21:22], v[21:22], -v[25:26]
	s_delay_alu instid0(VALU_DEP_1) | instskip(NEXT) | instid1(VALU_DEP_1)
	v_add_f64 v[19:20], v[19:20], v[21:22]
	v_add_f64 v[19:20], v[31:32], v[19:20]
	s_delay_alu instid0(VALU_DEP_1) | instskip(NEXT) | instid1(VALU_DEP_2)
	v_cndmask_b32_e64 v0, v19, v12, s3
	v_cndmask_b32_e64 v11, v20, v13, s3
	v_cmp_ngt_f64_e64 s3, 0, v[12:13]
	s_delay_alu instid0(VALU_DEP_1) | instskip(SKIP_1) | instid1(VALU_DEP_1)
	v_cndmask_b32_e64 v14, 0x7ff80000, v11, s3
	v_cmp_nge_f64_e64 s3, 0, v[12:13]
	v_cndmask_b32_e64 v11, 0, v0, s3
	v_cmp_neq_f64_e64 s3, 0, v[12:13]
	s_delay_alu instid0(VALU_DEP_1)
	v_cndmask_b32_e64 v12, 0xfff00000, v14, s3
	s_and_saveexec_b32 s3, vcc_lo
	s_cbranch_execnz .LBB27_37
; %bb.26:
	s_or_b32 exec_lo, exec_lo, s3
	s_and_saveexec_b32 s3, s0
	s_cbranch_execnz .LBB27_38
.LBB27_27:
	s_or_b32 exec_lo, exec_lo, s3
	s_and_saveexec_b32 s0, s1
	s_cbranch_execnz .LBB27_39
.LBB27_28:
	s_or_b32 exec_lo, exec_lo, s0
	s_and_saveexec_b32 s0, s2
	s_cbranch_execnz .LBB27_40
.LBB27_29:
	s_nop 0
	s_sendmsg sendmsg(MSG_DEALLOC_VGPRS)
	s_endpgm
.LBB27_30:
	ds_load_b64 v[9:10], v25
	s_or_b32 exec_lo, exec_lo, s5
	v_cmp_gt_u32_e64 s5, 32, v0
	s_delay_alu instid0(VALU_DEP_1)
	s_and_saveexec_b32 s7, s5
	s_cbranch_execz .LBB27_12
.LBB27_31:
	s_waitcnt lgkmcnt(0)
	ds_bpermute_b32 v11, v19, v9
	ds_bpermute_b32 v12, v19, v10
	s_waitcnt lgkmcnt(0)
	v_cmp_lt_f64_e64 s6, v[9:10], v[11:12]
	s_delay_alu instid0(VALU_DEP_1)
	v_cndmask_b32_e64 v10, v10, v12, s6
	v_cndmask_b32_e64 v9, v9, v11, s6
	ds_bpermute_b32 v12, v20, v10
	ds_bpermute_b32 v11, v20, v9
	s_waitcnt lgkmcnt(0)
	v_cmp_lt_f64_e64 s6, v[9:10], v[11:12]
	s_delay_alu instid0(VALU_DEP_1)
	v_cndmask_b32_e64 v10, v10, v12, s6
	v_cndmask_b32_e64 v9, v9, v11, s6
	;; [unrolled: 7-line block ×4, first 2 shown]
	ds_bpermute_b32 v12, v23, v10
	ds_bpermute_b32 v11, v23, v9
	s_waitcnt lgkmcnt(0)
	v_cmp_lt_f64_e64 s6, v[9:10], v[11:12]
	s_delay_alu instid0(VALU_DEP_1) | instskip(SKIP_3) | instid1(VALU_DEP_1)
	v_cndmask_b32_e64 v10, v10, v12, s6
	v_cndmask_b32_e64 v9, v9, v11, s6
	s_or_b32 exec_lo, exec_lo, s7
	v_cmp_eq_u32_e64 s6, 0, v0
	s_and_saveexec_b32 s7, s6
	s_cbranch_execnz .LBB27_13
	s_branch .LBB27_14
.LBB27_32:
	s_waitcnt lgkmcnt(0)
	v_add_f64 v[11:12], v[1:2], -v[9:10]
	s_mov_b32 s12, 0x652b82fe
	s_mov_b32 s13, 0x3ff71547
	;; [unrolled: 1-line block ×4, first 2 shown]
	s_delay_alu instid0(VALU_DEP_1) | instskip(SKIP_4) | instid1(VALU_DEP_3)
	v_mul_f64 v[13:14], v[11:12], s[12:13]
	s_mov_b32 s12, 0xfefa39ef
	s_mov_b32 s13, 0xbfe62e42
	v_cmp_nlt_f64_e64 s7, 0x40900000, v[11:12]
	v_cmp_ngt_f64_e64 s8, 0xc090cc00, v[11:12]
	v_rndne_f64_e32 v[13:14], v[13:14]
	s_delay_alu instid0(VALU_DEP_1) | instskip(SKIP_3) | instid1(VALU_DEP_2)
	v_fma_f64 v[26:27], v[13:14], s[12:13], v[11:12]
	s_mov_b32 s12, 0x3b39803f
	s_mov_b32 s13, 0xbc7abc9e
	v_cvt_i32_f64_e32 v0, v[13:14]
	v_fma_f64 v[26:27], v[13:14], s[12:13], v[26:27]
	s_mov_b32 s12, 0xfca7ab0c
	s_mov_b32 s13, 0x3e928af3
	s_delay_alu instid0(VALU_DEP_1) | instid1(SALU_CYCLE_1)
	v_fma_f64 v[28:29], v[26:27], s[14:15], s[12:13]
	s_mov_b32 s12, 0x623fde64
	s_mov_b32 s13, 0x3ec71dee
	s_delay_alu instid0(VALU_DEP_1) | instid1(SALU_CYCLE_1)
	v_fma_f64 v[28:29], v[26:27], v[28:29], s[12:13]
	s_mov_b32 s12, 0x7c89e6b0
	s_mov_b32 s13, 0x3efa0199
	s_delay_alu instid0(VALU_DEP_1) | instid1(SALU_CYCLE_1)
	v_fma_f64 v[28:29], v[26:27], v[28:29], s[12:13]
	s_mov_b32 s12, 0x14761f6e
	s_mov_b32 s13, 0x3f2a01a0
	s_delay_alu instid0(VALU_DEP_1) | instid1(SALU_CYCLE_1)
	v_fma_f64 v[28:29], v[26:27], v[28:29], s[12:13]
	s_mov_b32 s12, 0x1852b7b0
	s_mov_b32 s13, 0x3f56c16c
	s_delay_alu instid0(VALU_DEP_1) | instid1(SALU_CYCLE_1)
	v_fma_f64 v[28:29], v[26:27], v[28:29], s[12:13]
	s_mov_b32 s12, 0x11122322
	s_mov_b32 s13, 0x3f811111
	s_delay_alu instid0(VALU_DEP_1) | instid1(SALU_CYCLE_1)
	v_fma_f64 v[28:29], v[26:27], v[28:29], s[12:13]
	s_mov_b32 s12, 0x555502a1
	s_mov_b32 s13, 0x3fa55555
	s_delay_alu instid0(VALU_DEP_1) | instid1(SALU_CYCLE_1)
	v_fma_f64 v[28:29], v[26:27], v[28:29], s[12:13]
	s_mov_b32 s12, 0x55555511
	s_mov_b32 s13, 0x3fc55555
	s_delay_alu instid0(VALU_DEP_1) | instid1(SALU_CYCLE_1)
	v_fma_f64 v[28:29], v[26:27], v[28:29], s[12:13]
	s_mov_b32 s12, 11
	s_mov_b32 s13, 0x3fe00000
	s_delay_alu instid0(VALU_DEP_1) | instid1(SALU_CYCLE_1)
	v_fma_f64 v[28:29], v[26:27], v[28:29], s[12:13]
	s_delay_alu instid0(VALU_DEP_1) | instskip(NEXT) | instid1(VALU_DEP_1)
	v_fma_f64 v[28:29], v[26:27], v[28:29], 1.0
	v_fma_f64 v[13:14], v[26:27], v[28:29], 1.0
	s_delay_alu instid0(VALU_DEP_1) | instskip(NEXT) | instid1(VALU_DEP_1)
	v_ldexp_f64 v[13:14], v[13:14], v0
	v_add_f64 v[13:14], v[13:14], 0
	s_delay_alu instid0(VALU_DEP_1)
	v_cndmask_b32_e64 v0, 0x7ff00000, v14, s7
	s_and_b32 s7, s8, s7
	s_delay_alu instid0(VALU_DEP_2) | instid1(SALU_CYCLE_1)
	v_cndmask_b32_e64 v11, 0, v13, s7
	s_delay_alu instid0(VALU_DEP_2)
	v_cndmask_b32_e64 v12, 0, v0, s8
	s_or_b32 exec_lo, exec_lo, s9
	s_and_saveexec_b32 s9, s0
	s_cbranch_execz .LBB27_16
.LBB27_33:
	s_waitcnt lgkmcnt(0)
	v_add_f64 v[13:14], v[3:4], -v[9:10]
	s_mov_b32 s12, 0x652b82fe
	s_mov_b32 s13, 0x3ff71547
	;; [unrolled: 1-line block ×4, first 2 shown]
	s_delay_alu instid0(VALU_DEP_1) | instskip(SKIP_4) | instid1(VALU_DEP_3)
	v_mul_f64 v[26:27], v[13:14], s[12:13]
	s_mov_b32 s12, 0xfefa39ef
	s_mov_b32 s13, 0xbfe62e42
	v_cmp_nlt_f64_e64 s7, 0x40900000, v[13:14]
	v_cmp_ngt_f64_e64 s8, 0xc090cc00, v[13:14]
	v_rndne_f64_e32 v[26:27], v[26:27]
	s_delay_alu instid0(VALU_DEP_1) | instskip(SKIP_3) | instid1(VALU_DEP_2)
	v_fma_f64 v[28:29], v[26:27], s[12:13], v[13:14]
	s_mov_b32 s12, 0x3b39803f
	s_mov_b32 s13, 0xbc7abc9e
	v_cvt_i32_f64_e32 v0, v[26:27]
	v_fma_f64 v[28:29], v[26:27], s[12:13], v[28:29]
	s_mov_b32 s12, 0xfca7ab0c
	s_mov_b32 s13, 0x3e928af3
	s_delay_alu instid0(VALU_DEP_1) | instid1(SALU_CYCLE_1)
	v_fma_f64 v[30:31], v[28:29], s[14:15], s[12:13]
	s_mov_b32 s12, 0x623fde64
	s_mov_b32 s13, 0x3ec71dee
	s_delay_alu instid0(VALU_DEP_1) | instid1(SALU_CYCLE_1)
	;; [unrolled: 4-line block ×9, first 2 shown]
	v_fma_f64 v[30:31], v[28:29], v[30:31], s[12:13]
	s_delay_alu instid0(VALU_DEP_1) | instskip(NEXT) | instid1(VALU_DEP_1)
	v_fma_f64 v[30:31], v[28:29], v[30:31], 1.0
	v_fma_f64 v[26:27], v[28:29], v[30:31], 1.0
	s_delay_alu instid0(VALU_DEP_1) | instskip(NEXT) | instid1(VALU_DEP_1)
	v_ldexp_f64 v[26:27], v[26:27], v0
	v_cndmask_b32_e64 v0, 0x7ff00000, v27, s7
	s_and_b32 s7, s8, s7
	s_delay_alu instid0(VALU_DEP_2) | instid1(SALU_CYCLE_1)
	v_cndmask_b32_e64 v13, 0, v26, s7
	s_delay_alu instid0(VALU_DEP_2) | instskip(NEXT) | instid1(VALU_DEP_1)
	v_cndmask_b32_e64 v14, 0, v0, s8
	v_add_f64 v[11:12], v[11:12], v[13:14]
	s_or_b32 exec_lo, exec_lo, s9
	s_and_saveexec_b32 s9, s1
	s_cbranch_execz .LBB27_17
.LBB27_34:
	s_waitcnt lgkmcnt(0)
	v_add_f64 v[13:14], v[5:6], -v[9:10]
	s_mov_b32 s12, 0x652b82fe
	s_mov_b32 s13, 0x3ff71547
	;; [unrolled: 1-line block ×4, first 2 shown]
	s_delay_alu instid0(VALU_DEP_1) | instskip(SKIP_4) | instid1(VALU_DEP_3)
	v_mul_f64 v[26:27], v[13:14], s[12:13]
	s_mov_b32 s12, 0xfefa39ef
	s_mov_b32 s13, 0xbfe62e42
	v_cmp_nlt_f64_e64 s7, 0x40900000, v[13:14]
	v_cmp_ngt_f64_e64 s8, 0xc090cc00, v[13:14]
	v_rndne_f64_e32 v[26:27], v[26:27]
	s_delay_alu instid0(VALU_DEP_1) | instskip(SKIP_3) | instid1(VALU_DEP_2)
	v_fma_f64 v[28:29], v[26:27], s[12:13], v[13:14]
	s_mov_b32 s12, 0x3b39803f
	s_mov_b32 s13, 0xbc7abc9e
	v_cvt_i32_f64_e32 v0, v[26:27]
	v_fma_f64 v[28:29], v[26:27], s[12:13], v[28:29]
	s_mov_b32 s12, 0xfca7ab0c
	s_mov_b32 s13, 0x3e928af3
	s_delay_alu instid0(VALU_DEP_1) | instid1(SALU_CYCLE_1)
	v_fma_f64 v[30:31], v[28:29], s[14:15], s[12:13]
	s_mov_b32 s12, 0x623fde64
	s_mov_b32 s13, 0x3ec71dee
	s_delay_alu instid0(VALU_DEP_1) | instid1(SALU_CYCLE_1)
	;; [unrolled: 4-line block ×9, first 2 shown]
	v_fma_f64 v[30:31], v[28:29], v[30:31], s[12:13]
	s_delay_alu instid0(VALU_DEP_1) | instskip(NEXT) | instid1(VALU_DEP_1)
	v_fma_f64 v[30:31], v[28:29], v[30:31], 1.0
	v_fma_f64 v[26:27], v[28:29], v[30:31], 1.0
	s_delay_alu instid0(VALU_DEP_1) | instskip(NEXT) | instid1(VALU_DEP_1)
	v_ldexp_f64 v[26:27], v[26:27], v0
	v_cndmask_b32_e64 v0, 0x7ff00000, v27, s7
	s_and_b32 s7, s8, s7
	s_delay_alu instid0(VALU_DEP_2) | instid1(SALU_CYCLE_1)
	v_cndmask_b32_e64 v13, 0, v26, s7
	s_delay_alu instid0(VALU_DEP_2) | instskip(NEXT) | instid1(VALU_DEP_1)
	v_cndmask_b32_e64 v14, 0, v0, s8
	v_add_f64 v[11:12], v[11:12], v[13:14]
	s_or_b32 exec_lo, exec_lo, s9
	s_and_saveexec_b32 s9, s2
	s_cbranch_execnz .LBB27_18
	s_branch .LBB27_19
.LBB27_35:
	ds_load_b64 v[11:12], v25
	s_or_b32 exec_lo, exec_lo, s3
	s_and_saveexec_b32 s3, s5
	s_cbranch_execz .LBB27_23
.LBB27_36:
	s_waitcnt lgkmcnt(0)
	ds_bpermute_b32 v13, v19, v11
	ds_bpermute_b32 v14, v19, v12
	s_waitcnt lgkmcnt(0)
	v_add_f64 v[11:12], v[11:12], v[13:14]
	ds_bpermute_b32 v13, v20, v11
	ds_bpermute_b32 v14, v20, v12
	s_waitcnt lgkmcnt(0)
	v_add_f64 v[11:12], v[11:12], v[13:14]
	;; [unrolled: 4-line block ×5, first 2 shown]
	s_or_b32 exec_lo, exec_lo, s3
	s_and_saveexec_b32 s3, s6
	s_cbranch_execnz .LBB27_24
	s_branch .LBB27_25
.LBB27_37:
	v_add_f64 v[0:1], v[1:2], -v[9:10]
	s_delay_alu instid0(VALU_DEP_1)
	v_add_f64 v[0:1], v[0:1], -v[11:12]
	global_store_b64 v15, v[0:1], s[6:7]
	s_or_b32 exec_lo, exec_lo, s3
	s_and_saveexec_b32 s3, s0
	s_cbranch_execz .LBB27_27
.LBB27_38:
	v_add_f64 v[0:1], v[3:4], -v[9:10]
	s_delay_alu instid0(VALU_DEP_1)
	v_add_f64 v[0:1], v[0:1], -v[11:12]
	global_store_b64 v16, v[0:1], s[6:7]
	s_or_b32 exec_lo, exec_lo, s3
	s_and_saveexec_b32 s0, s1
	s_cbranch_execz .LBB27_28
.LBB27_39:
	v_add_f64 v[0:1], v[5:6], -v[9:10]
	s_delay_alu instid0(VALU_DEP_1)
	v_add_f64 v[0:1], v[0:1], -v[11:12]
	global_store_b64 v17, v[0:1], s[6:7]
	s_or_b32 exec_lo, exec_lo, s0
	s_and_saveexec_b32 s0, s2
	s_cbranch_execz .LBB27_29
.LBB27_40:
	v_add_f64 v[0:1], v[7:8], -v[9:10]
	s_delay_alu instid0(VALU_DEP_1)
	v_add_f64 v[0:1], v[0:1], -v[11:12]
	global_store_b64 v18, v[0:1], s[6:7]
	s_nop 0
	s_sendmsg sendmsg(MSG_DEALLOC_VGPRS)
	s_endpgm
	.section	.rodata,"a",@progbits
	.p2align	6, 0x0
	.amdhsa_kernel _ZN2at6native12_GLOBAL__N_122cunn_SoftMaxForwardRegIdddNS1_25LogSoftMaxForwardEpilogueElLi4EEEvPT1_PKT_T3_
		.amdhsa_group_segment_fixed_size 0
		.amdhsa_private_segment_fixed_size 0
		.amdhsa_kernarg_size 280
		.amdhsa_user_sgpr_count 15
		.amdhsa_user_sgpr_dispatch_ptr 0
		.amdhsa_user_sgpr_queue_ptr 0
		.amdhsa_user_sgpr_kernarg_segment_ptr 1
		.amdhsa_user_sgpr_dispatch_id 0
		.amdhsa_user_sgpr_private_segment_size 0
		.amdhsa_wavefront_size32 1
		.amdhsa_uses_dynamic_stack 0
		.amdhsa_enable_private_segment 0
		.amdhsa_system_sgpr_workgroup_id_x 1
		.amdhsa_system_sgpr_workgroup_id_y 0
		.amdhsa_system_sgpr_workgroup_id_z 0
		.amdhsa_system_sgpr_workgroup_info 0
		.amdhsa_system_vgpr_workitem_id 0
		.amdhsa_next_free_vgpr 37
		.amdhsa_next_free_sgpr 20
		.amdhsa_reserve_vcc 1
		.amdhsa_float_round_mode_32 0
		.amdhsa_float_round_mode_16_64 0
		.amdhsa_float_denorm_mode_32 3
		.amdhsa_float_denorm_mode_16_64 3
		.amdhsa_dx10_clamp 1
		.amdhsa_ieee_mode 1
		.amdhsa_fp16_overflow 0
		.amdhsa_workgroup_processor_mode 1
		.amdhsa_memory_ordered 1
		.amdhsa_forward_progress 0
		.amdhsa_shared_vgpr_count 0
		.amdhsa_exception_fp_ieee_invalid_op 0
		.amdhsa_exception_fp_denorm_src 0
		.amdhsa_exception_fp_ieee_div_zero 0
		.amdhsa_exception_fp_ieee_overflow 0
		.amdhsa_exception_fp_ieee_underflow 0
		.amdhsa_exception_fp_ieee_inexact 0
		.amdhsa_exception_int_div_zero 0
	.end_amdhsa_kernel
	.section	.text._ZN2at6native12_GLOBAL__N_122cunn_SoftMaxForwardRegIdddNS1_25LogSoftMaxForwardEpilogueElLi4EEEvPT1_PKT_T3_,"axG",@progbits,_ZN2at6native12_GLOBAL__N_122cunn_SoftMaxForwardRegIdddNS1_25LogSoftMaxForwardEpilogueElLi4EEEvPT1_PKT_T3_,comdat
.Lfunc_end27:
	.size	_ZN2at6native12_GLOBAL__N_122cunn_SoftMaxForwardRegIdddNS1_25LogSoftMaxForwardEpilogueElLi4EEEvPT1_PKT_T3_, .Lfunc_end27-_ZN2at6native12_GLOBAL__N_122cunn_SoftMaxForwardRegIdddNS1_25LogSoftMaxForwardEpilogueElLi4EEEvPT1_PKT_T3_
                                        ; -- End function
	.section	.AMDGPU.csdata,"",@progbits
; Kernel info:
; codeLenInByte = 4932
; NumSgprs: 22
; NumVgprs: 37
; ScratchSize: 0
; MemoryBound: 0
; FloatMode: 240
; IeeeMode: 1
; LDSByteSize: 0 bytes/workgroup (compile time only)
; SGPRBlocks: 2
; VGPRBlocks: 4
; NumSGPRsForWavesPerEU: 22
; NumVGPRsForWavesPerEU: 37
; Occupancy: 16
; WaveLimiterHint : 0
; COMPUTE_PGM_RSRC2:SCRATCH_EN: 0
; COMPUTE_PGM_RSRC2:USER_SGPR: 15
; COMPUTE_PGM_RSRC2:TRAP_HANDLER: 0
; COMPUTE_PGM_RSRC2:TGID_X_EN: 1
; COMPUTE_PGM_RSRC2:TGID_Y_EN: 0
; COMPUTE_PGM_RSRC2:TGID_Z_EN: 0
; COMPUTE_PGM_RSRC2:TIDIG_COMP_CNT: 0
	.section	.text._ZN2at6native12_GLOBAL__N_122cunn_SoftMaxForwardRegIdddNS1_25LogSoftMaxForwardEpilogueElLi5EEEvPT1_PKT_T3_,"axG",@progbits,_ZN2at6native12_GLOBAL__N_122cunn_SoftMaxForwardRegIdddNS1_25LogSoftMaxForwardEpilogueElLi5EEEvPT1_PKT_T3_,comdat
	.globl	_ZN2at6native12_GLOBAL__N_122cunn_SoftMaxForwardRegIdddNS1_25LogSoftMaxForwardEpilogueElLi5EEEvPT1_PKT_T3_ ; -- Begin function _ZN2at6native12_GLOBAL__N_122cunn_SoftMaxForwardRegIdddNS1_25LogSoftMaxForwardEpilogueElLi5EEEvPT1_PKT_T3_
	.p2align	8
	.type	_ZN2at6native12_GLOBAL__N_122cunn_SoftMaxForwardRegIdddNS1_25LogSoftMaxForwardEpilogueElLi5EEEvPT1_PKT_T3_,@function
_ZN2at6native12_GLOBAL__N_122cunn_SoftMaxForwardRegIdddNS1_25LogSoftMaxForwardEpilogueElLi5EEEvPT1_PKT_T3_: ; @_ZN2at6native12_GLOBAL__N_122cunn_SoftMaxForwardRegIdddNS1_25LogSoftMaxForwardEpilogueElLi5EEEvPT1_PKT_T3_
; %bb.0:
	s_clause 0x2
	s_load_b64 s[4:5], s[0:1], 0x10
	s_load_b128 s[16:19], s[0:1], 0x0
	s_load_b32 s2, s[0:1], 0x24
	s_mov_b32 s0, -1
	s_mov_b32 s1, 0xffefffff
	v_mov_b32_e32 v20, 0
	v_dual_mov_b32 v18, s1 :: v_dual_mov_b32 v17, s0
	v_lshlrev_b32_e32 v21, 3, v0
	s_delay_alu instid0(VALU_DEP_3)
	v_mov_b32_e32 v1, v20
	s_waitcnt lgkmcnt(0)
	s_mul_i32 s3, s15, s5
	s_mul_hi_u32 s7, s15, s4
	s_mul_i32 s6, s15, s4
	s_add_i32 s7, s7, s3
	v_cmp_gt_i64_e32 vcc_lo, s[4:5], v[0:1]
	s_lshl_b64 s[10:11], s[6:7], 3
                                        ; implicit-def: $vgpr1_vgpr2_vgpr3_vgpr4_vgpr5_vgpr6_vgpr7_vgpr8_vgpr9_vgpr10_vgpr11_vgpr12_vgpr13_vgpr14_vgpr15_vgpr16
	s_delay_alu instid0(SALU_CYCLE_1)
	s_add_u32 s6, s18, s10
	s_addc_u32 s7, s19, s11
	s_and_saveexec_b32 s3, vcc_lo
	s_cbranch_execz .LBB28_2
; %bb.1:
	global_load_b64 v[1:2], v21, s[6:7]
	s_waitcnt vmcnt(0)
	v_max_f64 v[3:4], v[1:2], v[1:2]
	s_delay_alu instid0(VALU_DEP_1)
	v_max_f64 v[17:18], v[3:4], s[0:1]
.LBB28_2:
	s_or_b32 exec_lo, exec_lo, s3
	s_and_b32 s8, 0xffff, s2
	s_delay_alu instid0(SALU_CYCLE_1) | instskip(NEXT) | instid1(VALU_DEP_1)
	v_add_nc_u32_e32 v19, s8, v0
	v_cmp_gt_i64_e64 s0, s[4:5], v[19:20]
	v_lshlrev_b32_e32 v20, 3, v19
	s_delay_alu instid0(VALU_DEP_2)
	s_and_saveexec_b32 s1, s0
	s_cbranch_execz .LBB28_4
; %bb.3:
	global_load_b64 v[3:4], v20, s[6:7]
	v_max_f64 v[13:14], v[17:18], v[17:18]
	s_waitcnt vmcnt(0)
	v_max_f64 v[11:12], v[3:4], v[3:4]
	s_delay_alu instid0(VALU_DEP_1)
	v_max_f64 v[17:18], v[13:14], v[11:12]
.LBB28_4:
	s_or_b32 exec_lo, exec_lo, s1
	v_dual_mov_b32 v12, 0 :: v_dual_add_nc_u32 v11, s8, v19
	s_delay_alu instid0(VALU_DEP_1) | instskip(NEXT) | instid1(VALU_DEP_2)
	v_lshlrev_b32_e32 v19, 3, v11
	v_cmp_gt_i64_e64 s1, s[4:5], v[11:12]
	s_delay_alu instid0(VALU_DEP_1)
	s_and_saveexec_b32 s2, s1
	s_cbranch_execz .LBB28_6
; %bb.5:
	global_load_b64 v[5:6], v19, s[6:7]
	v_max_f64 v[15:16], v[17:18], v[17:18]
	s_waitcnt vmcnt(0)
	v_max_f64 v[13:14], v[5:6], v[5:6]
	s_delay_alu instid0(VALU_DEP_1)
	v_max_f64 v[17:18], v[15:16], v[13:14]
.LBB28_6:
	s_or_b32 exec_lo, exec_lo, s2
	v_add_nc_u32_e32 v11, s8, v11
	s_delay_alu instid0(VALU_DEP_1) | instskip(SKIP_1) | instid1(VALU_DEP_2)
	v_cmp_gt_i64_e64 s2, s[4:5], v[11:12]
	v_lshlrev_b32_e32 v22, 3, v11
	s_and_saveexec_b32 s3, s2
	s_cbranch_execz .LBB28_8
; %bb.7:
	global_load_b64 v[7:8], v22, s[6:7]
	v_max_f64 v[14:15], v[17:18], v[17:18]
	s_waitcnt vmcnt(0)
	v_max_f64 v[12:13], v[7:8], v[7:8]
	s_delay_alu instid0(VALU_DEP_1)
	v_max_f64 v[17:18], v[14:15], v[12:13]
.LBB28_8:
	s_or_b32 exec_lo, exec_lo, s3
	v_dual_mov_b32 v12, 0 :: v_dual_add_nc_u32 v11, s8, v11
	s_delay_alu instid0(VALU_DEP_1) | instskip(NEXT) | instid1(VALU_DEP_2)
	v_lshlrev_b32_e32 v23, 3, v11
	v_cmp_gt_i64_e64 s3, s[4:5], v[11:12]
	s_delay_alu instid0(VALU_DEP_1)
	s_and_saveexec_b32 s4, s3
	s_cbranch_execz .LBB28_10
; %bb.9:
	global_load_b64 v[9:10], v23, s[6:7]
	v_max_f64 v[13:14], v[17:18], v[17:18]
	s_waitcnt vmcnt(0)
	v_max_f64 v[11:12], v[9:10], v[9:10]
	s_delay_alu instid0(VALU_DEP_1)
	v_max_f64 v[17:18], v[13:14], v[11:12]
.LBB28_10:
	s_or_b32 exec_lo, exec_lo, s4
	v_mbcnt_lo_u32_b32 v15, -1, 0
	v_lshrrev_b32_e32 v27, 2, v0
	s_mov_b32 s6, -1
	s_barrier
	s_delay_alu instid0(VALU_DEP_2)
	v_cmp_gt_u32_e64 s4, 16, v15
	v_cmp_gt_u32_e64 s5, 24, v15
	buffer_gl0_inv
	v_cndmask_b32_e64 v11, 0, 1, s4
	v_cndmask_b32_e64 v13, 0, 1, s5
	v_cmp_gt_u32_e64 s5, 28, v15
	s_delay_alu instid0(VALU_DEP_3) | instskip(NEXT) | instid1(VALU_DEP_3)
	v_lshlrev_b32_e32 v11, 4, v11
	v_lshlrev_b32_e32 v13, 3, v13
	s_delay_alu instid0(VALU_DEP_3) | instskip(SKIP_1) | instid1(VALU_DEP_4)
	v_cndmask_b32_e64 v16, 0, 1, s5
	v_cmp_gt_u32_e64 s5, 30, v15
	v_add_lshl_u32 v24, v11, v15, 2
	s_delay_alu instid0(VALU_DEP_4) | instskip(NEXT) | instid1(VALU_DEP_4)
	v_add_lshl_u32 v25, v13, v15, 2
	v_lshlrev_b32_e32 v16, 2, v16
	ds_bpermute_b32 v11, v24, v17
	ds_bpermute_b32 v12, v24, v18
	s_waitcnt lgkmcnt(0)
	v_cmp_lt_f64_e64 s4, v[17:18], v[11:12]
	s_delay_alu instid0(VALU_DEP_1)
	v_cndmask_b32_e64 v12, v18, v12, s4
	v_cndmask_b32_e64 v11, v17, v11, s4
	v_add_lshl_u32 v17, v16, v15, 2
	v_cndmask_b32_e64 v16, 0, 1, s5
	v_cmp_ne_u32_e64 s5, 31, v15
	ds_bpermute_b32 v14, v25, v12
	ds_bpermute_b32 v13, v25, v11
	v_lshlrev_b32_e32 v16, 1, v16
	s_delay_alu instid0(VALU_DEP_1) | instskip(SKIP_1) | instid1(VALU_DEP_1)
	v_add_lshl_u32 v18, v16, v15, 2
	v_add_co_ci_u32_e64 v15, s5, 0, v15, s5
	v_lshlrev_b32_e32 v26, 2, v15
	v_and_b32_e32 v15, 31, v0
	s_waitcnt lgkmcnt(0)
	v_cmp_lt_f64_e64 s4, v[11:12], v[13:14]
	s_delay_alu instid0(VALU_DEP_1)
	v_cndmask_b32_e64 v12, v12, v14, s4
	v_cndmask_b32_e64 v11, v11, v13, s4
	ds_bpermute_b32 v14, v17, v12
	ds_bpermute_b32 v13, v17, v11
	s_waitcnt lgkmcnt(0)
	v_cmp_lt_f64_e64 s4, v[11:12], v[13:14]
	s_delay_alu instid0(VALU_DEP_1)
	v_cndmask_b32_e64 v12, v12, v14, s4
	v_cndmask_b32_e64 v11, v11, v13, s4
	ds_bpermute_b32 v14, v18, v12
	ds_bpermute_b32 v13, v18, v11
	s_waitcnt lgkmcnt(0)
	v_cmp_lt_f64_e64 s4, v[11:12], v[13:14]
	s_delay_alu instid0(VALU_DEP_1)
	v_cndmask_b32_e64 v12, v12, v14, s4
	v_cndmask_b32_e64 v11, v11, v13, s4
	v_cmp_eq_u32_e64 s4, 0, v15
	ds_bpermute_b32 v14, v26, v12
	ds_bpermute_b32 v13, v26, v11
	s_and_saveexec_b32 s5, s4
	s_delay_alu instid0(SALU_CYCLE_1)
	s_xor_b32 s7, exec_lo, s5
	s_cbranch_execz .LBB28_12
; %bb.11:
	s_waitcnt lgkmcnt(0)
	v_cmp_lt_f64_e64 s5, v[11:12], v[13:14]
	v_add_nc_u32_e32 v16, 0, v27
	s_delay_alu instid0(VALU_DEP_2)
	v_cndmask_b32_e64 v12, v12, v14, s5
	v_cndmask_b32_e64 v11, v11, v13, s5
	ds_store_b64 v16, v[11:12]
.LBB28_12:
	s_or_b32 exec_lo, exec_lo, s7
	s_lshr_b32 s5, s8, 5
	s_mov_b32 s7, 0xffefffff
	v_cmp_gt_u32_e64 s5, s5, v0
	v_dual_mov_b32 v12, s7 :: v_dual_mov_b32 v11, s6
	v_lshl_add_u32 v28, v15, 3, 0
	s_waitcnt lgkmcnt(0)
	s_barrier
	buffer_gl0_inv
	s_and_saveexec_b32 s6, s5
	s_cbranch_execnz .LBB28_34
; %bb.13:
	s_or_b32 exec_lo, exec_lo, s6
	v_cmp_gt_u32_e64 s6, 32, v0
	s_delay_alu instid0(VALU_DEP_1)
	s_and_saveexec_b32 s8, s6
	s_cbranch_execnz .LBB28_35
.LBB28_14:
	s_or_b32 exec_lo, exec_lo, s8
	v_cmp_eq_u32_e64 s7, 0, v0
	s_delay_alu instid0(VALU_DEP_1)
	s_and_saveexec_b32 s8, s7
	s_cbranch_execz .LBB28_16
.LBB28_15:
	v_mov_b32_e32 v0, 0
	s_waitcnt lgkmcnt(0)
	ds_store_b64 v0, v[11:12]
.LBB28_16:
	s_or_b32 exec_lo, exec_lo, s8
	v_dual_mov_b32 v0, 0 :: v_dual_mov_b32 v13, 0
	s_waitcnt lgkmcnt(0)
	s_barrier
	buffer_gl0_inv
	ds_load_b64 v[11:12], v0
	v_mov_b32_e32 v14, 0
	s_and_saveexec_b32 s12, vcc_lo
	s_cbranch_execnz .LBB28_36
; %bb.17:
	s_or_b32 exec_lo, exec_lo, s12
	s_and_saveexec_b32 s12, s0
	s_cbranch_execnz .LBB28_37
.LBB28_18:
	s_or_b32 exec_lo, exec_lo, s12
	s_and_saveexec_b32 s12, s1
	s_cbranch_execnz .LBB28_38
.LBB28_19:
	s_or_b32 exec_lo, exec_lo, s12
	s_and_saveexec_b32 s12, s2
	s_cbranch_execnz .LBB28_39
.LBB28_20:
	s_or_b32 exec_lo, exec_lo, s12
	s_and_saveexec_b32 s12, s3
	s_cbranch_execz .LBB28_22
.LBB28_21:
	s_waitcnt lgkmcnt(0)
	v_add_f64 v[15:16], v[9:10], -v[11:12]
	s_mov_b32 s8, 0x652b82fe
	s_mov_b32 s9, 0x3ff71547
	;; [unrolled: 1-line block ×4, first 2 shown]
	s_delay_alu instid0(VALU_DEP_1) | instskip(SKIP_2) | instid1(VALU_DEP_1)
	v_mul_f64 v[29:30], v[15:16], s[8:9]
	s_mov_b32 s8, 0xfefa39ef
	s_mov_b32 s9, 0xbfe62e42
	v_rndne_f64_e32 v[29:30], v[29:30]
	s_delay_alu instid0(VALU_DEP_1) | instskip(SKIP_3) | instid1(VALU_DEP_2)
	v_fma_f64 v[31:32], v[29:30], s[8:9], v[15:16]
	s_mov_b32 s8, 0x3b39803f
	s_mov_b32 s9, 0xbc7abc9e
	v_cvt_i32_f64_e32 v0, v[29:30]
	v_fma_f64 v[31:32], v[29:30], s[8:9], v[31:32]
	s_mov_b32 s8, 0xfca7ab0c
	s_mov_b32 s9, 0x3e928af3
	s_delay_alu instid0(VALU_DEP_1) | instid1(SALU_CYCLE_1)
	v_fma_f64 v[33:34], v[31:32], s[14:15], s[8:9]
	s_mov_b32 s8, 0x623fde64
	s_mov_b32 s9, 0x3ec71dee
	s_delay_alu instid0(VALU_DEP_1) | instid1(SALU_CYCLE_1)
	;; [unrolled: 4-line block ×9, first 2 shown]
	v_fma_f64 v[33:34], v[31:32], v[33:34], s[8:9]
	v_cmp_nlt_f64_e64 s8, 0x40900000, v[15:16]
	v_cmp_ngt_f64_e64 s9, 0xc090cc00, v[15:16]
	s_delay_alu instid0(VALU_DEP_3) | instskip(NEXT) | instid1(VALU_DEP_1)
	v_fma_f64 v[33:34], v[31:32], v[33:34], 1.0
	v_fma_f64 v[29:30], v[31:32], v[33:34], 1.0
	s_delay_alu instid0(VALU_DEP_1) | instskip(NEXT) | instid1(VALU_DEP_1)
	v_ldexp_f64 v[29:30], v[29:30], v0
	v_cndmask_b32_e64 v0, 0x7ff00000, v30, s8
	s_and_b32 s8, s9, s8
	s_delay_alu instid0(VALU_DEP_2) | instid1(SALU_CYCLE_1)
	v_cndmask_b32_e64 v15, 0, v29, s8
	s_delay_alu instid0(VALU_DEP_2) | instskip(NEXT) | instid1(VALU_DEP_1)
	v_cndmask_b32_e64 v16, 0, v0, s9
	v_add_f64 v[13:14], v[13:14], v[15:16]
.LBB28_22:
	s_or_b32 exec_lo, exec_lo, s12
	ds_bpermute_b32 v15, v24, v13
	ds_bpermute_b32 v16, v24, v14
	s_waitcnt lgkmcnt(0)
	s_barrier
	buffer_gl0_inv
	v_add_f64 v[13:14], v[13:14], v[15:16]
	ds_bpermute_b32 v15, v25, v13
	ds_bpermute_b32 v16, v25, v14
	s_waitcnt lgkmcnt(0)
	v_add_f64 v[13:14], v[13:14], v[15:16]
	ds_bpermute_b32 v15, v17, v13
	ds_bpermute_b32 v16, v17, v14
	s_waitcnt lgkmcnt(0)
	;; [unrolled: 4-line block ×3, first 2 shown]
	v_add_f64 v[13:14], v[13:14], v[15:16]
	ds_bpermute_b32 v15, v26, v13
	ds_bpermute_b32 v16, v26, v14
	s_and_saveexec_b32 s8, s4
	s_delay_alu instid0(SALU_CYCLE_1)
	s_xor_b32 s4, exec_lo, s8
	s_cbranch_execz .LBB28_24
; %bb.23:
	s_waitcnt lgkmcnt(0)
	v_add_f64 v[13:14], v[13:14], v[15:16]
	v_add_nc_u32_e32 v0, 0, v27
	ds_store_b64 v0, v[13:14]
.LBB28_24:
	s_or_b32 exec_lo, exec_lo, s4
	v_mov_b32_e32 v13, 0
	v_mov_b32_e32 v14, 0
	s_waitcnt lgkmcnt(0)
	s_barrier
	buffer_gl0_inv
	s_and_saveexec_b32 s4, s5
	s_cbranch_execnz .LBB28_40
; %bb.25:
	s_or_b32 exec_lo, exec_lo, s4
	s_and_saveexec_b32 s4, s6
	s_cbranch_execnz .LBB28_41
.LBB28_26:
	s_or_b32 exec_lo, exec_lo, s4
	s_and_saveexec_b32 s4, s7
	s_cbranch_execz .LBB28_28
.LBB28_27:
	v_mov_b32_e32 v0, 0
	s_waitcnt lgkmcnt(0)
	ds_store_b64 v0, v[13:14]
.LBB28_28:
	s_or_b32 exec_lo, exec_lo, s4
	v_mov_b32_e32 v0, 0
	s_waitcnt lgkmcnt(0)
	s_barrier
	buffer_gl0_inv
	s_mov_b32 s9, 0x3fe55555
	ds_load_b64 v[14:15], v0
	s_mov_b32 s8, 0x55555555
	s_add_u32 s6, s16, s10
	s_addc_u32 s7, s17, s11
	s_mov_b32 s10, 0
	s_waitcnt lgkmcnt(0)
	v_frexp_mant_f64_e32 v[16:17], v[14:15]
	v_frexp_exp_i32_f64_e32 v0, v[14:15]
	s_delay_alu instid0(VALU_DEP_2) | instskip(SKIP_1) | instid1(VALU_DEP_1)
	v_cmp_gt_f64_e64 s4, s[8:9], v[16:17]
	s_mov_b32 s8, 0x55555780
	v_subrev_co_ci_u32_e64 v0, s5, 0, v0, s4
	s_and_b32 s4, s4, exec_lo
	s_cselect_b32 s11, 2.0, 0x3ff00000
	s_mov_b32 s4, 0x6b47b09a
	v_mul_f64 v[16:17], v[16:17], s[10:11]
	s_mov_b32 s10, 0xbf559e2b
	s_mov_b32 s5, 0x3fc38538
	;; [unrolled: 1-line block ×3, first 2 shown]
	s_delay_alu instid0(VALU_DEP_1) | instskip(SKIP_1) | instid1(VALU_DEP_2)
	v_add_f64 v[24:25], v[16:17], 1.0
	v_add_f64 v[30:31], v[16:17], -1.0
	v_rcp_f64_e32 v[26:27], v[24:25]
	v_add_f64 v[32:33], v[24:25], -1.0
	s_delay_alu instid0(VALU_DEP_1) | instskip(SKIP_2) | instid1(VALU_DEP_1)
	v_add_f64 v[16:17], v[16:17], -v[32:33]
	s_waitcnt_depctr 0xfff
	v_fma_f64 v[28:29], -v[24:25], v[26:27], 1.0
	v_fma_f64 v[26:27], v[28:29], v[26:27], v[26:27]
	s_delay_alu instid0(VALU_DEP_1) | instskip(NEXT) | instid1(VALU_DEP_1)
	v_fma_f64 v[28:29], -v[24:25], v[26:27], 1.0
	v_fma_f64 v[26:27], v[28:29], v[26:27], v[26:27]
	s_delay_alu instid0(VALU_DEP_1) | instskip(NEXT) | instid1(VALU_DEP_1)
	v_mul_f64 v[28:29], v[30:31], v[26:27]
	v_mul_f64 v[34:35], v[24:25], v[28:29]
	s_delay_alu instid0(VALU_DEP_1) | instskip(NEXT) | instid1(VALU_DEP_1)
	v_fma_f64 v[24:25], v[28:29], v[24:25], -v[34:35]
	v_fma_f64 v[16:17], v[28:29], v[16:17], v[24:25]
	s_delay_alu instid0(VALU_DEP_1) | instskip(NEXT) | instid1(VALU_DEP_1)
	v_add_f64 v[24:25], v[34:35], v[16:17]
	v_add_f64 v[32:33], v[30:31], -v[24:25]
	v_add_f64 v[34:35], v[24:25], -v[34:35]
	s_delay_alu instid0(VALU_DEP_2) | instskip(NEXT) | instid1(VALU_DEP_2)
	v_add_f64 v[30:31], v[30:31], -v[32:33]
	v_add_f64 v[16:17], v[34:35], -v[16:17]
	s_delay_alu instid0(VALU_DEP_2) | instskip(NEXT) | instid1(VALU_DEP_1)
	v_add_f64 v[24:25], v[30:31], -v[24:25]
	v_add_f64 v[16:17], v[16:17], v[24:25]
	s_delay_alu instid0(VALU_DEP_1) | instskip(NEXT) | instid1(VALU_DEP_1)
	v_add_f64 v[16:17], v[32:33], v[16:17]
	v_mul_f64 v[16:17], v[26:27], v[16:17]
	s_delay_alu instid0(VALU_DEP_1) | instskip(NEXT) | instid1(VALU_DEP_1)
	v_add_f64 v[24:25], v[28:29], v[16:17]
	v_mul_f64 v[26:27], v[24:25], v[24:25]
	s_delay_alu instid0(VALU_DEP_1) | instskip(SKIP_3) | instid1(VALU_DEP_2)
	v_fma_f64 v[30:31], v[26:27], s[10:11], s[4:5]
	s_mov_b32 s4, 0xd7f4df2e
	s_mov_b32 s5, 0x3fc7474d
	v_mul_f64 v[32:33], v[24:25], v[26:27]
	v_fma_f64 v[30:31], v[26:27], v[30:31], s[4:5]
	s_mov_b32 s4, 0x16291751
	s_mov_b32 s5, 0x3fcc71c0
	s_delay_alu instid0(VALU_DEP_1) | instid1(SALU_CYCLE_1)
	v_fma_f64 v[30:31], v[26:27], v[30:31], s[4:5]
	s_mov_b32 s4, 0x9b27acf1
	s_mov_b32 s5, 0x3fd24924
	s_delay_alu instid0(VALU_DEP_1) | instid1(SALU_CYCLE_1)
	;; [unrolled: 4-line block ×3, first 2 shown]
	v_fma_f64 v[30:31], v[26:27], v[30:31], s[4:5]
	s_mov_b32 s4, 0xfefa39ef
	s_mov_b32 s5, 0x3fe62e42
	s_delay_alu instid0(VALU_DEP_1) | instskip(SKIP_2) | instid1(VALU_DEP_3)
	v_fma_f64 v[26:27], v[26:27], v[30:31], s[8:9]
	v_ldexp_f64 v[30:31], v[24:25], 1
	v_add_f64 v[24:25], v[24:25], -v[28:29]
	v_mul_f64 v[26:27], v[32:33], v[26:27]
	v_cvt_f64_i32_e32 v[32:33], v0
	s_delay_alu instid0(VALU_DEP_3) | instskip(NEXT) | instid1(VALU_DEP_3)
	v_add_f64 v[16:17], v[16:17], -v[24:25]
	v_add_f64 v[28:29], v[30:31], v[26:27]
	s_delay_alu instid0(VALU_DEP_3) | instskip(NEXT) | instid1(VALU_DEP_3)
	v_mul_f64 v[34:35], v[32:33], s[4:5]
	v_ldexp_f64 v[16:17], v[16:17], 1
	s_delay_alu instid0(VALU_DEP_3) | instskip(NEXT) | instid1(VALU_DEP_3)
	v_add_f64 v[24:25], v[28:29], -v[30:31]
	v_fma_f64 v[30:31], v[32:33], s[4:5], -v[34:35]
	s_mov_b32 s4, 0x3b39803f
	s_mov_b32 s5, 0x3c7abc9e
	s_delay_alu instid0(VALU_DEP_2) | instskip(NEXT) | instid1(VALU_DEP_2)
	v_add_f64 v[24:25], v[26:27], -v[24:25]
	v_fma_f64 v[26:27], v[32:33], s[4:5], v[30:31]
	v_cmp_class_f64_e64 s4, v[14:15], 0x204
	s_delay_alu instid0(VALU_DEP_3) | instskip(NEXT) | instid1(VALU_DEP_3)
	v_add_f64 v[16:17], v[16:17], v[24:25]
	v_add_f64 v[24:25], v[34:35], v[26:27]
	s_delay_alu instid0(VALU_DEP_2) | instskip(NEXT) | instid1(VALU_DEP_2)
	v_add_f64 v[30:31], v[28:29], v[16:17]
	v_add_f64 v[34:35], v[24:25], -v[34:35]
	s_delay_alu instid0(VALU_DEP_2) | instskip(SKIP_1) | instid1(VALU_DEP_3)
	v_add_f64 v[32:33], v[24:25], v[30:31]
	v_add_f64 v[28:29], v[30:31], -v[28:29]
	v_add_f64 v[26:27], v[26:27], -v[34:35]
	s_delay_alu instid0(VALU_DEP_3) | instskip(NEXT) | instid1(VALU_DEP_3)
	v_add_f64 v[36:37], v[32:33], -v[24:25]
	v_add_f64 v[16:17], v[16:17], -v[28:29]
	s_delay_alu instid0(VALU_DEP_2) | instskip(SKIP_1) | instid1(VALU_DEP_3)
	v_add_f64 v[38:39], v[32:33], -v[36:37]
	v_add_f64 v[28:29], v[30:31], -v[36:37]
	v_add_f64 v[30:31], v[26:27], v[16:17]
	s_delay_alu instid0(VALU_DEP_3) | instskip(NEXT) | instid1(VALU_DEP_1)
	v_add_f64 v[24:25], v[24:25], -v[38:39]
	v_add_f64 v[24:25], v[28:29], v[24:25]
	s_delay_alu instid0(VALU_DEP_3) | instskip(NEXT) | instid1(VALU_DEP_2)
	v_add_f64 v[28:29], v[30:31], -v[26:27]
	v_add_f64 v[24:25], v[30:31], v[24:25]
	s_delay_alu instid0(VALU_DEP_2) | instskip(SKIP_1) | instid1(VALU_DEP_3)
	v_add_f64 v[30:31], v[30:31], -v[28:29]
	v_add_f64 v[16:17], v[16:17], -v[28:29]
	v_add_f64 v[34:35], v[32:33], v[24:25]
	s_delay_alu instid0(VALU_DEP_3) | instskip(NEXT) | instid1(VALU_DEP_2)
	v_add_f64 v[26:27], v[26:27], -v[30:31]
	v_add_f64 v[28:29], v[34:35], -v[32:33]
	s_delay_alu instid0(VALU_DEP_2) | instskip(NEXT) | instid1(VALU_DEP_2)
	v_add_f64 v[16:17], v[16:17], v[26:27]
	v_add_f64 v[24:25], v[24:25], -v[28:29]
	s_delay_alu instid0(VALU_DEP_1) | instskip(NEXT) | instid1(VALU_DEP_1)
	v_add_f64 v[16:17], v[16:17], v[24:25]
	v_add_f64 v[16:17], v[34:35], v[16:17]
	s_delay_alu instid0(VALU_DEP_1) | instskip(NEXT) | instid1(VALU_DEP_2)
	v_cndmask_b32_e64 v0, v16, v14, s4
	v_cndmask_b32_e64 v13, v17, v15, s4
	v_cmp_ngt_f64_e64 s4, 0, v[14:15]
	s_delay_alu instid0(VALU_DEP_1) | instskip(SKIP_1) | instid1(VALU_DEP_1)
	v_cndmask_b32_e64 v16, 0x7ff80000, v13, s4
	v_cmp_nge_f64_e64 s4, 0, v[14:15]
	v_cndmask_b32_e64 v13, 0, v0, s4
	v_cmp_neq_f64_e64 s4, 0, v[14:15]
	s_delay_alu instid0(VALU_DEP_1)
	v_cndmask_b32_e64 v14, 0xfff00000, v16, s4
	s_and_saveexec_b32 s4, vcc_lo
	s_cbranch_execnz .LBB28_42
; %bb.29:
	s_or_b32 exec_lo, exec_lo, s4
	s_and_saveexec_b32 s4, s0
	s_cbranch_execnz .LBB28_43
.LBB28_30:
	s_or_b32 exec_lo, exec_lo, s4
	s_and_saveexec_b32 s0, s1
	s_cbranch_execnz .LBB28_44
.LBB28_31:
	s_or_b32 exec_lo, exec_lo, s0
	s_and_saveexec_b32 s0, s2
	s_cbranch_execnz .LBB28_45
.LBB28_32:
	s_or_b32 exec_lo, exec_lo, s0
	s_and_saveexec_b32 s0, s3
	s_cbranch_execnz .LBB28_46
.LBB28_33:
	s_nop 0
	s_sendmsg sendmsg(MSG_DEALLOC_VGPRS)
	s_endpgm
.LBB28_34:
	ds_load_b64 v[11:12], v28
	s_or_b32 exec_lo, exec_lo, s6
	v_cmp_gt_u32_e64 s6, 32, v0
	s_delay_alu instid0(VALU_DEP_1)
	s_and_saveexec_b32 s8, s6
	s_cbranch_execz .LBB28_14
.LBB28_35:
	s_waitcnt lgkmcnt(0)
	ds_bpermute_b32 v13, v24, v11
	ds_bpermute_b32 v14, v24, v12
	s_waitcnt lgkmcnt(0)
	v_cmp_lt_f64_e64 s7, v[11:12], v[13:14]
	s_delay_alu instid0(VALU_DEP_1)
	v_cndmask_b32_e64 v12, v12, v14, s7
	v_cndmask_b32_e64 v11, v11, v13, s7
	ds_bpermute_b32 v14, v25, v12
	ds_bpermute_b32 v13, v25, v11
	s_waitcnt lgkmcnt(0)
	v_cmp_lt_f64_e64 s7, v[11:12], v[13:14]
	s_delay_alu instid0(VALU_DEP_1)
	v_cndmask_b32_e64 v12, v12, v14, s7
	v_cndmask_b32_e64 v11, v11, v13, s7
	;; [unrolled: 7-line block ×4, first 2 shown]
	ds_bpermute_b32 v14, v26, v12
	ds_bpermute_b32 v13, v26, v11
	s_waitcnt lgkmcnt(0)
	v_cmp_lt_f64_e64 s7, v[11:12], v[13:14]
	s_delay_alu instid0(VALU_DEP_1) | instskip(SKIP_3) | instid1(VALU_DEP_1)
	v_cndmask_b32_e64 v12, v12, v14, s7
	v_cndmask_b32_e64 v11, v11, v13, s7
	s_or_b32 exec_lo, exec_lo, s8
	v_cmp_eq_u32_e64 s7, 0, v0
	s_and_saveexec_b32 s8, s7
	s_cbranch_execnz .LBB28_15
	s_branch .LBB28_16
.LBB28_36:
	s_waitcnt lgkmcnt(0)
	v_add_f64 v[13:14], v[1:2], -v[11:12]
	s_mov_b32 s8, 0x652b82fe
	s_mov_b32 s9, 0x3ff71547
	;; [unrolled: 1-line block ×4, first 2 shown]
	s_delay_alu instid0(VALU_DEP_1) | instskip(SKIP_2) | instid1(VALU_DEP_1)
	v_mul_f64 v[15:16], v[13:14], s[8:9]
	s_mov_b32 s8, 0xfefa39ef
	s_mov_b32 s9, 0xbfe62e42
	v_rndne_f64_e32 v[15:16], v[15:16]
	s_delay_alu instid0(VALU_DEP_1) | instskip(SKIP_3) | instid1(VALU_DEP_2)
	v_fma_f64 v[29:30], v[15:16], s[8:9], v[13:14]
	s_mov_b32 s8, 0x3b39803f
	s_mov_b32 s9, 0xbc7abc9e
	v_cvt_i32_f64_e32 v0, v[15:16]
	v_fma_f64 v[29:30], v[15:16], s[8:9], v[29:30]
	s_mov_b32 s8, 0xfca7ab0c
	s_mov_b32 s9, 0x3e928af3
	s_delay_alu instid0(VALU_DEP_1) | instid1(SALU_CYCLE_1)
	v_fma_f64 v[31:32], v[29:30], s[14:15], s[8:9]
	s_mov_b32 s8, 0x623fde64
	s_mov_b32 s9, 0x3ec71dee
	s_delay_alu instid0(VALU_DEP_1) | instid1(SALU_CYCLE_1)
	;; [unrolled: 4-line block ×9, first 2 shown]
	v_fma_f64 v[31:32], v[29:30], v[31:32], s[8:9]
	v_cmp_nlt_f64_e64 s8, 0x40900000, v[13:14]
	v_cmp_ngt_f64_e64 s9, 0xc090cc00, v[13:14]
	s_delay_alu instid0(VALU_DEP_3) | instskip(NEXT) | instid1(VALU_DEP_1)
	v_fma_f64 v[31:32], v[29:30], v[31:32], 1.0
	v_fma_f64 v[15:16], v[29:30], v[31:32], 1.0
	s_delay_alu instid0(VALU_DEP_1) | instskip(NEXT) | instid1(VALU_DEP_1)
	v_ldexp_f64 v[15:16], v[15:16], v0
	v_add_f64 v[15:16], v[15:16], 0
	s_delay_alu instid0(VALU_DEP_1)
	v_cndmask_b32_e64 v0, 0x7ff00000, v16, s8
	s_and_b32 s8, s9, s8
	s_delay_alu instid0(VALU_DEP_2) | instid1(SALU_CYCLE_1)
	v_cndmask_b32_e64 v13, 0, v15, s8
	s_delay_alu instid0(VALU_DEP_2)
	v_cndmask_b32_e64 v14, 0, v0, s9
	s_or_b32 exec_lo, exec_lo, s12
	s_and_saveexec_b32 s12, s0
	s_cbranch_execz .LBB28_18
.LBB28_37:
	s_waitcnt lgkmcnt(0)
	v_add_f64 v[15:16], v[3:4], -v[11:12]
	s_mov_b32 s8, 0x652b82fe
	s_mov_b32 s9, 0x3ff71547
	;; [unrolled: 1-line block ×4, first 2 shown]
	s_delay_alu instid0(VALU_DEP_1) | instskip(SKIP_2) | instid1(VALU_DEP_1)
	v_mul_f64 v[29:30], v[15:16], s[8:9]
	s_mov_b32 s8, 0xfefa39ef
	s_mov_b32 s9, 0xbfe62e42
	v_rndne_f64_e32 v[29:30], v[29:30]
	s_delay_alu instid0(VALU_DEP_1) | instskip(SKIP_3) | instid1(VALU_DEP_2)
	v_fma_f64 v[31:32], v[29:30], s[8:9], v[15:16]
	s_mov_b32 s8, 0x3b39803f
	s_mov_b32 s9, 0xbc7abc9e
	v_cvt_i32_f64_e32 v0, v[29:30]
	v_fma_f64 v[31:32], v[29:30], s[8:9], v[31:32]
	s_mov_b32 s8, 0xfca7ab0c
	s_mov_b32 s9, 0x3e928af3
	s_delay_alu instid0(VALU_DEP_1) | instid1(SALU_CYCLE_1)
	v_fma_f64 v[33:34], v[31:32], s[14:15], s[8:9]
	s_mov_b32 s8, 0x623fde64
	s_mov_b32 s9, 0x3ec71dee
	s_delay_alu instid0(VALU_DEP_1) | instid1(SALU_CYCLE_1)
	;; [unrolled: 4-line block ×9, first 2 shown]
	v_fma_f64 v[33:34], v[31:32], v[33:34], s[8:9]
	v_cmp_nlt_f64_e64 s8, 0x40900000, v[15:16]
	v_cmp_ngt_f64_e64 s9, 0xc090cc00, v[15:16]
	s_delay_alu instid0(VALU_DEP_3) | instskip(NEXT) | instid1(VALU_DEP_1)
	v_fma_f64 v[33:34], v[31:32], v[33:34], 1.0
	v_fma_f64 v[29:30], v[31:32], v[33:34], 1.0
	s_delay_alu instid0(VALU_DEP_1) | instskip(NEXT) | instid1(VALU_DEP_1)
	v_ldexp_f64 v[29:30], v[29:30], v0
	v_cndmask_b32_e64 v0, 0x7ff00000, v30, s8
	s_and_b32 s8, s9, s8
	s_delay_alu instid0(VALU_DEP_2) | instid1(SALU_CYCLE_1)
	v_cndmask_b32_e64 v15, 0, v29, s8
	s_delay_alu instid0(VALU_DEP_2) | instskip(NEXT) | instid1(VALU_DEP_1)
	v_cndmask_b32_e64 v16, 0, v0, s9
	v_add_f64 v[13:14], v[13:14], v[15:16]
	s_or_b32 exec_lo, exec_lo, s12
	s_and_saveexec_b32 s12, s1
	s_cbranch_execz .LBB28_19
.LBB28_38:
	s_waitcnt lgkmcnt(0)
	v_add_f64 v[15:16], v[5:6], -v[11:12]
	s_mov_b32 s8, 0x652b82fe
	s_mov_b32 s9, 0x3ff71547
	;; [unrolled: 1-line block ×4, first 2 shown]
	s_delay_alu instid0(VALU_DEP_1) | instskip(SKIP_2) | instid1(VALU_DEP_1)
	v_mul_f64 v[29:30], v[15:16], s[8:9]
	s_mov_b32 s8, 0xfefa39ef
	s_mov_b32 s9, 0xbfe62e42
	v_rndne_f64_e32 v[29:30], v[29:30]
	s_delay_alu instid0(VALU_DEP_1) | instskip(SKIP_3) | instid1(VALU_DEP_2)
	v_fma_f64 v[31:32], v[29:30], s[8:9], v[15:16]
	s_mov_b32 s8, 0x3b39803f
	s_mov_b32 s9, 0xbc7abc9e
	v_cvt_i32_f64_e32 v0, v[29:30]
	v_fma_f64 v[31:32], v[29:30], s[8:9], v[31:32]
	s_mov_b32 s8, 0xfca7ab0c
	s_mov_b32 s9, 0x3e928af3
	s_delay_alu instid0(VALU_DEP_1) | instid1(SALU_CYCLE_1)
	v_fma_f64 v[33:34], v[31:32], s[14:15], s[8:9]
	s_mov_b32 s8, 0x623fde64
	s_mov_b32 s9, 0x3ec71dee
	s_delay_alu instid0(VALU_DEP_1) | instid1(SALU_CYCLE_1)
	;; [unrolled: 4-line block ×9, first 2 shown]
	v_fma_f64 v[33:34], v[31:32], v[33:34], s[8:9]
	v_cmp_nlt_f64_e64 s8, 0x40900000, v[15:16]
	v_cmp_ngt_f64_e64 s9, 0xc090cc00, v[15:16]
	s_delay_alu instid0(VALU_DEP_3) | instskip(NEXT) | instid1(VALU_DEP_1)
	v_fma_f64 v[33:34], v[31:32], v[33:34], 1.0
	v_fma_f64 v[29:30], v[31:32], v[33:34], 1.0
	s_delay_alu instid0(VALU_DEP_1) | instskip(NEXT) | instid1(VALU_DEP_1)
	v_ldexp_f64 v[29:30], v[29:30], v0
	v_cndmask_b32_e64 v0, 0x7ff00000, v30, s8
	s_and_b32 s8, s9, s8
	s_delay_alu instid0(VALU_DEP_2) | instid1(SALU_CYCLE_1)
	v_cndmask_b32_e64 v15, 0, v29, s8
	s_delay_alu instid0(VALU_DEP_2) | instskip(NEXT) | instid1(VALU_DEP_1)
	v_cndmask_b32_e64 v16, 0, v0, s9
	v_add_f64 v[13:14], v[13:14], v[15:16]
	s_or_b32 exec_lo, exec_lo, s12
	s_and_saveexec_b32 s12, s2
	s_cbranch_execz .LBB28_20
.LBB28_39:
	s_waitcnt lgkmcnt(0)
	v_add_f64 v[15:16], v[7:8], -v[11:12]
	s_mov_b32 s8, 0x652b82fe
	s_mov_b32 s9, 0x3ff71547
	;; [unrolled: 1-line block ×4, first 2 shown]
	s_delay_alu instid0(VALU_DEP_1) | instskip(SKIP_2) | instid1(VALU_DEP_1)
	v_mul_f64 v[29:30], v[15:16], s[8:9]
	s_mov_b32 s8, 0xfefa39ef
	s_mov_b32 s9, 0xbfe62e42
	v_rndne_f64_e32 v[29:30], v[29:30]
	s_delay_alu instid0(VALU_DEP_1) | instskip(SKIP_3) | instid1(VALU_DEP_2)
	v_fma_f64 v[31:32], v[29:30], s[8:9], v[15:16]
	s_mov_b32 s8, 0x3b39803f
	s_mov_b32 s9, 0xbc7abc9e
	v_cvt_i32_f64_e32 v0, v[29:30]
	v_fma_f64 v[31:32], v[29:30], s[8:9], v[31:32]
	s_mov_b32 s8, 0xfca7ab0c
	s_mov_b32 s9, 0x3e928af3
	s_delay_alu instid0(VALU_DEP_1) | instid1(SALU_CYCLE_1)
	v_fma_f64 v[33:34], v[31:32], s[14:15], s[8:9]
	s_mov_b32 s8, 0x623fde64
	s_mov_b32 s9, 0x3ec71dee
	s_delay_alu instid0(VALU_DEP_1) | instid1(SALU_CYCLE_1)
	;; [unrolled: 4-line block ×9, first 2 shown]
	v_fma_f64 v[33:34], v[31:32], v[33:34], s[8:9]
	v_cmp_nlt_f64_e64 s8, 0x40900000, v[15:16]
	v_cmp_ngt_f64_e64 s9, 0xc090cc00, v[15:16]
	s_delay_alu instid0(VALU_DEP_3) | instskip(NEXT) | instid1(VALU_DEP_1)
	v_fma_f64 v[33:34], v[31:32], v[33:34], 1.0
	v_fma_f64 v[29:30], v[31:32], v[33:34], 1.0
	s_delay_alu instid0(VALU_DEP_1) | instskip(NEXT) | instid1(VALU_DEP_1)
	v_ldexp_f64 v[29:30], v[29:30], v0
	v_cndmask_b32_e64 v0, 0x7ff00000, v30, s8
	s_and_b32 s8, s9, s8
	s_delay_alu instid0(VALU_DEP_2) | instid1(SALU_CYCLE_1)
	v_cndmask_b32_e64 v15, 0, v29, s8
	s_delay_alu instid0(VALU_DEP_2) | instskip(NEXT) | instid1(VALU_DEP_1)
	v_cndmask_b32_e64 v16, 0, v0, s9
	v_add_f64 v[13:14], v[13:14], v[15:16]
	s_or_b32 exec_lo, exec_lo, s12
	s_and_saveexec_b32 s12, s3
	s_cbranch_execnz .LBB28_21
	s_branch .LBB28_22
.LBB28_40:
	ds_load_b64 v[13:14], v28
	s_or_b32 exec_lo, exec_lo, s4
	s_and_saveexec_b32 s4, s6
	s_cbranch_execz .LBB28_26
.LBB28_41:
	s_waitcnt lgkmcnt(0)
	ds_bpermute_b32 v15, v24, v13
	ds_bpermute_b32 v16, v24, v14
	s_waitcnt lgkmcnt(0)
	v_add_f64 v[13:14], v[13:14], v[15:16]
	ds_bpermute_b32 v15, v25, v13
	ds_bpermute_b32 v16, v25, v14
	s_waitcnt lgkmcnt(0)
	v_add_f64 v[13:14], v[13:14], v[15:16]
	;; [unrolled: 4-line block ×5, first 2 shown]
	s_or_b32 exec_lo, exec_lo, s4
	s_and_saveexec_b32 s4, s7
	s_cbranch_execnz .LBB28_27
	s_branch .LBB28_28
.LBB28_42:
	v_add_f64 v[0:1], v[1:2], -v[11:12]
	s_delay_alu instid0(VALU_DEP_1)
	v_add_f64 v[0:1], v[0:1], -v[13:14]
	global_store_b64 v21, v[0:1], s[6:7]
	s_or_b32 exec_lo, exec_lo, s4
	s_and_saveexec_b32 s4, s0
	s_cbranch_execz .LBB28_30
.LBB28_43:
	v_add_f64 v[0:1], v[3:4], -v[11:12]
	s_delay_alu instid0(VALU_DEP_1)
	v_add_f64 v[0:1], v[0:1], -v[13:14]
	global_store_b64 v20, v[0:1], s[6:7]
	s_or_b32 exec_lo, exec_lo, s4
	s_and_saveexec_b32 s0, s1
	s_cbranch_execz .LBB28_31
.LBB28_44:
	v_add_f64 v[0:1], v[5:6], -v[11:12]
	s_delay_alu instid0(VALU_DEP_1)
	v_add_f64 v[0:1], v[0:1], -v[13:14]
	global_store_b64 v19, v[0:1], s[6:7]
	s_or_b32 exec_lo, exec_lo, s0
	s_and_saveexec_b32 s0, s2
	s_cbranch_execz .LBB28_32
.LBB28_45:
	v_add_f64 v[0:1], v[7:8], -v[11:12]
	s_delay_alu instid0(VALU_DEP_1)
	v_add_f64 v[0:1], v[0:1], -v[13:14]
	global_store_b64 v22, v[0:1], s[6:7]
	s_or_b32 exec_lo, exec_lo, s0
	s_and_saveexec_b32 s0, s3
	s_cbranch_execz .LBB28_33
.LBB28_46:
	v_add_f64 v[0:1], v[9:10], -v[11:12]
	s_delay_alu instid0(VALU_DEP_1)
	v_add_f64 v[0:1], v[0:1], -v[13:14]
	global_store_b64 v23, v[0:1], s[6:7]
	s_nop 0
	s_sendmsg sendmsg(MSG_DEALLOC_VGPRS)
	s_endpgm
	.section	.rodata,"a",@progbits
	.p2align	6, 0x0
	.amdhsa_kernel _ZN2at6native12_GLOBAL__N_122cunn_SoftMaxForwardRegIdddNS1_25LogSoftMaxForwardEpilogueElLi5EEEvPT1_PKT_T3_
		.amdhsa_group_segment_fixed_size 0
		.amdhsa_private_segment_fixed_size 0
		.amdhsa_kernarg_size 280
		.amdhsa_user_sgpr_count 15
		.amdhsa_user_sgpr_dispatch_ptr 0
		.amdhsa_user_sgpr_queue_ptr 0
		.amdhsa_user_sgpr_kernarg_segment_ptr 1
		.amdhsa_user_sgpr_dispatch_id 0
		.amdhsa_user_sgpr_private_segment_size 0
		.amdhsa_wavefront_size32 1
		.amdhsa_uses_dynamic_stack 0
		.amdhsa_enable_private_segment 0
		.amdhsa_system_sgpr_workgroup_id_x 1
		.amdhsa_system_sgpr_workgroup_id_y 0
		.amdhsa_system_sgpr_workgroup_id_z 0
		.amdhsa_system_sgpr_workgroup_info 0
		.amdhsa_system_vgpr_workitem_id 0
		.amdhsa_next_free_vgpr 40
		.amdhsa_next_free_sgpr 20
		.amdhsa_reserve_vcc 1
		.amdhsa_float_round_mode_32 0
		.amdhsa_float_round_mode_16_64 0
		.amdhsa_float_denorm_mode_32 3
		.amdhsa_float_denorm_mode_16_64 3
		.amdhsa_dx10_clamp 1
		.amdhsa_ieee_mode 1
		.amdhsa_fp16_overflow 0
		.amdhsa_workgroup_processor_mode 1
		.amdhsa_memory_ordered 1
		.amdhsa_forward_progress 0
		.amdhsa_shared_vgpr_count 0
		.amdhsa_exception_fp_ieee_invalid_op 0
		.amdhsa_exception_fp_denorm_src 0
		.amdhsa_exception_fp_ieee_div_zero 0
		.amdhsa_exception_fp_ieee_overflow 0
		.amdhsa_exception_fp_ieee_underflow 0
		.amdhsa_exception_fp_ieee_inexact 0
		.amdhsa_exception_int_div_zero 0
	.end_amdhsa_kernel
	.section	.text._ZN2at6native12_GLOBAL__N_122cunn_SoftMaxForwardRegIdddNS1_25LogSoftMaxForwardEpilogueElLi5EEEvPT1_PKT_T3_,"axG",@progbits,_ZN2at6native12_GLOBAL__N_122cunn_SoftMaxForwardRegIdddNS1_25LogSoftMaxForwardEpilogueElLi5EEEvPT1_PKT_T3_,comdat
.Lfunc_end28:
	.size	_ZN2at6native12_GLOBAL__N_122cunn_SoftMaxForwardRegIdddNS1_25LogSoftMaxForwardEpilogueElLi5EEEvPT1_PKT_T3_, .Lfunc_end28-_ZN2at6native12_GLOBAL__N_122cunn_SoftMaxForwardRegIdddNS1_25LogSoftMaxForwardEpilogueElLi5EEEvPT1_PKT_T3_
                                        ; -- End function
	.section	.AMDGPU.csdata,"",@progbits
; Kernel info:
; codeLenInByte = 5556
; NumSgprs: 22
; NumVgprs: 40
; ScratchSize: 0
; MemoryBound: 0
; FloatMode: 240
; IeeeMode: 1
; LDSByteSize: 0 bytes/workgroup (compile time only)
; SGPRBlocks: 2
; VGPRBlocks: 4
; NumSGPRsForWavesPerEU: 22
; NumVGPRsForWavesPerEU: 40
; Occupancy: 16
; WaveLimiterHint : 0
; COMPUTE_PGM_RSRC2:SCRATCH_EN: 0
; COMPUTE_PGM_RSRC2:USER_SGPR: 15
; COMPUTE_PGM_RSRC2:TRAP_HANDLER: 0
; COMPUTE_PGM_RSRC2:TGID_X_EN: 1
; COMPUTE_PGM_RSRC2:TGID_Y_EN: 0
; COMPUTE_PGM_RSRC2:TGID_Z_EN: 0
; COMPUTE_PGM_RSRC2:TIDIG_COMP_CNT: 0
	.section	.text._ZN2at6native12_GLOBAL__N_122cunn_SoftMaxForwardRegIdddNS1_25LogSoftMaxForwardEpilogueElLi6EEEvPT1_PKT_T3_,"axG",@progbits,_ZN2at6native12_GLOBAL__N_122cunn_SoftMaxForwardRegIdddNS1_25LogSoftMaxForwardEpilogueElLi6EEEvPT1_PKT_T3_,comdat
	.globl	_ZN2at6native12_GLOBAL__N_122cunn_SoftMaxForwardRegIdddNS1_25LogSoftMaxForwardEpilogueElLi6EEEvPT1_PKT_T3_ ; -- Begin function _ZN2at6native12_GLOBAL__N_122cunn_SoftMaxForwardRegIdddNS1_25LogSoftMaxForwardEpilogueElLi6EEEvPT1_PKT_T3_
	.p2align	8
	.type	_ZN2at6native12_GLOBAL__N_122cunn_SoftMaxForwardRegIdddNS1_25LogSoftMaxForwardEpilogueElLi6EEEvPT1_PKT_T3_,@function
_ZN2at6native12_GLOBAL__N_122cunn_SoftMaxForwardRegIdddNS1_25LogSoftMaxForwardEpilogueElLi6EEEvPT1_PKT_T3_: ; @_ZN2at6native12_GLOBAL__N_122cunn_SoftMaxForwardRegIdddNS1_25LogSoftMaxForwardEpilogueElLi6EEEvPT1_PKT_T3_
; %bb.0:
	s_clause 0x2
	s_load_b64 s[4:5], s[0:1], 0x10
	s_load_b128 s[16:19], s[0:1], 0x0
	s_load_b32 s2, s[0:1], 0x24
	s_mov_b32 s0, -1
	s_mov_b32 s1, 0xffefffff
	v_mov_b32_e32 v20, 0
	v_dual_mov_b32 v18, s1 :: v_dual_mov_b32 v17, s0
	v_lshlrev_b32_e32 v21, 3, v0
	s_delay_alu instid0(VALU_DEP_3)
	v_mov_b32_e32 v1, v20
	s_waitcnt lgkmcnt(0)
	s_mul_i32 s3, s15, s5
	s_mul_hi_u32 s7, s15, s4
	s_mul_i32 s6, s15, s4
	s_add_i32 s7, s7, s3
	v_cmp_gt_i64_e32 vcc_lo, s[4:5], v[0:1]
	s_lshl_b64 s[12:13], s[6:7], 3
                                        ; implicit-def: $vgpr1_vgpr2_vgpr3_vgpr4_vgpr5_vgpr6_vgpr7_vgpr8_vgpr9_vgpr10_vgpr11_vgpr12_vgpr13_vgpr14_vgpr15_vgpr16
	s_delay_alu instid0(SALU_CYCLE_1)
	s_add_u32 s6, s18, s12
	s_addc_u32 s7, s19, s13
	s_and_saveexec_b32 s3, vcc_lo
	s_cbranch_execz .LBB29_2
; %bb.1:
	global_load_b64 v[1:2], v21, s[6:7]
	s_waitcnt vmcnt(0)
	v_max_f64 v[3:4], v[1:2], v[1:2]
	s_delay_alu instid0(VALU_DEP_1)
	v_max_f64 v[17:18], v[3:4], s[0:1]
.LBB29_2:
	s_or_b32 exec_lo, exec_lo, s3
	s_and_b32 s9, 0xffff, s2
	s_delay_alu instid0(SALU_CYCLE_1) | instskip(NEXT) | instid1(VALU_DEP_1)
	v_add_nc_u32_e32 v19, s9, v0
	v_cmp_gt_i64_e64 s0, s[4:5], v[19:20]
	v_lshlrev_b32_e32 v20, 3, v19
	s_delay_alu instid0(VALU_DEP_2)
	s_and_saveexec_b32 s1, s0
	s_cbranch_execz .LBB29_4
; %bb.3:
	global_load_b64 v[3:4], v20, s[6:7]
	v_max_f64 v[15:16], v[17:18], v[17:18]
	s_waitcnt vmcnt(0)
	v_max_f64 v[13:14], v[3:4], v[3:4]
	s_delay_alu instid0(VALU_DEP_1)
	v_max_f64 v[17:18], v[15:16], v[13:14]
.LBB29_4:
	s_or_b32 exec_lo, exec_lo, s1
	v_dual_mov_b32 v14, 0 :: v_dual_add_nc_u32 v13, s9, v19
	s_delay_alu instid0(VALU_DEP_1) | instskip(NEXT) | instid1(VALU_DEP_2)
	v_lshlrev_b32_e32 v19, 3, v13
	v_cmp_gt_i64_e64 s1, s[4:5], v[13:14]
	s_delay_alu instid0(VALU_DEP_1)
	s_and_saveexec_b32 s2, s1
	s_cbranch_execz .LBB29_6
; %bb.5:
	global_load_b64 v[5:6], v19, s[6:7]
	v_max_f64 v[17:18], v[17:18], v[17:18]
	s_waitcnt vmcnt(0)
	v_max_f64 v[15:16], v[5:6], v[5:6]
	s_delay_alu instid0(VALU_DEP_1)
	v_max_f64 v[17:18], v[17:18], v[15:16]
.LBB29_6:
	s_or_b32 exec_lo, exec_lo, s2
	v_add_nc_u32_e32 v13, s9, v13
	s_delay_alu instid0(VALU_DEP_1) | instskip(SKIP_1) | instid1(VALU_DEP_2)
	v_cmp_gt_i64_e64 s2, s[4:5], v[13:14]
	v_lshlrev_b32_e32 v22, 3, v13
	s_and_saveexec_b32 s3, s2
	s_cbranch_execz .LBB29_8
; %bb.7:
	global_load_b64 v[7:8], v22, s[6:7]
	v_max_f64 v[16:17], v[17:18], v[17:18]
	s_waitcnt vmcnt(0)
	v_max_f64 v[14:15], v[7:8], v[7:8]
	s_delay_alu instid0(VALU_DEP_1)
	v_max_f64 v[17:18], v[16:17], v[14:15]
.LBB29_8:
	s_or_b32 exec_lo, exec_lo, s3
	v_dual_mov_b32 v14, 0 :: v_dual_add_nc_u32 v13, s9, v13
	s_delay_alu instid0(VALU_DEP_1) | instskip(NEXT) | instid1(VALU_DEP_2)
	v_lshlrev_b32_e32 v23, 3, v13
	v_cmp_gt_i64_e64 s3, s[4:5], v[13:14]
	s_delay_alu instid0(VALU_DEP_1)
	s_and_saveexec_b32 s8, s3
	s_cbranch_execz .LBB29_10
; %bb.9:
	global_load_b64 v[9:10], v23, s[6:7]
	v_max_f64 v[17:18], v[17:18], v[17:18]
	s_waitcnt vmcnt(0)
	v_max_f64 v[15:16], v[9:10], v[9:10]
	s_delay_alu instid0(VALU_DEP_1)
	v_max_f64 v[17:18], v[17:18], v[15:16]
.LBB29_10:
	s_or_b32 exec_lo, exec_lo, s8
	v_add_nc_u32_e32 v13, s9, v13
	s_delay_alu instid0(VALU_DEP_1) | instskip(SKIP_1) | instid1(VALU_DEP_2)
	v_cmp_gt_i64_e64 s4, s[4:5], v[13:14]
	v_lshlrev_b32_e32 v24, 3, v13
	s_and_saveexec_b32 s5, s4
	s_cbranch_execz .LBB29_12
; %bb.11:
	global_load_b64 v[11:12], v24, s[6:7]
	v_max_f64 v[15:16], v[17:18], v[17:18]
	s_waitcnt vmcnt(0)
	v_max_f64 v[13:14], v[11:12], v[11:12]
	s_delay_alu instid0(VALU_DEP_1)
	v_max_f64 v[17:18], v[15:16], v[13:14]
.LBB29_12:
	s_or_b32 exec_lo, exec_lo, s5
	v_mbcnt_lo_u32_b32 v29, -1, 0
	v_lshrrev_b32_e32 v30, 2, v0
	s_mov_b32 s8, -1
	s_barrier
	s_delay_alu instid0(VALU_DEP_2)
	v_cmp_gt_u32_e64 s5, 16, v29
	v_cmp_gt_u32_e64 s6, 24, v29
	buffer_gl0_inv
	v_cndmask_b32_e64 v13, 0, 1, s5
	v_cndmask_b32_e64 v15, 0, 1, s6
	v_cmp_gt_u32_e64 s6, 28, v29
	s_delay_alu instid0(VALU_DEP_3) | instskip(NEXT) | instid1(VALU_DEP_3)
	v_lshlrev_b32_e32 v13, 4, v13
	v_lshlrev_b32_e32 v15, 3, v15
	s_delay_alu instid0(VALU_DEP_2) | instskip(NEXT) | instid1(VALU_DEP_2)
	v_add_lshl_u32 v25, v13, v29, 2
	v_add_lshl_u32 v26, v15, v29, 2
	ds_bpermute_b32 v13, v25, v17
	ds_bpermute_b32 v14, v25, v18
	s_waitcnt lgkmcnt(0)
	v_cmp_lt_f64_e64 s5, v[17:18], v[13:14]
	s_delay_alu instid0(VALU_DEP_1)
	v_cndmask_b32_e64 v14, v18, v14, s5
	v_cndmask_b32_e64 v13, v17, v13, s5
	;; [unrolled: 1-line block ×3, first 2 shown]
	v_cmp_gt_u32_e64 s6, 30, v29
	ds_bpermute_b32 v16, v26, v14
	ds_bpermute_b32 v15, v26, v13
	v_lshlrev_b32_e32 v17, 2, v17
	s_delay_alu instid0(VALU_DEP_1) | instskip(SKIP_2) | instid1(VALU_DEP_2)
	v_add_lshl_u32 v27, v17, v29, 2
	v_cndmask_b32_e64 v17, 0, 1, s6
	v_cmp_ne_u32_e64 s6, 31, v29
	v_lshlrev_b32_e32 v17, 1, v17
	s_delay_alu instid0(VALU_DEP_1) | instskip(NEXT) | instid1(VALU_DEP_3)
	v_add_lshl_u32 v28, v17, v29, 2
	v_add_co_ci_u32_e64 v17, s6, 0, v29, s6
	s_waitcnt lgkmcnt(0)
	v_cmp_lt_f64_e64 s5, v[13:14], v[15:16]
	s_delay_alu instid0(VALU_DEP_2) | instskip(SKIP_1) | instid1(VALU_DEP_3)
	v_lshlrev_b32_e32 v29, 2, v17
	v_and_b32_e32 v17, 31, v0
	v_cndmask_b32_e64 v14, v14, v16, s5
	v_cndmask_b32_e64 v13, v13, v15, s5
	ds_bpermute_b32 v16, v27, v14
	ds_bpermute_b32 v15, v27, v13
	s_waitcnt lgkmcnt(0)
	v_cmp_lt_f64_e64 s5, v[13:14], v[15:16]
	s_delay_alu instid0(VALU_DEP_1)
	v_cndmask_b32_e64 v14, v14, v16, s5
	v_cndmask_b32_e64 v13, v13, v15, s5
	ds_bpermute_b32 v16, v28, v14
	ds_bpermute_b32 v15, v28, v13
	s_waitcnt lgkmcnt(0)
	v_cmp_lt_f64_e64 s5, v[13:14], v[15:16]
	s_delay_alu instid0(VALU_DEP_1)
	v_cndmask_b32_e64 v14, v14, v16, s5
	v_cndmask_b32_e64 v13, v13, v15, s5
	v_cmp_eq_u32_e64 s5, 0, v17
	ds_bpermute_b32 v16, v29, v14
	ds_bpermute_b32 v15, v29, v13
	s_and_saveexec_b32 s6, s5
	s_delay_alu instid0(SALU_CYCLE_1)
	s_xor_b32 s7, exec_lo, s6
	s_cbranch_execz .LBB29_14
; %bb.13:
	s_waitcnt lgkmcnt(0)
	v_cmp_lt_f64_e64 s6, v[13:14], v[15:16]
	v_add_nc_u32_e32 v18, 0, v30
	s_delay_alu instid0(VALU_DEP_2)
	v_cndmask_b32_e64 v14, v14, v16, s6
	v_cndmask_b32_e64 v13, v13, v15, s6
	ds_store_b64 v18, v[13:14]
.LBB29_14:
	s_or_b32 exec_lo, exec_lo, s7
	s_lshr_b32 s6, s9, 5
	s_mov_b32 s9, 0xffefffff
	v_cmp_gt_u32_e64 s6, s6, v0
	v_dual_mov_b32 v14, s9 :: v_dual_mov_b32 v13, s8
	v_lshl_add_u32 v31, v17, 3, 0
	s_waitcnt lgkmcnt(0)
	s_barrier
	buffer_gl0_inv
	s_and_saveexec_b32 s7, s6
	s_cbranch_execnz .LBB29_38
; %bb.15:
	s_or_b32 exec_lo, exec_lo, s7
	v_cmp_gt_u32_e64 s7, 32, v0
	s_delay_alu instid0(VALU_DEP_1)
	s_and_saveexec_b32 s9, s7
	s_cbranch_execnz .LBB29_39
.LBB29_16:
	s_or_b32 exec_lo, exec_lo, s9
	v_cmp_eq_u32_e64 s8, 0, v0
	s_delay_alu instid0(VALU_DEP_1)
	s_and_saveexec_b32 s9, s8
	s_cbranch_execz .LBB29_18
.LBB29_17:
	v_mov_b32_e32 v0, 0
	s_waitcnt lgkmcnt(0)
	ds_store_b64 v0, v[13:14]
.LBB29_18:
	s_or_b32 exec_lo, exec_lo, s9
	v_dual_mov_b32 v0, 0 :: v_dual_mov_b32 v15, 0
	s_waitcnt lgkmcnt(0)
	s_barrier
	buffer_gl0_inv
	ds_load_b64 v[13:14], v0
	v_mov_b32_e32 v16, 0
	s_and_saveexec_b32 s11, vcc_lo
	s_cbranch_execnz .LBB29_40
; %bb.19:
	s_or_b32 exec_lo, exec_lo, s11
	s_and_saveexec_b32 s11, s0
	s_cbranch_execnz .LBB29_41
.LBB29_20:
	s_or_b32 exec_lo, exec_lo, s11
	s_and_saveexec_b32 s11, s1
	s_cbranch_execnz .LBB29_42
.LBB29_21:
	s_or_b32 exec_lo, exec_lo, s11
	s_and_saveexec_b32 s11, s2
	s_cbranch_execnz .LBB29_43
.LBB29_22:
	s_or_b32 exec_lo, exec_lo, s11
	s_and_saveexec_b32 s11, s3
	s_cbranch_execnz .LBB29_44
.LBB29_23:
	s_or_b32 exec_lo, exec_lo, s11
	s_and_saveexec_b32 s11, s4
	s_cbranch_execz .LBB29_25
.LBB29_24:
	s_waitcnt lgkmcnt(0)
	v_add_f64 v[17:18], v[11:12], -v[13:14]
	s_mov_b32 s14, 0x652b82fe
	s_mov_b32 s15, 0x3ff71547
	s_mov_b32 s18, 0x6a5dcb37
	s_mov_b32 s19, 0x3e5ade15
	s_delay_alu instid0(VALU_DEP_1) | instskip(SKIP_4) | instid1(VALU_DEP_3)
	v_mul_f64 v[32:33], v[17:18], s[14:15]
	s_mov_b32 s14, 0xfefa39ef
	s_mov_b32 s15, 0xbfe62e42
	v_cmp_nlt_f64_e64 s9, 0x40900000, v[17:18]
	v_cmp_ngt_f64_e64 s10, 0xc090cc00, v[17:18]
	v_rndne_f64_e32 v[32:33], v[32:33]
	s_delay_alu instid0(VALU_DEP_1) | instskip(SKIP_3) | instid1(VALU_DEP_2)
	v_fma_f64 v[34:35], v[32:33], s[14:15], v[17:18]
	s_mov_b32 s14, 0x3b39803f
	s_mov_b32 s15, 0xbc7abc9e
	v_cvt_i32_f64_e32 v0, v[32:33]
	v_fma_f64 v[34:35], v[32:33], s[14:15], v[34:35]
	s_mov_b32 s14, 0xfca7ab0c
	s_mov_b32 s15, 0x3e928af3
	s_delay_alu instid0(VALU_DEP_1) | instid1(SALU_CYCLE_1)
	v_fma_f64 v[36:37], v[34:35], s[18:19], s[14:15]
	s_mov_b32 s14, 0x623fde64
	s_mov_b32 s15, 0x3ec71dee
	s_delay_alu instid0(VALU_DEP_1) | instid1(SALU_CYCLE_1)
	v_fma_f64 v[36:37], v[34:35], v[36:37], s[14:15]
	s_mov_b32 s14, 0x7c89e6b0
	s_mov_b32 s15, 0x3efa0199
	s_delay_alu instid0(VALU_DEP_1) | instid1(SALU_CYCLE_1)
	v_fma_f64 v[36:37], v[34:35], v[36:37], s[14:15]
	s_mov_b32 s14, 0x14761f6e
	s_mov_b32 s15, 0x3f2a01a0
	s_delay_alu instid0(VALU_DEP_1) | instid1(SALU_CYCLE_1)
	v_fma_f64 v[36:37], v[34:35], v[36:37], s[14:15]
	s_mov_b32 s14, 0x1852b7b0
	s_mov_b32 s15, 0x3f56c16c
	s_delay_alu instid0(VALU_DEP_1) | instid1(SALU_CYCLE_1)
	v_fma_f64 v[36:37], v[34:35], v[36:37], s[14:15]
	s_mov_b32 s14, 0x11122322
	s_mov_b32 s15, 0x3f811111
	s_delay_alu instid0(VALU_DEP_1) | instid1(SALU_CYCLE_1)
	v_fma_f64 v[36:37], v[34:35], v[36:37], s[14:15]
	s_mov_b32 s14, 0x555502a1
	s_mov_b32 s15, 0x3fa55555
	s_delay_alu instid0(VALU_DEP_1) | instid1(SALU_CYCLE_1)
	v_fma_f64 v[36:37], v[34:35], v[36:37], s[14:15]
	s_mov_b32 s14, 0x55555511
	s_mov_b32 s15, 0x3fc55555
	s_delay_alu instid0(VALU_DEP_1) | instid1(SALU_CYCLE_1)
	v_fma_f64 v[36:37], v[34:35], v[36:37], s[14:15]
	s_mov_b32 s14, 11
	s_mov_b32 s15, 0x3fe00000
	s_delay_alu instid0(VALU_DEP_1) | instid1(SALU_CYCLE_1)
	v_fma_f64 v[36:37], v[34:35], v[36:37], s[14:15]
	s_delay_alu instid0(VALU_DEP_1) | instskip(NEXT) | instid1(VALU_DEP_1)
	v_fma_f64 v[36:37], v[34:35], v[36:37], 1.0
	v_fma_f64 v[32:33], v[34:35], v[36:37], 1.0
	s_delay_alu instid0(VALU_DEP_1) | instskip(NEXT) | instid1(VALU_DEP_1)
	v_ldexp_f64 v[32:33], v[32:33], v0
	v_cndmask_b32_e64 v0, 0x7ff00000, v33, s9
	s_and_b32 s9, s10, s9
	s_delay_alu instid0(VALU_DEP_2) | instid1(SALU_CYCLE_1)
	v_cndmask_b32_e64 v17, 0, v32, s9
	s_delay_alu instid0(VALU_DEP_2) | instskip(NEXT) | instid1(VALU_DEP_1)
	v_cndmask_b32_e64 v18, 0, v0, s10
	v_add_f64 v[15:16], v[15:16], v[17:18]
.LBB29_25:
	s_or_b32 exec_lo, exec_lo, s11
	ds_bpermute_b32 v17, v25, v15
	ds_bpermute_b32 v18, v25, v16
	s_waitcnt lgkmcnt(0)
	s_barrier
	buffer_gl0_inv
	v_add_f64 v[15:16], v[15:16], v[17:18]
	ds_bpermute_b32 v17, v26, v15
	ds_bpermute_b32 v18, v26, v16
	s_waitcnt lgkmcnt(0)
	v_add_f64 v[15:16], v[15:16], v[17:18]
	ds_bpermute_b32 v17, v27, v15
	ds_bpermute_b32 v18, v27, v16
	s_waitcnt lgkmcnt(0)
	;; [unrolled: 4-line block ×3, first 2 shown]
	v_add_f64 v[15:16], v[15:16], v[17:18]
	ds_bpermute_b32 v17, v29, v15
	ds_bpermute_b32 v18, v29, v16
	s_and_saveexec_b32 s9, s5
	s_delay_alu instid0(SALU_CYCLE_1)
	s_xor_b32 s5, exec_lo, s9
	s_cbranch_execz .LBB29_27
; %bb.26:
	s_waitcnt lgkmcnt(0)
	v_add_f64 v[15:16], v[15:16], v[17:18]
	v_add_nc_u32_e32 v0, 0, v30
	ds_store_b64 v0, v[15:16]
.LBB29_27:
	s_or_b32 exec_lo, exec_lo, s5
	v_mov_b32_e32 v15, 0
	v_mov_b32_e32 v16, 0
	s_waitcnt lgkmcnt(0)
	s_barrier
	buffer_gl0_inv
	s_and_saveexec_b32 s5, s6
	s_cbranch_execnz .LBB29_45
; %bb.28:
	s_or_b32 exec_lo, exec_lo, s5
	s_and_saveexec_b32 s5, s7
	s_cbranch_execnz .LBB29_46
.LBB29_29:
	s_or_b32 exec_lo, exec_lo, s5
	s_and_saveexec_b32 s5, s8
	s_cbranch_execz .LBB29_31
.LBB29_30:
	v_mov_b32_e32 v0, 0
	s_waitcnt lgkmcnt(0)
	ds_store_b64 v0, v[15:16]
.LBB29_31:
	s_or_b32 exec_lo, exec_lo, s5
	v_mov_b32_e32 v0, 0
	s_waitcnt lgkmcnt(0)
	s_barrier
	buffer_gl0_inv
	s_mov_b32 s7, 0x3fe55555
	ds_load_b64 v[16:17], v0
	s_mov_b32 s6, 0x55555555
	s_add_u32 s8, s16, s12
	s_addc_u32 s9, s17, s13
	s_mov_b32 s10, 0
	s_mov_b32 s12, 0xbf559e2b
	s_mov_b32 s13, 0x3fc3ab76
	s_waitcnt lgkmcnt(0)
	v_frexp_mant_f64_e32 v[25:26], v[16:17]
	v_frexp_exp_i32_f64_e32 v0, v[16:17]
	s_delay_alu instid0(VALU_DEP_2) | instskip(NEXT) | instid1(VALU_DEP_1)
	v_cmp_gt_f64_e64 s5, s[6:7], v[25:26]
	v_subrev_co_ci_u32_e64 v0, s6, 0, v0, s5
	s_and_b32 s5, s5, exec_lo
	s_cselect_b32 s11, 2.0, 0x3ff00000
	s_mov_b32 s6, 0x55555780
	v_mul_f64 v[25:26], v[25:26], s[10:11]
	s_mov_b32 s10, 0x6b47b09a
	s_mov_b32 s11, 0x3fc38538
	v_cmp_class_f64_e64 s5, v[16:17], 0x204
	s_delay_alu instid0(VALU_DEP_2) | instskip(SKIP_1) | instid1(VALU_DEP_2)
	v_add_f64 v[27:28], v[25:26], 1.0
	v_add_f64 v[33:34], v[25:26], -1.0
	v_rcp_f64_e32 v[29:30], v[27:28]
	v_add_f64 v[35:36], v[27:28], -1.0
	s_delay_alu instid0(VALU_DEP_1) | instskip(SKIP_2) | instid1(VALU_DEP_1)
	v_add_f64 v[25:26], v[25:26], -v[35:36]
	s_waitcnt_depctr 0xfff
	v_fma_f64 v[31:32], -v[27:28], v[29:30], 1.0
	v_fma_f64 v[29:30], v[31:32], v[29:30], v[29:30]
	s_delay_alu instid0(VALU_DEP_1) | instskip(NEXT) | instid1(VALU_DEP_1)
	v_fma_f64 v[31:32], -v[27:28], v[29:30], 1.0
	v_fma_f64 v[29:30], v[31:32], v[29:30], v[29:30]
	s_delay_alu instid0(VALU_DEP_1) | instskip(NEXT) | instid1(VALU_DEP_1)
	v_mul_f64 v[31:32], v[33:34], v[29:30]
	v_mul_f64 v[37:38], v[27:28], v[31:32]
	s_delay_alu instid0(VALU_DEP_1) | instskip(NEXT) | instid1(VALU_DEP_1)
	v_fma_f64 v[27:28], v[31:32], v[27:28], -v[37:38]
	v_fma_f64 v[25:26], v[31:32], v[25:26], v[27:28]
	s_delay_alu instid0(VALU_DEP_1) | instskip(NEXT) | instid1(VALU_DEP_1)
	v_add_f64 v[27:28], v[37:38], v[25:26]
	v_add_f64 v[35:36], v[33:34], -v[27:28]
	v_add_f64 v[37:38], v[27:28], -v[37:38]
	s_delay_alu instid0(VALU_DEP_2) | instskip(NEXT) | instid1(VALU_DEP_2)
	v_add_f64 v[33:34], v[33:34], -v[35:36]
	v_add_f64 v[25:26], v[37:38], -v[25:26]
	s_delay_alu instid0(VALU_DEP_2) | instskip(NEXT) | instid1(VALU_DEP_1)
	v_add_f64 v[27:28], v[33:34], -v[27:28]
	v_add_f64 v[25:26], v[25:26], v[27:28]
	s_delay_alu instid0(VALU_DEP_1) | instskip(NEXT) | instid1(VALU_DEP_1)
	v_add_f64 v[25:26], v[35:36], v[25:26]
	v_mul_f64 v[25:26], v[29:30], v[25:26]
	s_delay_alu instid0(VALU_DEP_1) | instskip(NEXT) | instid1(VALU_DEP_1)
	v_add_f64 v[27:28], v[31:32], v[25:26]
	v_mul_f64 v[29:30], v[27:28], v[27:28]
	s_delay_alu instid0(VALU_DEP_1) | instskip(SKIP_3) | instid1(VALU_DEP_2)
	v_fma_f64 v[33:34], v[29:30], s[12:13], s[10:11]
	s_mov_b32 s10, 0xd7f4df2e
	s_mov_b32 s11, 0x3fc7474d
	v_mul_f64 v[35:36], v[27:28], v[29:30]
	v_fma_f64 v[33:34], v[29:30], v[33:34], s[10:11]
	s_mov_b32 s10, 0x16291751
	s_mov_b32 s11, 0x3fcc71c0
	s_delay_alu instid0(VALU_DEP_1) | instid1(SALU_CYCLE_1)
	v_fma_f64 v[33:34], v[29:30], v[33:34], s[10:11]
	s_mov_b32 s10, 0x9b27acf1
	s_mov_b32 s11, 0x3fd24924
	s_delay_alu instid0(VALU_DEP_1) | instid1(SALU_CYCLE_1)
	v_fma_f64 v[33:34], v[29:30], v[33:34], s[10:11]
	s_mov_b32 s10, 0x998ef7b6
	s_mov_b32 s11, 0x3fd99999
	s_delay_alu instid0(VALU_DEP_1) | instid1(SALU_CYCLE_1)
	v_fma_f64 v[33:34], v[29:30], v[33:34], s[10:11]
	s_delay_alu instid0(VALU_DEP_1) | instskip(SKIP_4) | instid1(VALU_DEP_3)
	v_fma_f64 v[29:30], v[29:30], v[33:34], s[6:7]
	v_ldexp_f64 v[33:34], v[27:28], 1
	v_add_f64 v[27:28], v[27:28], -v[31:32]
	s_mov_b32 s6, 0xfefa39ef
	s_mov_b32 s7, 0x3fe62e42
	v_mul_f64 v[29:30], v[35:36], v[29:30]
	v_cvt_f64_i32_e32 v[35:36], v0
	s_delay_alu instid0(VALU_DEP_3) | instskip(NEXT) | instid1(VALU_DEP_3)
	v_add_f64 v[25:26], v[25:26], -v[27:28]
	v_add_f64 v[31:32], v[33:34], v[29:30]
	s_delay_alu instid0(VALU_DEP_3) | instskip(NEXT) | instid1(VALU_DEP_3)
	v_mul_f64 v[37:38], v[35:36], s[6:7]
	v_ldexp_f64 v[25:26], v[25:26], 1
	s_delay_alu instid0(VALU_DEP_3) | instskip(NEXT) | instid1(VALU_DEP_3)
	v_add_f64 v[27:28], v[31:32], -v[33:34]
	v_fma_f64 v[33:34], v[35:36], s[6:7], -v[37:38]
	s_mov_b32 s6, 0x3b39803f
	s_mov_b32 s7, 0x3c7abc9e
	s_delay_alu instid0(VALU_DEP_2) | instskip(NEXT) | instid1(VALU_DEP_2)
	v_add_f64 v[27:28], v[29:30], -v[27:28]
	v_fma_f64 v[29:30], v[35:36], s[6:7], v[33:34]
	s_delay_alu instid0(VALU_DEP_2) | instskip(NEXT) | instid1(VALU_DEP_2)
	v_add_f64 v[25:26], v[25:26], v[27:28]
	v_add_f64 v[27:28], v[37:38], v[29:30]
	s_delay_alu instid0(VALU_DEP_2) | instskip(NEXT) | instid1(VALU_DEP_2)
	v_add_f64 v[33:34], v[31:32], v[25:26]
	v_add_f64 v[37:38], v[27:28], -v[37:38]
	s_delay_alu instid0(VALU_DEP_2) | instskip(SKIP_1) | instid1(VALU_DEP_3)
	v_add_f64 v[35:36], v[27:28], v[33:34]
	v_add_f64 v[31:32], v[33:34], -v[31:32]
	v_add_f64 v[29:30], v[29:30], -v[37:38]
	s_delay_alu instid0(VALU_DEP_3) | instskip(NEXT) | instid1(VALU_DEP_3)
	v_add_f64 v[39:40], v[35:36], -v[27:28]
	v_add_f64 v[25:26], v[25:26], -v[31:32]
	s_delay_alu instid0(VALU_DEP_2) | instskip(SKIP_1) | instid1(VALU_DEP_3)
	v_add_f64 v[41:42], v[35:36], -v[39:40]
	v_add_f64 v[31:32], v[33:34], -v[39:40]
	v_add_f64 v[33:34], v[29:30], v[25:26]
	s_delay_alu instid0(VALU_DEP_3) | instskip(NEXT) | instid1(VALU_DEP_1)
	v_add_f64 v[27:28], v[27:28], -v[41:42]
	v_add_f64 v[27:28], v[31:32], v[27:28]
	s_delay_alu instid0(VALU_DEP_3) | instskip(NEXT) | instid1(VALU_DEP_2)
	v_add_f64 v[31:32], v[33:34], -v[29:30]
	v_add_f64 v[27:28], v[33:34], v[27:28]
	s_delay_alu instid0(VALU_DEP_2) | instskip(SKIP_1) | instid1(VALU_DEP_3)
	v_add_f64 v[33:34], v[33:34], -v[31:32]
	v_add_f64 v[25:26], v[25:26], -v[31:32]
	v_add_f64 v[37:38], v[35:36], v[27:28]
	s_delay_alu instid0(VALU_DEP_3) | instskip(NEXT) | instid1(VALU_DEP_2)
	v_add_f64 v[29:30], v[29:30], -v[33:34]
	v_add_f64 v[31:32], v[37:38], -v[35:36]
	s_delay_alu instid0(VALU_DEP_2) | instskip(NEXT) | instid1(VALU_DEP_2)
	v_add_f64 v[25:26], v[25:26], v[29:30]
	v_add_f64 v[27:28], v[27:28], -v[31:32]
	s_delay_alu instid0(VALU_DEP_1) | instskip(NEXT) | instid1(VALU_DEP_1)
	v_add_f64 v[25:26], v[25:26], v[27:28]
	v_add_f64 v[25:26], v[37:38], v[25:26]
	s_delay_alu instid0(VALU_DEP_1) | instskip(NEXT) | instid1(VALU_DEP_2)
	v_cndmask_b32_e64 v0, v25, v16, s5
	v_cndmask_b32_e64 v15, v26, v17, s5
	v_cmp_ngt_f64_e64 s5, 0, v[16:17]
	s_delay_alu instid0(VALU_DEP_1) | instskip(SKIP_1) | instid1(VALU_DEP_1)
	v_cndmask_b32_e64 v18, 0x7ff80000, v15, s5
	v_cmp_nge_f64_e64 s5, 0, v[16:17]
	v_cndmask_b32_e64 v15, 0, v0, s5
	v_cmp_neq_f64_e64 s5, 0, v[16:17]
	s_delay_alu instid0(VALU_DEP_1)
	v_cndmask_b32_e64 v16, 0xfff00000, v18, s5
	s_and_saveexec_b32 s5, vcc_lo
	s_cbranch_execnz .LBB29_47
; %bb.32:
	s_or_b32 exec_lo, exec_lo, s5
	s_and_saveexec_b32 s5, s0
	s_cbranch_execnz .LBB29_48
.LBB29_33:
	s_or_b32 exec_lo, exec_lo, s5
	s_and_saveexec_b32 s0, s1
	s_cbranch_execnz .LBB29_49
.LBB29_34:
	s_or_b32 exec_lo, exec_lo, s0
	s_and_saveexec_b32 s0, s2
	s_cbranch_execnz .LBB29_50
.LBB29_35:
	s_or_b32 exec_lo, exec_lo, s0
	s_and_saveexec_b32 s0, s3
	s_cbranch_execnz .LBB29_51
.LBB29_36:
	s_or_b32 exec_lo, exec_lo, s0
	s_and_saveexec_b32 s0, s4
	s_cbranch_execnz .LBB29_52
.LBB29_37:
	s_nop 0
	s_sendmsg sendmsg(MSG_DEALLOC_VGPRS)
	s_endpgm
.LBB29_38:
	ds_load_b64 v[13:14], v31
	s_or_b32 exec_lo, exec_lo, s7
	v_cmp_gt_u32_e64 s7, 32, v0
	s_delay_alu instid0(VALU_DEP_1)
	s_and_saveexec_b32 s9, s7
	s_cbranch_execz .LBB29_16
.LBB29_39:
	s_waitcnt lgkmcnt(0)
	ds_bpermute_b32 v15, v25, v13
	ds_bpermute_b32 v16, v25, v14
	s_waitcnt lgkmcnt(0)
	v_cmp_lt_f64_e64 s8, v[13:14], v[15:16]
	s_delay_alu instid0(VALU_DEP_1)
	v_cndmask_b32_e64 v14, v14, v16, s8
	v_cndmask_b32_e64 v13, v13, v15, s8
	ds_bpermute_b32 v16, v26, v14
	ds_bpermute_b32 v15, v26, v13
	s_waitcnt lgkmcnt(0)
	v_cmp_lt_f64_e64 s8, v[13:14], v[15:16]
	s_delay_alu instid0(VALU_DEP_1)
	v_cndmask_b32_e64 v14, v14, v16, s8
	v_cndmask_b32_e64 v13, v13, v15, s8
	;; [unrolled: 7-line block ×4, first 2 shown]
	ds_bpermute_b32 v16, v29, v14
	ds_bpermute_b32 v15, v29, v13
	s_waitcnt lgkmcnt(0)
	v_cmp_lt_f64_e64 s8, v[13:14], v[15:16]
	s_delay_alu instid0(VALU_DEP_1) | instskip(SKIP_3) | instid1(VALU_DEP_1)
	v_cndmask_b32_e64 v14, v14, v16, s8
	v_cndmask_b32_e64 v13, v13, v15, s8
	s_or_b32 exec_lo, exec_lo, s9
	v_cmp_eq_u32_e64 s8, 0, v0
	s_and_saveexec_b32 s9, s8
	s_cbranch_execnz .LBB29_17
	s_branch .LBB29_18
.LBB29_40:
	s_waitcnt lgkmcnt(0)
	v_add_f64 v[15:16], v[1:2], -v[13:14]
	s_mov_b32 s14, 0x652b82fe
	s_mov_b32 s15, 0x3ff71547
	;; [unrolled: 1-line block ×4, first 2 shown]
	s_delay_alu instid0(VALU_DEP_1) | instskip(SKIP_4) | instid1(VALU_DEP_3)
	v_mul_f64 v[17:18], v[15:16], s[14:15]
	s_mov_b32 s14, 0xfefa39ef
	s_mov_b32 s15, 0xbfe62e42
	v_cmp_nlt_f64_e64 s9, 0x40900000, v[15:16]
	v_cmp_ngt_f64_e64 s10, 0xc090cc00, v[15:16]
	v_rndne_f64_e32 v[17:18], v[17:18]
	s_delay_alu instid0(VALU_DEP_1) | instskip(SKIP_3) | instid1(VALU_DEP_2)
	v_fma_f64 v[32:33], v[17:18], s[14:15], v[15:16]
	s_mov_b32 s14, 0x3b39803f
	s_mov_b32 s15, 0xbc7abc9e
	v_cvt_i32_f64_e32 v0, v[17:18]
	v_fma_f64 v[32:33], v[17:18], s[14:15], v[32:33]
	s_mov_b32 s14, 0xfca7ab0c
	s_mov_b32 s15, 0x3e928af3
	s_delay_alu instid0(VALU_DEP_1) | instid1(SALU_CYCLE_1)
	v_fma_f64 v[34:35], v[32:33], s[18:19], s[14:15]
	s_mov_b32 s14, 0x623fde64
	s_mov_b32 s15, 0x3ec71dee
	s_delay_alu instid0(VALU_DEP_1) | instid1(SALU_CYCLE_1)
	;; [unrolled: 4-line block ×9, first 2 shown]
	v_fma_f64 v[34:35], v[32:33], v[34:35], s[14:15]
	s_delay_alu instid0(VALU_DEP_1) | instskip(NEXT) | instid1(VALU_DEP_1)
	v_fma_f64 v[34:35], v[32:33], v[34:35], 1.0
	v_fma_f64 v[17:18], v[32:33], v[34:35], 1.0
	s_delay_alu instid0(VALU_DEP_1) | instskip(NEXT) | instid1(VALU_DEP_1)
	v_ldexp_f64 v[17:18], v[17:18], v0
	v_add_f64 v[17:18], v[17:18], 0
	s_delay_alu instid0(VALU_DEP_1)
	v_cndmask_b32_e64 v0, 0x7ff00000, v18, s9
	s_and_b32 s9, s10, s9
	s_delay_alu instid0(VALU_DEP_2) | instid1(SALU_CYCLE_1)
	v_cndmask_b32_e64 v15, 0, v17, s9
	s_delay_alu instid0(VALU_DEP_2)
	v_cndmask_b32_e64 v16, 0, v0, s10
	s_or_b32 exec_lo, exec_lo, s11
	s_and_saveexec_b32 s11, s0
	s_cbranch_execz .LBB29_20
.LBB29_41:
	s_waitcnt lgkmcnt(0)
	v_add_f64 v[17:18], v[3:4], -v[13:14]
	s_mov_b32 s14, 0x652b82fe
	s_mov_b32 s15, 0x3ff71547
	s_mov_b32 s18, 0x6a5dcb37
	s_mov_b32 s19, 0x3e5ade15
	s_delay_alu instid0(VALU_DEP_1) | instskip(SKIP_4) | instid1(VALU_DEP_3)
	v_mul_f64 v[32:33], v[17:18], s[14:15]
	s_mov_b32 s14, 0xfefa39ef
	s_mov_b32 s15, 0xbfe62e42
	v_cmp_nlt_f64_e64 s9, 0x40900000, v[17:18]
	v_cmp_ngt_f64_e64 s10, 0xc090cc00, v[17:18]
	v_rndne_f64_e32 v[32:33], v[32:33]
	s_delay_alu instid0(VALU_DEP_1) | instskip(SKIP_3) | instid1(VALU_DEP_2)
	v_fma_f64 v[34:35], v[32:33], s[14:15], v[17:18]
	s_mov_b32 s14, 0x3b39803f
	s_mov_b32 s15, 0xbc7abc9e
	v_cvt_i32_f64_e32 v0, v[32:33]
	v_fma_f64 v[34:35], v[32:33], s[14:15], v[34:35]
	s_mov_b32 s14, 0xfca7ab0c
	s_mov_b32 s15, 0x3e928af3
	s_delay_alu instid0(VALU_DEP_1) | instid1(SALU_CYCLE_1)
	v_fma_f64 v[36:37], v[34:35], s[18:19], s[14:15]
	s_mov_b32 s14, 0x623fde64
	s_mov_b32 s15, 0x3ec71dee
	s_delay_alu instid0(VALU_DEP_1) | instid1(SALU_CYCLE_1)
	v_fma_f64 v[36:37], v[34:35], v[36:37], s[14:15]
	s_mov_b32 s14, 0x7c89e6b0
	s_mov_b32 s15, 0x3efa0199
	s_delay_alu instid0(VALU_DEP_1) | instid1(SALU_CYCLE_1)
	v_fma_f64 v[36:37], v[34:35], v[36:37], s[14:15]
	s_mov_b32 s14, 0x14761f6e
	s_mov_b32 s15, 0x3f2a01a0
	s_delay_alu instid0(VALU_DEP_1) | instid1(SALU_CYCLE_1)
	v_fma_f64 v[36:37], v[34:35], v[36:37], s[14:15]
	s_mov_b32 s14, 0x1852b7b0
	s_mov_b32 s15, 0x3f56c16c
	s_delay_alu instid0(VALU_DEP_1) | instid1(SALU_CYCLE_1)
	v_fma_f64 v[36:37], v[34:35], v[36:37], s[14:15]
	s_mov_b32 s14, 0x11122322
	s_mov_b32 s15, 0x3f811111
	s_delay_alu instid0(VALU_DEP_1) | instid1(SALU_CYCLE_1)
	v_fma_f64 v[36:37], v[34:35], v[36:37], s[14:15]
	s_mov_b32 s14, 0x555502a1
	s_mov_b32 s15, 0x3fa55555
	s_delay_alu instid0(VALU_DEP_1) | instid1(SALU_CYCLE_1)
	v_fma_f64 v[36:37], v[34:35], v[36:37], s[14:15]
	s_mov_b32 s14, 0x55555511
	s_mov_b32 s15, 0x3fc55555
	s_delay_alu instid0(VALU_DEP_1) | instid1(SALU_CYCLE_1)
	v_fma_f64 v[36:37], v[34:35], v[36:37], s[14:15]
	s_mov_b32 s14, 11
	s_mov_b32 s15, 0x3fe00000
	s_delay_alu instid0(VALU_DEP_1) | instid1(SALU_CYCLE_1)
	v_fma_f64 v[36:37], v[34:35], v[36:37], s[14:15]
	s_delay_alu instid0(VALU_DEP_1) | instskip(NEXT) | instid1(VALU_DEP_1)
	v_fma_f64 v[36:37], v[34:35], v[36:37], 1.0
	v_fma_f64 v[32:33], v[34:35], v[36:37], 1.0
	s_delay_alu instid0(VALU_DEP_1) | instskip(NEXT) | instid1(VALU_DEP_1)
	v_ldexp_f64 v[32:33], v[32:33], v0
	v_cndmask_b32_e64 v0, 0x7ff00000, v33, s9
	s_and_b32 s9, s10, s9
	s_delay_alu instid0(VALU_DEP_2) | instid1(SALU_CYCLE_1)
	v_cndmask_b32_e64 v17, 0, v32, s9
	s_delay_alu instid0(VALU_DEP_2) | instskip(NEXT) | instid1(VALU_DEP_1)
	v_cndmask_b32_e64 v18, 0, v0, s10
	v_add_f64 v[15:16], v[15:16], v[17:18]
	s_or_b32 exec_lo, exec_lo, s11
	s_and_saveexec_b32 s11, s1
	s_cbranch_execz .LBB29_21
.LBB29_42:
	s_waitcnt lgkmcnt(0)
	v_add_f64 v[17:18], v[5:6], -v[13:14]
	s_mov_b32 s14, 0x652b82fe
	s_mov_b32 s15, 0x3ff71547
	;; [unrolled: 1-line block ×4, first 2 shown]
	s_delay_alu instid0(VALU_DEP_1) | instskip(SKIP_4) | instid1(VALU_DEP_3)
	v_mul_f64 v[32:33], v[17:18], s[14:15]
	s_mov_b32 s14, 0xfefa39ef
	s_mov_b32 s15, 0xbfe62e42
	v_cmp_nlt_f64_e64 s9, 0x40900000, v[17:18]
	v_cmp_ngt_f64_e64 s10, 0xc090cc00, v[17:18]
	v_rndne_f64_e32 v[32:33], v[32:33]
	s_delay_alu instid0(VALU_DEP_1) | instskip(SKIP_3) | instid1(VALU_DEP_2)
	v_fma_f64 v[34:35], v[32:33], s[14:15], v[17:18]
	s_mov_b32 s14, 0x3b39803f
	s_mov_b32 s15, 0xbc7abc9e
	v_cvt_i32_f64_e32 v0, v[32:33]
	v_fma_f64 v[34:35], v[32:33], s[14:15], v[34:35]
	s_mov_b32 s14, 0xfca7ab0c
	s_mov_b32 s15, 0x3e928af3
	s_delay_alu instid0(VALU_DEP_1) | instid1(SALU_CYCLE_1)
	v_fma_f64 v[36:37], v[34:35], s[18:19], s[14:15]
	s_mov_b32 s14, 0x623fde64
	s_mov_b32 s15, 0x3ec71dee
	s_delay_alu instid0(VALU_DEP_1) | instid1(SALU_CYCLE_1)
	;; [unrolled: 4-line block ×9, first 2 shown]
	v_fma_f64 v[36:37], v[34:35], v[36:37], s[14:15]
	s_delay_alu instid0(VALU_DEP_1) | instskip(NEXT) | instid1(VALU_DEP_1)
	v_fma_f64 v[36:37], v[34:35], v[36:37], 1.0
	v_fma_f64 v[32:33], v[34:35], v[36:37], 1.0
	s_delay_alu instid0(VALU_DEP_1) | instskip(NEXT) | instid1(VALU_DEP_1)
	v_ldexp_f64 v[32:33], v[32:33], v0
	v_cndmask_b32_e64 v0, 0x7ff00000, v33, s9
	s_and_b32 s9, s10, s9
	s_delay_alu instid0(VALU_DEP_2) | instid1(SALU_CYCLE_1)
	v_cndmask_b32_e64 v17, 0, v32, s9
	s_delay_alu instid0(VALU_DEP_2) | instskip(NEXT) | instid1(VALU_DEP_1)
	v_cndmask_b32_e64 v18, 0, v0, s10
	v_add_f64 v[15:16], v[15:16], v[17:18]
	s_or_b32 exec_lo, exec_lo, s11
	s_and_saveexec_b32 s11, s2
	s_cbranch_execz .LBB29_22
.LBB29_43:
	s_waitcnt lgkmcnt(0)
	v_add_f64 v[17:18], v[7:8], -v[13:14]
	s_mov_b32 s14, 0x652b82fe
	s_mov_b32 s15, 0x3ff71547
	;; [unrolled: 1-line block ×4, first 2 shown]
	s_delay_alu instid0(VALU_DEP_1) | instskip(SKIP_4) | instid1(VALU_DEP_3)
	v_mul_f64 v[32:33], v[17:18], s[14:15]
	s_mov_b32 s14, 0xfefa39ef
	s_mov_b32 s15, 0xbfe62e42
	v_cmp_nlt_f64_e64 s9, 0x40900000, v[17:18]
	v_cmp_ngt_f64_e64 s10, 0xc090cc00, v[17:18]
	v_rndne_f64_e32 v[32:33], v[32:33]
	s_delay_alu instid0(VALU_DEP_1) | instskip(SKIP_3) | instid1(VALU_DEP_2)
	v_fma_f64 v[34:35], v[32:33], s[14:15], v[17:18]
	s_mov_b32 s14, 0x3b39803f
	s_mov_b32 s15, 0xbc7abc9e
	v_cvt_i32_f64_e32 v0, v[32:33]
	v_fma_f64 v[34:35], v[32:33], s[14:15], v[34:35]
	s_mov_b32 s14, 0xfca7ab0c
	s_mov_b32 s15, 0x3e928af3
	s_delay_alu instid0(VALU_DEP_1) | instid1(SALU_CYCLE_1)
	v_fma_f64 v[36:37], v[34:35], s[18:19], s[14:15]
	s_mov_b32 s14, 0x623fde64
	s_mov_b32 s15, 0x3ec71dee
	s_delay_alu instid0(VALU_DEP_1) | instid1(SALU_CYCLE_1)
	v_fma_f64 v[36:37], v[34:35], v[36:37], s[14:15]
	s_mov_b32 s14, 0x7c89e6b0
	s_mov_b32 s15, 0x3efa0199
	s_delay_alu instid0(VALU_DEP_1) | instid1(SALU_CYCLE_1)
	v_fma_f64 v[36:37], v[34:35], v[36:37], s[14:15]
	s_mov_b32 s14, 0x14761f6e
	s_mov_b32 s15, 0x3f2a01a0
	s_delay_alu instid0(VALU_DEP_1) | instid1(SALU_CYCLE_1)
	v_fma_f64 v[36:37], v[34:35], v[36:37], s[14:15]
	s_mov_b32 s14, 0x1852b7b0
	s_mov_b32 s15, 0x3f56c16c
	s_delay_alu instid0(VALU_DEP_1) | instid1(SALU_CYCLE_1)
	v_fma_f64 v[36:37], v[34:35], v[36:37], s[14:15]
	s_mov_b32 s14, 0x11122322
	s_mov_b32 s15, 0x3f811111
	s_delay_alu instid0(VALU_DEP_1) | instid1(SALU_CYCLE_1)
	v_fma_f64 v[36:37], v[34:35], v[36:37], s[14:15]
	s_mov_b32 s14, 0x555502a1
	s_mov_b32 s15, 0x3fa55555
	s_delay_alu instid0(VALU_DEP_1) | instid1(SALU_CYCLE_1)
	v_fma_f64 v[36:37], v[34:35], v[36:37], s[14:15]
	s_mov_b32 s14, 0x55555511
	s_mov_b32 s15, 0x3fc55555
	s_delay_alu instid0(VALU_DEP_1) | instid1(SALU_CYCLE_1)
	v_fma_f64 v[36:37], v[34:35], v[36:37], s[14:15]
	s_mov_b32 s14, 11
	s_mov_b32 s15, 0x3fe00000
	s_delay_alu instid0(VALU_DEP_1) | instid1(SALU_CYCLE_1)
	v_fma_f64 v[36:37], v[34:35], v[36:37], s[14:15]
	s_delay_alu instid0(VALU_DEP_1) | instskip(NEXT) | instid1(VALU_DEP_1)
	v_fma_f64 v[36:37], v[34:35], v[36:37], 1.0
	v_fma_f64 v[32:33], v[34:35], v[36:37], 1.0
	s_delay_alu instid0(VALU_DEP_1) | instskip(NEXT) | instid1(VALU_DEP_1)
	v_ldexp_f64 v[32:33], v[32:33], v0
	v_cndmask_b32_e64 v0, 0x7ff00000, v33, s9
	s_and_b32 s9, s10, s9
	s_delay_alu instid0(VALU_DEP_2) | instid1(SALU_CYCLE_1)
	v_cndmask_b32_e64 v17, 0, v32, s9
	s_delay_alu instid0(VALU_DEP_2) | instskip(NEXT) | instid1(VALU_DEP_1)
	v_cndmask_b32_e64 v18, 0, v0, s10
	v_add_f64 v[15:16], v[15:16], v[17:18]
	s_or_b32 exec_lo, exec_lo, s11
	s_and_saveexec_b32 s11, s3
	s_cbranch_execz .LBB29_23
.LBB29_44:
	s_waitcnt lgkmcnt(0)
	v_add_f64 v[17:18], v[9:10], -v[13:14]
	s_mov_b32 s14, 0x652b82fe
	s_mov_b32 s15, 0x3ff71547
	;; [unrolled: 1-line block ×4, first 2 shown]
	s_delay_alu instid0(VALU_DEP_1) | instskip(SKIP_4) | instid1(VALU_DEP_3)
	v_mul_f64 v[32:33], v[17:18], s[14:15]
	s_mov_b32 s14, 0xfefa39ef
	s_mov_b32 s15, 0xbfe62e42
	v_cmp_nlt_f64_e64 s9, 0x40900000, v[17:18]
	v_cmp_ngt_f64_e64 s10, 0xc090cc00, v[17:18]
	v_rndne_f64_e32 v[32:33], v[32:33]
	s_delay_alu instid0(VALU_DEP_1) | instskip(SKIP_3) | instid1(VALU_DEP_2)
	v_fma_f64 v[34:35], v[32:33], s[14:15], v[17:18]
	s_mov_b32 s14, 0x3b39803f
	s_mov_b32 s15, 0xbc7abc9e
	v_cvt_i32_f64_e32 v0, v[32:33]
	v_fma_f64 v[34:35], v[32:33], s[14:15], v[34:35]
	s_mov_b32 s14, 0xfca7ab0c
	s_mov_b32 s15, 0x3e928af3
	s_delay_alu instid0(VALU_DEP_1) | instid1(SALU_CYCLE_1)
	v_fma_f64 v[36:37], v[34:35], s[18:19], s[14:15]
	s_mov_b32 s14, 0x623fde64
	s_mov_b32 s15, 0x3ec71dee
	s_delay_alu instid0(VALU_DEP_1) | instid1(SALU_CYCLE_1)
	;; [unrolled: 4-line block ×9, first 2 shown]
	v_fma_f64 v[36:37], v[34:35], v[36:37], s[14:15]
	s_delay_alu instid0(VALU_DEP_1) | instskip(NEXT) | instid1(VALU_DEP_1)
	v_fma_f64 v[36:37], v[34:35], v[36:37], 1.0
	v_fma_f64 v[32:33], v[34:35], v[36:37], 1.0
	s_delay_alu instid0(VALU_DEP_1) | instskip(NEXT) | instid1(VALU_DEP_1)
	v_ldexp_f64 v[32:33], v[32:33], v0
	v_cndmask_b32_e64 v0, 0x7ff00000, v33, s9
	s_and_b32 s9, s10, s9
	s_delay_alu instid0(VALU_DEP_2) | instid1(SALU_CYCLE_1)
	v_cndmask_b32_e64 v17, 0, v32, s9
	s_delay_alu instid0(VALU_DEP_2) | instskip(NEXT) | instid1(VALU_DEP_1)
	v_cndmask_b32_e64 v18, 0, v0, s10
	v_add_f64 v[15:16], v[15:16], v[17:18]
	s_or_b32 exec_lo, exec_lo, s11
	s_and_saveexec_b32 s11, s4
	s_cbranch_execnz .LBB29_24
	s_branch .LBB29_25
.LBB29_45:
	ds_load_b64 v[15:16], v31
	s_or_b32 exec_lo, exec_lo, s5
	s_and_saveexec_b32 s5, s7
	s_cbranch_execz .LBB29_29
.LBB29_46:
	s_waitcnt lgkmcnt(0)
	ds_bpermute_b32 v17, v25, v15
	ds_bpermute_b32 v18, v25, v16
	s_waitcnt lgkmcnt(0)
	v_add_f64 v[15:16], v[15:16], v[17:18]
	ds_bpermute_b32 v17, v26, v15
	ds_bpermute_b32 v18, v26, v16
	s_waitcnt lgkmcnt(0)
	v_add_f64 v[15:16], v[15:16], v[17:18]
	ds_bpermute_b32 v17, v27, v15
	ds_bpermute_b32 v18, v27, v16
	s_waitcnt lgkmcnt(0)
	v_add_f64 v[15:16], v[15:16], v[17:18]
	ds_bpermute_b32 v17, v28, v15
	ds_bpermute_b32 v18, v28, v16
	s_waitcnt lgkmcnt(0)
	v_add_f64 v[15:16], v[15:16], v[17:18]
	ds_bpermute_b32 v17, v29, v15
	ds_bpermute_b32 v18, v29, v16
	s_waitcnt lgkmcnt(0)
	v_add_f64 v[15:16], v[15:16], v[17:18]
	s_or_b32 exec_lo, exec_lo, s5
	s_and_saveexec_b32 s5, s8
	s_cbranch_execnz .LBB29_30
	s_branch .LBB29_31
.LBB29_47:
	v_add_f64 v[0:1], v[1:2], -v[13:14]
	s_delay_alu instid0(VALU_DEP_1)
	v_add_f64 v[0:1], v[0:1], -v[15:16]
	global_store_b64 v21, v[0:1], s[8:9]
	s_or_b32 exec_lo, exec_lo, s5
	s_and_saveexec_b32 s5, s0
	s_cbranch_execz .LBB29_33
.LBB29_48:
	v_add_f64 v[0:1], v[3:4], -v[13:14]
	s_delay_alu instid0(VALU_DEP_1)
	v_add_f64 v[0:1], v[0:1], -v[15:16]
	global_store_b64 v20, v[0:1], s[8:9]
	s_or_b32 exec_lo, exec_lo, s5
	s_and_saveexec_b32 s0, s1
	s_cbranch_execz .LBB29_34
.LBB29_49:
	v_add_f64 v[0:1], v[5:6], -v[13:14]
	s_delay_alu instid0(VALU_DEP_1)
	v_add_f64 v[0:1], v[0:1], -v[15:16]
	global_store_b64 v19, v[0:1], s[8:9]
	s_or_b32 exec_lo, exec_lo, s0
	s_and_saveexec_b32 s0, s2
	s_cbranch_execz .LBB29_35
.LBB29_50:
	v_add_f64 v[0:1], v[7:8], -v[13:14]
	s_delay_alu instid0(VALU_DEP_1)
	v_add_f64 v[0:1], v[0:1], -v[15:16]
	global_store_b64 v22, v[0:1], s[8:9]
	s_or_b32 exec_lo, exec_lo, s0
	s_and_saveexec_b32 s0, s3
	s_cbranch_execz .LBB29_36
.LBB29_51:
	v_add_f64 v[0:1], v[9:10], -v[13:14]
	s_delay_alu instid0(VALU_DEP_1)
	v_add_f64 v[0:1], v[0:1], -v[15:16]
	global_store_b64 v23, v[0:1], s[8:9]
	s_or_b32 exec_lo, exec_lo, s0
	s_and_saveexec_b32 s0, s4
	s_cbranch_execz .LBB29_37
.LBB29_52:
	v_add_f64 v[0:1], v[11:12], -v[13:14]
	s_delay_alu instid0(VALU_DEP_1)
	v_add_f64 v[0:1], v[0:1], -v[15:16]
	global_store_b64 v24, v[0:1], s[8:9]
	s_nop 0
	s_sendmsg sendmsg(MSG_DEALLOC_VGPRS)
	s_endpgm
	.section	.rodata,"a",@progbits
	.p2align	6, 0x0
	.amdhsa_kernel _ZN2at6native12_GLOBAL__N_122cunn_SoftMaxForwardRegIdddNS1_25LogSoftMaxForwardEpilogueElLi6EEEvPT1_PKT_T3_
		.amdhsa_group_segment_fixed_size 0
		.amdhsa_private_segment_fixed_size 0
		.amdhsa_kernarg_size 280
		.amdhsa_user_sgpr_count 15
		.amdhsa_user_sgpr_dispatch_ptr 0
		.amdhsa_user_sgpr_queue_ptr 0
		.amdhsa_user_sgpr_kernarg_segment_ptr 1
		.amdhsa_user_sgpr_dispatch_id 0
		.amdhsa_user_sgpr_private_segment_size 0
		.amdhsa_wavefront_size32 1
		.amdhsa_uses_dynamic_stack 0
		.amdhsa_enable_private_segment 0
		.amdhsa_system_sgpr_workgroup_id_x 1
		.amdhsa_system_sgpr_workgroup_id_y 0
		.amdhsa_system_sgpr_workgroup_id_z 0
		.amdhsa_system_sgpr_workgroup_info 0
		.amdhsa_system_vgpr_workitem_id 0
		.amdhsa_next_free_vgpr 43
		.amdhsa_next_free_sgpr 20
		.amdhsa_reserve_vcc 1
		.amdhsa_float_round_mode_32 0
		.amdhsa_float_round_mode_16_64 0
		.amdhsa_float_denorm_mode_32 3
		.amdhsa_float_denorm_mode_16_64 3
		.amdhsa_dx10_clamp 1
		.amdhsa_ieee_mode 1
		.amdhsa_fp16_overflow 0
		.amdhsa_workgroup_processor_mode 1
		.amdhsa_memory_ordered 1
		.amdhsa_forward_progress 0
		.amdhsa_shared_vgpr_count 0
		.amdhsa_exception_fp_ieee_invalid_op 0
		.amdhsa_exception_fp_denorm_src 0
		.amdhsa_exception_fp_ieee_div_zero 0
		.amdhsa_exception_fp_ieee_overflow 0
		.amdhsa_exception_fp_ieee_underflow 0
		.amdhsa_exception_fp_ieee_inexact 0
		.amdhsa_exception_int_div_zero 0
	.end_amdhsa_kernel
	.section	.text._ZN2at6native12_GLOBAL__N_122cunn_SoftMaxForwardRegIdddNS1_25LogSoftMaxForwardEpilogueElLi6EEEvPT1_PKT_T3_,"axG",@progbits,_ZN2at6native12_GLOBAL__N_122cunn_SoftMaxForwardRegIdddNS1_25LogSoftMaxForwardEpilogueElLi6EEEvPT1_PKT_T3_,comdat
.Lfunc_end29:
	.size	_ZN2at6native12_GLOBAL__N_122cunn_SoftMaxForwardRegIdddNS1_25LogSoftMaxForwardEpilogueElLi6EEEvPT1_PKT_T3_, .Lfunc_end29-_ZN2at6native12_GLOBAL__N_122cunn_SoftMaxForwardRegIdddNS1_25LogSoftMaxForwardEpilogueElLi6EEEvPT1_PKT_T3_
                                        ; -- End function
	.section	.AMDGPU.csdata,"",@progbits
; Kernel info:
; codeLenInByte = 6172
; NumSgprs: 22
; NumVgprs: 43
; ScratchSize: 0
; MemoryBound: 0
; FloatMode: 240
; IeeeMode: 1
; LDSByteSize: 0 bytes/workgroup (compile time only)
; SGPRBlocks: 2
; VGPRBlocks: 5
; NumSGPRsForWavesPerEU: 22
; NumVGPRsForWavesPerEU: 43
; Occupancy: 16
; WaveLimiterHint : 0
; COMPUTE_PGM_RSRC2:SCRATCH_EN: 0
; COMPUTE_PGM_RSRC2:USER_SGPR: 15
; COMPUTE_PGM_RSRC2:TRAP_HANDLER: 0
; COMPUTE_PGM_RSRC2:TGID_X_EN: 1
; COMPUTE_PGM_RSRC2:TGID_Y_EN: 0
; COMPUTE_PGM_RSRC2:TGID_Z_EN: 0
; COMPUTE_PGM_RSRC2:TIDIG_COMP_CNT: 0
	.section	.text._ZN2at6native12_GLOBAL__N_122cunn_SoftMaxForwardRegIdddNS1_25LogSoftMaxForwardEpilogueElLi7EEEvPT1_PKT_T3_,"axG",@progbits,_ZN2at6native12_GLOBAL__N_122cunn_SoftMaxForwardRegIdddNS1_25LogSoftMaxForwardEpilogueElLi7EEEvPT1_PKT_T3_,comdat
	.globl	_ZN2at6native12_GLOBAL__N_122cunn_SoftMaxForwardRegIdddNS1_25LogSoftMaxForwardEpilogueElLi7EEEvPT1_PKT_T3_ ; -- Begin function _ZN2at6native12_GLOBAL__N_122cunn_SoftMaxForwardRegIdddNS1_25LogSoftMaxForwardEpilogueElLi7EEEvPT1_PKT_T3_
	.p2align	8
	.type	_ZN2at6native12_GLOBAL__N_122cunn_SoftMaxForwardRegIdddNS1_25LogSoftMaxForwardEpilogueElLi7EEEvPT1_PKT_T3_,@function
_ZN2at6native12_GLOBAL__N_122cunn_SoftMaxForwardRegIdddNS1_25LogSoftMaxForwardEpilogueElLi7EEEvPT1_PKT_T3_: ; @_ZN2at6native12_GLOBAL__N_122cunn_SoftMaxForwardRegIdddNS1_25LogSoftMaxForwardEpilogueElLi7EEEvPT1_PKT_T3_
; %bb.0:
	s_clause 0x2
	s_load_b64 s[6:7], s[0:1], 0x10
	s_load_b128 s[16:19], s[0:1], 0x0
	s_load_b32 s2, s[0:1], 0x24
	s_mov_b32 s0, -1
	s_mov_b32 s1, 0xffefffff
	v_mov_b32_e32 v20, 0
	v_dual_mov_b32 v18, s1 :: v_dual_mov_b32 v17, s0
	v_lshlrev_b32_e32 v21, 3, v0
	s_delay_alu instid0(VALU_DEP_3)
	v_mov_b32_e32 v1, v20
	s_waitcnt lgkmcnt(0)
	s_mul_i32 s3, s15, s7
	s_mul_hi_u32 s5, s15, s6
	s_mul_i32 s4, s15, s6
	s_add_i32 s5, s5, s3
	v_cmp_gt_i64_e32 vcc_lo, s[6:7], v[0:1]
	s_lshl_b64 s[12:13], s[4:5], 3
                                        ; implicit-def: $vgpr1_vgpr2_vgpr3_vgpr4_vgpr5_vgpr6_vgpr7_vgpr8_vgpr9_vgpr10_vgpr11_vgpr12_vgpr13_vgpr14_vgpr15_vgpr16
	s_delay_alu instid0(SALU_CYCLE_1)
	s_add_u32 s8, s18, s12
	s_addc_u32 s9, s19, s13
	s_and_saveexec_b32 s3, vcc_lo
	s_cbranch_execz .LBB30_2
; %bb.1:
	global_load_b64 v[1:2], v21, s[8:9]
	s_waitcnt vmcnt(0)
	v_max_f64 v[3:4], v[1:2], v[1:2]
	s_delay_alu instid0(VALU_DEP_1)
	v_max_f64 v[17:18], v[3:4], s[0:1]
.LBB30_2:
	s_or_b32 exec_lo, exec_lo, s3
	s_and_b32 s10, 0xffff, s2
	s_delay_alu instid0(SALU_CYCLE_1) | instskip(NEXT) | instid1(VALU_DEP_1)
	v_add_nc_u32_e32 v19, s10, v0
	v_cmp_gt_i64_e64 s0, s[6:7], v[19:20]
	v_lshlrev_b32_e32 v22, 3, v19
	s_delay_alu instid0(VALU_DEP_2)
	s_and_saveexec_b32 s1, s0
	s_cbranch_execz .LBB30_4
; %bb.3:
	global_load_b64 v[3:4], v22, s[8:9]
	v_max_f64 v[17:18], v[17:18], v[17:18]
	s_waitcnt vmcnt(0)
	v_max_f64 v[15:16], v[3:4], v[3:4]
	s_delay_alu instid0(VALU_DEP_1)
	v_max_f64 v[17:18], v[17:18], v[15:16]
.LBB30_4:
	s_or_b32 exec_lo, exec_lo, s1
	v_dual_mov_b32 v16, 0 :: v_dual_add_nc_u32 v15, s10, v19
	s_delay_alu instid0(VALU_DEP_1) | instskip(NEXT) | instid1(VALU_DEP_2)
	v_lshlrev_b32_e32 v23, 3, v15
	v_cmp_gt_i64_e64 s1, s[6:7], v[15:16]
	s_delay_alu instid0(VALU_DEP_1)
	s_and_saveexec_b32 s2, s1
	s_cbranch_execz .LBB30_6
; %bb.5:
	global_load_b64 v[5:6], v23, s[8:9]
	v_max_f64 v[17:18], v[17:18], v[17:18]
	s_waitcnt vmcnt(0)
	v_max_f64 v[19:20], v[5:6], v[5:6]
	s_delay_alu instid0(VALU_DEP_1)
	v_max_f64 v[17:18], v[17:18], v[19:20]
.LBB30_6:
	s_or_b32 exec_lo, exec_lo, s2
	v_add_nc_u32_e32 v15, s10, v15
	s_delay_alu instid0(VALU_DEP_1) | instskip(SKIP_1) | instid1(VALU_DEP_2)
	v_cmp_gt_i64_e64 s2, s[6:7], v[15:16]
	v_lshlrev_b32_e32 v24, 3, v15
	s_and_saveexec_b32 s3, s2
	s_cbranch_execz .LBB30_8
; %bb.7:
	global_load_b64 v[7:8], v24, s[8:9]
	v_max_f64 v[16:17], v[17:18], v[17:18]
	s_waitcnt vmcnt(0)
	v_max_f64 v[19:20], v[7:8], v[7:8]
	s_delay_alu instid0(VALU_DEP_1)
	v_max_f64 v[17:18], v[16:17], v[19:20]
.LBB30_8:
	s_or_b32 exec_lo, exec_lo, s3
	v_dual_mov_b32 v16, 0 :: v_dual_add_nc_u32 v15, s10, v15
	s_delay_alu instid0(VALU_DEP_1) | instskip(NEXT) | instid1(VALU_DEP_2)
	v_lshlrev_b32_e32 v25, 3, v15
	v_cmp_gt_i64_e64 s3, s[6:7], v[15:16]
	s_delay_alu instid0(VALU_DEP_1)
	s_and_saveexec_b32 s4, s3
	s_cbranch_execz .LBB30_10
; %bb.9:
	global_load_b64 v[9:10], v25, s[8:9]
	v_max_f64 v[17:18], v[17:18], v[17:18]
	s_waitcnt vmcnt(0)
	v_max_f64 v[19:20], v[9:10], v[9:10]
	s_delay_alu instid0(VALU_DEP_1)
	v_max_f64 v[17:18], v[17:18], v[19:20]
.LBB30_10:
	s_or_b32 exec_lo, exec_lo, s4
	v_add_nc_u32_e32 v15, s10, v15
	s_delay_alu instid0(VALU_DEP_1) | instskip(SKIP_1) | instid1(VALU_DEP_2)
	v_cmp_gt_i64_e64 s4, s[6:7], v[15:16]
	v_lshlrev_b32_e32 v26, 3, v15
	s_and_saveexec_b32 s5, s4
	s_cbranch_execz .LBB30_12
; %bb.11:
	global_load_b64 v[11:12], v26, s[8:9]
	v_max_f64 v[16:17], v[17:18], v[17:18]
	s_waitcnt vmcnt(0)
	v_max_f64 v[19:20], v[11:12], v[11:12]
	s_delay_alu instid0(VALU_DEP_1)
	v_max_f64 v[17:18], v[16:17], v[19:20]
.LBB30_12:
	s_or_b32 exec_lo, exec_lo, s5
	v_dual_mov_b32 v16, 0 :: v_dual_add_nc_u32 v15, s10, v15
	s_delay_alu instid0(VALU_DEP_1) | instskip(NEXT) | instid1(VALU_DEP_2)
	v_lshlrev_b32_e32 v27, 3, v15
	v_cmp_gt_i64_e64 s5, s[6:7], v[15:16]
	s_delay_alu instid0(VALU_DEP_1)
	s_and_saveexec_b32 s6, s5
	s_cbranch_execz .LBB30_14
; %bb.13:
	global_load_b64 v[13:14], v27, s[8:9]
	v_max_f64 v[17:18], v[17:18], v[17:18]
	s_waitcnt vmcnt(0)
	v_max_f64 v[15:16], v[13:14], v[13:14]
	s_delay_alu instid0(VALU_DEP_1)
	v_max_f64 v[17:18], v[17:18], v[15:16]
.LBB30_14:
	s_or_b32 exec_lo, exec_lo, s6
	v_mbcnt_lo_u32_b32 v19, -1, 0
	v_lshrrev_b32_e32 v33, 2, v0
	s_mov_b32 s8, -1
	s_barrier
	s_delay_alu instid0(VALU_DEP_2)
	v_cmp_gt_u32_e64 s6, 16, v19
	v_cmp_gt_u32_e64 s7, 24, v19
	buffer_gl0_inv
	v_cndmask_b32_e64 v15, 0, 1, s6
	v_cndmask_b32_e64 v20, 0, 1, s7
	v_cmp_gt_u32_e64 s7, 28, v19
	s_delay_alu instid0(VALU_DEP_3) | instskip(NEXT) | instid1(VALU_DEP_3)
	v_lshlrev_b32_e32 v15, 4, v15
	v_lshlrev_b32_e32 v20, 3, v20
	s_delay_alu instid0(VALU_DEP_2) | instskip(NEXT) | instid1(VALU_DEP_2)
	v_add_lshl_u32 v28, v15, v19, 2
	v_add_lshl_u32 v29, v20, v19, 2
	v_cndmask_b32_e64 v20, 0, 1, s7
	v_cmp_gt_u32_e64 s7, 30, v19
	ds_bpermute_b32 v15, v28, v17
	ds_bpermute_b32 v16, v28, v18
	v_lshlrev_b32_e32 v20, 2, v20
	s_delay_alu instid0(VALU_DEP_1) | instskip(SKIP_2) | instid1(VALU_DEP_2)
	v_add_lshl_u32 v30, v20, v19, 2
	v_cndmask_b32_e64 v20, 0, 1, s7
	v_cmp_ne_u32_e64 s7, 31, v19
	v_lshlrev_b32_e32 v20, 1, v20
	s_delay_alu instid0(VALU_DEP_1) | instskip(NEXT) | instid1(VALU_DEP_3)
	v_add_lshl_u32 v31, v20, v19, 2
	v_add_co_ci_u32_e64 v19, s7, 0, v19, s7
	s_waitcnt lgkmcnt(0)
	v_cmp_lt_f64_e64 s6, v[17:18], v[15:16]
	s_delay_alu instid0(VALU_DEP_2) | instskip(SKIP_1) | instid1(VALU_DEP_3)
	v_lshlrev_b32_e32 v32, 2, v19
	v_and_b32_e32 v19, 31, v0
	v_cndmask_b32_e64 v16, v18, v16, s6
	v_cndmask_b32_e64 v15, v17, v15, s6
	ds_bpermute_b32 v18, v29, v16
	ds_bpermute_b32 v17, v29, v15
	s_waitcnt lgkmcnt(0)
	v_cmp_lt_f64_e64 s6, v[15:16], v[17:18]
	s_delay_alu instid0(VALU_DEP_1)
	v_cndmask_b32_e64 v16, v16, v18, s6
	v_cndmask_b32_e64 v15, v15, v17, s6
	ds_bpermute_b32 v18, v30, v16
	ds_bpermute_b32 v17, v30, v15
	s_waitcnt lgkmcnt(0)
	v_cmp_lt_f64_e64 s6, v[15:16], v[17:18]
	s_delay_alu instid0(VALU_DEP_1)
	;; [unrolled: 7-line block ×3, first 2 shown]
	v_cndmask_b32_e64 v16, v16, v18, s6
	v_cndmask_b32_e64 v15, v15, v17, s6
	v_cmp_eq_u32_e64 s6, 0, v19
	ds_bpermute_b32 v18, v32, v16
	ds_bpermute_b32 v17, v32, v15
	s_and_saveexec_b32 s7, s6
	s_delay_alu instid0(SALU_CYCLE_1)
	s_xor_b32 s9, exec_lo, s7
	s_cbranch_execz .LBB30_16
; %bb.15:
	s_waitcnt lgkmcnt(0)
	v_cmp_lt_f64_e64 s7, v[15:16], v[17:18]
	v_add_nc_u32_e32 v20, 0, v33
	s_delay_alu instid0(VALU_DEP_2)
	v_cndmask_b32_e64 v16, v16, v18, s7
	v_cndmask_b32_e64 v15, v15, v17, s7
	ds_store_b64 v20, v[15:16]
.LBB30_16:
	s_or_b32 exec_lo, exec_lo, s9
	s_lshr_b32 s7, s10, 5
	s_mov_b32 s9, 0xffefffff
	v_cmp_gt_u32_e64 s7, s7, v0
	v_dual_mov_b32 v16, s9 :: v_dual_mov_b32 v15, s8
	v_lshl_add_u32 v34, v19, 3, 0
	s_waitcnt lgkmcnt(0)
	s_barrier
	buffer_gl0_inv
	s_and_saveexec_b32 s8, s7
	s_cbranch_execnz .LBB30_42
; %bb.17:
	s_or_b32 exec_lo, exec_lo, s8
	v_cmp_gt_u32_e64 s8, 32, v0
	s_delay_alu instid0(VALU_DEP_1)
	s_and_saveexec_b32 s10, s8
	s_cbranch_execnz .LBB30_43
.LBB30_18:
	s_or_b32 exec_lo, exec_lo, s10
	v_cmp_eq_u32_e64 s9, 0, v0
	s_delay_alu instid0(VALU_DEP_1)
	s_and_saveexec_b32 s10, s9
	s_cbranch_execz .LBB30_20
.LBB30_19:
	v_mov_b32_e32 v0, 0
	s_waitcnt lgkmcnt(0)
	ds_store_b64 v0, v[15:16]
.LBB30_20:
	s_or_b32 exec_lo, exec_lo, s10
	v_dual_mov_b32 v0, 0 :: v_dual_mov_b32 v17, 0
	s_waitcnt lgkmcnt(0)
	s_barrier
	buffer_gl0_inv
	ds_load_b64 v[15:16], v0
	v_mov_b32_e32 v18, 0
	s_and_saveexec_b32 s14, vcc_lo
	s_cbranch_execnz .LBB30_44
; %bb.21:
	s_or_b32 exec_lo, exec_lo, s14
	s_and_saveexec_b32 s14, s0
	s_cbranch_execnz .LBB30_45
.LBB30_22:
	s_or_b32 exec_lo, exec_lo, s14
	s_and_saveexec_b32 s14, s1
	s_cbranch_execnz .LBB30_46
.LBB30_23:
	s_or_b32 exec_lo, exec_lo, s14
	s_and_saveexec_b32 s14, s2
	s_cbranch_execnz .LBB30_47
.LBB30_24:
	s_or_b32 exec_lo, exec_lo, s14
	s_and_saveexec_b32 s14, s3
	s_cbranch_execnz .LBB30_48
.LBB30_25:
	s_or_b32 exec_lo, exec_lo, s14
	s_and_saveexec_b32 s14, s4
	s_cbranch_execnz .LBB30_49
.LBB30_26:
	s_or_b32 exec_lo, exec_lo, s14
	s_and_saveexec_b32 s14, s5
	s_cbranch_execz .LBB30_28
.LBB30_27:
	s_waitcnt lgkmcnt(0)
	v_add_f64 v[19:20], v[13:14], -v[15:16]
	s_mov_b32 s10, 0x652b82fe
	s_mov_b32 s11, 0x3ff71547
	;; [unrolled: 1-line block ×4, first 2 shown]
	s_delay_alu instid0(VALU_DEP_1) | instskip(SKIP_2) | instid1(VALU_DEP_1)
	v_mul_f64 v[35:36], v[19:20], s[10:11]
	s_mov_b32 s10, 0xfefa39ef
	s_mov_b32 s11, 0xbfe62e42
	v_rndne_f64_e32 v[35:36], v[35:36]
	s_delay_alu instid0(VALU_DEP_1) | instskip(SKIP_3) | instid1(VALU_DEP_2)
	v_fma_f64 v[37:38], v[35:36], s[10:11], v[19:20]
	s_mov_b32 s10, 0x3b39803f
	s_mov_b32 s11, 0xbc7abc9e
	v_cvt_i32_f64_e32 v0, v[35:36]
	v_fma_f64 v[37:38], v[35:36], s[10:11], v[37:38]
	s_mov_b32 s10, 0xfca7ab0c
	s_mov_b32 s11, 0x3e928af3
	s_delay_alu instid0(VALU_DEP_1) | instid1(SALU_CYCLE_1)
	v_fma_f64 v[39:40], v[37:38], s[18:19], s[10:11]
	s_mov_b32 s10, 0x623fde64
	s_mov_b32 s11, 0x3ec71dee
	s_delay_alu instid0(VALU_DEP_1) | instid1(SALU_CYCLE_1)
	;; [unrolled: 4-line block ×9, first 2 shown]
	v_fma_f64 v[39:40], v[37:38], v[39:40], s[10:11]
	v_cmp_nlt_f64_e64 s10, 0x40900000, v[19:20]
	v_cmp_ngt_f64_e64 s11, 0xc090cc00, v[19:20]
	s_delay_alu instid0(VALU_DEP_3) | instskip(NEXT) | instid1(VALU_DEP_1)
	v_fma_f64 v[39:40], v[37:38], v[39:40], 1.0
	v_fma_f64 v[35:36], v[37:38], v[39:40], 1.0
	s_delay_alu instid0(VALU_DEP_1) | instskip(NEXT) | instid1(VALU_DEP_1)
	v_ldexp_f64 v[35:36], v[35:36], v0
	v_cndmask_b32_e64 v0, 0x7ff00000, v36, s10
	s_and_b32 s10, s11, s10
	s_delay_alu instid0(VALU_DEP_2) | instid1(SALU_CYCLE_1)
	v_cndmask_b32_e64 v19, 0, v35, s10
	s_delay_alu instid0(VALU_DEP_2) | instskip(NEXT) | instid1(VALU_DEP_1)
	v_cndmask_b32_e64 v20, 0, v0, s11
	v_add_f64 v[17:18], v[17:18], v[19:20]
.LBB30_28:
	s_or_b32 exec_lo, exec_lo, s14
	ds_bpermute_b32 v19, v28, v17
	ds_bpermute_b32 v20, v28, v18
	s_waitcnt lgkmcnt(0)
	s_barrier
	buffer_gl0_inv
	v_add_f64 v[17:18], v[17:18], v[19:20]
	ds_bpermute_b32 v19, v29, v17
	ds_bpermute_b32 v20, v29, v18
	s_waitcnt lgkmcnt(0)
	v_add_f64 v[17:18], v[17:18], v[19:20]
	ds_bpermute_b32 v19, v30, v17
	ds_bpermute_b32 v20, v30, v18
	s_waitcnt lgkmcnt(0)
	;; [unrolled: 4-line block ×3, first 2 shown]
	v_add_f64 v[17:18], v[17:18], v[19:20]
	ds_bpermute_b32 v19, v32, v17
	ds_bpermute_b32 v20, v32, v18
	s_and_saveexec_b32 s10, s6
	s_delay_alu instid0(SALU_CYCLE_1)
	s_xor_b32 s6, exec_lo, s10
	s_cbranch_execz .LBB30_30
; %bb.29:
	s_waitcnt lgkmcnt(0)
	v_add_f64 v[17:18], v[17:18], v[19:20]
	v_add_nc_u32_e32 v0, 0, v33
	ds_store_b64 v0, v[17:18]
.LBB30_30:
	s_or_b32 exec_lo, exec_lo, s6
	v_mov_b32_e32 v17, 0
	v_mov_b32_e32 v18, 0
	s_waitcnt lgkmcnt(0)
	s_barrier
	buffer_gl0_inv
	s_and_saveexec_b32 s6, s7
	s_cbranch_execnz .LBB30_50
; %bb.31:
	s_or_b32 exec_lo, exec_lo, s6
	s_and_saveexec_b32 s6, s8
	s_cbranch_execnz .LBB30_51
.LBB30_32:
	s_or_b32 exec_lo, exec_lo, s6
	s_and_saveexec_b32 s6, s9
	s_cbranch_execz .LBB30_34
.LBB30_33:
	v_mov_b32_e32 v0, 0
	s_waitcnt lgkmcnt(0)
	ds_store_b64 v0, v[17:18]
.LBB30_34:
	s_or_b32 exec_lo, exec_lo, s6
	v_mov_b32_e32 v0, 0
	s_waitcnt lgkmcnt(0)
	s_barrier
	buffer_gl0_inv
	s_mov_b32 s11, 0x3fe55555
	ds_load_b64 v[18:19], v0
	s_mov_b32 s10, 0x55555555
	s_add_u32 s8, s16, s12
	s_addc_u32 s9, s17, s13
	s_mov_b32 s12, 0
	s_waitcnt lgkmcnt(0)
	v_frexp_mant_f64_e32 v[28:29], v[18:19]
	v_frexp_exp_i32_f64_e32 v0, v[18:19]
	s_delay_alu instid0(VALU_DEP_2) | instskip(SKIP_1) | instid1(VALU_DEP_1)
	v_cmp_gt_f64_e64 s6, s[10:11], v[28:29]
	s_mov_b32 s10, 0x55555780
	v_subrev_co_ci_u32_e64 v0, s7, 0, v0, s6
	s_and_b32 s6, s6, exec_lo
	s_cselect_b32 s13, 2.0, 0x3ff00000
	s_mov_b32 s6, 0x6b47b09a
	v_mul_f64 v[28:29], v[28:29], s[12:13]
	s_mov_b32 s12, 0xbf559e2b
	s_mov_b32 s7, 0x3fc38538
	;; [unrolled: 1-line block ×3, first 2 shown]
	s_delay_alu instid0(VALU_DEP_1) | instskip(SKIP_1) | instid1(VALU_DEP_2)
	v_add_f64 v[30:31], v[28:29], 1.0
	v_add_f64 v[36:37], v[28:29], -1.0
	v_rcp_f64_e32 v[32:33], v[30:31]
	v_add_f64 v[38:39], v[30:31], -1.0
	s_delay_alu instid0(VALU_DEP_1) | instskip(SKIP_2) | instid1(VALU_DEP_1)
	v_add_f64 v[28:29], v[28:29], -v[38:39]
	s_waitcnt_depctr 0xfff
	v_fma_f64 v[34:35], -v[30:31], v[32:33], 1.0
	v_fma_f64 v[32:33], v[34:35], v[32:33], v[32:33]
	s_delay_alu instid0(VALU_DEP_1) | instskip(NEXT) | instid1(VALU_DEP_1)
	v_fma_f64 v[34:35], -v[30:31], v[32:33], 1.0
	v_fma_f64 v[32:33], v[34:35], v[32:33], v[32:33]
	s_delay_alu instid0(VALU_DEP_1) | instskip(NEXT) | instid1(VALU_DEP_1)
	v_mul_f64 v[34:35], v[36:37], v[32:33]
	v_mul_f64 v[40:41], v[30:31], v[34:35]
	s_delay_alu instid0(VALU_DEP_1) | instskip(NEXT) | instid1(VALU_DEP_1)
	v_fma_f64 v[30:31], v[34:35], v[30:31], -v[40:41]
	v_fma_f64 v[28:29], v[34:35], v[28:29], v[30:31]
	s_delay_alu instid0(VALU_DEP_1) | instskip(NEXT) | instid1(VALU_DEP_1)
	v_add_f64 v[30:31], v[40:41], v[28:29]
	v_add_f64 v[38:39], v[36:37], -v[30:31]
	v_add_f64 v[40:41], v[30:31], -v[40:41]
	s_delay_alu instid0(VALU_DEP_2) | instskip(NEXT) | instid1(VALU_DEP_2)
	v_add_f64 v[36:37], v[36:37], -v[38:39]
	v_add_f64 v[28:29], v[40:41], -v[28:29]
	s_delay_alu instid0(VALU_DEP_2) | instskip(NEXT) | instid1(VALU_DEP_1)
	v_add_f64 v[30:31], v[36:37], -v[30:31]
	v_add_f64 v[28:29], v[28:29], v[30:31]
	s_delay_alu instid0(VALU_DEP_1) | instskip(NEXT) | instid1(VALU_DEP_1)
	v_add_f64 v[28:29], v[38:39], v[28:29]
	v_mul_f64 v[28:29], v[32:33], v[28:29]
	s_delay_alu instid0(VALU_DEP_1) | instskip(NEXT) | instid1(VALU_DEP_1)
	v_add_f64 v[30:31], v[34:35], v[28:29]
	v_mul_f64 v[32:33], v[30:31], v[30:31]
	s_delay_alu instid0(VALU_DEP_1) | instskip(SKIP_3) | instid1(VALU_DEP_2)
	v_fma_f64 v[36:37], v[32:33], s[12:13], s[6:7]
	s_mov_b32 s6, 0xd7f4df2e
	s_mov_b32 s7, 0x3fc7474d
	v_mul_f64 v[38:39], v[30:31], v[32:33]
	v_fma_f64 v[36:37], v[32:33], v[36:37], s[6:7]
	s_mov_b32 s6, 0x16291751
	s_mov_b32 s7, 0x3fcc71c0
	s_delay_alu instid0(VALU_DEP_1) | instid1(SALU_CYCLE_1)
	v_fma_f64 v[36:37], v[32:33], v[36:37], s[6:7]
	s_mov_b32 s6, 0x9b27acf1
	s_mov_b32 s7, 0x3fd24924
	s_delay_alu instid0(VALU_DEP_1) | instid1(SALU_CYCLE_1)
	;; [unrolled: 4-line block ×3, first 2 shown]
	v_fma_f64 v[36:37], v[32:33], v[36:37], s[6:7]
	s_mov_b32 s6, 0xfefa39ef
	s_mov_b32 s7, 0x3fe62e42
	s_delay_alu instid0(VALU_DEP_1) | instskip(SKIP_2) | instid1(VALU_DEP_3)
	v_fma_f64 v[32:33], v[32:33], v[36:37], s[10:11]
	v_ldexp_f64 v[36:37], v[30:31], 1
	v_add_f64 v[30:31], v[30:31], -v[34:35]
	v_mul_f64 v[32:33], v[38:39], v[32:33]
	v_cvt_f64_i32_e32 v[38:39], v0
	s_delay_alu instid0(VALU_DEP_3) | instskip(NEXT) | instid1(VALU_DEP_3)
	v_add_f64 v[28:29], v[28:29], -v[30:31]
	v_add_f64 v[34:35], v[36:37], v[32:33]
	s_delay_alu instid0(VALU_DEP_3) | instskip(NEXT) | instid1(VALU_DEP_3)
	v_mul_f64 v[40:41], v[38:39], s[6:7]
	v_ldexp_f64 v[28:29], v[28:29], 1
	s_delay_alu instid0(VALU_DEP_3) | instskip(NEXT) | instid1(VALU_DEP_3)
	v_add_f64 v[30:31], v[34:35], -v[36:37]
	v_fma_f64 v[36:37], v[38:39], s[6:7], -v[40:41]
	s_mov_b32 s6, 0x3b39803f
	s_mov_b32 s7, 0x3c7abc9e
	s_delay_alu instid0(VALU_DEP_2) | instskip(NEXT) | instid1(VALU_DEP_2)
	v_add_f64 v[30:31], v[32:33], -v[30:31]
	v_fma_f64 v[32:33], v[38:39], s[6:7], v[36:37]
	v_cmp_class_f64_e64 s6, v[18:19], 0x204
	s_delay_alu instid0(VALU_DEP_3) | instskip(NEXT) | instid1(VALU_DEP_3)
	v_add_f64 v[28:29], v[28:29], v[30:31]
	v_add_f64 v[30:31], v[40:41], v[32:33]
	s_delay_alu instid0(VALU_DEP_2) | instskip(NEXT) | instid1(VALU_DEP_2)
	v_add_f64 v[36:37], v[34:35], v[28:29]
	v_add_f64 v[40:41], v[30:31], -v[40:41]
	s_delay_alu instid0(VALU_DEP_2) | instskip(SKIP_1) | instid1(VALU_DEP_3)
	v_add_f64 v[38:39], v[30:31], v[36:37]
	v_add_f64 v[34:35], v[36:37], -v[34:35]
	v_add_f64 v[32:33], v[32:33], -v[40:41]
	s_delay_alu instid0(VALU_DEP_3) | instskip(NEXT) | instid1(VALU_DEP_3)
	v_add_f64 v[42:43], v[38:39], -v[30:31]
	v_add_f64 v[28:29], v[28:29], -v[34:35]
	s_delay_alu instid0(VALU_DEP_2) | instskip(SKIP_1) | instid1(VALU_DEP_3)
	v_add_f64 v[44:45], v[38:39], -v[42:43]
	v_add_f64 v[34:35], v[36:37], -v[42:43]
	v_add_f64 v[36:37], v[32:33], v[28:29]
	s_delay_alu instid0(VALU_DEP_3) | instskip(NEXT) | instid1(VALU_DEP_1)
	v_add_f64 v[30:31], v[30:31], -v[44:45]
	v_add_f64 v[30:31], v[34:35], v[30:31]
	s_delay_alu instid0(VALU_DEP_3) | instskip(NEXT) | instid1(VALU_DEP_2)
	v_add_f64 v[34:35], v[36:37], -v[32:33]
	v_add_f64 v[30:31], v[36:37], v[30:31]
	s_delay_alu instid0(VALU_DEP_2) | instskip(SKIP_1) | instid1(VALU_DEP_3)
	v_add_f64 v[36:37], v[36:37], -v[34:35]
	v_add_f64 v[28:29], v[28:29], -v[34:35]
	v_add_f64 v[40:41], v[38:39], v[30:31]
	s_delay_alu instid0(VALU_DEP_3) | instskip(NEXT) | instid1(VALU_DEP_2)
	v_add_f64 v[32:33], v[32:33], -v[36:37]
	v_add_f64 v[34:35], v[40:41], -v[38:39]
	s_delay_alu instid0(VALU_DEP_2) | instskip(NEXT) | instid1(VALU_DEP_2)
	v_add_f64 v[28:29], v[28:29], v[32:33]
	v_add_f64 v[30:31], v[30:31], -v[34:35]
	s_delay_alu instid0(VALU_DEP_1) | instskip(NEXT) | instid1(VALU_DEP_1)
	v_add_f64 v[28:29], v[28:29], v[30:31]
	v_add_f64 v[28:29], v[40:41], v[28:29]
	s_delay_alu instid0(VALU_DEP_1) | instskip(NEXT) | instid1(VALU_DEP_2)
	v_cndmask_b32_e64 v0, v28, v18, s6
	v_cndmask_b32_e64 v17, v29, v19, s6
	v_cmp_ngt_f64_e64 s6, 0, v[18:19]
	s_delay_alu instid0(VALU_DEP_1) | instskip(SKIP_1) | instid1(VALU_DEP_1)
	v_cndmask_b32_e64 v20, 0x7ff80000, v17, s6
	v_cmp_nge_f64_e64 s6, 0, v[18:19]
	v_cndmask_b32_e64 v17, 0, v0, s6
	v_cmp_neq_f64_e64 s6, 0, v[18:19]
	s_delay_alu instid0(VALU_DEP_1)
	v_cndmask_b32_e64 v18, 0xfff00000, v20, s6
	s_and_saveexec_b32 s6, vcc_lo
	s_cbranch_execnz .LBB30_52
; %bb.35:
	s_or_b32 exec_lo, exec_lo, s6
	s_and_saveexec_b32 s6, s0
	s_cbranch_execnz .LBB30_53
.LBB30_36:
	s_or_b32 exec_lo, exec_lo, s6
	s_and_saveexec_b32 s0, s1
	s_cbranch_execnz .LBB30_54
.LBB30_37:
	s_or_b32 exec_lo, exec_lo, s0
	s_and_saveexec_b32 s0, s2
	s_cbranch_execnz .LBB30_55
.LBB30_38:
	s_or_b32 exec_lo, exec_lo, s0
	s_and_saveexec_b32 s0, s3
	s_cbranch_execnz .LBB30_56
.LBB30_39:
	s_or_b32 exec_lo, exec_lo, s0
	s_and_saveexec_b32 s0, s4
	s_cbranch_execnz .LBB30_57
.LBB30_40:
	s_or_b32 exec_lo, exec_lo, s0
	s_and_saveexec_b32 s0, s5
	s_cbranch_execnz .LBB30_58
.LBB30_41:
	s_nop 0
	s_sendmsg sendmsg(MSG_DEALLOC_VGPRS)
	s_endpgm
.LBB30_42:
	ds_load_b64 v[15:16], v34
	s_or_b32 exec_lo, exec_lo, s8
	v_cmp_gt_u32_e64 s8, 32, v0
	s_delay_alu instid0(VALU_DEP_1)
	s_and_saveexec_b32 s10, s8
	s_cbranch_execz .LBB30_18
.LBB30_43:
	s_waitcnt lgkmcnt(0)
	ds_bpermute_b32 v17, v28, v15
	ds_bpermute_b32 v18, v28, v16
	s_waitcnt lgkmcnt(0)
	v_cmp_lt_f64_e64 s9, v[15:16], v[17:18]
	s_delay_alu instid0(VALU_DEP_1)
	v_cndmask_b32_e64 v16, v16, v18, s9
	v_cndmask_b32_e64 v15, v15, v17, s9
	ds_bpermute_b32 v18, v29, v16
	ds_bpermute_b32 v17, v29, v15
	s_waitcnt lgkmcnt(0)
	v_cmp_lt_f64_e64 s9, v[15:16], v[17:18]
	s_delay_alu instid0(VALU_DEP_1)
	v_cndmask_b32_e64 v16, v16, v18, s9
	v_cndmask_b32_e64 v15, v15, v17, s9
	ds_bpermute_b32 v18, v30, v16
	ds_bpermute_b32 v17, v30, v15
	s_waitcnt lgkmcnt(0)
	v_cmp_lt_f64_e64 s9, v[15:16], v[17:18]
	s_delay_alu instid0(VALU_DEP_1)
	v_cndmask_b32_e64 v16, v16, v18, s9
	v_cndmask_b32_e64 v15, v15, v17, s9
	ds_bpermute_b32 v18, v31, v16
	ds_bpermute_b32 v17, v31, v15
	s_waitcnt lgkmcnt(0)
	v_cmp_lt_f64_e64 s9, v[15:16], v[17:18]
	s_delay_alu instid0(VALU_DEP_1)
	v_cndmask_b32_e64 v16, v16, v18, s9
	v_cndmask_b32_e64 v15, v15, v17, s9
	ds_bpermute_b32 v18, v32, v16
	ds_bpermute_b32 v17, v32, v15
	s_waitcnt lgkmcnt(0)
	v_cmp_lt_f64_e64 s9, v[15:16], v[17:18]
	s_delay_alu instid0(VALU_DEP_1) | instskip(SKIP_3) | instid1(VALU_DEP_1)
	v_cndmask_b32_e64 v16, v16, v18, s9
	v_cndmask_b32_e64 v15, v15, v17, s9
	s_or_b32 exec_lo, exec_lo, s10
	v_cmp_eq_u32_e64 s9, 0, v0
	s_and_saveexec_b32 s10, s9
	s_cbranch_execnz .LBB30_19
	s_branch .LBB30_20
.LBB30_44:
	s_waitcnt lgkmcnt(0)
	v_add_f64 v[17:18], v[1:2], -v[15:16]
	s_mov_b32 s10, 0x652b82fe
	s_mov_b32 s11, 0x3ff71547
	s_mov_b32 s18, 0x6a5dcb37
	s_mov_b32 s19, 0x3e5ade15
	s_delay_alu instid0(VALU_DEP_1) | instskip(SKIP_2) | instid1(VALU_DEP_1)
	v_mul_f64 v[19:20], v[17:18], s[10:11]
	s_mov_b32 s10, 0xfefa39ef
	s_mov_b32 s11, 0xbfe62e42
	v_rndne_f64_e32 v[19:20], v[19:20]
	s_delay_alu instid0(VALU_DEP_1) | instskip(SKIP_3) | instid1(VALU_DEP_2)
	v_fma_f64 v[35:36], v[19:20], s[10:11], v[17:18]
	s_mov_b32 s10, 0x3b39803f
	s_mov_b32 s11, 0xbc7abc9e
	v_cvt_i32_f64_e32 v0, v[19:20]
	v_fma_f64 v[35:36], v[19:20], s[10:11], v[35:36]
	s_mov_b32 s10, 0xfca7ab0c
	s_mov_b32 s11, 0x3e928af3
	s_delay_alu instid0(VALU_DEP_1) | instid1(SALU_CYCLE_1)
	v_fma_f64 v[37:38], v[35:36], s[18:19], s[10:11]
	s_mov_b32 s10, 0x623fde64
	s_mov_b32 s11, 0x3ec71dee
	s_delay_alu instid0(VALU_DEP_1) | instid1(SALU_CYCLE_1)
	;; [unrolled: 4-line block ×9, first 2 shown]
	v_fma_f64 v[37:38], v[35:36], v[37:38], s[10:11]
	v_cmp_nlt_f64_e64 s10, 0x40900000, v[17:18]
	v_cmp_ngt_f64_e64 s11, 0xc090cc00, v[17:18]
	s_delay_alu instid0(VALU_DEP_3) | instskip(NEXT) | instid1(VALU_DEP_1)
	v_fma_f64 v[37:38], v[35:36], v[37:38], 1.0
	v_fma_f64 v[19:20], v[35:36], v[37:38], 1.0
	s_delay_alu instid0(VALU_DEP_1) | instskip(NEXT) | instid1(VALU_DEP_1)
	v_ldexp_f64 v[19:20], v[19:20], v0
	v_add_f64 v[19:20], v[19:20], 0
	s_delay_alu instid0(VALU_DEP_1)
	v_cndmask_b32_e64 v0, 0x7ff00000, v20, s10
	s_and_b32 s10, s11, s10
	s_delay_alu instid0(VALU_DEP_2) | instid1(SALU_CYCLE_1)
	v_cndmask_b32_e64 v17, 0, v19, s10
	s_delay_alu instid0(VALU_DEP_2)
	v_cndmask_b32_e64 v18, 0, v0, s11
	s_or_b32 exec_lo, exec_lo, s14
	s_and_saveexec_b32 s14, s0
	s_cbranch_execz .LBB30_22
.LBB30_45:
	s_waitcnt lgkmcnt(0)
	v_add_f64 v[19:20], v[3:4], -v[15:16]
	s_mov_b32 s10, 0x652b82fe
	s_mov_b32 s11, 0x3ff71547
	;; [unrolled: 1-line block ×4, first 2 shown]
	s_delay_alu instid0(VALU_DEP_1) | instskip(SKIP_2) | instid1(VALU_DEP_1)
	v_mul_f64 v[35:36], v[19:20], s[10:11]
	s_mov_b32 s10, 0xfefa39ef
	s_mov_b32 s11, 0xbfe62e42
	v_rndne_f64_e32 v[35:36], v[35:36]
	s_delay_alu instid0(VALU_DEP_1) | instskip(SKIP_3) | instid1(VALU_DEP_2)
	v_fma_f64 v[37:38], v[35:36], s[10:11], v[19:20]
	s_mov_b32 s10, 0x3b39803f
	s_mov_b32 s11, 0xbc7abc9e
	v_cvt_i32_f64_e32 v0, v[35:36]
	v_fma_f64 v[37:38], v[35:36], s[10:11], v[37:38]
	s_mov_b32 s10, 0xfca7ab0c
	s_mov_b32 s11, 0x3e928af3
	s_delay_alu instid0(VALU_DEP_1) | instid1(SALU_CYCLE_1)
	v_fma_f64 v[39:40], v[37:38], s[18:19], s[10:11]
	s_mov_b32 s10, 0x623fde64
	s_mov_b32 s11, 0x3ec71dee
	s_delay_alu instid0(VALU_DEP_1) | instid1(SALU_CYCLE_1)
	;; [unrolled: 4-line block ×9, first 2 shown]
	v_fma_f64 v[39:40], v[37:38], v[39:40], s[10:11]
	v_cmp_nlt_f64_e64 s10, 0x40900000, v[19:20]
	v_cmp_ngt_f64_e64 s11, 0xc090cc00, v[19:20]
	s_delay_alu instid0(VALU_DEP_3) | instskip(NEXT) | instid1(VALU_DEP_1)
	v_fma_f64 v[39:40], v[37:38], v[39:40], 1.0
	v_fma_f64 v[35:36], v[37:38], v[39:40], 1.0
	s_delay_alu instid0(VALU_DEP_1) | instskip(NEXT) | instid1(VALU_DEP_1)
	v_ldexp_f64 v[35:36], v[35:36], v0
	v_cndmask_b32_e64 v0, 0x7ff00000, v36, s10
	s_and_b32 s10, s11, s10
	s_delay_alu instid0(VALU_DEP_2) | instid1(SALU_CYCLE_1)
	v_cndmask_b32_e64 v19, 0, v35, s10
	s_delay_alu instid0(VALU_DEP_2) | instskip(NEXT) | instid1(VALU_DEP_1)
	v_cndmask_b32_e64 v20, 0, v0, s11
	v_add_f64 v[17:18], v[17:18], v[19:20]
	s_or_b32 exec_lo, exec_lo, s14
	s_and_saveexec_b32 s14, s1
	s_cbranch_execz .LBB30_23
.LBB30_46:
	s_waitcnt lgkmcnt(0)
	v_add_f64 v[19:20], v[5:6], -v[15:16]
	s_mov_b32 s10, 0x652b82fe
	s_mov_b32 s11, 0x3ff71547
	s_mov_b32 s18, 0x6a5dcb37
	s_mov_b32 s19, 0x3e5ade15
	s_delay_alu instid0(VALU_DEP_1) | instskip(SKIP_2) | instid1(VALU_DEP_1)
	v_mul_f64 v[35:36], v[19:20], s[10:11]
	s_mov_b32 s10, 0xfefa39ef
	s_mov_b32 s11, 0xbfe62e42
	v_rndne_f64_e32 v[35:36], v[35:36]
	s_delay_alu instid0(VALU_DEP_1) | instskip(SKIP_3) | instid1(VALU_DEP_2)
	v_fma_f64 v[37:38], v[35:36], s[10:11], v[19:20]
	s_mov_b32 s10, 0x3b39803f
	s_mov_b32 s11, 0xbc7abc9e
	v_cvt_i32_f64_e32 v0, v[35:36]
	v_fma_f64 v[37:38], v[35:36], s[10:11], v[37:38]
	s_mov_b32 s10, 0xfca7ab0c
	s_mov_b32 s11, 0x3e928af3
	s_delay_alu instid0(VALU_DEP_1) | instid1(SALU_CYCLE_1)
	v_fma_f64 v[39:40], v[37:38], s[18:19], s[10:11]
	s_mov_b32 s10, 0x623fde64
	s_mov_b32 s11, 0x3ec71dee
	s_delay_alu instid0(VALU_DEP_1) | instid1(SALU_CYCLE_1)
	;; [unrolled: 4-line block ×9, first 2 shown]
	v_fma_f64 v[39:40], v[37:38], v[39:40], s[10:11]
	v_cmp_nlt_f64_e64 s10, 0x40900000, v[19:20]
	v_cmp_ngt_f64_e64 s11, 0xc090cc00, v[19:20]
	s_delay_alu instid0(VALU_DEP_3) | instskip(NEXT) | instid1(VALU_DEP_1)
	v_fma_f64 v[39:40], v[37:38], v[39:40], 1.0
	v_fma_f64 v[35:36], v[37:38], v[39:40], 1.0
	s_delay_alu instid0(VALU_DEP_1) | instskip(NEXT) | instid1(VALU_DEP_1)
	v_ldexp_f64 v[35:36], v[35:36], v0
	v_cndmask_b32_e64 v0, 0x7ff00000, v36, s10
	s_and_b32 s10, s11, s10
	s_delay_alu instid0(VALU_DEP_2) | instid1(SALU_CYCLE_1)
	v_cndmask_b32_e64 v19, 0, v35, s10
	s_delay_alu instid0(VALU_DEP_2) | instskip(NEXT) | instid1(VALU_DEP_1)
	v_cndmask_b32_e64 v20, 0, v0, s11
	v_add_f64 v[17:18], v[17:18], v[19:20]
	s_or_b32 exec_lo, exec_lo, s14
	s_and_saveexec_b32 s14, s2
	s_cbranch_execz .LBB30_24
.LBB30_47:
	s_waitcnt lgkmcnt(0)
	v_add_f64 v[19:20], v[7:8], -v[15:16]
	s_mov_b32 s10, 0x652b82fe
	s_mov_b32 s11, 0x3ff71547
	;; [unrolled: 1-line block ×4, first 2 shown]
	s_delay_alu instid0(VALU_DEP_1) | instskip(SKIP_2) | instid1(VALU_DEP_1)
	v_mul_f64 v[35:36], v[19:20], s[10:11]
	s_mov_b32 s10, 0xfefa39ef
	s_mov_b32 s11, 0xbfe62e42
	v_rndne_f64_e32 v[35:36], v[35:36]
	s_delay_alu instid0(VALU_DEP_1) | instskip(SKIP_3) | instid1(VALU_DEP_2)
	v_fma_f64 v[37:38], v[35:36], s[10:11], v[19:20]
	s_mov_b32 s10, 0x3b39803f
	s_mov_b32 s11, 0xbc7abc9e
	v_cvt_i32_f64_e32 v0, v[35:36]
	v_fma_f64 v[37:38], v[35:36], s[10:11], v[37:38]
	s_mov_b32 s10, 0xfca7ab0c
	s_mov_b32 s11, 0x3e928af3
	s_delay_alu instid0(VALU_DEP_1) | instid1(SALU_CYCLE_1)
	v_fma_f64 v[39:40], v[37:38], s[18:19], s[10:11]
	s_mov_b32 s10, 0x623fde64
	s_mov_b32 s11, 0x3ec71dee
	s_delay_alu instid0(VALU_DEP_1) | instid1(SALU_CYCLE_1)
	;; [unrolled: 4-line block ×9, first 2 shown]
	v_fma_f64 v[39:40], v[37:38], v[39:40], s[10:11]
	v_cmp_nlt_f64_e64 s10, 0x40900000, v[19:20]
	v_cmp_ngt_f64_e64 s11, 0xc090cc00, v[19:20]
	s_delay_alu instid0(VALU_DEP_3) | instskip(NEXT) | instid1(VALU_DEP_1)
	v_fma_f64 v[39:40], v[37:38], v[39:40], 1.0
	v_fma_f64 v[35:36], v[37:38], v[39:40], 1.0
	s_delay_alu instid0(VALU_DEP_1) | instskip(NEXT) | instid1(VALU_DEP_1)
	v_ldexp_f64 v[35:36], v[35:36], v0
	v_cndmask_b32_e64 v0, 0x7ff00000, v36, s10
	s_and_b32 s10, s11, s10
	s_delay_alu instid0(VALU_DEP_2) | instid1(SALU_CYCLE_1)
	v_cndmask_b32_e64 v19, 0, v35, s10
	s_delay_alu instid0(VALU_DEP_2) | instskip(NEXT) | instid1(VALU_DEP_1)
	v_cndmask_b32_e64 v20, 0, v0, s11
	v_add_f64 v[17:18], v[17:18], v[19:20]
	s_or_b32 exec_lo, exec_lo, s14
	s_and_saveexec_b32 s14, s3
	s_cbranch_execz .LBB30_25
.LBB30_48:
	s_waitcnt lgkmcnt(0)
	v_add_f64 v[19:20], v[9:10], -v[15:16]
	s_mov_b32 s10, 0x652b82fe
	s_mov_b32 s11, 0x3ff71547
	s_mov_b32 s18, 0x6a5dcb37
	s_mov_b32 s19, 0x3e5ade15
	s_delay_alu instid0(VALU_DEP_1) | instskip(SKIP_2) | instid1(VALU_DEP_1)
	v_mul_f64 v[35:36], v[19:20], s[10:11]
	s_mov_b32 s10, 0xfefa39ef
	s_mov_b32 s11, 0xbfe62e42
	v_rndne_f64_e32 v[35:36], v[35:36]
	s_delay_alu instid0(VALU_DEP_1) | instskip(SKIP_3) | instid1(VALU_DEP_2)
	v_fma_f64 v[37:38], v[35:36], s[10:11], v[19:20]
	s_mov_b32 s10, 0x3b39803f
	s_mov_b32 s11, 0xbc7abc9e
	v_cvt_i32_f64_e32 v0, v[35:36]
	v_fma_f64 v[37:38], v[35:36], s[10:11], v[37:38]
	s_mov_b32 s10, 0xfca7ab0c
	s_mov_b32 s11, 0x3e928af3
	s_delay_alu instid0(VALU_DEP_1) | instid1(SALU_CYCLE_1)
	v_fma_f64 v[39:40], v[37:38], s[18:19], s[10:11]
	s_mov_b32 s10, 0x623fde64
	s_mov_b32 s11, 0x3ec71dee
	s_delay_alu instid0(VALU_DEP_1) | instid1(SALU_CYCLE_1)
	;; [unrolled: 4-line block ×9, first 2 shown]
	v_fma_f64 v[39:40], v[37:38], v[39:40], s[10:11]
	v_cmp_nlt_f64_e64 s10, 0x40900000, v[19:20]
	v_cmp_ngt_f64_e64 s11, 0xc090cc00, v[19:20]
	s_delay_alu instid0(VALU_DEP_3) | instskip(NEXT) | instid1(VALU_DEP_1)
	v_fma_f64 v[39:40], v[37:38], v[39:40], 1.0
	v_fma_f64 v[35:36], v[37:38], v[39:40], 1.0
	s_delay_alu instid0(VALU_DEP_1) | instskip(NEXT) | instid1(VALU_DEP_1)
	v_ldexp_f64 v[35:36], v[35:36], v0
	v_cndmask_b32_e64 v0, 0x7ff00000, v36, s10
	s_and_b32 s10, s11, s10
	s_delay_alu instid0(VALU_DEP_2) | instid1(SALU_CYCLE_1)
	v_cndmask_b32_e64 v19, 0, v35, s10
	s_delay_alu instid0(VALU_DEP_2) | instskip(NEXT) | instid1(VALU_DEP_1)
	v_cndmask_b32_e64 v20, 0, v0, s11
	v_add_f64 v[17:18], v[17:18], v[19:20]
	s_or_b32 exec_lo, exec_lo, s14
	s_and_saveexec_b32 s14, s4
	s_cbranch_execz .LBB30_26
.LBB30_49:
	s_waitcnt lgkmcnt(0)
	v_add_f64 v[19:20], v[11:12], -v[15:16]
	s_mov_b32 s10, 0x652b82fe
	s_mov_b32 s11, 0x3ff71547
	;; [unrolled: 1-line block ×4, first 2 shown]
	s_delay_alu instid0(VALU_DEP_1) | instskip(SKIP_2) | instid1(VALU_DEP_1)
	v_mul_f64 v[35:36], v[19:20], s[10:11]
	s_mov_b32 s10, 0xfefa39ef
	s_mov_b32 s11, 0xbfe62e42
	v_rndne_f64_e32 v[35:36], v[35:36]
	s_delay_alu instid0(VALU_DEP_1) | instskip(SKIP_3) | instid1(VALU_DEP_2)
	v_fma_f64 v[37:38], v[35:36], s[10:11], v[19:20]
	s_mov_b32 s10, 0x3b39803f
	s_mov_b32 s11, 0xbc7abc9e
	v_cvt_i32_f64_e32 v0, v[35:36]
	v_fma_f64 v[37:38], v[35:36], s[10:11], v[37:38]
	s_mov_b32 s10, 0xfca7ab0c
	s_mov_b32 s11, 0x3e928af3
	s_delay_alu instid0(VALU_DEP_1) | instid1(SALU_CYCLE_1)
	v_fma_f64 v[39:40], v[37:38], s[18:19], s[10:11]
	s_mov_b32 s10, 0x623fde64
	s_mov_b32 s11, 0x3ec71dee
	s_delay_alu instid0(VALU_DEP_1) | instid1(SALU_CYCLE_1)
	;; [unrolled: 4-line block ×9, first 2 shown]
	v_fma_f64 v[39:40], v[37:38], v[39:40], s[10:11]
	v_cmp_nlt_f64_e64 s10, 0x40900000, v[19:20]
	v_cmp_ngt_f64_e64 s11, 0xc090cc00, v[19:20]
	s_delay_alu instid0(VALU_DEP_3) | instskip(NEXT) | instid1(VALU_DEP_1)
	v_fma_f64 v[39:40], v[37:38], v[39:40], 1.0
	v_fma_f64 v[35:36], v[37:38], v[39:40], 1.0
	s_delay_alu instid0(VALU_DEP_1) | instskip(NEXT) | instid1(VALU_DEP_1)
	v_ldexp_f64 v[35:36], v[35:36], v0
	v_cndmask_b32_e64 v0, 0x7ff00000, v36, s10
	s_and_b32 s10, s11, s10
	s_delay_alu instid0(VALU_DEP_2) | instid1(SALU_CYCLE_1)
	v_cndmask_b32_e64 v19, 0, v35, s10
	s_delay_alu instid0(VALU_DEP_2) | instskip(NEXT) | instid1(VALU_DEP_1)
	v_cndmask_b32_e64 v20, 0, v0, s11
	v_add_f64 v[17:18], v[17:18], v[19:20]
	s_or_b32 exec_lo, exec_lo, s14
	s_and_saveexec_b32 s14, s5
	s_cbranch_execnz .LBB30_27
	s_branch .LBB30_28
.LBB30_50:
	ds_load_b64 v[17:18], v34
	s_or_b32 exec_lo, exec_lo, s6
	s_and_saveexec_b32 s6, s8
	s_cbranch_execz .LBB30_32
.LBB30_51:
	s_waitcnt lgkmcnt(0)
	ds_bpermute_b32 v19, v28, v17
	ds_bpermute_b32 v20, v28, v18
	s_waitcnt lgkmcnt(0)
	v_add_f64 v[17:18], v[17:18], v[19:20]
	ds_bpermute_b32 v19, v29, v17
	ds_bpermute_b32 v20, v29, v18
	s_waitcnt lgkmcnt(0)
	v_add_f64 v[17:18], v[17:18], v[19:20]
	ds_bpermute_b32 v19, v30, v17
	ds_bpermute_b32 v20, v30, v18
	s_waitcnt lgkmcnt(0)
	v_add_f64 v[17:18], v[17:18], v[19:20]
	ds_bpermute_b32 v19, v31, v17
	ds_bpermute_b32 v20, v31, v18
	s_waitcnt lgkmcnt(0)
	v_add_f64 v[17:18], v[17:18], v[19:20]
	ds_bpermute_b32 v19, v32, v17
	ds_bpermute_b32 v20, v32, v18
	s_waitcnt lgkmcnt(0)
	v_add_f64 v[17:18], v[17:18], v[19:20]
	s_or_b32 exec_lo, exec_lo, s6
	s_and_saveexec_b32 s6, s9
	s_cbranch_execnz .LBB30_33
	s_branch .LBB30_34
.LBB30_52:
	v_add_f64 v[0:1], v[1:2], -v[15:16]
	s_delay_alu instid0(VALU_DEP_1)
	v_add_f64 v[0:1], v[0:1], -v[17:18]
	global_store_b64 v21, v[0:1], s[8:9]
	s_or_b32 exec_lo, exec_lo, s6
	s_and_saveexec_b32 s6, s0
	s_cbranch_execz .LBB30_36
.LBB30_53:
	v_add_f64 v[0:1], v[3:4], -v[15:16]
	s_delay_alu instid0(VALU_DEP_1)
	v_add_f64 v[0:1], v[0:1], -v[17:18]
	global_store_b64 v22, v[0:1], s[8:9]
	s_or_b32 exec_lo, exec_lo, s6
	s_and_saveexec_b32 s0, s1
	s_cbranch_execz .LBB30_37
.LBB30_54:
	v_add_f64 v[0:1], v[5:6], -v[15:16]
	s_delay_alu instid0(VALU_DEP_1)
	v_add_f64 v[0:1], v[0:1], -v[17:18]
	global_store_b64 v23, v[0:1], s[8:9]
	s_or_b32 exec_lo, exec_lo, s0
	s_and_saveexec_b32 s0, s2
	s_cbranch_execz .LBB30_38
.LBB30_55:
	v_add_f64 v[0:1], v[7:8], -v[15:16]
	s_delay_alu instid0(VALU_DEP_1)
	v_add_f64 v[0:1], v[0:1], -v[17:18]
	global_store_b64 v24, v[0:1], s[8:9]
	s_or_b32 exec_lo, exec_lo, s0
	s_and_saveexec_b32 s0, s3
	s_cbranch_execz .LBB30_39
.LBB30_56:
	v_add_f64 v[0:1], v[9:10], -v[15:16]
	s_delay_alu instid0(VALU_DEP_1)
	v_add_f64 v[0:1], v[0:1], -v[17:18]
	global_store_b64 v25, v[0:1], s[8:9]
	s_or_b32 exec_lo, exec_lo, s0
	s_and_saveexec_b32 s0, s4
	s_cbranch_execz .LBB30_40
.LBB30_57:
	v_add_f64 v[0:1], v[11:12], -v[15:16]
	s_delay_alu instid0(VALU_DEP_1)
	v_add_f64 v[0:1], v[0:1], -v[17:18]
	global_store_b64 v26, v[0:1], s[8:9]
	s_or_b32 exec_lo, exec_lo, s0
	s_and_saveexec_b32 s0, s5
	s_cbranch_execz .LBB30_41
.LBB30_58:
	v_add_f64 v[0:1], v[13:14], -v[15:16]
	s_delay_alu instid0(VALU_DEP_1)
	v_add_f64 v[0:1], v[0:1], -v[17:18]
	global_store_b64 v27, v[0:1], s[8:9]
	s_nop 0
	s_sendmsg sendmsg(MSG_DEALLOC_VGPRS)
	s_endpgm
	.section	.rodata,"a",@progbits
	.p2align	6, 0x0
	.amdhsa_kernel _ZN2at6native12_GLOBAL__N_122cunn_SoftMaxForwardRegIdddNS1_25LogSoftMaxForwardEpilogueElLi7EEEvPT1_PKT_T3_
		.amdhsa_group_segment_fixed_size 0
		.amdhsa_private_segment_fixed_size 0
		.amdhsa_kernarg_size 280
		.amdhsa_user_sgpr_count 15
		.amdhsa_user_sgpr_dispatch_ptr 0
		.amdhsa_user_sgpr_queue_ptr 0
		.amdhsa_user_sgpr_kernarg_segment_ptr 1
		.amdhsa_user_sgpr_dispatch_id 0
		.amdhsa_user_sgpr_private_segment_size 0
		.amdhsa_wavefront_size32 1
		.amdhsa_uses_dynamic_stack 0
		.amdhsa_enable_private_segment 0
		.amdhsa_system_sgpr_workgroup_id_x 1
		.amdhsa_system_sgpr_workgroup_id_y 0
		.amdhsa_system_sgpr_workgroup_id_z 0
		.amdhsa_system_sgpr_workgroup_info 0
		.amdhsa_system_vgpr_workitem_id 0
		.amdhsa_next_free_vgpr 46
		.amdhsa_next_free_sgpr 20
		.amdhsa_reserve_vcc 1
		.amdhsa_float_round_mode_32 0
		.amdhsa_float_round_mode_16_64 0
		.amdhsa_float_denorm_mode_32 3
		.amdhsa_float_denorm_mode_16_64 3
		.amdhsa_dx10_clamp 1
		.amdhsa_ieee_mode 1
		.amdhsa_fp16_overflow 0
		.amdhsa_workgroup_processor_mode 1
		.amdhsa_memory_ordered 1
		.amdhsa_forward_progress 0
		.amdhsa_shared_vgpr_count 0
		.amdhsa_exception_fp_ieee_invalid_op 0
		.amdhsa_exception_fp_denorm_src 0
		.amdhsa_exception_fp_ieee_div_zero 0
		.amdhsa_exception_fp_ieee_overflow 0
		.amdhsa_exception_fp_ieee_underflow 0
		.amdhsa_exception_fp_ieee_inexact 0
		.amdhsa_exception_int_div_zero 0
	.end_amdhsa_kernel
	.section	.text._ZN2at6native12_GLOBAL__N_122cunn_SoftMaxForwardRegIdddNS1_25LogSoftMaxForwardEpilogueElLi7EEEvPT1_PKT_T3_,"axG",@progbits,_ZN2at6native12_GLOBAL__N_122cunn_SoftMaxForwardRegIdddNS1_25LogSoftMaxForwardEpilogueElLi7EEEvPT1_PKT_T3_,comdat
.Lfunc_end30:
	.size	_ZN2at6native12_GLOBAL__N_122cunn_SoftMaxForwardRegIdddNS1_25LogSoftMaxForwardEpilogueElLi7EEEvPT1_PKT_T3_, .Lfunc_end30-_ZN2at6native12_GLOBAL__N_122cunn_SoftMaxForwardRegIdddNS1_25LogSoftMaxForwardEpilogueElLi7EEEvPT1_PKT_T3_
                                        ; -- End function
	.section	.AMDGPU.csdata,"",@progbits
; Kernel info:
; codeLenInByte = 6796
; NumSgprs: 22
; NumVgprs: 46
; ScratchSize: 0
; MemoryBound: 0
; FloatMode: 240
; IeeeMode: 1
; LDSByteSize: 0 bytes/workgroup (compile time only)
; SGPRBlocks: 2
; VGPRBlocks: 5
; NumSGPRsForWavesPerEU: 22
; NumVGPRsForWavesPerEU: 46
; Occupancy: 16
; WaveLimiterHint : 0
; COMPUTE_PGM_RSRC2:SCRATCH_EN: 0
; COMPUTE_PGM_RSRC2:USER_SGPR: 15
; COMPUTE_PGM_RSRC2:TRAP_HANDLER: 0
; COMPUTE_PGM_RSRC2:TGID_X_EN: 1
; COMPUTE_PGM_RSRC2:TGID_Y_EN: 0
; COMPUTE_PGM_RSRC2:TGID_Z_EN: 0
; COMPUTE_PGM_RSRC2:TIDIG_COMP_CNT: 0
	.section	.text._ZN2at6native12_GLOBAL__N_122cunn_SoftMaxForwardRegIdddNS1_25LogSoftMaxForwardEpilogueElLi8EEEvPT1_PKT_T3_,"axG",@progbits,_ZN2at6native12_GLOBAL__N_122cunn_SoftMaxForwardRegIdddNS1_25LogSoftMaxForwardEpilogueElLi8EEEvPT1_PKT_T3_,comdat
	.globl	_ZN2at6native12_GLOBAL__N_122cunn_SoftMaxForwardRegIdddNS1_25LogSoftMaxForwardEpilogueElLi8EEEvPT1_PKT_T3_ ; -- Begin function _ZN2at6native12_GLOBAL__N_122cunn_SoftMaxForwardRegIdddNS1_25LogSoftMaxForwardEpilogueElLi8EEEvPT1_PKT_T3_
	.p2align	8
	.type	_ZN2at6native12_GLOBAL__N_122cunn_SoftMaxForwardRegIdddNS1_25LogSoftMaxForwardEpilogueElLi8EEEvPT1_PKT_T3_,@function
_ZN2at6native12_GLOBAL__N_122cunn_SoftMaxForwardRegIdddNS1_25LogSoftMaxForwardEpilogueElLi8EEEvPT1_PKT_T3_: ; @_ZN2at6native12_GLOBAL__N_122cunn_SoftMaxForwardRegIdddNS1_25LogSoftMaxForwardEpilogueElLi8EEEvPT1_PKT_T3_
; %bb.0:
	s_clause 0x2
	s_load_b64 s[6:7], s[0:1], 0x10
	s_load_b128 s[16:19], s[0:1], 0x0
	s_load_b32 s2, s[0:1], 0x24
	s_mov_b32 s0, -1
	s_mov_b32 s1, 0xffefffff
	v_mov_b32_e32 v20, 0
	v_dual_mov_b32 v18, s1 :: v_dual_mov_b32 v17, s0
	v_lshlrev_b32_e32 v23, 3, v0
	s_delay_alu instid0(VALU_DEP_3)
	v_mov_b32_e32 v1, v20
	s_waitcnt lgkmcnt(0)
	s_mul_i32 s3, s15, s7
	s_mul_hi_u32 s5, s15, s6
	s_mul_i32 s4, s15, s6
	s_add_i32 s5, s5, s3
	v_cmp_gt_i64_e32 vcc_lo, s[6:7], v[0:1]
	s_lshl_b64 s[14:15], s[4:5], 3
                                        ; implicit-def: $vgpr1_vgpr2_vgpr3_vgpr4_vgpr5_vgpr6_vgpr7_vgpr8_vgpr9_vgpr10_vgpr11_vgpr12_vgpr13_vgpr14_vgpr15_vgpr16
	s_delay_alu instid0(SALU_CYCLE_1)
	s_add_u32 s8, s18, s14
	s_addc_u32 s9, s19, s15
	s_and_saveexec_b32 s3, vcc_lo
	s_cbranch_execz .LBB31_2
; %bb.1:
	global_load_b64 v[1:2], v23, s[8:9]
	s_waitcnt vmcnt(0)
	v_max_f64 v[3:4], v[1:2], v[1:2]
	s_delay_alu instid0(VALU_DEP_1)
	v_max_f64 v[17:18], v[3:4], s[0:1]
.LBB31_2:
	s_or_b32 exec_lo, exec_lo, s3
	s_and_b32 s11, 0xffff, s2
	s_delay_alu instid0(SALU_CYCLE_1) | instskip(NEXT) | instid1(VALU_DEP_1)
	v_add_nc_u32_e32 v19, s11, v0
	v_cmp_gt_i64_e64 s0, s[6:7], v[19:20]
	v_lshlrev_b32_e32 v24, 3, v19
	s_delay_alu instid0(VALU_DEP_2)
	s_and_saveexec_b32 s1, s0
	s_cbranch_execz .LBB31_4
; %bb.3:
	global_load_b64 v[3:4], v24, s[8:9]
	v_max_f64 v[17:18], v[17:18], v[17:18]
	s_waitcnt vmcnt(0)
	v_max_f64 v[20:21], v[3:4], v[3:4]
	s_delay_alu instid0(VALU_DEP_1)
	v_max_f64 v[17:18], v[17:18], v[20:21]
.LBB31_4:
	s_or_b32 exec_lo, exec_lo, s1
	v_dual_mov_b32 v20, 0 :: v_dual_add_nc_u32 v19, s11, v19
	s_delay_alu instid0(VALU_DEP_1) | instskip(NEXT) | instid1(VALU_DEP_2)
	v_lshlrev_b32_e32 v25, 3, v19
	v_cmp_gt_i64_e64 s1, s[6:7], v[19:20]
	s_delay_alu instid0(VALU_DEP_1)
	s_and_saveexec_b32 s2, s1
	s_cbranch_execz .LBB31_6
; %bb.5:
	global_load_b64 v[5:6], v25, s[8:9]
	v_max_f64 v[17:18], v[17:18], v[17:18]
	s_waitcnt vmcnt(0)
	v_max_f64 v[21:22], v[5:6], v[5:6]
	s_delay_alu instid0(VALU_DEP_1)
	v_max_f64 v[17:18], v[17:18], v[21:22]
.LBB31_6:
	s_or_b32 exec_lo, exec_lo, s2
	v_add_nc_u32_e32 v19, s11, v19
	s_delay_alu instid0(VALU_DEP_1) | instskip(SKIP_1) | instid1(VALU_DEP_2)
	v_cmp_gt_i64_e64 s2, s[6:7], v[19:20]
	v_lshlrev_b32_e32 v26, 3, v19
	s_and_saveexec_b32 s3, s2
	s_cbranch_execz .LBB31_8
; %bb.7:
	global_load_b64 v[7:8], v26, s[8:9]
	v_max_f64 v[17:18], v[17:18], v[17:18]
	s_waitcnt vmcnt(0)
	v_max_f64 v[20:21], v[7:8], v[7:8]
	s_delay_alu instid0(VALU_DEP_1)
	v_max_f64 v[17:18], v[17:18], v[20:21]
.LBB31_8:
	s_or_b32 exec_lo, exec_lo, s3
	v_dual_mov_b32 v20, 0 :: v_dual_add_nc_u32 v19, s11, v19
	s_delay_alu instid0(VALU_DEP_1) | instskip(NEXT) | instid1(VALU_DEP_2)
	v_lshlrev_b32_e32 v27, 3, v19
	v_cmp_gt_i64_e64 s3, s[6:7], v[19:20]
	s_delay_alu instid0(VALU_DEP_1)
	s_and_saveexec_b32 s4, s3
	s_cbranch_execz .LBB31_10
; %bb.9:
	global_load_b64 v[9:10], v27, s[8:9]
	v_max_f64 v[17:18], v[17:18], v[17:18]
	s_waitcnt vmcnt(0)
	v_max_f64 v[21:22], v[9:10], v[9:10]
	s_delay_alu instid0(VALU_DEP_1)
	v_max_f64 v[17:18], v[17:18], v[21:22]
.LBB31_10:
	s_or_b32 exec_lo, exec_lo, s4
	v_add_nc_u32_e32 v19, s11, v19
	s_delay_alu instid0(VALU_DEP_1) | instskip(SKIP_1) | instid1(VALU_DEP_2)
	v_cmp_gt_i64_e64 s4, s[6:7], v[19:20]
	v_lshlrev_b32_e32 v28, 3, v19
	;; [unrolled: 31-line block ×3, first 2 shown]
	s_and_saveexec_b32 s7, s6
	s_cbranch_execz .LBB31_16
; %bb.15:
	global_load_b64 v[15:16], v30, s[8:9]
	v_max_f64 v[17:18], v[17:18], v[17:18]
	s_waitcnt vmcnt(0)
	v_max_f64 v[19:20], v[15:16], v[15:16]
	s_delay_alu instid0(VALU_DEP_1)
	v_max_f64 v[17:18], v[17:18], v[19:20]
.LBB31_16:
	s_or_b32 exec_lo, exec_lo, s7
	v_mbcnt_lo_u32_b32 v21, -1, 0
	v_lshrrev_b32_e32 v36, 2, v0
	s_mov_b32 s10, -1
	s_barrier
	s_delay_alu instid0(VALU_DEP_2)
	v_cmp_gt_u32_e64 s7, 16, v21
	v_cmp_gt_u32_e64 s8, 24, v21
	buffer_gl0_inv
	v_cndmask_b32_e64 v19, 0, 1, s7
	v_cndmask_b32_e64 v22, 0, 1, s8
	v_cmp_gt_u32_e64 s8, 28, v21
	s_delay_alu instid0(VALU_DEP_3) | instskip(NEXT) | instid1(VALU_DEP_3)
	v_lshlrev_b32_e32 v19, 4, v19
	v_lshlrev_b32_e32 v22, 3, v22
	s_delay_alu instid0(VALU_DEP_2) | instskip(NEXT) | instid1(VALU_DEP_2)
	v_add_lshl_u32 v31, v19, v21, 2
	v_add_lshl_u32 v32, v22, v21, 2
	v_cndmask_b32_e64 v22, 0, 1, s8
	v_cmp_gt_u32_e64 s8, 30, v21
	ds_bpermute_b32 v19, v31, v17
	ds_bpermute_b32 v20, v31, v18
	v_lshlrev_b32_e32 v22, 2, v22
	s_delay_alu instid0(VALU_DEP_1) | instskip(SKIP_2) | instid1(VALU_DEP_2)
	v_add_lshl_u32 v33, v22, v21, 2
	v_cndmask_b32_e64 v22, 0, 1, s8
	v_cmp_ne_u32_e64 s8, 31, v21
	v_lshlrev_b32_e32 v22, 1, v22
	s_delay_alu instid0(VALU_DEP_1) | instskip(NEXT) | instid1(VALU_DEP_3)
	v_add_lshl_u32 v34, v22, v21, 2
	v_add_co_ci_u32_e64 v21, s8, 0, v21, s8
	s_waitcnt lgkmcnt(0)
	v_cmp_lt_f64_e64 s7, v[17:18], v[19:20]
	s_delay_alu instid0(VALU_DEP_2) | instskip(SKIP_1) | instid1(VALU_DEP_3)
	v_lshlrev_b32_e32 v35, 2, v21
	v_and_b32_e32 v21, 31, v0
	v_cndmask_b32_e64 v18, v18, v20, s7
	v_cndmask_b32_e64 v17, v17, v19, s7
	ds_bpermute_b32 v20, v32, v18
	ds_bpermute_b32 v19, v32, v17
	s_waitcnt lgkmcnt(0)
	v_cmp_lt_f64_e64 s7, v[17:18], v[19:20]
	s_delay_alu instid0(VALU_DEP_1)
	v_cndmask_b32_e64 v18, v18, v20, s7
	v_cndmask_b32_e64 v17, v17, v19, s7
	ds_bpermute_b32 v20, v33, v18
	ds_bpermute_b32 v19, v33, v17
	s_waitcnt lgkmcnt(0)
	v_cmp_lt_f64_e64 s7, v[17:18], v[19:20]
	s_delay_alu instid0(VALU_DEP_1)
	;; [unrolled: 7-line block ×3, first 2 shown]
	v_cndmask_b32_e64 v18, v18, v20, s7
	v_cndmask_b32_e64 v17, v17, v19, s7
	v_cmp_eq_u32_e64 s7, 0, v21
	ds_bpermute_b32 v20, v35, v18
	ds_bpermute_b32 v19, v35, v17
	s_and_saveexec_b32 s8, s7
	s_delay_alu instid0(SALU_CYCLE_1)
	s_xor_b32 s9, exec_lo, s8
	s_cbranch_execz .LBB31_18
; %bb.17:
	s_waitcnt lgkmcnt(0)
	v_cmp_lt_f64_e64 s8, v[17:18], v[19:20]
	v_add_nc_u32_e32 v22, 0, v36
	s_delay_alu instid0(VALU_DEP_2)
	v_cndmask_b32_e64 v18, v18, v20, s8
	v_cndmask_b32_e64 v17, v17, v19, s8
	ds_store_b64 v22, v[17:18]
.LBB31_18:
	s_or_b32 exec_lo, exec_lo, s9
	s_lshr_b32 s8, s11, 5
	s_mov_b32 s11, 0xffefffff
	v_cmp_gt_u32_e64 s8, s8, v0
	v_dual_mov_b32 v18, s11 :: v_dual_mov_b32 v17, s10
	v_lshl_add_u32 v37, v21, 3, 0
	s_waitcnt lgkmcnt(0)
	s_barrier
	buffer_gl0_inv
	s_and_saveexec_b32 s9, s8
	s_cbranch_execnz .LBB31_46
; %bb.19:
	s_or_b32 exec_lo, exec_lo, s9
	v_cmp_gt_u32_e64 s9, 32, v0
	s_delay_alu instid0(VALU_DEP_1)
	s_and_saveexec_b32 s11, s9
	s_cbranch_execnz .LBB31_47
.LBB31_20:
	s_or_b32 exec_lo, exec_lo, s11
	v_cmp_eq_u32_e64 s10, 0, v0
	s_delay_alu instid0(VALU_DEP_1)
	s_and_saveexec_b32 s11, s10
	s_cbranch_execz .LBB31_22
.LBB31_21:
	v_mov_b32_e32 v0, 0
	s_waitcnt lgkmcnt(0)
	ds_store_b64 v0, v[17:18]
.LBB31_22:
	s_or_b32 exec_lo, exec_lo, s11
	v_dual_mov_b32 v0, 0 :: v_dual_mov_b32 v19, 0
	s_waitcnt lgkmcnt(0)
	s_barrier
	buffer_gl0_inv
	ds_load_b64 v[17:18], v0
	v_mov_b32_e32 v20, 0
	s_and_saveexec_b32 s13, vcc_lo
	s_cbranch_execnz .LBB31_48
; %bb.23:
	s_or_b32 exec_lo, exec_lo, s13
	s_and_saveexec_b32 s13, s0
	s_cbranch_execnz .LBB31_49
.LBB31_24:
	s_or_b32 exec_lo, exec_lo, s13
	s_and_saveexec_b32 s13, s1
	s_cbranch_execnz .LBB31_50
.LBB31_25:
	s_or_b32 exec_lo, exec_lo, s13
	s_and_saveexec_b32 s13, s2
	s_cbranch_execnz .LBB31_51
.LBB31_26:
	s_or_b32 exec_lo, exec_lo, s13
	s_and_saveexec_b32 s13, s3
	s_cbranch_execnz .LBB31_52
.LBB31_27:
	s_or_b32 exec_lo, exec_lo, s13
	s_and_saveexec_b32 s13, s4
	s_cbranch_execnz .LBB31_53
.LBB31_28:
	s_or_b32 exec_lo, exec_lo, s13
	s_and_saveexec_b32 s13, s5
	s_cbranch_execnz .LBB31_54
.LBB31_29:
	s_or_b32 exec_lo, exec_lo, s13
	s_and_saveexec_b32 s13, s6
	s_cbranch_execz .LBB31_31
.LBB31_30:
	s_waitcnt lgkmcnt(0)
	v_add_f64 v[21:22], v[15:16], -v[17:18]
	s_mov_b32 s18, 0x652b82fe
	s_mov_b32 s19, 0x3ff71547
	;; [unrolled: 1-line block ×4, first 2 shown]
	s_delay_alu instid0(VALU_DEP_1) | instskip(SKIP_4) | instid1(VALU_DEP_3)
	v_mul_f64 v[38:39], v[21:22], s[18:19]
	s_mov_b32 s18, 0xfefa39ef
	s_mov_b32 s19, 0xbfe62e42
	v_cmp_nlt_f64_e64 s11, 0x40900000, v[21:22]
	v_cmp_ngt_f64_e64 s12, 0xc090cc00, v[21:22]
	v_rndne_f64_e32 v[38:39], v[38:39]
	s_delay_alu instid0(VALU_DEP_1) | instskip(SKIP_3) | instid1(VALU_DEP_2)
	v_fma_f64 v[40:41], v[38:39], s[18:19], v[21:22]
	s_mov_b32 s18, 0x3b39803f
	s_mov_b32 s19, 0xbc7abc9e
	v_cvt_i32_f64_e32 v0, v[38:39]
	v_fma_f64 v[40:41], v[38:39], s[18:19], v[40:41]
	s_mov_b32 s18, 0xfca7ab0c
	s_mov_b32 s19, 0x3e928af3
	s_delay_alu instid0(VALU_DEP_1) | instid1(SALU_CYCLE_1)
	v_fma_f64 v[42:43], v[40:41], s[20:21], s[18:19]
	s_mov_b32 s18, 0x623fde64
	s_mov_b32 s19, 0x3ec71dee
	s_delay_alu instid0(VALU_DEP_1) | instid1(SALU_CYCLE_1)
	;; [unrolled: 4-line block ×9, first 2 shown]
	v_fma_f64 v[42:43], v[40:41], v[42:43], s[18:19]
	s_delay_alu instid0(VALU_DEP_1) | instskip(NEXT) | instid1(VALU_DEP_1)
	v_fma_f64 v[42:43], v[40:41], v[42:43], 1.0
	v_fma_f64 v[38:39], v[40:41], v[42:43], 1.0
	s_delay_alu instid0(VALU_DEP_1) | instskip(NEXT) | instid1(VALU_DEP_1)
	v_ldexp_f64 v[38:39], v[38:39], v0
	v_cndmask_b32_e64 v0, 0x7ff00000, v39, s11
	s_and_b32 s11, s12, s11
	s_delay_alu instid0(VALU_DEP_2) | instid1(SALU_CYCLE_1)
	v_cndmask_b32_e64 v21, 0, v38, s11
	s_delay_alu instid0(VALU_DEP_2) | instskip(NEXT) | instid1(VALU_DEP_1)
	v_cndmask_b32_e64 v22, 0, v0, s12
	v_add_f64 v[19:20], v[19:20], v[21:22]
.LBB31_31:
	s_or_b32 exec_lo, exec_lo, s13
	ds_bpermute_b32 v21, v31, v19
	ds_bpermute_b32 v22, v31, v20
	s_waitcnt lgkmcnt(0)
	s_barrier
	buffer_gl0_inv
	v_add_f64 v[19:20], v[19:20], v[21:22]
	ds_bpermute_b32 v21, v32, v19
	ds_bpermute_b32 v22, v32, v20
	s_waitcnt lgkmcnt(0)
	v_add_f64 v[19:20], v[19:20], v[21:22]
	ds_bpermute_b32 v21, v33, v19
	ds_bpermute_b32 v22, v33, v20
	s_waitcnt lgkmcnt(0)
	;; [unrolled: 4-line block ×3, first 2 shown]
	v_add_f64 v[19:20], v[19:20], v[21:22]
	ds_bpermute_b32 v21, v35, v19
	ds_bpermute_b32 v22, v35, v20
	s_and_saveexec_b32 s11, s7
	s_delay_alu instid0(SALU_CYCLE_1)
	s_xor_b32 s7, exec_lo, s11
	s_cbranch_execz .LBB31_33
; %bb.32:
	s_waitcnt lgkmcnt(0)
	v_add_f64 v[19:20], v[19:20], v[21:22]
	v_add_nc_u32_e32 v0, 0, v36
	ds_store_b64 v0, v[19:20]
.LBB31_33:
	s_or_b32 exec_lo, exec_lo, s7
	v_mov_b32_e32 v19, 0
	v_mov_b32_e32 v20, 0
	s_waitcnt lgkmcnt(0)
	s_barrier
	buffer_gl0_inv
	s_and_saveexec_b32 s7, s8
	s_cbranch_execnz .LBB31_55
; %bb.34:
	s_or_b32 exec_lo, exec_lo, s7
	s_and_saveexec_b32 s7, s9
	s_cbranch_execnz .LBB31_56
.LBB31_35:
	s_or_b32 exec_lo, exec_lo, s7
	s_and_saveexec_b32 s7, s10
	s_cbranch_execz .LBB31_37
.LBB31_36:
	v_mov_b32_e32 v0, 0
	s_waitcnt lgkmcnt(0)
	ds_store_b64 v0, v[19:20]
.LBB31_37:
	s_or_b32 exec_lo, exec_lo, s7
	v_mov_b32_e32 v0, 0
	s_waitcnt lgkmcnt(0)
	s_barrier
	buffer_gl0_inv
	s_mov_b32 s9, 0x3fe55555
	ds_load_b64 v[20:21], v0
	s_mov_b32 s8, 0x55555555
	s_add_u32 s10, s16, s14
	s_addc_u32 s11, s17, s15
	s_mov_b32 s12, 0
	s_mov_b32 s14, 0xbf559e2b
	s_mov_b32 s15, 0x3fc3ab76
	s_waitcnt lgkmcnt(0)
	v_frexp_mant_f64_e32 v[31:32], v[20:21]
	v_frexp_exp_i32_f64_e32 v0, v[20:21]
	s_delay_alu instid0(VALU_DEP_2) | instskip(NEXT) | instid1(VALU_DEP_1)
	v_cmp_gt_f64_e64 s7, s[8:9], v[31:32]
	v_subrev_co_ci_u32_e64 v0, s8, 0, v0, s7
	s_and_b32 s7, s7, exec_lo
	s_cselect_b32 s13, 2.0, 0x3ff00000
	s_mov_b32 s8, 0x55555780
	v_mul_f64 v[31:32], v[31:32], s[12:13]
	s_mov_b32 s12, 0x6b47b09a
	s_mov_b32 s13, 0x3fc38538
	v_cmp_class_f64_e64 s7, v[20:21], 0x204
	s_delay_alu instid0(VALU_DEP_2) | instskip(SKIP_1) | instid1(VALU_DEP_2)
	v_add_f64 v[33:34], v[31:32], 1.0
	v_add_f64 v[39:40], v[31:32], -1.0
	v_rcp_f64_e32 v[35:36], v[33:34]
	v_add_f64 v[41:42], v[33:34], -1.0
	s_delay_alu instid0(VALU_DEP_1) | instskip(SKIP_2) | instid1(VALU_DEP_1)
	v_add_f64 v[31:32], v[31:32], -v[41:42]
	s_waitcnt_depctr 0xfff
	v_fma_f64 v[37:38], -v[33:34], v[35:36], 1.0
	v_fma_f64 v[35:36], v[37:38], v[35:36], v[35:36]
	s_delay_alu instid0(VALU_DEP_1) | instskip(NEXT) | instid1(VALU_DEP_1)
	v_fma_f64 v[37:38], -v[33:34], v[35:36], 1.0
	v_fma_f64 v[35:36], v[37:38], v[35:36], v[35:36]
	s_delay_alu instid0(VALU_DEP_1) | instskip(NEXT) | instid1(VALU_DEP_1)
	v_mul_f64 v[37:38], v[39:40], v[35:36]
	v_mul_f64 v[43:44], v[33:34], v[37:38]
	s_delay_alu instid0(VALU_DEP_1) | instskip(NEXT) | instid1(VALU_DEP_1)
	v_fma_f64 v[33:34], v[37:38], v[33:34], -v[43:44]
	v_fma_f64 v[31:32], v[37:38], v[31:32], v[33:34]
	s_delay_alu instid0(VALU_DEP_1) | instskip(NEXT) | instid1(VALU_DEP_1)
	v_add_f64 v[33:34], v[43:44], v[31:32]
	v_add_f64 v[41:42], v[39:40], -v[33:34]
	v_add_f64 v[43:44], v[33:34], -v[43:44]
	s_delay_alu instid0(VALU_DEP_2) | instskip(NEXT) | instid1(VALU_DEP_2)
	v_add_f64 v[39:40], v[39:40], -v[41:42]
	v_add_f64 v[31:32], v[43:44], -v[31:32]
	s_delay_alu instid0(VALU_DEP_2) | instskip(NEXT) | instid1(VALU_DEP_1)
	v_add_f64 v[33:34], v[39:40], -v[33:34]
	v_add_f64 v[31:32], v[31:32], v[33:34]
	s_delay_alu instid0(VALU_DEP_1) | instskip(NEXT) | instid1(VALU_DEP_1)
	v_add_f64 v[31:32], v[41:42], v[31:32]
	v_mul_f64 v[31:32], v[35:36], v[31:32]
	s_delay_alu instid0(VALU_DEP_1) | instskip(NEXT) | instid1(VALU_DEP_1)
	v_add_f64 v[33:34], v[37:38], v[31:32]
	v_mul_f64 v[35:36], v[33:34], v[33:34]
	s_delay_alu instid0(VALU_DEP_1) | instskip(SKIP_3) | instid1(VALU_DEP_2)
	v_fma_f64 v[39:40], v[35:36], s[14:15], s[12:13]
	s_mov_b32 s12, 0xd7f4df2e
	s_mov_b32 s13, 0x3fc7474d
	v_mul_f64 v[41:42], v[33:34], v[35:36]
	v_fma_f64 v[39:40], v[35:36], v[39:40], s[12:13]
	s_mov_b32 s12, 0x16291751
	s_mov_b32 s13, 0x3fcc71c0
	s_delay_alu instid0(VALU_DEP_1) | instid1(SALU_CYCLE_1)
	v_fma_f64 v[39:40], v[35:36], v[39:40], s[12:13]
	s_mov_b32 s12, 0x9b27acf1
	s_mov_b32 s13, 0x3fd24924
	s_delay_alu instid0(VALU_DEP_1) | instid1(SALU_CYCLE_1)
	;; [unrolled: 4-line block ×3, first 2 shown]
	v_fma_f64 v[39:40], v[35:36], v[39:40], s[12:13]
	s_delay_alu instid0(VALU_DEP_1) | instskip(SKIP_4) | instid1(VALU_DEP_3)
	v_fma_f64 v[35:36], v[35:36], v[39:40], s[8:9]
	v_ldexp_f64 v[39:40], v[33:34], 1
	v_add_f64 v[33:34], v[33:34], -v[37:38]
	s_mov_b32 s8, 0xfefa39ef
	s_mov_b32 s9, 0x3fe62e42
	v_mul_f64 v[35:36], v[41:42], v[35:36]
	v_cvt_f64_i32_e32 v[41:42], v0
	s_delay_alu instid0(VALU_DEP_3) | instskip(NEXT) | instid1(VALU_DEP_3)
	v_add_f64 v[31:32], v[31:32], -v[33:34]
	v_add_f64 v[37:38], v[39:40], v[35:36]
	s_delay_alu instid0(VALU_DEP_3) | instskip(NEXT) | instid1(VALU_DEP_3)
	v_mul_f64 v[43:44], v[41:42], s[8:9]
	v_ldexp_f64 v[31:32], v[31:32], 1
	s_delay_alu instid0(VALU_DEP_3) | instskip(NEXT) | instid1(VALU_DEP_3)
	v_add_f64 v[33:34], v[37:38], -v[39:40]
	v_fma_f64 v[39:40], v[41:42], s[8:9], -v[43:44]
	s_mov_b32 s8, 0x3b39803f
	s_mov_b32 s9, 0x3c7abc9e
	s_delay_alu instid0(VALU_DEP_2) | instskip(NEXT) | instid1(VALU_DEP_2)
	v_add_f64 v[33:34], v[35:36], -v[33:34]
	v_fma_f64 v[35:36], v[41:42], s[8:9], v[39:40]
	s_delay_alu instid0(VALU_DEP_2) | instskip(NEXT) | instid1(VALU_DEP_2)
	v_add_f64 v[31:32], v[31:32], v[33:34]
	v_add_f64 v[33:34], v[43:44], v[35:36]
	s_delay_alu instid0(VALU_DEP_2) | instskip(NEXT) | instid1(VALU_DEP_2)
	v_add_f64 v[39:40], v[37:38], v[31:32]
	v_add_f64 v[43:44], v[33:34], -v[43:44]
	s_delay_alu instid0(VALU_DEP_2) | instskip(SKIP_1) | instid1(VALU_DEP_3)
	v_add_f64 v[41:42], v[33:34], v[39:40]
	v_add_f64 v[37:38], v[39:40], -v[37:38]
	v_add_f64 v[35:36], v[35:36], -v[43:44]
	s_delay_alu instid0(VALU_DEP_3) | instskip(NEXT) | instid1(VALU_DEP_3)
	v_add_f64 v[45:46], v[41:42], -v[33:34]
	v_add_f64 v[31:32], v[31:32], -v[37:38]
	s_delay_alu instid0(VALU_DEP_2) | instskip(SKIP_1) | instid1(VALU_DEP_3)
	v_add_f64 v[47:48], v[41:42], -v[45:46]
	v_add_f64 v[37:38], v[39:40], -v[45:46]
	v_add_f64 v[39:40], v[35:36], v[31:32]
	s_delay_alu instid0(VALU_DEP_3) | instskip(NEXT) | instid1(VALU_DEP_1)
	v_add_f64 v[33:34], v[33:34], -v[47:48]
	v_add_f64 v[33:34], v[37:38], v[33:34]
	s_delay_alu instid0(VALU_DEP_3) | instskip(NEXT) | instid1(VALU_DEP_2)
	v_add_f64 v[37:38], v[39:40], -v[35:36]
	v_add_f64 v[33:34], v[39:40], v[33:34]
	s_delay_alu instid0(VALU_DEP_2) | instskip(SKIP_1) | instid1(VALU_DEP_3)
	v_add_f64 v[39:40], v[39:40], -v[37:38]
	v_add_f64 v[31:32], v[31:32], -v[37:38]
	v_add_f64 v[43:44], v[41:42], v[33:34]
	s_delay_alu instid0(VALU_DEP_3) | instskip(NEXT) | instid1(VALU_DEP_2)
	v_add_f64 v[35:36], v[35:36], -v[39:40]
	v_add_f64 v[37:38], v[43:44], -v[41:42]
	s_delay_alu instid0(VALU_DEP_2) | instskip(NEXT) | instid1(VALU_DEP_2)
	v_add_f64 v[31:32], v[31:32], v[35:36]
	v_add_f64 v[33:34], v[33:34], -v[37:38]
	s_delay_alu instid0(VALU_DEP_1) | instskip(NEXT) | instid1(VALU_DEP_1)
	v_add_f64 v[31:32], v[31:32], v[33:34]
	v_add_f64 v[31:32], v[43:44], v[31:32]
	s_delay_alu instid0(VALU_DEP_1) | instskip(NEXT) | instid1(VALU_DEP_2)
	v_cndmask_b32_e64 v0, v31, v20, s7
	v_cndmask_b32_e64 v19, v32, v21, s7
	v_cmp_ngt_f64_e64 s7, 0, v[20:21]
	s_delay_alu instid0(VALU_DEP_1) | instskip(SKIP_1) | instid1(VALU_DEP_1)
	v_cndmask_b32_e64 v22, 0x7ff80000, v19, s7
	v_cmp_nge_f64_e64 s7, 0, v[20:21]
	v_cndmask_b32_e64 v19, 0, v0, s7
	v_cmp_neq_f64_e64 s7, 0, v[20:21]
	s_delay_alu instid0(VALU_DEP_1)
	v_cndmask_b32_e64 v20, 0xfff00000, v22, s7
	s_and_saveexec_b32 s7, vcc_lo
	s_cbranch_execnz .LBB31_57
; %bb.38:
	s_or_b32 exec_lo, exec_lo, s7
	s_and_saveexec_b32 s7, s0
	s_cbranch_execnz .LBB31_58
.LBB31_39:
	s_or_b32 exec_lo, exec_lo, s7
	s_and_saveexec_b32 s0, s1
	s_cbranch_execnz .LBB31_59
.LBB31_40:
	s_or_b32 exec_lo, exec_lo, s0
	s_and_saveexec_b32 s0, s2
	s_cbranch_execnz .LBB31_60
.LBB31_41:
	s_or_b32 exec_lo, exec_lo, s0
	s_and_saveexec_b32 s0, s3
	s_cbranch_execnz .LBB31_61
.LBB31_42:
	s_or_b32 exec_lo, exec_lo, s0
	s_and_saveexec_b32 s0, s4
	s_cbranch_execnz .LBB31_62
.LBB31_43:
	s_or_b32 exec_lo, exec_lo, s0
	s_and_saveexec_b32 s0, s5
	s_cbranch_execnz .LBB31_63
.LBB31_44:
	s_or_b32 exec_lo, exec_lo, s0
	s_and_saveexec_b32 s0, s6
	s_cbranch_execnz .LBB31_64
.LBB31_45:
	s_nop 0
	s_sendmsg sendmsg(MSG_DEALLOC_VGPRS)
	s_endpgm
.LBB31_46:
	ds_load_b64 v[17:18], v37
	s_or_b32 exec_lo, exec_lo, s9
	v_cmp_gt_u32_e64 s9, 32, v0
	s_delay_alu instid0(VALU_DEP_1)
	s_and_saveexec_b32 s11, s9
	s_cbranch_execz .LBB31_20
.LBB31_47:
	s_waitcnt lgkmcnt(0)
	ds_bpermute_b32 v19, v31, v17
	ds_bpermute_b32 v20, v31, v18
	s_waitcnt lgkmcnt(0)
	v_cmp_lt_f64_e64 s10, v[17:18], v[19:20]
	s_delay_alu instid0(VALU_DEP_1)
	v_cndmask_b32_e64 v18, v18, v20, s10
	v_cndmask_b32_e64 v17, v17, v19, s10
	ds_bpermute_b32 v20, v32, v18
	ds_bpermute_b32 v19, v32, v17
	s_waitcnt lgkmcnt(0)
	v_cmp_lt_f64_e64 s10, v[17:18], v[19:20]
	s_delay_alu instid0(VALU_DEP_1)
	v_cndmask_b32_e64 v18, v18, v20, s10
	v_cndmask_b32_e64 v17, v17, v19, s10
	;; [unrolled: 7-line block ×4, first 2 shown]
	ds_bpermute_b32 v20, v35, v18
	ds_bpermute_b32 v19, v35, v17
	s_waitcnt lgkmcnt(0)
	v_cmp_lt_f64_e64 s10, v[17:18], v[19:20]
	s_delay_alu instid0(VALU_DEP_1) | instskip(SKIP_3) | instid1(VALU_DEP_1)
	v_cndmask_b32_e64 v18, v18, v20, s10
	v_cndmask_b32_e64 v17, v17, v19, s10
	s_or_b32 exec_lo, exec_lo, s11
	v_cmp_eq_u32_e64 s10, 0, v0
	s_and_saveexec_b32 s11, s10
	s_cbranch_execnz .LBB31_21
	s_branch .LBB31_22
.LBB31_48:
	s_waitcnt lgkmcnt(0)
	v_add_f64 v[19:20], v[1:2], -v[17:18]
	s_mov_b32 s18, 0x652b82fe
	s_mov_b32 s19, 0x3ff71547
	;; [unrolled: 1-line block ×4, first 2 shown]
	s_delay_alu instid0(VALU_DEP_1) | instskip(SKIP_4) | instid1(VALU_DEP_3)
	v_mul_f64 v[21:22], v[19:20], s[18:19]
	s_mov_b32 s18, 0xfefa39ef
	s_mov_b32 s19, 0xbfe62e42
	v_cmp_nlt_f64_e64 s11, 0x40900000, v[19:20]
	v_cmp_ngt_f64_e64 s12, 0xc090cc00, v[19:20]
	v_rndne_f64_e32 v[21:22], v[21:22]
	s_delay_alu instid0(VALU_DEP_1) | instskip(SKIP_3) | instid1(VALU_DEP_2)
	v_fma_f64 v[38:39], v[21:22], s[18:19], v[19:20]
	s_mov_b32 s18, 0x3b39803f
	s_mov_b32 s19, 0xbc7abc9e
	v_cvt_i32_f64_e32 v0, v[21:22]
	v_fma_f64 v[38:39], v[21:22], s[18:19], v[38:39]
	s_mov_b32 s18, 0xfca7ab0c
	s_mov_b32 s19, 0x3e928af3
	s_delay_alu instid0(VALU_DEP_1) | instid1(SALU_CYCLE_1)
	v_fma_f64 v[40:41], v[38:39], s[20:21], s[18:19]
	s_mov_b32 s18, 0x623fde64
	s_mov_b32 s19, 0x3ec71dee
	s_delay_alu instid0(VALU_DEP_1) | instid1(SALU_CYCLE_1)
	;; [unrolled: 4-line block ×9, first 2 shown]
	v_fma_f64 v[40:41], v[38:39], v[40:41], s[18:19]
	s_delay_alu instid0(VALU_DEP_1) | instskip(NEXT) | instid1(VALU_DEP_1)
	v_fma_f64 v[40:41], v[38:39], v[40:41], 1.0
	v_fma_f64 v[21:22], v[38:39], v[40:41], 1.0
	s_delay_alu instid0(VALU_DEP_1) | instskip(NEXT) | instid1(VALU_DEP_1)
	v_ldexp_f64 v[21:22], v[21:22], v0
	v_add_f64 v[21:22], v[21:22], 0
	s_delay_alu instid0(VALU_DEP_1)
	v_cndmask_b32_e64 v0, 0x7ff00000, v22, s11
	s_and_b32 s11, s12, s11
	s_delay_alu instid0(VALU_DEP_2) | instid1(SALU_CYCLE_1)
	v_cndmask_b32_e64 v19, 0, v21, s11
	s_delay_alu instid0(VALU_DEP_2)
	v_cndmask_b32_e64 v20, 0, v0, s12
	s_or_b32 exec_lo, exec_lo, s13
	s_and_saveexec_b32 s13, s0
	s_cbranch_execz .LBB31_24
.LBB31_49:
	s_waitcnt lgkmcnt(0)
	v_add_f64 v[21:22], v[3:4], -v[17:18]
	s_mov_b32 s18, 0x652b82fe
	s_mov_b32 s19, 0x3ff71547
	;; [unrolled: 1-line block ×4, first 2 shown]
	s_delay_alu instid0(VALU_DEP_1) | instskip(SKIP_4) | instid1(VALU_DEP_3)
	v_mul_f64 v[38:39], v[21:22], s[18:19]
	s_mov_b32 s18, 0xfefa39ef
	s_mov_b32 s19, 0xbfe62e42
	v_cmp_nlt_f64_e64 s11, 0x40900000, v[21:22]
	v_cmp_ngt_f64_e64 s12, 0xc090cc00, v[21:22]
	v_rndne_f64_e32 v[38:39], v[38:39]
	s_delay_alu instid0(VALU_DEP_1) | instskip(SKIP_3) | instid1(VALU_DEP_2)
	v_fma_f64 v[40:41], v[38:39], s[18:19], v[21:22]
	s_mov_b32 s18, 0x3b39803f
	s_mov_b32 s19, 0xbc7abc9e
	v_cvt_i32_f64_e32 v0, v[38:39]
	v_fma_f64 v[40:41], v[38:39], s[18:19], v[40:41]
	s_mov_b32 s18, 0xfca7ab0c
	s_mov_b32 s19, 0x3e928af3
	s_delay_alu instid0(VALU_DEP_1) | instid1(SALU_CYCLE_1)
	v_fma_f64 v[42:43], v[40:41], s[20:21], s[18:19]
	s_mov_b32 s18, 0x623fde64
	s_mov_b32 s19, 0x3ec71dee
	s_delay_alu instid0(VALU_DEP_1) | instid1(SALU_CYCLE_1)
	v_fma_f64 v[42:43], v[40:41], v[42:43], s[18:19]
	s_mov_b32 s18, 0x7c89e6b0
	s_mov_b32 s19, 0x3efa0199
	s_delay_alu instid0(VALU_DEP_1) | instid1(SALU_CYCLE_1)
	v_fma_f64 v[42:43], v[40:41], v[42:43], s[18:19]
	s_mov_b32 s18, 0x14761f6e
	s_mov_b32 s19, 0x3f2a01a0
	s_delay_alu instid0(VALU_DEP_1) | instid1(SALU_CYCLE_1)
	v_fma_f64 v[42:43], v[40:41], v[42:43], s[18:19]
	s_mov_b32 s18, 0x1852b7b0
	s_mov_b32 s19, 0x3f56c16c
	s_delay_alu instid0(VALU_DEP_1) | instid1(SALU_CYCLE_1)
	v_fma_f64 v[42:43], v[40:41], v[42:43], s[18:19]
	s_mov_b32 s18, 0x11122322
	s_mov_b32 s19, 0x3f811111
	s_delay_alu instid0(VALU_DEP_1) | instid1(SALU_CYCLE_1)
	v_fma_f64 v[42:43], v[40:41], v[42:43], s[18:19]
	s_mov_b32 s18, 0x555502a1
	s_mov_b32 s19, 0x3fa55555
	s_delay_alu instid0(VALU_DEP_1) | instid1(SALU_CYCLE_1)
	v_fma_f64 v[42:43], v[40:41], v[42:43], s[18:19]
	s_mov_b32 s18, 0x55555511
	s_mov_b32 s19, 0x3fc55555
	s_delay_alu instid0(VALU_DEP_1) | instid1(SALU_CYCLE_1)
	v_fma_f64 v[42:43], v[40:41], v[42:43], s[18:19]
	s_mov_b32 s18, 11
	s_mov_b32 s19, 0x3fe00000
	s_delay_alu instid0(VALU_DEP_1) | instid1(SALU_CYCLE_1)
	v_fma_f64 v[42:43], v[40:41], v[42:43], s[18:19]
	s_delay_alu instid0(VALU_DEP_1) | instskip(NEXT) | instid1(VALU_DEP_1)
	v_fma_f64 v[42:43], v[40:41], v[42:43], 1.0
	v_fma_f64 v[38:39], v[40:41], v[42:43], 1.0
	s_delay_alu instid0(VALU_DEP_1) | instskip(NEXT) | instid1(VALU_DEP_1)
	v_ldexp_f64 v[38:39], v[38:39], v0
	v_cndmask_b32_e64 v0, 0x7ff00000, v39, s11
	s_and_b32 s11, s12, s11
	s_delay_alu instid0(VALU_DEP_2) | instid1(SALU_CYCLE_1)
	v_cndmask_b32_e64 v21, 0, v38, s11
	s_delay_alu instid0(VALU_DEP_2) | instskip(NEXT) | instid1(VALU_DEP_1)
	v_cndmask_b32_e64 v22, 0, v0, s12
	v_add_f64 v[19:20], v[19:20], v[21:22]
	s_or_b32 exec_lo, exec_lo, s13
	s_and_saveexec_b32 s13, s1
	s_cbranch_execz .LBB31_25
.LBB31_50:
	s_waitcnt lgkmcnt(0)
	v_add_f64 v[21:22], v[5:6], -v[17:18]
	s_mov_b32 s18, 0x652b82fe
	s_mov_b32 s19, 0x3ff71547
	;; [unrolled: 1-line block ×4, first 2 shown]
	s_delay_alu instid0(VALU_DEP_1) | instskip(SKIP_4) | instid1(VALU_DEP_3)
	v_mul_f64 v[38:39], v[21:22], s[18:19]
	s_mov_b32 s18, 0xfefa39ef
	s_mov_b32 s19, 0xbfe62e42
	v_cmp_nlt_f64_e64 s11, 0x40900000, v[21:22]
	v_cmp_ngt_f64_e64 s12, 0xc090cc00, v[21:22]
	v_rndne_f64_e32 v[38:39], v[38:39]
	s_delay_alu instid0(VALU_DEP_1) | instskip(SKIP_3) | instid1(VALU_DEP_2)
	v_fma_f64 v[40:41], v[38:39], s[18:19], v[21:22]
	s_mov_b32 s18, 0x3b39803f
	s_mov_b32 s19, 0xbc7abc9e
	v_cvt_i32_f64_e32 v0, v[38:39]
	v_fma_f64 v[40:41], v[38:39], s[18:19], v[40:41]
	s_mov_b32 s18, 0xfca7ab0c
	s_mov_b32 s19, 0x3e928af3
	s_delay_alu instid0(VALU_DEP_1) | instid1(SALU_CYCLE_1)
	v_fma_f64 v[42:43], v[40:41], s[20:21], s[18:19]
	s_mov_b32 s18, 0x623fde64
	s_mov_b32 s19, 0x3ec71dee
	s_delay_alu instid0(VALU_DEP_1) | instid1(SALU_CYCLE_1)
	;; [unrolled: 4-line block ×9, first 2 shown]
	v_fma_f64 v[42:43], v[40:41], v[42:43], s[18:19]
	s_delay_alu instid0(VALU_DEP_1) | instskip(NEXT) | instid1(VALU_DEP_1)
	v_fma_f64 v[42:43], v[40:41], v[42:43], 1.0
	v_fma_f64 v[38:39], v[40:41], v[42:43], 1.0
	s_delay_alu instid0(VALU_DEP_1) | instskip(NEXT) | instid1(VALU_DEP_1)
	v_ldexp_f64 v[38:39], v[38:39], v0
	v_cndmask_b32_e64 v0, 0x7ff00000, v39, s11
	s_and_b32 s11, s12, s11
	s_delay_alu instid0(VALU_DEP_2) | instid1(SALU_CYCLE_1)
	v_cndmask_b32_e64 v21, 0, v38, s11
	s_delay_alu instid0(VALU_DEP_2) | instskip(NEXT) | instid1(VALU_DEP_1)
	v_cndmask_b32_e64 v22, 0, v0, s12
	v_add_f64 v[19:20], v[19:20], v[21:22]
	s_or_b32 exec_lo, exec_lo, s13
	s_and_saveexec_b32 s13, s2
	s_cbranch_execz .LBB31_26
.LBB31_51:
	s_waitcnt lgkmcnt(0)
	v_add_f64 v[21:22], v[7:8], -v[17:18]
	s_mov_b32 s18, 0x652b82fe
	s_mov_b32 s19, 0x3ff71547
	;; [unrolled: 1-line block ×4, first 2 shown]
	s_delay_alu instid0(VALU_DEP_1) | instskip(SKIP_4) | instid1(VALU_DEP_3)
	v_mul_f64 v[38:39], v[21:22], s[18:19]
	s_mov_b32 s18, 0xfefa39ef
	s_mov_b32 s19, 0xbfe62e42
	v_cmp_nlt_f64_e64 s11, 0x40900000, v[21:22]
	v_cmp_ngt_f64_e64 s12, 0xc090cc00, v[21:22]
	v_rndne_f64_e32 v[38:39], v[38:39]
	s_delay_alu instid0(VALU_DEP_1) | instskip(SKIP_3) | instid1(VALU_DEP_2)
	v_fma_f64 v[40:41], v[38:39], s[18:19], v[21:22]
	s_mov_b32 s18, 0x3b39803f
	s_mov_b32 s19, 0xbc7abc9e
	v_cvt_i32_f64_e32 v0, v[38:39]
	v_fma_f64 v[40:41], v[38:39], s[18:19], v[40:41]
	s_mov_b32 s18, 0xfca7ab0c
	s_mov_b32 s19, 0x3e928af3
	s_delay_alu instid0(VALU_DEP_1) | instid1(SALU_CYCLE_1)
	v_fma_f64 v[42:43], v[40:41], s[20:21], s[18:19]
	s_mov_b32 s18, 0x623fde64
	s_mov_b32 s19, 0x3ec71dee
	s_delay_alu instid0(VALU_DEP_1) | instid1(SALU_CYCLE_1)
	;; [unrolled: 4-line block ×9, first 2 shown]
	v_fma_f64 v[42:43], v[40:41], v[42:43], s[18:19]
	s_delay_alu instid0(VALU_DEP_1) | instskip(NEXT) | instid1(VALU_DEP_1)
	v_fma_f64 v[42:43], v[40:41], v[42:43], 1.0
	v_fma_f64 v[38:39], v[40:41], v[42:43], 1.0
	s_delay_alu instid0(VALU_DEP_1) | instskip(NEXT) | instid1(VALU_DEP_1)
	v_ldexp_f64 v[38:39], v[38:39], v0
	v_cndmask_b32_e64 v0, 0x7ff00000, v39, s11
	s_and_b32 s11, s12, s11
	s_delay_alu instid0(VALU_DEP_2) | instid1(SALU_CYCLE_1)
	v_cndmask_b32_e64 v21, 0, v38, s11
	s_delay_alu instid0(VALU_DEP_2) | instskip(NEXT) | instid1(VALU_DEP_1)
	v_cndmask_b32_e64 v22, 0, v0, s12
	v_add_f64 v[19:20], v[19:20], v[21:22]
	s_or_b32 exec_lo, exec_lo, s13
	s_and_saveexec_b32 s13, s3
	s_cbranch_execz .LBB31_27
.LBB31_52:
	s_waitcnt lgkmcnt(0)
	v_add_f64 v[21:22], v[9:10], -v[17:18]
	s_mov_b32 s18, 0x652b82fe
	s_mov_b32 s19, 0x3ff71547
	;; [unrolled: 1-line block ×4, first 2 shown]
	s_delay_alu instid0(VALU_DEP_1) | instskip(SKIP_4) | instid1(VALU_DEP_3)
	v_mul_f64 v[38:39], v[21:22], s[18:19]
	s_mov_b32 s18, 0xfefa39ef
	s_mov_b32 s19, 0xbfe62e42
	v_cmp_nlt_f64_e64 s11, 0x40900000, v[21:22]
	v_cmp_ngt_f64_e64 s12, 0xc090cc00, v[21:22]
	v_rndne_f64_e32 v[38:39], v[38:39]
	s_delay_alu instid0(VALU_DEP_1) | instskip(SKIP_3) | instid1(VALU_DEP_2)
	v_fma_f64 v[40:41], v[38:39], s[18:19], v[21:22]
	s_mov_b32 s18, 0x3b39803f
	s_mov_b32 s19, 0xbc7abc9e
	v_cvt_i32_f64_e32 v0, v[38:39]
	v_fma_f64 v[40:41], v[38:39], s[18:19], v[40:41]
	s_mov_b32 s18, 0xfca7ab0c
	s_mov_b32 s19, 0x3e928af3
	s_delay_alu instid0(VALU_DEP_1) | instid1(SALU_CYCLE_1)
	v_fma_f64 v[42:43], v[40:41], s[20:21], s[18:19]
	s_mov_b32 s18, 0x623fde64
	s_mov_b32 s19, 0x3ec71dee
	s_delay_alu instid0(VALU_DEP_1) | instid1(SALU_CYCLE_1)
	;; [unrolled: 4-line block ×9, first 2 shown]
	v_fma_f64 v[42:43], v[40:41], v[42:43], s[18:19]
	s_delay_alu instid0(VALU_DEP_1) | instskip(NEXT) | instid1(VALU_DEP_1)
	v_fma_f64 v[42:43], v[40:41], v[42:43], 1.0
	v_fma_f64 v[38:39], v[40:41], v[42:43], 1.0
	s_delay_alu instid0(VALU_DEP_1) | instskip(NEXT) | instid1(VALU_DEP_1)
	v_ldexp_f64 v[38:39], v[38:39], v0
	v_cndmask_b32_e64 v0, 0x7ff00000, v39, s11
	s_and_b32 s11, s12, s11
	s_delay_alu instid0(VALU_DEP_2) | instid1(SALU_CYCLE_1)
	v_cndmask_b32_e64 v21, 0, v38, s11
	s_delay_alu instid0(VALU_DEP_2) | instskip(NEXT) | instid1(VALU_DEP_1)
	v_cndmask_b32_e64 v22, 0, v0, s12
	v_add_f64 v[19:20], v[19:20], v[21:22]
	s_or_b32 exec_lo, exec_lo, s13
	s_and_saveexec_b32 s13, s4
	s_cbranch_execz .LBB31_28
.LBB31_53:
	s_waitcnt lgkmcnt(0)
	v_add_f64 v[21:22], v[11:12], -v[17:18]
	s_mov_b32 s18, 0x652b82fe
	s_mov_b32 s19, 0x3ff71547
	;; [unrolled: 1-line block ×4, first 2 shown]
	s_delay_alu instid0(VALU_DEP_1) | instskip(SKIP_4) | instid1(VALU_DEP_3)
	v_mul_f64 v[38:39], v[21:22], s[18:19]
	s_mov_b32 s18, 0xfefa39ef
	s_mov_b32 s19, 0xbfe62e42
	v_cmp_nlt_f64_e64 s11, 0x40900000, v[21:22]
	v_cmp_ngt_f64_e64 s12, 0xc090cc00, v[21:22]
	v_rndne_f64_e32 v[38:39], v[38:39]
	s_delay_alu instid0(VALU_DEP_1) | instskip(SKIP_3) | instid1(VALU_DEP_2)
	v_fma_f64 v[40:41], v[38:39], s[18:19], v[21:22]
	s_mov_b32 s18, 0x3b39803f
	s_mov_b32 s19, 0xbc7abc9e
	v_cvt_i32_f64_e32 v0, v[38:39]
	v_fma_f64 v[40:41], v[38:39], s[18:19], v[40:41]
	s_mov_b32 s18, 0xfca7ab0c
	s_mov_b32 s19, 0x3e928af3
	s_delay_alu instid0(VALU_DEP_1) | instid1(SALU_CYCLE_1)
	v_fma_f64 v[42:43], v[40:41], s[20:21], s[18:19]
	s_mov_b32 s18, 0x623fde64
	s_mov_b32 s19, 0x3ec71dee
	s_delay_alu instid0(VALU_DEP_1) | instid1(SALU_CYCLE_1)
	;; [unrolled: 4-line block ×9, first 2 shown]
	v_fma_f64 v[42:43], v[40:41], v[42:43], s[18:19]
	s_delay_alu instid0(VALU_DEP_1) | instskip(NEXT) | instid1(VALU_DEP_1)
	v_fma_f64 v[42:43], v[40:41], v[42:43], 1.0
	v_fma_f64 v[38:39], v[40:41], v[42:43], 1.0
	s_delay_alu instid0(VALU_DEP_1) | instskip(NEXT) | instid1(VALU_DEP_1)
	v_ldexp_f64 v[38:39], v[38:39], v0
	v_cndmask_b32_e64 v0, 0x7ff00000, v39, s11
	s_and_b32 s11, s12, s11
	s_delay_alu instid0(VALU_DEP_2) | instid1(SALU_CYCLE_1)
	v_cndmask_b32_e64 v21, 0, v38, s11
	s_delay_alu instid0(VALU_DEP_2) | instskip(NEXT) | instid1(VALU_DEP_1)
	v_cndmask_b32_e64 v22, 0, v0, s12
	v_add_f64 v[19:20], v[19:20], v[21:22]
	s_or_b32 exec_lo, exec_lo, s13
	s_and_saveexec_b32 s13, s5
	s_cbranch_execz .LBB31_29
.LBB31_54:
	s_waitcnt lgkmcnt(0)
	v_add_f64 v[21:22], v[13:14], -v[17:18]
	s_mov_b32 s18, 0x652b82fe
	s_mov_b32 s19, 0x3ff71547
	;; [unrolled: 1-line block ×4, first 2 shown]
	s_delay_alu instid0(VALU_DEP_1) | instskip(SKIP_4) | instid1(VALU_DEP_3)
	v_mul_f64 v[38:39], v[21:22], s[18:19]
	s_mov_b32 s18, 0xfefa39ef
	s_mov_b32 s19, 0xbfe62e42
	v_cmp_nlt_f64_e64 s11, 0x40900000, v[21:22]
	v_cmp_ngt_f64_e64 s12, 0xc090cc00, v[21:22]
	v_rndne_f64_e32 v[38:39], v[38:39]
	s_delay_alu instid0(VALU_DEP_1) | instskip(SKIP_3) | instid1(VALU_DEP_2)
	v_fma_f64 v[40:41], v[38:39], s[18:19], v[21:22]
	s_mov_b32 s18, 0x3b39803f
	s_mov_b32 s19, 0xbc7abc9e
	v_cvt_i32_f64_e32 v0, v[38:39]
	v_fma_f64 v[40:41], v[38:39], s[18:19], v[40:41]
	s_mov_b32 s18, 0xfca7ab0c
	s_mov_b32 s19, 0x3e928af3
	s_delay_alu instid0(VALU_DEP_1) | instid1(SALU_CYCLE_1)
	v_fma_f64 v[42:43], v[40:41], s[20:21], s[18:19]
	s_mov_b32 s18, 0x623fde64
	s_mov_b32 s19, 0x3ec71dee
	s_delay_alu instid0(VALU_DEP_1) | instid1(SALU_CYCLE_1)
	;; [unrolled: 4-line block ×9, first 2 shown]
	v_fma_f64 v[42:43], v[40:41], v[42:43], s[18:19]
	s_delay_alu instid0(VALU_DEP_1) | instskip(NEXT) | instid1(VALU_DEP_1)
	v_fma_f64 v[42:43], v[40:41], v[42:43], 1.0
	v_fma_f64 v[38:39], v[40:41], v[42:43], 1.0
	s_delay_alu instid0(VALU_DEP_1) | instskip(NEXT) | instid1(VALU_DEP_1)
	v_ldexp_f64 v[38:39], v[38:39], v0
	v_cndmask_b32_e64 v0, 0x7ff00000, v39, s11
	s_and_b32 s11, s12, s11
	s_delay_alu instid0(VALU_DEP_2) | instid1(SALU_CYCLE_1)
	v_cndmask_b32_e64 v21, 0, v38, s11
	s_delay_alu instid0(VALU_DEP_2) | instskip(NEXT) | instid1(VALU_DEP_1)
	v_cndmask_b32_e64 v22, 0, v0, s12
	v_add_f64 v[19:20], v[19:20], v[21:22]
	s_or_b32 exec_lo, exec_lo, s13
	s_and_saveexec_b32 s13, s6
	s_cbranch_execnz .LBB31_30
	s_branch .LBB31_31
.LBB31_55:
	ds_load_b64 v[19:20], v37
	s_or_b32 exec_lo, exec_lo, s7
	s_and_saveexec_b32 s7, s9
	s_cbranch_execz .LBB31_35
.LBB31_56:
	s_waitcnt lgkmcnt(0)
	ds_bpermute_b32 v21, v31, v19
	ds_bpermute_b32 v22, v31, v20
	s_waitcnt lgkmcnt(0)
	v_add_f64 v[19:20], v[19:20], v[21:22]
	ds_bpermute_b32 v21, v32, v19
	ds_bpermute_b32 v22, v32, v20
	s_waitcnt lgkmcnt(0)
	v_add_f64 v[19:20], v[19:20], v[21:22]
	;; [unrolled: 4-line block ×5, first 2 shown]
	s_or_b32 exec_lo, exec_lo, s7
	s_and_saveexec_b32 s7, s10
	s_cbranch_execnz .LBB31_36
	s_branch .LBB31_37
.LBB31_57:
	v_add_f64 v[0:1], v[1:2], -v[17:18]
	s_delay_alu instid0(VALU_DEP_1)
	v_add_f64 v[0:1], v[0:1], -v[19:20]
	global_store_b64 v23, v[0:1], s[10:11]
	s_or_b32 exec_lo, exec_lo, s7
	s_and_saveexec_b32 s7, s0
	s_cbranch_execz .LBB31_39
.LBB31_58:
	v_add_f64 v[0:1], v[3:4], -v[17:18]
	s_delay_alu instid0(VALU_DEP_1)
	v_add_f64 v[0:1], v[0:1], -v[19:20]
	global_store_b64 v24, v[0:1], s[10:11]
	s_or_b32 exec_lo, exec_lo, s7
	s_and_saveexec_b32 s0, s1
	s_cbranch_execz .LBB31_40
.LBB31_59:
	v_add_f64 v[0:1], v[5:6], -v[17:18]
	s_delay_alu instid0(VALU_DEP_1)
	v_add_f64 v[0:1], v[0:1], -v[19:20]
	global_store_b64 v25, v[0:1], s[10:11]
	s_or_b32 exec_lo, exec_lo, s0
	s_and_saveexec_b32 s0, s2
	s_cbranch_execz .LBB31_41
.LBB31_60:
	v_add_f64 v[0:1], v[7:8], -v[17:18]
	s_delay_alu instid0(VALU_DEP_1)
	v_add_f64 v[0:1], v[0:1], -v[19:20]
	global_store_b64 v26, v[0:1], s[10:11]
	s_or_b32 exec_lo, exec_lo, s0
	s_and_saveexec_b32 s0, s3
	s_cbranch_execz .LBB31_42
.LBB31_61:
	v_add_f64 v[0:1], v[9:10], -v[17:18]
	s_delay_alu instid0(VALU_DEP_1)
	v_add_f64 v[0:1], v[0:1], -v[19:20]
	global_store_b64 v27, v[0:1], s[10:11]
	s_or_b32 exec_lo, exec_lo, s0
	s_and_saveexec_b32 s0, s4
	s_cbranch_execz .LBB31_43
.LBB31_62:
	v_add_f64 v[0:1], v[11:12], -v[17:18]
	s_delay_alu instid0(VALU_DEP_1)
	v_add_f64 v[0:1], v[0:1], -v[19:20]
	global_store_b64 v28, v[0:1], s[10:11]
	s_or_b32 exec_lo, exec_lo, s0
	s_and_saveexec_b32 s0, s5
	s_cbranch_execz .LBB31_44
.LBB31_63:
	v_add_f64 v[0:1], v[13:14], -v[17:18]
	s_delay_alu instid0(VALU_DEP_1)
	v_add_f64 v[0:1], v[0:1], -v[19:20]
	global_store_b64 v29, v[0:1], s[10:11]
	s_or_b32 exec_lo, exec_lo, s0
	s_and_saveexec_b32 s0, s6
	s_cbranch_execz .LBB31_45
.LBB31_64:
	v_add_f64 v[0:1], v[15:16], -v[17:18]
	s_delay_alu instid0(VALU_DEP_1)
	v_add_f64 v[0:1], v[0:1], -v[19:20]
	global_store_b64 v30, v[0:1], s[10:11]
	s_nop 0
	s_sendmsg sendmsg(MSG_DEALLOC_VGPRS)
	s_endpgm
	.section	.rodata,"a",@progbits
	.p2align	6, 0x0
	.amdhsa_kernel _ZN2at6native12_GLOBAL__N_122cunn_SoftMaxForwardRegIdddNS1_25LogSoftMaxForwardEpilogueElLi8EEEvPT1_PKT_T3_
		.amdhsa_group_segment_fixed_size 0
		.amdhsa_private_segment_fixed_size 0
		.amdhsa_kernarg_size 280
		.amdhsa_user_sgpr_count 15
		.amdhsa_user_sgpr_dispatch_ptr 0
		.amdhsa_user_sgpr_queue_ptr 0
		.amdhsa_user_sgpr_kernarg_segment_ptr 1
		.amdhsa_user_sgpr_dispatch_id 0
		.amdhsa_user_sgpr_private_segment_size 0
		.amdhsa_wavefront_size32 1
		.amdhsa_uses_dynamic_stack 0
		.amdhsa_enable_private_segment 0
		.amdhsa_system_sgpr_workgroup_id_x 1
		.amdhsa_system_sgpr_workgroup_id_y 0
		.amdhsa_system_sgpr_workgroup_id_z 0
		.amdhsa_system_sgpr_workgroup_info 0
		.amdhsa_system_vgpr_workitem_id 0
		.amdhsa_next_free_vgpr 49
		.amdhsa_next_free_sgpr 22
		.amdhsa_reserve_vcc 1
		.amdhsa_float_round_mode_32 0
		.amdhsa_float_round_mode_16_64 0
		.amdhsa_float_denorm_mode_32 3
		.amdhsa_float_denorm_mode_16_64 3
		.amdhsa_dx10_clamp 1
		.amdhsa_ieee_mode 1
		.amdhsa_fp16_overflow 0
		.amdhsa_workgroup_processor_mode 1
		.amdhsa_memory_ordered 1
		.amdhsa_forward_progress 0
		.amdhsa_shared_vgpr_count 0
		.amdhsa_exception_fp_ieee_invalid_op 0
		.amdhsa_exception_fp_denorm_src 0
		.amdhsa_exception_fp_ieee_div_zero 0
		.amdhsa_exception_fp_ieee_overflow 0
		.amdhsa_exception_fp_ieee_underflow 0
		.amdhsa_exception_fp_ieee_inexact 0
		.amdhsa_exception_int_div_zero 0
	.end_amdhsa_kernel
	.section	.text._ZN2at6native12_GLOBAL__N_122cunn_SoftMaxForwardRegIdddNS1_25LogSoftMaxForwardEpilogueElLi8EEEvPT1_PKT_T3_,"axG",@progbits,_ZN2at6native12_GLOBAL__N_122cunn_SoftMaxForwardRegIdddNS1_25LogSoftMaxForwardEpilogueElLi8EEEvPT1_PKT_T3_,comdat
.Lfunc_end31:
	.size	_ZN2at6native12_GLOBAL__N_122cunn_SoftMaxForwardRegIdddNS1_25LogSoftMaxForwardEpilogueElLi8EEEvPT1_PKT_T3_, .Lfunc_end31-_ZN2at6native12_GLOBAL__N_122cunn_SoftMaxForwardRegIdddNS1_25LogSoftMaxForwardEpilogueElLi8EEEvPT1_PKT_T3_
                                        ; -- End function
	.section	.AMDGPU.csdata,"",@progbits
; Kernel info:
; codeLenInByte = 7412
; NumSgprs: 24
; NumVgprs: 49
; ScratchSize: 0
; MemoryBound: 0
; FloatMode: 240
; IeeeMode: 1
; LDSByteSize: 0 bytes/workgroup (compile time only)
; SGPRBlocks: 2
; VGPRBlocks: 6
; NumSGPRsForWavesPerEU: 24
; NumVGPRsForWavesPerEU: 49
; Occupancy: 16
; WaveLimiterHint : 0
; COMPUTE_PGM_RSRC2:SCRATCH_EN: 0
; COMPUTE_PGM_RSRC2:USER_SGPR: 15
; COMPUTE_PGM_RSRC2:TRAP_HANDLER: 0
; COMPUTE_PGM_RSRC2:TGID_X_EN: 1
; COMPUTE_PGM_RSRC2:TGID_Y_EN: 0
; COMPUTE_PGM_RSRC2:TGID_Z_EN: 0
; COMPUTE_PGM_RSRC2:TIDIG_COMP_CNT: 0
	.section	.text._ZN2at6native12_GLOBAL__N_122cunn_SoftMaxForwardRegIdddNS1_25LogSoftMaxForwardEpilogueElLi9EEEvPT1_PKT_T3_,"axG",@progbits,_ZN2at6native12_GLOBAL__N_122cunn_SoftMaxForwardRegIdddNS1_25LogSoftMaxForwardEpilogueElLi9EEEvPT1_PKT_T3_,comdat
	.globl	_ZN2at6native12_GLOBAL__N_122cunn_SoftMaxForwardRegIdddNS1_25LogSoftMaxForwardEpilogueElLi9EEEvPT1_PKT_T3_ ; -- Begin function _ZN2at6native12_GLOBAL__N_122cunn_SoftMaxForwardRegIdddNS1_25LogSoftMaxForwardEpilogueElLi9EEEvPT1_PKT_T3_
	.p2align	8
	.type	_ZN2at6native12_GLOBAL__N_122cunn_SoftMaxForwardRegIdddNS1_25LogSoftMaxForwardEpilogueElLi9EEEvPT1_PKT_T3_,@function
_ZN2at6native12_GLOBAL__N_122cunn_SoftMaxForwardRegIdddNS1_25LogSoftMaxForwardEpilogueElLi9EEEvPT1_PKT_T3_: ; @_ZN2at6native12_GLOBAL__N_122cunn_SoftMaxForwardRegIdddNS1_25LogSoftMaxForwardEpilogueElLi9EEEvPT1_PKT_T3_
; %bb.0:
	s_clause 0x2
	s_load_b64 s[8:9], s[0:1], 0x10
	s_load_b128 s[16:19], s[0:1], 0x0
	s_load_b32 s2, s[0:1], 0x24
	s_mov_b32 s0, -1
	s_mov_b32 s1, 0xffefffff
	v_mov_b32_e32 v36, 0
	v_dual_mov_b32 v34, s1 :: v_dual_mov_b32 v33, s0
	v_lshlrev_b32_e32 v37, 3, v0
	s_delay_alu instid0(VALU_DEP_3)
	v_mov_b32_e32 v1, v36
	s_waitcnt lgkmcnt(0)
	s_mul_i32 s3, s15, s9
	s_mul_hi_u32 s5, s15, s8
	s_mul_i32 s4, s15, s8
	s_add_i32 s5, s5, s3
	v_cmp_gt_i64_e32 vcc_lo, s[8:9], v[0:1]
	s_lshl_b64 s[14:15], s[4:5], 3
                                        ; implicit-def: $vgpr1_vgpr2_vgpr3_vgpr4_vgpr5_vgpr6_vgpr7_vgpr8_vgpr9_vgpr10_vgpr11_vgpr12_vgpr13_vgpr14_vgpr15_vgpr16_vgpr17_vgpr18_vgpr19_vgpr20_vgpr21_vgpr22_vgpr23_vgpr24_vgpr25_vgpr26_vgpr27_vgpr28_vgpr29_vgpr30_vgpr31_vgpr32
	s_delay_alu instid0(SALU_CYCLE_1)
	s_add_u32 s10, s18, s14
	s_addc_u32 s11, s19, s15
	s_and_saveexec_b32 s3, vcc_lo
	s_cbranch_execz .LBB32_2
; %bb.1:
	global_load_b64 v[1:2], v37, s[10:11]
	s_waitcnt vmcnt(0)
	v_max_f64 v[3:4], v[1:2], v[1:2]
	s_delay_alu instid0(VALU_DEP_1)
	v_max_f64 v[33:34], v[3:4], s[0:1]
.LBB32_2:
	s_or_b32 exec_lo, exec_lo, s3
	s_and_b32 s12, 0xffff, s2
	s_delay_alu instid0(SALU_CYCLE_1) | instskip(NEXT) | instid1(VALU_DEP_1)
	v_add_nc_u32_e32 v35, s12, v0
	v_cmp_gt_i64_e64 s0, s[8:9], v[35:36]
	v_lshlrev_b32_e32 v25, 3, v35
	s_delay_alu instid0(VALU_DEP_2)
	s_and_saveexec_b32 s1, s0
	s_cbranch_execz .LBB32_4
; %bb.3:
	global_load_b64 v[3:4], v25, s[10:11]
	v_max_f64 v[21:22], v[33:34], v[33:34]
	s_waitcnt vmcnt(0)
	v_max_f64 v[19:20], v[3:4], v[3:4]
	s_delay_alu instid0(VALU_DEP_1)
	v_max_f64 v[33:34], v[21:22], v[19:20]
.LBB32_4:
	s_or_b32 exec_lo, exec_lo, s1
	v_dual_mov_b32 v20, 0 :: v_dual_add_nc_u32 v19, s12, v35
	s_delay_alu instid0(VALU_DEP_1) | instskip(NEXT) | instid1(VALU_DEP_2)
	v_lshlrev_b32_e32 v26, 3, v19
	v_cmp_gt_i64_e64 s1, s[8:9], v[19:20]
	s_delay_alu instid0(VALU_DEP_1)
	s_and_saveexec_b32 s2, s1
	s_cbranch_execz .LBB32_6
; %bb.5:
	global_load_b64 v[5:6], v26, s[10:11]
	v_max_f64 v[23:24], v[33:34], v[33:34]
	s_waitcnt vmcnt(0)
	v_max_f64 v[21:22], v[5:6], v[5:6]
	s_delay_alu instid0(VALU_DEP_1)
	v_max_f64 v[33:34], v[23:24], v[21:22]
.LBB32_6:
	s_or_b32 exec_lo, exec_lo, s2
	v_add_nc_u32_e32 v19, s12, v19
	s_delay_alu instid0(VALU_DEP_1) | instskip(SKIP_1) | instid1(VALU_DEP_2)
	v_cmp_gt_i64_e64 s2, s[8:9], v[19:20]
	v_lshlrev_b32_e32 v27, 3, v19
	s_and_saveexec_b32 s3, s2
	s_cbranch_execz .LBB32_8
; %bb.7:
	global_load_b64 v[7:8], v27, s[10:11]
	v_max_f64 v[22:23], v[33:34], v[33:34]
	s_waitcnt vmcnt(0)
	v_max_f64 v[20:21], v[7:8], v[7:8]
	s_delay_alu instid0(VALU_DEP_1)
	v_max_f64 v[33:34], v[22:23], v[20:21]
.LBB32_8:
	s_or_b32 exec_lo, exec_lo, s3
	v_dual_mov_b32 v20, 0 :: v_dual_add_nc_u32 v19, s12, v19
	s_delay_alu instid0(VALU_DEP_1) | instskip(NEXT) | instid1(VALU_DEP_2)
	v_lshlrev_b32_e32 v28, 3, v19
	v_cmp_gt_i64_e64 s3, s[8:9], v[19:20]
	s_delay_alu instid0(VALU_DEP_1)
	s_and_saveexec_b32 s4, s3
	s_cbranch_execz .LBB32_10
; %bb.9:
	global_load_b64 v[9:10], v28, s[10:11]
	v_max_f64 v[23:24], v[33:34], v[33:34]
	s_waitcnt vmcnt(0)
	v_max_f64 v[21:22], v[9:10], v[9:10]
	s_delay_alu instid0(VALU_DEP_1)
	v_max_f64 v[33:34], v[23:24], v[21:22]
.LBB32_10:
	s_or_b32 exec_lo, exec_lo, s4
	v_add_nc_u32_e32 v19, s12, v19
	s_delay_alu instid0(VALU_DEP_1) | instskip(SKIP_1) | instid1(VALU_DEP_2)
	v_cmp_gt_i64_e64 s4, s[8:9], v[19:20]
	v_lshlrev_b32_e32 v29, 3, v19
	;; [unrolled: 31-line block ×3, first 2 shown]
	s_and_saveexec_b32 s7, s6
	s_cbranch_execz .LBB32_16
; %bb.15:
	global_load_b64 v[15:16], v31, s[10:11]
	v_max_f64 v[22:23], v[33:34], v[33:34]
	s_waitcnt vmcnt(0)
	v_max_f64 v[20:21], v[15:16], v[15:16]
	s_delay_alu instid0(VALU_DEP_1)
	v_max_f64 v[33:34], v[22:23], v[20:21]
.LBB32_16:
	s_or_b32 exec_lo, exec_lo, s7
	v_dual_mov_b32 v20, 0 :: v_dual_add_nc_u32 v19, s12, v19
	s_delay_alu instid0(VALU_DEP_1) | instskip(NEXT) | instid1(VALU_DEP_2)
	v_lshlrev_b32_e32 v32, 3, v19
	v_cmp_gt_i64_e64 s7, s[8:9], v[19:20]
	s_delay_alu instid0(VALU_DEP_1)
	s_and_saveexec_b32 s8, s7
	s_cbranch_execz .LBB32_18
; %bb.17:
	global_load_b64 v[17:18], v32, s[10:11]
	v_max_f64 v[21:22], v[33:34], v[33:34]
	s_waitcnt vmcnt(0)
	v_max_f64 v[19:20], v[17:18], v[17:18]
	s_delay_alu instid0(VALU_DEP_1)
	v_max_f64 v[33:34], v[21:22], v[19:20]
.LBB32_18:
	s_or_b32 exec_lo, exec_lo, s8
	v_mbcnt_lo_u32_b32 v23, -1, 0
	v_lshrrev_b32_e32 v39, 2, v0
	s_mov_b32 s10, -1
	s_barrier
	s_delay_alu instid0(VALU_DEP_2)
	v_cmp_gt_u32_e64 s8, 16, v23
	v_cmp_gt_u32_e64 s9, 24, v23
	buffer_gl0_inv
	v_cndmask_b32_e64 v19, 0, 1, s8
	v_cndmask_b32_e64 v21, 0, 1, s9
	v_cmp_gt_u32_e64 s9, 28, v23
	s_delay_alu instid0(VALU_DEP_3) | instskip(NEXT) | instid1(VALU_DEP_3)
	v_lshlrev_b32_e32 v19, 4, v19
	v_lshlrev_b32_e32 v21, 3, v21
	s_delay_alu instid0(VALU_DEP_3) | instskip(SKIP_1) | instid1(VALU_DEP_4)
	v_cndmask_b32_e64 v24, 0, 1, s9
	v_cmp_gt_u32_e64 s9, 30, v23
	v_add_lshl_u32 v35, v19, v23, 2
	s_delay_alu instid0(VALU_DEP_4) | instskip(NEXT) | instid1(VALU_DEP_4)
	v_add_lshl_u32 v36, v21, v23, 2
	v_lshlrev_b32_e32 v24, 2, v24
	ds_bpermute_b32 v19, v35, v33
	ds_bpermute_b32 v20, v35, v34
	s_waitcnt lgkmcnt(0)
	v_cmp_lt_f64_e64 s8, v[33:34], v[19:20]
	s_delay_alu instid0(VALU_DEP_1)
	v_cndmask_b32_e64 v20, v34, v20, s8
	v_cndmask_b32_e64 v19, v33, v19, s8
	v_add_lshl_u32 v33, v24, v23, 2
	v_cndmask_b32_e64 v24, 0, 1, s9
	v_cmp_ne_u32_e64 s9, 31, v23
	ds_bpermute_b32 v22, v36, v20
	ds_bpermute_b32 v21, v36, v19
	v_lshlrev_b32_e32 v24, 1, v24
	s_delay_alu instid0(VALU_DEP_1) | instskip(SKIP_1) | instid1(VALU_DEP_1)
	v_add_lshl_u32 v34, v24, v23, 2
	v_add_co_ci_u32_e64 v23, s9, 0, v23, s9
	v_lshlrev_b32_e32 v38, 2, v23
	v_and_b32_e32 v23, 31, v0
	s_waitcnt lgkmcnt(0)
	v_cmp_lt_f64_e64 s8, v[19:20], v[21:22]
	s_delay_alu instid0(VALU_DEP_1)
	v_cndmask_b32_e64 v20, v20, v22, s8
	v_cndmask_b32_e64 v19, v19, v21, s8
	ds_bpermute_b32 v22, v33, v20
	ds_bpermute_b32 v21, v33, v19
	s_waitcnt lgkmcnt(0)
	v_cmp_lt_f64_e64 s8, v[19:20], v[21:22]
	s_delay_alu instid0(VALU_DEP_1)
	v_cndmask_b32_e64 v20, v20, v22, s8
	v_cndmask_b32_e64 v19, v19, v21, s8
	ds_bpermute_b32 v22, v34, v20
	ds_bpermute_b32 v21, v34, v19
	s_waitcnt lgkmcnt(0)
	v_cmp_lt_f64_e64 s8, v[19:20], v[21:22]
	s_delay_alu instid0(VALU_DEP_1)
	v_cndmask_b32_e64 v20, v20, v22, s8
	v_cndmask_b32_e64 v19, v19, v21, s8
	v_cmp_eq_u32_e64 s8, 0, v23
	ds_bpermute_b32 v22, v38, v20
	ds_bpermute_b32 v21, v38, v19
	s_and_saveexec_b32 s9, s8
	s_delay_alu instid0(SALU_CYCLE_1)
	s_xor_b32 s11, exec_lo, s9
	s_cbranch_execz .LBB32_20
; %bb.19:
	s_waitcnt lgkmcnt(0)
	v_cmp_lt_f64_e64 s9, v[19:20], v[21:22]
	v_add_nc_u32_e32 v24, 0, v39
	s_delay_alu instid0(VALU_DEP_2)
	v_cndmask_b32_e64 v20, v20, v22, s9
	v_cndmask_b32_e64 v19, v19, v21, s9
	ds_store_b64 v24, v[19:20]
.LBB32_20:
	s_or_b32 exec_lo, exec_lo, s11
	s_lshr_b32 s9, s12, 5
	s_mov_b32 s11, 0xffefffff
	v_cmp_gt_u32_e64 s9, s9, v0
	v_dual_mov_b32 v20, s11 :: v_dual_mov_b32 v19, s10
	v_lshl_add_u32 v40, v23, 3, 0
	s_waitcnt lgkmcnt(0)
	s_barrier
	buffer_gl0_inv
	s_and_saveexec_b32 s10, s9
	s_cbranch_execnz .LBB32_50
; %bb.21:
	s_or_b32 exec_lo, exec_lo, s10
	v_cmp_gt_u32_e64 s10, 32, v0
	s_delay_alu instid0(VALU_DEP_1)
	s_and_saveexec_b32 s12, s10
	s_cbranch_execnz .LBB32_51
.LBB32_22:
	s_or_b32 exec_lo, exec_lo, s12
	v_cmp_eq_u32_e64 s11, 0, v0
	s_delay_alu instid0(VALU_DEP_1)
	s_and_saveexec_b32 s12, s11
	s_cbranch_execz .LBB32_24
.LBB32_23:
	v_mov_b32_e32 v0, 0
	s_waitcnt lgkmcnt(0)
	ds_store_b64 v0, v[19:20]
.LBB32_24:
	s_or_b32 exec_lo, exec_lo, s12
	v_dual_mov_b32 v0, 0 :: v_dual_mov_b32 v21, 0
	s_waitcnt lgkmcnt(0)
	s_barrier
	buffer_gl0_inv
	ds_load_b64 v[19:20], v0
	v_mov_b32_e32 v22, 0
	s_and_saveexec_b32 s18, vcc_lo
	s_cbranch_execnz .LBB32_52
; %bb.25:
	s_or_b32 exec_lo, exec_lo, s18
	s_and_saveexec_b32 s18, s0
	s_cbranch_execnz .LBB32_53
.LBB32_26:
	s_or_b32 exec_lo, exec_lo, s18
	s_and_saveexec_b32 s18, s1
	s_cbranch_execnz .LBB32_54
.LBB32_27:
	s_or_b32 exec_lo, exec_lo, s18
	s_and_saveexec_b32 s18, s2
	s_cbranch_execnz .LBB32_55
.LBB32_28:
	s_or_b32 exec_lo, exec_lo, s18
	s_and_saveexec_b32 s18, s3
	s_cbranch_execnz .LBB32_56
.LBB32_29:
	s_or_b32 exec_lo, exec_lo, s18
	s_and_saveexec_b32 s18, s4
	s_cbranch_execnz .LBB32_57
.LBB32_30:
	s_or_b32 exec_lo, exec_lo, s18
	s_and_saveexec_b32 s18, s5
	s_cbranch_execnz .LBB32_58
.LBB32_31:
	s_or_b32 exec_lo, exec_lo, s18
	s_and_saveexec_b32 s18, s6
	s_cbranch_execnz .LBB32_59
.LBB32_32:
	s_or_b32 exec_lo, exec_lo, s18
	s_and_saveexec_b32 s18, s7
	s_cbranch_execz .LBB32_34
.LBB32_33:
	s_waitcnt lgkmcnt(0)
	v_add_f64 v[23:24], v[17:18], -v[19:20]
	s_mov_b32 s12, 0x652b82fe
	s_mov_b32 s13, 0x3ff71547
	;; [unrolled: 1-line block ×4, first 2 shown]
	s_delay_alu instid0(VALU_DEP_1) | instskip(SKIP_2) | instid1(VALU_DEP_1)
	v_mul_f64 v[41:42], v[23:24], s[12:13]
	s_mov_b32 s12, 0xfefa39ef
	s_mov_b32 s13, 0xbfe62e42
	v_rndne_f64_e32 v[41:42], v[41:42]
	s_delay_alu instid0(VALU_DEP_1) | instskip(SKIP_3) | instid1(VALU_DEP_2)
	v_fma_f64 v[43:44], v[41:42], s[12:13], v[23:24]
	s_mov_b32 s12, 0x3b39803f
	s_mov_b32 s13, 0xbc7abc9e
	v_cvt_i32_f64_e32 v0, v[41:42]
	v_fma_f64 v[43:44], v[41:42], s[12:13], v[43:44]
	s_mov_b32 s12, 0xfca7ab0c
	s_mov_b32 s13, 0x3e928af3
	s_delay_alu instid0(VALU_DEP_1) | instid1(SALU_CYCLE_1)
	v_fma_f64 v[45:46], v[43:44], s[20:21], s[12:13]
	s_mov_b32 s12, 0x623fde64
	s_mov_b32 s13, 0x3ec71dee
	s_delay_alu instid0(VALU_DEP_1) | instid1(SALU_CYCLE_1)
	;; [unrolled: 4-line block ×9, first 2 shown]
	v_fma_f64 v[45:46], v[43:44], v[45:46], s[12:13]
	v_cmp_nlt_f64_e64 s12, 0x40900000, v[23:24]
	v_cmp_ngt_f64_e64 s13, 0xc090cc00, v[23:24]
	s_delay_alu instid0(VALU_DEP_3) | instskip(NEXT) | instid1(VALU_DEP_1)
	v_fma_f64 v[45:46], v[43:44], v[45:46], 1.0
	v_fma_f64 v[41:42], v[43:44], v[45:46], 1.0
	s_delay_alu instid0(VALU_DEP_1) | instskip(NEXT) | instid1(VALU_DEP_1)
	v_ldexp_f64 v[41:42], v[41:42], v0
	v_cndmask_b32_e64 v0, 0x7ff00000, v42, s12
	s_and_b32 s12, s13, s12
	s_delay_alu instid0(VALU_DEP_2) | instid1(SALU_CYCLE_1)
	v_cndmask_b32_e64 v23, 0, v41, s12
	s_delay_alu instid0(VALU_DEP_2) | instskip(NEXT) | instid1(VALU_DEP_1)
	v_cndmask_b32_e64 v24, 0, v0, s13
	v_add_f64 v[21:22], v[21:22], v[23:24]
.LBB32_34:
	s_or_b32 exec_lo, exec_lo, s18
	ds_bpermute_b32 v23, v35, v21
	ds_bpermute_b32 v24, v35, v22
	s_waitcnt lgkmcnt(0)
	s_barrier
	buffer_gl0_inv
	v_add_f64 v[21:22], v[21:22], v[23:24]
	ds_bpermute_b32 v23, v36, v21
	ds_bpermute_b32 v24, v36, v22
	s_waitcnt lgkmcnt(0)
	v_add_f64 v[21:22], v[21:22], v[23:24]
	ds_bpermute_b32 v23, v33, v21
	ds_bpermute_b32 v24, v33, v22
	s_waitcnt lgkmcnt(0)
	;; [unrolled: 4-line block ×3, first 2 shown]
	v_add_f64 v[21:22], v[21:22], v[23:24]
	ds_bpermute_b32 v23, v38, v21
	ds_bpermute_b32 v24, v38, v22
	s_and_saveexec_b32 s12, s8
	s_delay_alu instid0(SALU_CYCLE_1)
	s_xor_b32 s8, exec_lo, s12
	s_cbranch_execz .LBB32_36
; %bb.35:
	s_waitcnt lgkmcnt(0)
	v_add_f64 v[21:22], v[21:22], v[23:24]
	v_add_nc_u32_e32 v0, 0, v39
	ds_store_b64 v0, v[21:22]
.LBB32_36:
	s_or_b32 exec_lo, exec_lo, s8
	v_mov_b32_e32 v21, 0
	v_mov_b32_e32 v22, 0
	s_waitcnt lgkmcnt(0)
	s_barrier
	buffer_gl0_inv
	s_and_saveexec_b32 s8, s9
	s_cbranch_execnz .LBB32_60
; %bb.37:
	s_or_b32 exec_lo, exec_lo, s8
	s_and_saveexec_b32 s8, s10
	s_cbranch_execnz .LBB32_61
.LBB32_38:
	s_or_b32 exec_lo, exec_lo, s8
	s_and_saveexec_b32 s8, s11
	s_cbranch_execz .LBB32_40
.LBB32_39:
	v_mov_b32_e32 v0, 0
	s_waitcnt lgkmcnt(0)
	ds_store_b64 v0, v[21:22]
.LBB32_40:
	s_or_b32 exec_lo, exec_lo, s8
	v_mov_b32_e32 v0, 0
	s_waitcnt lgkmcnt(0)
	s_barrier
	buffer_gl0_inv
	s_mov_b32 s13, 0x3fe55555
	ds_load_b64 v[22:23], v0
	s_mov_b32 s12, 0x55555555
	s_add_u32 s10, s16, s14
	s_addc_u32 s11, s17, s15
	s_mov_b32 s14, 0
	s_waitcnt lgkmcnt(0)
	v_frexp_mant_f64_e32 v[33:34], v[22:23]
	v_frexp_exp_i32_f64_e32 v0, v[22:23]
	s_delay_alu instid0(VALU_DEP_2) | instskip(SKIP_1) | instid1(VALU_DEP_1)
	v_cmp_gt_f64_e64 s8, s[12:13], v[33:34]
	s_mov_b32 s12, 0x55555780
	v_subrev_co_ci_u32_e64 v0, s9, 0, v0, s8
	s_and_b32 s8, s8, exec_lo
	s_cselect_b32 s15, 2.0, 0x3ff00000
	s_mov_b32 s8, 0x6b47b09a
	v_mul_f64 v[33:34], v[33:34], s[14:15]
	s_mov_b32 s14, 0xbf559e2b
	s_mov_b32 s9, 0x3fc38538
	;; [unrolled: 1-line block ×3, first 2 shown]
	s_delay_alu instid0(VALU_DEP_1) | instskip(SKIP_1) | instid1(VALU_DEP_2)
	v_add_f64 v[35:36], v[33:34], 1.0
	v_add_f64 v[42:43], v[33:34], -1.0
	v_rcp_f64_e32 v[38:39], v[35:36]
	v_add_f64 v[44:45], v[35:36], -1.0
	s_delay_alu instid0(VALU_DEP_1) | instskip(SKIP_2) | instid1(VALU_DEP_1)
	v_add_f64 v[33:34], v[33:34], -v[44:45]
	s_waitcnt_depctr 0xfff
	v_fma_f64 v[40:41], -v[35:36], v[38:39], 1.0
	v_fma_f64 v[38:39], v[40:41], v[38:39], v[38:39]
	s_delay_alu instid0(VALU_DEP_1) | instskip(NEXT) | instid1(VALU_DEP_1)
	v_fma_f64 v[40:41], -v[35:36], v[38:39], 1.0
	v_fma_f64 v[38:39], v[40:41], v[38:39], v[38:39]
	s_delay_alu instid0(VALU_DEP_1) | instskip(NEXT) | instid1(VALU_DEP_1)
	v_mul_f64 v[40:41], v[42:43], v[38:39]
	v_mul_f64 v[46:47], v[35:36], v[40:41]
	s_delay_alu instid0(VALU_DEP_1) | instskip(NEXT) | instid1(VALU_DEP_1)
	v_fma_f64 v[35:36], v[40:41], v[35:36], -v[46:47]
	v_fma_f64 v[33:34], v[40:41], v[33:34], v[35:36]
	s_delay_alu instid0(VALU_DEP_1) | instskip(NEXT) | instid1(VALU_DEP_1)
	v_add_f64 v[35:36], v[46:47], v[33:34]
	v_add_f64 v[44:45], v[42:43], -v[35:36]
	v_add_f64 v[46:47], v[35:36], -v[46:47]
	s_delay_alu instid0(VALU_DEP_2) | instskip(NEXT) | instid1(VALU_DEP_2)
	v_add_f64 v[42:43], v[42:43], -v[44:45]
	v_add_f64 v[33:34], v[46:47], -v[33:34]
	s_delay_alu instid0(VALU_DEP_2) | instskip(NEXT) | instid1(VALU_DEP_1)
	v_add_f64 v[35:36], v[42:43], -v[35:36]
	v_add_f64 v[33:34], v[33:34], v[35:36]
	s_delay_alu instid0(VALU_DEP_1) | instskip(NEXT) | instid1(VALU_DEP_1)
	v_add_f64 v[33:34], v[44:45], v[33:34]
	v_mul_f64 v[33:34], v[38:39], v[33:34]
	s_delay_alu instid0(VALU_DEP_1) | instskip(NEXT) | instid1(VALU_DEP_1)
	v_add_f64 v[35:36], v[40:41], v[33:34]
	v_mul_f64 v[38:39], v[35:36], v[35:36]
	s_delay_alu instid0(VALU_DEP_1) | instskip(SKIP_3) | instid1(VALU_DEP_2)
	v_fma_f64 v[42:43], v[38:39], s[14:15], s[8:9]
	s_mov_b32 s8, 0xd7f4df2e
	s_mov_b32 s9, 0x3fc7474d
	v_mul_f64 v[44:45], v[35:36], v[38:39]
	v_fma_f64 v[42:43], v[38:39], v[42:43], s[8:9]
	s_mov_b32 s8, 0x16291751
	s_mov_b32 s9, 0x3fcc71c0
	s_delay_alu instid0(VALU_DEP_1) | instid1(SALU_CYCLE_1)
	v_fma_f64 v[42:43], v[38:39], v[42:43], s[8:9]
	s_mov_b32 s8, 0x9b27acf1
	s_mov_b32 s9, 0x3fd24924
	s_delay_alu instid0(VALU_DEP_1) | instid1(SALU_CYCLE_1)
	;; [unrolled: 4-line block ×3, first 2 shown]
	v_fma_f64 v[42:43], v[38:39], v[42:43], s[8:9]
	s_mov_b32 s8, 0xfefa39ef
	s_mov_b32 s9, 0x3fe62e42
	s_delay_alu instid0(VALU_DEP_1) | instskip(SKIP_2) | instid1(VALU_DEP_3)
	v_fma_f64 v[38:39], v[38:39], v[42:43], s[12:13]
	v_ldexp_f64 v[42:43], v[35:36], 1
	v_add_f64 v[35:36], v[35:36], -v[40:41]
	v_mul_f64 v[38:39], v[44:45], v[38:39]
	v_cvt_f64_i32_e32 v[44:45], v0
	s_delay_alu instid0(VALU_DEP_3) | instskip(NEXT) | instid1(VALU_DEP_3)
	v_add_f64 v[33:34], v[33:34], -v[35:36]
	v_add_f64 v[40:41], v[42:43], v[38:39]
	s_delay_alu instid0(VALU_DEP_3) | instskip(NEXT) | instid1(VALU_DEP_3)
	v_mul_f64 v[46:47], v[44:45], s[8:9]
	v_ldexp_f64 v[33:34], v[33:34], 1
	s_delay_alu instid0(VALU_DEP_3) | instskip(NEXT) | instid1(VALU_DEP_3)
	v_add_f64 v[35:36], v[40:41], -v[42:43]
	v_fma_f64 v[42:43], v[44:45], s[8:9], -v[46:47]
	s_mov_b32 s8, 0x3b39803f
	s_mov_b32 s9, 0x3c7abc9e
	s_delay_alu instid0(VALU_DEP_2) | instskip(NEXT) | instid1(VALU_DEP_2)
	v_add_f64 v[35:36], v[38:39], -v[35:36]
	v_fma_f64 v[38:39], v[44:45], s[8:9], v[42:43]
	v_cmp_class_f64_e64 s8, v[22:23], 0x204
	s_delay_alu instid0(VALU_DEP_3) | instskip(NEXT) | instid1(VALU_DEP_3)
	v_add_f64 v[33:34], v[33:34], v[35:36]
	v_add_f64 v[35:36], v[46:47], v[38:39]
	s_delay_alu instid0(VALU_DEP_2) | instskip(NEXT) | instid1(VALU_DEP_2)
	v_add_f64 v[42:43], v[40:41], v[33:34]
	v_add_f64 v[46:47], v[35:36], -v[46:47]
	s_delay_alu instid0(VALU_DEP_2) | instskip(SKIP_1) | instid1(VALU_DEP_3)
	v_add_f64 v[44:45], v[35:36], v[42:43]
	v_add_f64 v[40:41], v[42:43], -v[40:41]
	v_add_f64 v[38:39], v[38:39], -v[46:47]
	s_delay_alu instid0(VALU_DEP_3) | instskip(NEXT) | instid1(VALU_DEP_3)
	v_add_f64 v[48:49], v[44:45], -v[35:36]
	v_add_f64 v[33:34], v[33:34], -v[40:41]
	s_delay_alu instid0(VALU_DEP_2) | instskip(SKIP_1) | instid1(VALU_DEP_3)
	v_add_f64 v[50:51], v[44:45], -v[48:49]
	v_add_f64 v[40:41], v[42:43], -v[48:49]
	v_add_f64 v[42:43], v[38:39], v[33:34]
	s_delay_alu instid0(VALU_DEP_3) | instskip(NEXT) | instid1(VALU_DEP_1)
	v_add_f64 v[35:36], v[35:36], -v[50:51]
	v_add_f64 v[35:36], v[40:41], v[35:36]
	s_delay_alu instid0(VALU_DEP_3) | instskip(NEXT) | instid1(VALU_DEP_2)
	v_add_f64 v[40:41], v[42:43], -v[38:39]
	v_add_f64 v[35:36], v[42:43], v[35:36]
	s_delay_alu instid0(VALU_DEP_2) | instskip(SKIP_1) | instid1(VALU_DEP_3)
	v_add_f64 v[42:43], v[42:43], -v[40:41]
	v_add_f64 v[33:34], v[33:34], -v[40:41]
	v_add_f64 v[46:47], v[44:45], v[35:36]
	s_delay_alu instid0(VALU_DEP_3) | instskip(NEXT) | instid1(VALU_DEP_2)
	v_add_f64 v[38:39], v[38:39], -v[42:43]
	v_add_f64 v[40:41], v[46:47], -v[44:45]
	s_delay_alu instid0(VALU_DEP_2) | instskip(NEXT) | instid1(VALU_DEP_2)
	v_add_f64 v[33:34], v[33:34], v[38:39]
	v_add_f64 v[35:36], v[35:36], -v[40:41]
	s_delay_alu instid0(VALU_DEP_1) | instskip(NEXT) | instid1(VALU_DEP_1)
	v_add_f64 v[33:34], v[33:34], v[35:36]
	v_add_f64 v[33:34], v[46:47], v[33:34]
	s_delay_alu instid0(VALU_DEP_1) | instskip(NEXT) | instid1(VALU_DEP_2)
	v_cndmask_b32_e64 v0, v33, v22, s8
	v_cndmask_b32_e64 v21, v34, v23, s8
	v_cmp_ngt_f64_e64 s8, 0, v[22:23]
	s_delay_alu instid0(VALU_DEP_1) | instskip(SKIP_1) | instid1(VALU_DEP_1)
	v_cndmask_b32_e64 v24, 0x7ff80000, v21, s8
	v_cmp_nge_f64_e64 s8, 0, v[22:23]
	v_cndmask_b32_e64 v21, 0, v0, s8
	v_cmp_neq_f64_e64 s8, 0, v[22:23]
	s_delay_alu instid0(VALU_DEP_1)
	v_cndmask_b32_e64 v22, 0xfff00000, v24, s8
	s_and_saveexec_b32 s8, vcc_lo
	s_cbranch_execnz .LBB32_62
; %bb.41:
	s_or_b32 exec_lo, exec_lo, s8
	s_and_saveexec_b32 s8, s0
	s_cbranch_execnz .LBB32_63
.LBB32_42:
	s_or_b32 exec_lo, exec_lo, s8
	s_and_saveexec_b32 s0, s1
	s_cbranch_execnz .LBB32_64
.LBB32_43:
	s_or_b32 exec_lo, exec_lo, s0
	s_and_saveexec_b32 s0, s2
	s_cbranch_execnz .LBB32_65
.LBB32_44:
	s_or_b32 exec_lo, exec_lo, s0
	s_and_saveexec_b32 s0, s3
	s_cbranch_execnz .LBB32_66
.LBB32_45:
	s_or_b32 exec_lo, exec_lo, s0
	s_and_saveexec_b32 s0, s4
	s_cbranch_execnz .LBB32_67
.LBB32_46:
	s_or_b32 exec_lo, exec_lo, s0
	s_and_saveexec_b32 s0, s5
	s_cbranch_execnz .LBB32_68
.LBB32_47:
	s_or_b32 exec_lo, exec_lo, s0
	s_and_saveexec_b32 s0, s6
	s_cbranch_execnz .LBB32_69
.LBB32_48:
	s_or_b32 exec_lo, exec_lo, s0
	s_and_saveexec_b32 s0, s7
	s_cbranch_execnz .LBB32_70
.LBB32_49:
	s_nop 0
	s_sendmsg sendmsg(MSG_DEALLOC_VGPRS)
	s_endpgm
.LBB32_50:
	ds_load_b64 v[19:20], v40
	s_or_b32 exec_lo, exec_lo, s10
	v_cmp_gt_u32_e64 s10, 32, v0
	s_delay_alu instid0(VALU_DEP_1)
	s_and_saveexec_b32 s12, s10
	s_cbranch_execz .LBB32_22
.LBB32_51:
	s_waitcnt lgkmcnt(0)
	ds_bpermute_b32 v21, v35, v19
	ds_bpermute_b32 v22, v35, v20
	s_waitcnt lgkmcnt(0)
	v_cmp_lt_f64_e64 s11, v[19:20], v[21:22]
	s_delay_alu instid0(VALU_DEP_1)
	v_cndmask_b32_e64 v20, v20, v22, s11
	v_cndmask_b32_e64 v19, v19, v21, s11
	ds_bpermute_b32 v22, v36, v20
	ds_bpermute_b32 v21, v36, v19
	s_waitcnt lgkmcnt(0)
	v_cmp_lt_f64_e64 s11, v[19:20], v[21:22]
	s_delay_alu instid0(VALU_DEP_1)
	v_cndmask_b32_e64 v20, v20, v22, s11
	v_cndmask_b32_e64 v19, v19, v21, s11
	;; [unrolled: 7-line block ×4, first 2 shown]
	ds_bpermute_b32 v22, v38, v20
	ds_bpermute_b32 v21, v38, v19
	s_waitcnt lgkmcnt(0)
	v_cmp_lt_f64_e64 s11, v[19:20], v[21:22]
	s_delay_alu instid0(VALU_DEP_1) | instskip(SKIP_3) | instid1(VALU_DEP_1)
	v_cndmask_b32_e64 v20, v20, v22, s11
	v_cndmask_b32_e64 v19, v19, v21, s11
	s_or_b32 exec_lo, exec_lo, s12
	v_cmp_eq_u32_e64 s11, 0, v0
	s_and_saveexec_b32 s12, s11
	s_cbranch_execnz .LBB32_23
	s_branch .LBB32_24
.LBB32_52:
	s_waitcnt lgkmcnt(0)
	v_add_f64 v[21:22], v[1:2], -v[19:20]
	s_mov_b32 s12, 0x652b82fe
	s_mov_b32 s13, 0x3ff71547
	;; [unrolled: 1-line block ×4, first 2 shown]
	s_delay_alu instid0(VALU_DEP_1) | instskip(SKIP_2) | instid1(VALU_DEP_1)
	v_mul_f64 v[23:24], v[21:22], s[12:13]
	s_mov_b32 s12, 0xfefa39ef
	s_mov_b32 s13, 0xbfe62e42
	v_rndne_f64_e32 v[23:24], v[23:24]
	s_delay_alu instid0(VALU_DEP_1) | instskip(SKIP_3) | instid1(VALU_DEP_2)
	v_fma_f64 v[41:42], v[23:24], s[12:13], v[21:22]
	s_mov_b32 s12, 0x3b39803f
	s_mov_b32 s13, 0xbc7abc9e
	v_cvt_i32_f64_e32 v0, v[23:24]
	v_fma_f64 v[41:42], v[23:24], s[12:13], v[41:42]
	s_mov_b32 s12, 0xfca7ab0c
	s_mov_b32 s13, 0x3e928af3
	s_delay_alu instid0(VALU_DEP_1) | instid1(SALU_CYCLE_1)
	v_fma_f64 v[43:44], v[41:42], s[20:21], s[12:13]
	s_mov_b32 s12, 0x623fde64
	s_mov_b32 s13, 0x3ec71dee
	s_delay_alu instid0(VALU_DEP_1) | instid1(SALU_CYCLE_1)
	;; [unrolled: 4-line block ×9, first 2 shown]
	v_fma_f64 v[43:44], v[41:42], v[43:44], s[12:13]
	v_cmp_nlt_f64_e64 s12, 0x40900000, v[21:22]
	v_cmp_ngt_f64_e64 s13, 0xc090cc00, v[21:22]
	s_delay_alu instid0(VALU_DEP_3) | instskip(NEXT) | instid1(VALU_DEP_1)
	v_fma_f64 v[43:44], v[41:42], v[43:44], 1.0
	v_fma_f64 v[23:24], v[41:42], v[43:44], 1.0
	s_delay_alu instid0(VALU_DEP_1) | instskip(NEXT) | instid1(VALU_DEP_1)
	v_ldexp_f64 v[23:24], v[23:24], v0
	v_add_f64 v[23:24], v[23:24], 0
	s_delay_alu instid0(VALU_DEP_1)
	v_cndmask_b32_e64 v0, 0x7ff00000, v24, s12
	s_and_b32 s12, s13, s12
	s_delay_alu instid0(VALU_DEP_2) | instid1(SALU_CYCLE_1)
	v_cndmask_b32_e64 v21, 0, v23, s12
	s_delay_alu instid0(VALU_DEP_2)
	v_cndmask_b32_e64 v22, 0, v0, s13
	s_or_b32 exec_lo, exec_lo, s18
	s_and_saveexec_b32 s18, s0
	s_cbranch_execz .LBB32_26
.LBB32_53:
	s_waitcnt lgkmcnt(0)
	v_add_f64 v[23:24], v[3:4], -v[19:20]
	s_mov_b32 s12, 0x652b82fe
	s_mov_b32 s13, 0x3ff71547
	;; [unrolled: 1-line block ×4, first 2 shown]
	s_delay_alu instid0(VALU_DEP_1) | instskip(SKIP_2) | instid1(VALU_DEP_1)
	v_mul_f64 v[41:42], v[23:24], s[12:13]
	s_mov_b32 s12, 0xfefa39ef
	s_mov_b32 s13, 0xbfe62e42
	v_rndne_f64_e32 v[41:42], v[41:42]
	s_delay_alu instid0(VALU_DEP_1) | instskip(SKIP_3) | instid1(VALU_DEP_2)
	v_fma_f64 v[43:44], v[41:42], s[12:13], v[23:24]
	s_mov_b32 s12, 0x3b39803f
	s_mov_b32 s13, 0xbc7abc9e
	v_cvt_i32_f64_e32 v0, v[41:42]
	v_fma_f64 v[43:44], v[41:42], s[12:13], v[43:44]
	s_mov_b32 s12, 0xfca7ab0c
	s_mov_b32 s13, 0x3e928af3
	s_delay_alu instid0(VALU_DEP_1) | instid1(SALU_CYCLE_1)
	v_fma_f64 v[45:46], v[43:44], s[20:21], s[12:13]
	s_mov_b32 s12, 0x623fde64
	s_mov_b32 s13, 0x3ec71dee
	s_delay_alu instid0(VALU_DEP_1) | instid1(SALU_CYCLE_1)
	;; [unrolled: 4-line block ×9, first 2 shown]
	v_fma_f64 v[45:46], v[43:44], v[45:46], s[12:13]
	v_cmp_nlt_f64_e64 s12, 0x40900000, v[23:24]
	v_cmp_ngt_f64_e64 s13, 0xc090cc00, v[23:24]
	s_delay_alu instid0(VALU_DEP_3) | instskip(NEXT) | instid1(VALU_DEP_1)
	v_fma_f64 v[45:46], v[43:44], v[45:46], 1.0
	v_fma_f64 v[41:42], v[43:44], v[45:46], 1.0
	s_delay_alu instid0(VALU_DEP_1) | instskip(NEXT) | instid1(VALU_DEP_1)
	v_ldexp_f64 v[41:42], v[41:42], v0
	v_cndmask_b32_e64 v0, 0x7ff00000, v42, s12
	s_and_b32 s12, s13, s12
	s_delay_alu instid0(VALU_DEP_2) | instid1(SALU_CYCLE_1)
	v_cndmask_b32_e64 v23, 0, v41, s12
	s_delay_alu instid0(VALU_DEP_2) | instskip(NEXT) | instid1(VALU_DEP_1)
	v_cndmask_b32_e64 v24, 0, v0, s13
	v_add_f64 v[21:22], v[21:22], v[23:24]
	s_or_b32 exec_lo, exec_lo, s18
	s_and_saveexec_b32 s18, s1
	s_cbranch_execz .LBB32_27
.LBB32_54:
	s_waitcnt lgkmcnt(0)
	v_add_f64 v[23:24], v[5:6], -v[19:20]
	s_mov_b32 s12, 0x652b82fe
	s_mov_b32 s13, 0x3ff71547
	s_mov_b32 s20, 0x6a5dcb37
	s_mov_b32 s21, 0x3e5ade15
	s_delay_alu instid0(VALU_DEP_1) | instskip(SKIP_2) | instid1(VALU_DEP_1)
	v_mul_f64 v[41:42], v[23:24], s[12:13]
	s_mov_b32 s12, 0xfefa39ef
	s_mov_b32 s13, 0xbfe62e42
	v_rndne_f64_e32 v[41:42], v[41:42]
	s_delay_alu instid0(VALU_DEP_1) | instskip(SKIP_3) | instid1(VALU_DEP_2)
	v_fma_f64 v[43:44], v[41:42], s[12:13], v[23:24]
	s_mov_b32 s12, 0x3b39803f
	s_mov_b32 s13, 0xbc7abc9e
	v_cvt_i32_f64_e32 v0, v[41:42]
	v_fma_f64 v[43:44], v[41:42], s[12:13], v[43:44]
	s_mov_b32 s12, 0xfca7ab0c
	s_mov_b32 s13, 0x3e928af3
	s_delay_alu instid0(VALU_DEP_1) | instid1(SALU_CYCLE_1)
	v_fma_f64 v[45:46], v[43:44], s[20:21], s[12:13]
	s_mov_b32 s12, 0x623fde64
	s_mov_b32 s13, 0x3ec71dee
	s_delay_alu instid0(VALU_DEP_1) | instid1(SALU_CYCLE_1)
	;; [unrolled: 4-line block ×9, first 2 shown]
	v_fma_f64 v[45:46], v[43:44], v[45:46], s[12:13]
	v_cmp_nlt_f64_e64 s12, 0x40900000, v[23:24]
	v_cmp_ngt_f64_e64 s13, 0xc090cc00, v[23:24]
	s_delay_alu instid0(VALU_DEP_3) | instskip(NEXT) | instid1(VALU_DEP_1)
	v_fma_f64 v[45:46], v[43:44], v[45:46], 1.0
	v_fma_f64 v[41:42], v[43:44], v[45:46], 1.0
	s_delay_alu instid0(VALU_DEP_1) | instskip(NEXT) | instid1(VALU_DEP_1)
	v_ldexp_f64 v[41:42], v[41:42], v0
	v_cndmask_b32_e64 v0, 0x7ff00000, v42, s12
	s_and_b32 s12, s13, s12
	s_delay_alu instid0(VALU_DEP_2) | instid1(SALU_CYCLE_1)
	v_cndmask_b32_e64 v23, 0, v41, s12
	s_delay_alu instid0(VALU_DEP_2) | instskip(NEXT) | instid1(VALU_DEP_1)
	v_cndmask_b32_e64 v24, 0, v0, s13
	v_add_f64 v[21:22], v[21:22], v[23:24]
	s_or_b32 exec_lo, exec_lo, s18
	s_and_saveexec_b32 s18, s2
	s_cbranch_execz .LBB32_28
.LBB32_55:
	s_waitcnt lgkmcnt(0)
	v_add_f64 v[23:24], v[7:8], -v[19:20]
	s_mov_b32 s12, 0x652b82fe
	s_mov_b32 s13, 0x3ff71547
	;; [unrolled: 1-line block ×4, first 2 shown]
	s_delay_alu instid0(VALU_DEP_1) | instskip(SKIP_2) | instid1(VALU_DEP_1)
	v_mul_f64 v[41:42], v[23:24], s[12:13]
	s_mov_b32 s12, 0xfefa39ef
	s_mov_b32 s13, 0xbfe62e42
	v_rndne_f64_e32 v[41:42], v[41:42]
	s_delay_alu instid0(VALU_DEP_1) | instskip(SKIP_3) | instid1(VALU_DEP_2)
	v_fma_f64 v[43:44], v[41:42], s[12:13], v[23:24]
	s_mov_b32 s12, 0x3b39803f
	s_mov_b32 s13, 0xbc7abc9e
	v_cvt_i32_f64_e32 v0, v[41:42]
	v_fma_f64 v[43:44], v[41:42], s[12:13], v[43:44]
	s_mov_b32 s12, 0xfca7ab0c
	s_mov_b32 s13, 0x3e928af3
	s_delay_alu instid0(VALU_DEP_1) | instid1(SALU_CYCLE_1)
	v_fma_f64 v[45:46], v[43:44], s[20:21], s[12:13]
	s_mov_b32 s12, 0x623fde64
	s_mov_b32 s13, 0x3ec71dee
	s_delay_alu instid0(VALU_DEP_1) | instid1(SALU_CYCLE_1)
	;; [unrolled: 4-line block ×9, first 2 shown]
	v_fma_f64 v[45:46], v[43:44], v[45:46], s[12:13]
	v_cmp_nlt_f64_e64 s12, 0x40900000, v[23:24]
	v_cmp_ngt_f64_e64 s13, 0xc090cc00, v[23:24]
	s_delay_alu instid0(VALU_DEP_3) | instskip(NEXT) | instid1(VALU_DEP_1)
	v_fma_f64 v[45:46], v[43:44], v[45:46], 1.0
	v_fma_f64 v[41:42], v[43:44], v[45:46], 1.0
	s_delay_alu instid0(VALU_DEP_1) | instskip(NEXT) | instid1(VALU_DEP_1)
	v_ldexp_f64 v[41:42], v[41:42], v0
	v_cndmask_b32_e64 v0, 0x7ff00000, v42, s12
	s_and_b32 s12, s13, s12
	s_delay_alu instid0(VALU_DEP_2) | instid1(SALU_CYCLE_1)
	v_cndmask_b32_e64 v23, 0, v41, s12
	s_delay_alu instid0(VALU_DEP_2) | instskip(NEXT) | instid1(VALU_DEP_1)
	v_cndmask_b32_e64 v24, 0, v0, s13
	v_add_f64 v[21:22], v[21:22], v[23:24]
	s_or_b32 exec_lo, exec_lo, s18
	s_and_saveexec_b32 s18, s3
	s_cbranch_execz .LBB32_29
.LBB32_56:
	s_waitcnt lgkmcnt(0)
	v_add_f64 v[23:24], v[9:10], -v[19:20]
	s_mov_b32 s12, 0x652b82fe
	s_mov_b32 s13, 0x3ff71547
	;; [unrolled: 1-line block ×4, first 2 shown]
	s_delay_alu instid0(VALU_DEP_1) | instskip(SKIP_2) | instid1(VALU_DEP_1)
	v_mul_f64 v[41:42], v[23:24], s[12:13]
	s_mov_b32 s12, 0xfefa39ef
	s_mov_b32 s13, 0xbfe62e42
	v_rndne_f64_e32 v[41:42], v[41:42]
	s_delay_alu instid0(VALU_DEP_1) | instskip(SKIP_3) | instid1(VALU_DEP_2)
	v_fma_f64 v[43:44], v[41:42], s[12:13], v[23:24]
	s_mov_b32 s12, 0x3b39803f
	s_mov_b32 s13, 0xbc7abc9e
	v_cvt_i32_f64_e32 v0, v[41:42]
	v_fma_f64 v[43:44], v[41:42], s[12:13], v[43:44]
	s_mov_b32 s12, 0xfca7ab0c
	s_mov_b32 s13, 0x3e928af3
	s_delay_alu instid0(VALU_DEP_1) | instid1(SALU_CYCLE_1)
	v_fma_f64 v[45:46], v[43:44], s[20:21], s[12:13]
	s_mov_b32 s12, 0x623fde64
	s_mov_b32 s13, 0x3ec71dee
	s_delay_alu instid0(VALU_DEP_1) | instid1(SALU_CYCLE_1)
	;; [unrolled: 4-line block ×9, first 2 shown]
	v_fma_f64 v[45:46], v[43:44], v[45:46], s[12:13]
	v_cmp_nlt_f64_e64 s12, 0x40900000, v[23:24]
	v_cmp_ngt_f64_e64 s13, 0xc090cc00, v[23:24]
	s_delay_alu instid0(VALU_DEP_3) | instskip(NEXT) | instid1(VALU_DEP_1)
	v_fma_f64 v[45:46], v[43:44], v[45:46], 1.0
	v_fma_f64 v[41:42], v[43:44], v[45:46], 1.0
	s_delay_alu instid0(VALU_DEP_1) | instskip(NEXT) | instid1(VALU_DEP_1)
	v_ldexp_f64 v[41:42], v[41:42], v0
	v_cndmask_b32_e64 v0, 0x7ff00000, v42, s12
	s_and_b32 s12, s13, s12
	s_delay_alu instid0(VALU_DEP_2) | instid1(SALU_CYCLE_1)
	v_cndmask_b32_e64 v23, 0, v41, s12
	s_delay_alu instid0(VALU_DEP_2) | instskip(NEXT) | instid1(VALU_DEP_1)
	v_cndmask_b32_e64 v24, 0, v0, s13
	v_add_f64 v[21:22], v[21:22], v[23:24]
	s_or_b32 exec_lo, exec_lo, s18
	s_and_saveexec_b32 s18, s4
	s_cbranch_execz .LBB32_30
.LBB32_57:
	s_waitcnt lgkmcnt(0)
	v_add_f64 v[23:24], v[11:12], -v[19:20]
	s_mov_b32 s12, 0x652b82fe
	s_mov_b32 s13, 0x3ff71547
	;; [unrolled: 1-line block ×4, first 2 shown]
	s_delay_alu instid0(VALU_DEP_1) | instskip(SKIP_2) | instid1(VALU_DEP_1)
	v_mul_f64 v[41:42], v[23:24], s[12:13]
	s_mov_b32 s12, 0xfefa39ef
	s_mov_b32 s13, 0xbfe62e42
	v_rndne_f64_e32 v[41:42], v[41:42]
	s_delay_alu instid0(VALU_DEP_1) | instskip(SKIP_3) | instid1(VALU_DEP_2)
	v_fma_f64 v[43:44], v[41:42], s[12:13], v[23:24]
	s_mov_b32 s12, 0x3b39803f
	s_mov_b32 s13, 0xbc7abc9e
	v_cvt_i32_f64_e32 v0, v[41:42]
	v_fma_f64 v[43:44], v[41:42], s[12:13], v[43:44]
	s_mov_b32 s12, 0xfca7ab0c
	s_mov_b32 s13, 0x3e928af3
	s_delay_alu instid0(VALU_DEP_1) | instid1(SALU_CYCLE_1)
	v_fma_f64 v[45:46], v[43:44], s[20:21], s[12:13]
	s_mov_b32 s12, 0x623fde64
	s_mov_b32 s13, 0x3ec71dee
	s_delay_alu instid0(VALU_DEP_1) | instid1(SALU_CYCLE_1)
	v_fma_f64 v[45:46], v[43:44], v[45:46], s[12:13]
	s_mov_b32 s12, 0x7c89e6b0
	s_mov_b32 s13, 0x3efa0199
	s_delay_alu instid0(VALU_DEP_1) | instid1(SALU_CYCLE_1)
	v_fma_f64 v[45:46], v[43:44], v[45:46], s[12:13]
	s_mov_b32 s12, 0x14761f6e
	s_mov_b32 s13, 0x3f2a01a0
	s_delay_alu instid0(VALU_DEP_1) | instid1(SALU_CYCLE_1)
	v_fma_f64 v[45:46], v[43:44], v[45:46], s[12:13]
	s_mov_b32 s12, 0x1852b7b0
	s_mov_b32 s13, 0x3f56c16c
	s_delay_alu instid0(VALU_DEP_1) | instid1(SALU_CYCLE_1)
	v_fma_f64 v[45:46], v[43:44], v[45:46], s[12:13]
	s_mov_b32 s12, 0x11122322
	s_mov_b32 s13, 0x3f811111
	s_delay_alu instid0(VALU_DEP_1) | instid1(SALU_CYCLE_1)
	v_fma_f64 v[45:46], v[43:44], v[45:46], s[12:13]
	s_mov_b32 s12, 0x555502a1
	s_mov_b32 s13, 0x3fa55555
	s_delay_alu instid0(VALU_DEP_1) | instid1(SALU_CYCLE_1)
	v_fma_f64 v[45:46], v[43:44], v[45:46], s[12:13]
	s_mov_b32 s12, 0x55555511
	s_mov_b32 s13, 0x3fc55555
	s_delay_alu instid0(VALU_DEP_1) | instid1(SALU_CYCLE_1)
	v_fma_f64 v[45:46], v[43:44], v[45:46], s[12:13]
	s_mov_b32 s12, 11
	s_mov_b32 s13, 0x3fe00000
	s_delay_alu instid0(VALU_DEP_1) | instid1(SALU_CYCLE_1)
	v_fma_f64 v[45:46], v[43:44], v[45:46], s[12:13]
	v_cmp_nlt_f64_e64 s12, 0x40900000, v[23:24]
	v_cmp_ngt_f64_e64 s13, 0xc090cc00, v[23:24]
	s_delay_alu instid0(VALU_DEP_3) | instskip(NEXT) | instid1(VALU_DEP_1)
	v_fma_f64 v[45:46], v[43:44], v[45:46], 1.0
	v_fma_f64 v[41:42], v[43:44], v[45:46], 1.0
	s_delay_alu instid0(VALU_DEP_1) | instskip(NEXT) | instid1(VALU_DEP_1)
	v_ldexp_f64 v[41:42], v[41:42], v0
	v_cndmask_b32_e64 v0, 0x7ff00000, v42, s12
	s_and_b32 s12, s13, s12
	s_delay_alu instid0(VALU_DEP_2) | instid1(SALU_CYCLE_1)
	v_cndmask_b32_e64 v23, 0, v41, s12
	s_delay_alu instid0(VALU_DEP_2) | instskip(NEXT) | instid1(VALU_DEP_1)
	v_cndmask_b32_e64 v24, 0, v0, s13
	v_add_f64 v[21:22], v[21:22], v[23:24]
	s_or_b32 exec_lo, exec_lo, s18
	s_and_saveexec_b32 s18, s5
	s_cbranch_execz .LBB32_31
.LBB32_58:
	s_waitcnt lgkmcnt(0)
	v_add_f64 v[23:24], v[13:14], -v[19:20]
	s_mov_b32 s12, 0x652b82fe
	s_mov_b32 s13, 0x3ff71547
	s_mov_b32 s20, 0x6a5dcb37
	s_mov_b32 s21, 0x3e5ade15
	s_delay_alu instid0(VALU_DEP_1) | instskip(SKIP_2) | instid1(VALU_DEP_1)
	v_mul_f64 v[41:42], v[23:24], s[12:13]
	s_mov_b32 s12, 0xfefa39ef
	s_mov_b32 s13, 0xbfe62e42
	v_rndne_f64_e32 v[41:42], v[41:42]
	s_delay_alu instid0(VALU_DEP_1) | instskip(SKIP_3) | instid1(VALU_DEP_2)
	v_fma_f64 v[43:44], v[41:42], s[12:13], v[23:24]
	s_mov_b32 s12, 0x3b39803f
	s_mov_b32 s13, 0xbc7abc9e
	v_cvt_i32_f64_e32 v0, v[41:42]
	v_fma_f64 v[43:44], v[41:42], s[12:13], v[43:44]
	s_mov_b32 s12, 0xfca7ab0c
	s_mov_b32 s13, 0x3e928af3
	s_delay_alu instid0(VALU_DEP_1) | instid1(SALU_CYCLE_1)
	v_fma_f64 v[45:46], v[43:44], s[20:21], s[12:13]
	s_mov_b32 s12, 0x623fde64
	s_mov_b32 s13, 0x3ec71dee
	s_delay_alu instid0(VALU_DEP_1) | instid1(SALU_CYCLE_1)
	;; [unrolled: 4-line block ×9, first 2 shown]
	v_fma_f64 v[45:46], v[43:44], v[45:46], s[12:13]
	v_cmp_nlt_f64_e64 s12, 0x40900000, v[23:24]
	v_cmp_ngt_f64_e64 s13, 0xc090cc00, v[23:24]
	s_delay_alu instid0(VALU_DEP_3) | instskip(NEXT) | instid1(VALU_DEP_1)
	v_fma_f64 v[45:46], v[43:44], v[45:46], 1.0
	v_fma_f64 v[41:42], v[43:44], v[45:46], 1.0
	s_delay_alu instid0(VALU_DEP_1) | instskip(NEXT) | instid1(VALU_DEP_1)
	v_ldexp_f64 v[41:42], v[41:42], v0
	v_cndmask_b32_e64 v0, 0x7ff00000, v42, s12
	s_and_b32 s12, s13, s12
	s_delay_alu instid0(VALU_DEP_2) | instid1(SALU_CYCLE_1)
	v_cndmask_b32_e64 v23, 0, v41, s12
	s_delay_alu instid0(VALU_DEP_2) | instskip(NEXT) | instid1(VALU_DEP_1)
	v_cndmask_b32_e64 v24, 0, v0, s13
	v_add_f64 v[21:22], v[21:22], v[23:24]
	s_or_b32 exec_lo, exec_lo, s18
	s_and_saveexec_b32 s18, s6
	s_cbranch_execz .LBB32_32
.LBB32_59:
	s_waitcnt lgkmcnt(0)
	v_add_f64 v[23:24], v[15:16], -v[19:20]
	s_mov_b32 s12, 0x652b82fe
	s_mov_b32 s13, 0x3ff71547
	s_mov_b32 s20, 0x6a5dcb37
	s_mov_b32 s21, 0x3e5ade15
	s_delay_alu instid0(VALU_DEP_1) | instskip(SKIP_2) | instid1(VALU_DEP_1)
	v_mul_f64 v[41:42], v[23:24], s[12:13]
	s_mov_b32 s12, 0xfefa39ef
	s_mov_b32 s13, 0xbfe62e42
	v_rndne_f64_e32 v[41:42], v[41:42]
	s_delay_alu instid0(VALU_DEP_1) | instskip(SKIP_3) | instid1(VALU_DEP_2)
	v_fma_f64 v[43:44], v[41:42], s[12:13], v[23:24]
	s_mov_b32 s12, 0x3b39803f
	s_mov_b32 s13, 0xbc7abc9e
	v_cvt_i32_f64_e32 v0, v[41:42]
	v_fma_f64 v[43:44], v[41:42], s[12:13], v[43:44]
	s_mov_b32 s12, 0xfca7ab0c
	s_mov_b32 s13, 0x3e928af3
	s_delay_alu instid0(VALU_DEP_1) | instid1(SALU_CYCLE_1)
	v_fma_f64 v[45:46], v[43:44], s[20:21], s[12:13]
	s_mov_b32 s12, 0x623fde64
	s_mov_b32 s13, 0x3ec71dee
	s_delay_alu instid0(VALU_DEP_1) | instid1(SALU_CYCLE_1)
	;; [unrolled: 4-line block ×9, first 2 shown]
	v_fma_f64 v[45:46], v[43:44], v[45:46], s[12:13]
	v_cmp_nlt_f64_e64 s12, 0x40900000, v[23:24]
	v_cmp_ngt_f64_e64 s13, 0xc090cc00, v[23:24]
	s_delay_alu instid0(VALU_DEP_3) | instskip(NEXT) | instid1(VALU_DEP_1)
	v_fma_f64 v[45:46], v[43:44], v[45:46], 1.0
	v_fma_f64 v[41:42], v[43:44], v[45:46], 1.0
	s_delay_alu instid0(VALU_DEP_1) | instskip(NEXT) | instid1(VALU_DEP_1)
	v_ldexp_f64 v[41:42], v[41:42], v0
	v_cndmask_b32_e64 v0, 0x7ff00000, v42, s12
	s_and_b32 s12, s13, s12
	s_delay_alu instid0(VALU_DEP_2) | instid1(SALU_CYCLE_1)
	v_cndmask_b32_e64 v23, 0, v41, s12
	s_delay_alu instid0(VALU_DEP_2) | instskip(NEXT) | instid1(VALU_DEP_1)
	v_cndmask_b32_e64 v24, 0, v0, s13
	v_add_f64 v[21:22], v[21:22], v[23:24]
	s_or_b32 exec_lo, exec_lo, s18
	s_and_saveexec_b32 s18, s7
	s_cbranch_execnz .LBB32_33
	s_branch .LBB32_34
.LBB32_60:
	ds_load_b64 v[21:22], v40
	s_or_b32 exec_lo, exec_lo, s8
	s_and_saveexec_b32 s8, s10
	s_cbranch_execz .LBB32_38
.LBB32_61:
	s_waitcnt lgkmcnt(0)
	ds_bpermute_b32 v23, v35, v21
	ds_bpermute_b32 v24, v35, v22
	s_waitcnt lgkmcnt(0)
	v_add_f64 v[21:22], v[21:22], v[23:24]
	ds_bpermute_b32 v23, v36, v21
	ds_bpermute_b32 v24, v36, v22
	s_waitcnt lgkmcnt(0)
	v_add_f64 v[21:22], v[21:22], v[23:24]
	;; [unrolled: 4-line block ×5, first 2 shown]
	s_or_b32 exec_lo, exec_lo, s8
	s_and_saveexec_b32 s8, s11
	s_cbranch_execnz .LBB32_39
	s_branch .LBB32_40
.LBB32_62:
	v_add_f64 v[0:1], v[1:2], -v[19:20]
	s_delay_alu instid0(VALU_DEP_1)
	v_add_f64 v[0:1], v[0:1], -v[21:22]
	global_store_b64 v37, v[0:1], s[10:11]
	s_or_b32 exec_lo, exec_lo, s8
	s_and_saveexec_b32 s8, s0
	s_cbranch_execz .LBB32_42
.LBB32_63:
	v_add_f64 v[0:1], v[3:4], -v[19:20]
	s_delay_alu instid0(VALU_DEP_1)
	v_add_f64 v[0:1], v[0:1], -v[21:22]
	global_store_b64 v25, v[0:1], s[10:11]
	s_or_b32 exec_lo, exec_lo, s8
	s_and_saveexec_b32 s0, s1
	s_cbranch_execz .LBB32_43
.LBB32_64:
	v_add_f64 v[0:1], v[5:6], -v[19:20]
	s_delay_alu instid0(VALU_DEP_1)
	v_add_f64 v[0:1], v[0:1], -v[21:22]
	global_store_b64 v26, v[0:1], s[10:11]
	s_or_b32 exec_lo, exec_lo, s0
	s_and_saveexec_b32 s0, s2
	s_cbranch_execz .LBB32_44
.LBB32_65:
	v_add_f64 v[0:1], v[7:8], -v[19:20]
	s_delay_alu instid0(VALU_DEP_1)
	v_add_f64 v[0:1], v[0:1], -v[21:22]
	global_store_b64 v27, v[0:1], s[10:11]
	s_or_b32 exec_lo, exec_lo, s0
	s_and_saveexec_b32 s0, s3
	s_cbranch_execz .LBB32_45
.LBB32_66:
	v_add_f64 v[0:1], v[9:10], -v[19:20]
	s_delay_alu instid0(VALU_DEP_1)
	v_add_f64 v[0:1], v[0:1], -v[21:22]
	global_store_b64 v28, v[0:1], s[10:11]
	s_or_b32 exec_lo, exec_lo, s0
	s_and_saveexec_b32 s0, s4
	s_cbranch_execz .LBB32_46
.LBB32_67:
	v_add_f64 v[0:1], v[11:12], -v[19:20]
	s_delay_alu instid0(VALU_DEP_1)
	v_add_f64 v[0:1], v[0:1], -v[21:22]
	global_store_b64 v29, v[0:1], s[10:11]
	s_or_b32 exec_lo, exec_lo, s0
	s_and_saveexec_b32 s0, s5
	s_cbranch_execz .LBB32_47
.LBB32_68:
	v_add_f64 v[0:1], v[13:14], -v[19:20]
	s_delay_alu instid0(VALU_DEP_1)
	v_add_f64 v[0:1], v[0:1], -v[21:22]
	global_store_b64 v30, v[0:1], s[10:11]
	s_or_b32 exec_lo, exec_lo, s0
	s_and_saveexec_b32 s0, s6
	s_cbranch_execz .LBB32_48
.LBB32_69:
	v_add_f64 v[0:1], v[15:16], -v[19:20]
	s_delay_alu instid0(VALU_DEP_1)
	v_add_f64 v[0:1], v[0:1], -v[21:22]
	global_store_b64 v31, v[0:1], s[10:11]
	s_or_b32 exec_lo, exec_lo, s0
	s_and_saveexec_b32 s0, s7
	s_cbranch_execz .LBB32_49
.LBB32_70:
	v_add_f64 v[0:1], v[17:18], -v[19:20]
	s_delay_alu instid0(VALU_DEP_1)
	v_add_f64 v[0:1], v[0:1], -v[21:22]
	global_store_b64 v32, v[0:1], s[10:11]
	s_nop 0
	s_sendmsg sendmsg(MSG_DEALLOC_VGPRS)
	s_endpgm
	.section	.rodata,"a",@progbits
	.p2align	6, 0x0
	.amdhsa_kernel _ZN2at6native12_GLOBAL__N_122cunn_SoftMaxForwardRegIdddNS1_25LogSoftMaxForwardEpilogueElLi9EEEvPT1_PKT_T3_
		.amdhsa_group_segment_fixed_size 0
		.amdhsa_private_segment_fixed_size 0
		.amdhsa_kernarg_size 280
		.amdhsa_user_sgpr_count 15
		.amdhsa_user_sgpr_dispatch_ptr 0
		.amdhsa_user_sgpr_queue_ptr 0
		.amdhsa_user_sgpr_kernarg_segment_ptr 1
		.amdhsa_user_sgpr_dispatch_id 0
		.amdhsa_user_sgpr_private_segment_size 0
		.amdhsa_wavefront_size32 1
		.amdhsa_uses_dynamic_stack 0
		.amdhsa_enable_private_segment 0
		.amdhsa_system_sgpr_workgroup_id_x 1
		.amdhsa_system_sgpr_workgroup_id_y 0
		.amdhsa_system_sgpr_workgroup_id_z 0
		.amdhsa_system_sgpr_workgroup_info 0
		.amdhsa_system_vgpr_workitem_id 0
		.amdhsa_next_free_vgpr 52
		.amdhsa_next_free_sgpr 22
		.amdhsa_reserve_vcc 1
		.amdhsa_float_round_mode_32 0
		.amdhsa_float_round_mode_16_64 0
		.amdhsa_float_denorm_mode_32 3
		.amdhsa_float_denorm_mode_16_64 3
		.amdhsa_dx10_clamp 1
		.amdhsa_ieee_mode 1
		.amdhsa_fp16_overflow 0
		.amdhsa_workgroup_processor_mode 1
		.amdhsa_memory_ordered 1
		.amdhsa_forward_progress 0
		.amdhsa_shared_vgpr_count 0
		.amdhsa_exception_fp_ieee_invalid_op 0
		.amdhsa_exception_fp_denorm_src 0
		.amdhsa_exception_fp_ieee_div_zero 0
		.amdhsa_exception_fp_ieee_overflow 0
		.amdhsa_exception_fp_ieee_underflow 0
		.amdhsa_exception_fp_ieee_inexact 0
		.amdhsa_exception_int_div_zero 0
	.end_amdhsa_kernel
	.section	.text._ZN2at6native12_GLOBAL__N_122cunn_SoftMaxForwardRegIdddNS1_25LogSoftMaxForwardEpilogueElLi9EEEvPT1_PKT_T3_,"axG",@progbits,_ZN2at6native12_GLOBAL__N_122cunn_SoftMaxForwardRegIdddNS1_25LogSoftMaxForwardEpilogueElLi9EEEvPT1_PKT_T3_,comdat
.Lfunc_end32:
	.size	_ZN2at6native12_GLOBAL__N_122cunn_SoftMaxForwardRegIdddNS1_25LogSoftMaxForwardEpilogueElLi9EEEvPT1_PKT_T3_, .Lfunc_end32-_ZN2at6native12_GLOBAL__N_122cunn_SoftMaxForwardRegIdddNS1_25LogSoftMaxForwardEpilogueElLi9EEEvPT1_PKT_T3_
                                        ; -- End function
	.section	.AMDGPU.csdata,"",@progbits
; Kernel info:
; codeLenInByte = 8036
; NumSgprs: 24
; NumVgprs: 52
; ScratchSize: 0
; MemoryBound: 0
; FloatMode: 240
; IeeeMode: 1
; LDSByteSize: 0 bytes/workgroup (compile time only)
; SGPRBlocks: 2
; VGPRBlocks: 6
; NumSGPRsForWavesPerEU: 24
; NumVGPRsForWavesPerEU: 52
; Occupancy: 16
; WaveLimiterHint : 0
; COMPUTE_PGM_RSRC2:SCRATCH_EN: 0
; COMPUTE_PGM_RSRC2:USER_SGPR: 15
; COMPUTE_PGM_RSRC2:TRAP_HANDLER: 0
; COMPUTE_PGM_RSRC2:TGID_X_EN: 1
; COMPUTE_PGM_RSRC2:TGID_Y_EN: 0
; COMPUTE_PGM_RSRC2:TGID_Z_EN: 0
; COMPUTE_PGM_RSRC2:TIDIG_COMP_CNT: 0
	.section	.text._ZN2at6native12_GLOBAL__N_123cunn_SoftMaxForwardSmemILi2EdddNS1_25LogSoftMaxForwardEpilogueElEEvPT2_PKT0_T4_,"axG",@progbits,_ZN2at6native12_GLOBAL__N_123cunn_SoftMaxForwardSmemILi2EdddNS1_25LogSoftMaxForwardEpilogueElEEvPT2_PKT0_T4_,comdat
	.globl	_ZN2at6native12_GLOBAL__N_123cunn_SoftMaxForwardSmemILi2EdddNS1_25LogSoftMaxForwardEpilogueElEEvPT2_PKT0_T4_ ; -- Begin function _ZN2at6native12_GLOBAL__N_123cunn_SoftMaxForwardSmemILi2EdddNS1_25LogSoftMaxForwardEpilogueElEEvPT2_PKT0_T4_
	.p2align	8
	.type	_ZN2at6native12_GLOBAL__N_123cunn_SoftMaxForwardSmemILi2EdddNS1_25LogSoftMaxForwardEpilogueElEEvPT2_PKT0_T4_,@function
_ZN2at6native12_GLOBAL__N_123cunn_SoftMaxForwardSmemILi2EdddNS1_25LogSoftMaxForwardEpilogueElEEvPT2_PKT0_T4_: ; @_ZN2at6native12_GLOBAL__N_123cunn_SoftMaxForwardSmemILi2EdddNS1_25LogSoftMaxForwardEpilogueElEEvPT2_PKT0_T4_
; %bb.0:
	s_clause 0x1
	s_load_b64 s[12:13], s[0:1], 0x10
	s_load_b128 s[8:11], s[0:1], 0x0
	v_dual_mov_b32 v1, 0 :: v_dual_lshlrev_b32 v2, 1, v0
	s_mov_b32 s2, -1
	s_mov_b32 s3, 0xffefffff
	s_delay_alu instid0(VALU_DEP_1) | instskip(SKIP_2) | instid1(VALU_DEP_1)
	v_dual_mov_b32 v3, v1 :: v_dual_lshlrev_b32 v8, 4, v0
	s_mov_b32 s4, 0
	s_waitcnt lgkmcnt(0)
	v_cmp_gt_i64_e32 vcc_lo, s[12:13], v[2:3]
	v_dual_mov_b32 v2, s2 :: v_dual_mov_b32 v3, s3
	s_mul_i32 s33, s13, s15
	s_mul_hi_u32 s42, s12, s15
	s_mul_i32 s14, s12, s15
	s_and_saveexec_b32 s5, vcc_lo
	s_cbranch_execz .LBB33_4
; %bb.1:
	s_load_b32 s6, s[0:1], 0x24
	s_add_i32 s15, s42, s33
	v_dual_mov_b32 v2, s2 :: v_dual_add_nc_u32 v9, 0, v8
	s_lshl_b64 s[16:17], s[14:15], 3
	v_mov_b32_e32 v3, s3
	v_dual_mov_b32 v7, v1 :: v_dual_mov_b32 v6, v0
	s_waitcnt lgkmcnt(0)
	s_and_b32 s6, s6, 0xffff
	s_add_u32 s7, s10, s16
	s_addc_u32 s10, s11, s17
	v_add_co_u32 v4, s7, s7, v8
	s_delay_alu instid0(VALU_DEP_1) | instskip(SKIP_1) | instid1(VALU_DEP_2)
	v_add_co_ci_u32_e64 v5, null, s10, 0, s7
	s_lshl_b32 s7, s6, 4
	v_add_co_u32 v4, s2, v4, 8
	s_delay_alu instid0(VALU_DEP_1)
	v_add_co_ci_u32_e64 v5, s2, 0, v5, s2
	.p2align	6
.LBB33_2:                               ; =>This Inner Loop Header: Depth=1
	global_load_b128 v[10:13], v[4:5], off offset:-8
	v_max_f64 v[2:3], v[2:3], v[2:3]
	v_add_co_u32 v6, s2, v6, s6
	s_delay_alu instid0(VALU_DEP_1) | instskip(SKIP_1) | instid1(VALU_DEP_1)
	v_add_co_ci_u32_e64 v7, s2, 0, v7, s2
	v_add_co_u32 v4, s2, v4, s7
	v_add_co_ci_u32_e64 v5, s2, 0, v5, s2
	s_waitcnt vmcnt(0)
	v_max_f64 v[14:15], v[10:11], v[10:11]
	v_max_f64 v[16:17], v[12:13], v[12:13]
	ds_store_b128 v9, v[10:13]
	v_add_nc_u32_e32 v9, s7, v9
	v_max_f64 v[2:3], v[2:3], v[14:15]
	v_lshlrev_b64 v[14:15], 1, v[6:7]
	s_delay_alu instid0(VALU_DEP_1) | instskip(NEXT) | instid1(VALU_DEP_1)
	v_cmp_le_i64_e64 s3, s[12:13], v[14:15]
	s_or_b32 s4, s3, s4
	s_delay_alu instid0(VALU_DEP_3)
	v_max_f64 v[2:3], v[2:3], v[16:17]
	s_and_not1_b32 exec_lo, exec_lo, s4
	s_cbranch_execnz .LBB33_2
; %bb.3:
	s_or_b32 exec_lo, exec_lo, s4
.LBB33_4:
	s_delay_alu instid0(SALU_CYCLE_1)
	s_or_b32 exec_lo, exec_lo, s5
	v_mbcnt_lo_u32_b32 v6, -1, 0
	v_lshrrev_b32_e32 v14, 2, v0
	s_mov_b32 s4, -1
	s_waitcnt lgkmcnt(0)
	s_barrier
	v_cmp_gt_u32_e64 s2, 16, v6
	v_cmp_gt_u32_e64 s3, 24, v6
	buffer_gl0_inv
	v_cndmask_b32_e64 v4, 0, 1, s2
	v_cndmask_b32_e64 v7, 0, 1, s3
	v_cmp_gt_u32_e64 s3, 28, v6
	s_delay_alu instid0(VALU_DEP_3) | instskip(NEXT) | instid1(VALU_DEP_3)
	v_lshlrev_b32_e32 v4, 4, v4
	v_lshlrev_b32_e32 v7, 3, v7
	s_delay_alu instid0(VALU_DEP_2) | instskip(NEXT) | instid1(VALU_DEP_2)
	v_add_lshl_u32 v9, v4, v6, 2
	v_add_lshl_u32 v10, v7, v6, 2
	v_cndmask_b32_e64 v7, 0, 1, s3
	v_cmp_gt_u32_e64 s3, 30, v6
	ds_bpermute_b32 v4, v9, v2
	ds_bpermute_b32 v5, v9, v3
	v_lshlrev_b32_e32 v7, 2, v7
	s_delay_alu instid0(VALU_DEP_1) | instskip(SKIP_2) | instid1(VALU_DEP_2)
	v_add_lshl_u32 v11, v7, v6, 2
	v_cndmask_b32_e64 v7, 0, 1, s3
	v_cmp_ne_u32_e64 s3, 31, v6
	v_lshlrev_b32_e32 v7, 1, v7
	s_delay_alu instid0(VALU_DEP_1) | instskip(NEXT) | instid1(VALU_DEP_3)
	v_add_lshl_u32 v12, v7, v6, 2
	v_add_co_ci_u32_e64 v6, s3, 0, v6, s3
	s_waitcnt lgkmcnt(0)
	v_cmp_lt_f64_e64 s2, v[2:3], v[4:5]
	s_delay_alu instid0(VALU_DEP_2) | instskip(SKIP_1) | instid1(VALU_DEP_3)
	v_lshlrev_b32_e32 v13, 2, v6
	v_and_b32_e32 v6, 31, v0
	v_cndmask_b32_e64 v3, v3, v5, s2
	v_cndmask_b32_e64 v2, v2, v4, s2
	ds_bpermute_b32 v5, v10, v3
	ds_bpermute_b32 v4, v10, v2
	s_waitcnt lgkmcnt(0)
	v_cmp_lt_f64_e64 s2, v[2:3], v[4:5]
	s_delay_alu instid0(VALU_DEP_1)
	v_cndmask_b32_e64 v3, v3, v5, s2
	v_cndmask_b32_e64 v2, v2, v4, s2
	ds_bpermute_b32 v5, v11, v3
	ds_bpermute_b32 v4, v11, v2
	s_waitcnt lgkmcnt(0)
	v_cmp_lt_f64_e64 s2, v[2:3], v[4:5]
	s_delay_alu instid0(VALU_DEP_1)
	v_cndmask_b32_e64 v3, v3, v5, s2
	v_cndmask_b32_e64 v2, v2, v4, s2
	ds_bpermute_b32 v5, v12, v3
	ds_bpermute_b32 v4, v12, v2
	s_waitcnt lgkmcnt(0)
	v_cmp_lt_f64_e64 s2, v[2:3], v[4:5]
	s_delay_alu instid0(VALU_DEP_1) | instskip(SKIP_2) | instid1(SALU_CYCLE_1)
	v_cndmask_b32_e64 v3, v3, v5, s2
	v_cndmask_b32_e64 v2, v2, v4, s2
	s_lshl_b32 s2, s12, 3
	s_add_i32 s15, s2, 0
	ds_bpermute_b32 v5, v13, v3
	ds_bpermute_b32 v4, v13, v2
	v_cmp_eq_u32_e64 s2, 0, v6
	s_delay_alu instid0(VALU_DEP_1)
	s_and_saveexec_b32 s5, s2
	s_cbranch_execz .LBB33_6
; %bb.5:
	s_waitcnt lgkmcnt(0)
	v_cmp_lt_f64_e64 s3, v[2:3], v[4:5]
	v_add_nc_u32_e32 v7, s15, v14
	s_delay_alu instid0(VALU_DEP_2)
	v_cndmask_b32_e64 v3, v3, v5, s3
	v_cndmask_b32_e64 v2, v2, v4, s3
	ds_store_b64 v7, v[2:3]
.LBB33_6:
	s_or_b32 exec_lo, exec_lo, s5
	s_waitcnt lgkmcnt(0)
	s_barrier
	buffer_gl0_inv
	s_load_b32 s6, s[0:1], 0x24
	s_mov_b32 s5, 0xffefffff
	s_delay_alu instid0(SALU_CYCLE_1) | instskip(SKIP_3) | instid1(SALU_CYCLE_1)
	v_dual_mov_b32 v2, s4 :: v_dual_mov_b32 v3, s5
	v_lshl_add_u32 v15, v6, 3, s15
	s_waitcnt lgkmcnt(0)
	s_bfe_u32 s0, s6, 0xb0005
	v_cmp_gt_u32_e64 s0, s0, v0
	s_delay_alu instid0(VALU_DEP_1)
	s_and_saveexec_b32 s1, s0
	s_cbranch_execnz .LBB33_24
; %bb.7:
	s_or_b32 exec_lo, exec_lo, s1
	v_cmp_gt_u32_e64 s1, 32, v0
	s_delay_alu instid0(VALU_DEP_1)
	s_and_saveexec_b32 s4, s1
	s_cbranch_execnz .LBB33_25
.LBB33_8:
	s_or_b32 exec_lo, exec_lo, s4
	v_cmp_eq_u32_e64 s3, 0, v0
	s_delay_alu instid0(VALU_DEP_1)
	s_and_saveexec_b32 s4, s3
	s_cbranch_execz .LBB33_10
.LBB33_9:
	v_mov_b32_e32 v4, s15
	s_waitcnt lgkmcnt(0)
	ds_store_b64 v4, v[2:3]
.LBB33_10:
	s_or_b32 exec_lo, exec_lo, s4
	s_waitcnt lgkmcnt(0)
	v_mov_b32_e32 v2, s15
	v_mov_b32_e32 v4, 0
	;; [unrolled: 1-line block ×3, first 2 shown]
	s_barrier
	buffer_gl0_inv
	ds_load_b64 v[2:3], v2
	s_and_b32 s43, s6, 0xffff
	s_and_saveexec_b32 s44, vcc_lo
	s_cbranch_execz .LBB33_14
; %bb.11:
	v_dual_mov_b32 v4, 0 :: v_dual_mov_b32 v7, v1
	v_lshl_add_u32 v16, v0, 4, 0
	v_dual_mov_b32 v5, 0 :: v_dual_mov_b32 v6, v0
	s_mov_b32 s10, 0x652b82fe
	s_mov_b32 s16, 0xfefa39ef
	;; [unrolled: 1-line block ×27, first 2 shown]
	s_lshl_b32 s46, s43, 4
.LBB33_12:                              ; =>This Inner Loop Header: Depth=1
	ds_load_b128 v[17:20], v16
	v_add_nc_u32_e32 v16, s46, v16
	s_waitcnt lgkmcnt(0)
	v_add_f64 v[17:18], v[17:18], -v[2:3]
	v_add_f64 v[19:20], v[19:20], -v[2:3]
	s_delay_alu instid0(VALU_DEP_2) | instskip(NEXT) | instid1(VALU_DEP_2)
	v_mul_f64 v[21:22], v[17:18], s[10:11]
	v_mul_f64 v[23:24], v[19:20], s[10:11]
	v_cmp_nlt_f64_e64 s4, 0x40900000, v[17:18]
	v_cmp_ngt_f64_e64 s5, 0xc090cc00, v[17:18]
	v_cmp_nlt_f64_e64 s6, 0x40900000, v[19:20]
	v_cmp_ngt_f64_e64 s7, 0xc090cc00, v[19:20]
	v_rndne_f64_e32 v[21:22], v[21:22]
	v_rndne_f64_e32 v[23:24], v[23:24]
	s_delay_alu instid0(VALU_DEP_2) | instskip(NEXT) | instid1(VALU_DEP_2)
	v_fma_f64 v[25:26], v[21:22], s[16:17], v[17:18]
	v_fma_f64 v[27:28], v[23:24], s[16:17], v[19:20]
	v_cvt_i32_f64_e32 v33, v[21:22]
	s_delay_alu instid0(VALU_DEP_3) | instskip(NEXT) | instid1(VALU_DEP_3)
	v_fma_f64 v[25:26], v[21:22], s[18:19], v[25:26]
	v_fma_f64 v[27:28], v[23:24], s[18:19], v[27:28]
	s_delay_alu instid0(VALU_DEP_2) | instskip(NEXT) | instid1(VALU_DEP_2)
	v_fma_f64 v[29:30], v[25:26], s[22:23], s[20:21]
	v_fma_f64 v[31:32], v[27:28], s[22:23], s[20:21]
	s_delay_alu instid0(VALU_DEP_2) | instskip(NEXT) | instid1(VALU_DEP_2)
	;; [unrolled: 3-line block ×10, first 2 shown]
	v_fma_f64 v[29:30], v[25:26], v[29:30], 1.0
	v_fma_f64 v[21:22], v[27:28], v[31:32], 1.0
	s_delay_alu instid0(VALU_DEP_2) | instskip(SKIP_1) | instid1(VALU_DEP_3)
	v_fma_f64 v[25:26], v[25:26], v[29:30], 1.0
	v_cvt_i32_f64_e32 v29, v[23:24]
	v_fma_f64 v[21:22], v[27:28], v[21:22], 1.0
	s_delay_alu instid0(VALU_DEP_3) | instskip(NEXT) | instid1(VALU_DEP_2)
	v_ldexp_f64 v[23:24], v[25:26], v33
	v_ldexp_f64 v[21:22], v[21:22], v29
	s_delay_alu instid0(VALU_DEP_2) | instskip(SKIP_1) | instid1(VALU_DEP_2)
	v_cndmask_b32_e64 v24, 0x7ff00000, v24, s4
	s_and_b32 s4, s5, s4
	v_cndmask_b32_e64 v22, 0x7ff00000, v22, s6
	s_delay_alu instid0(VALU_DEP_4) | instskip(SKIP_2) | instid1(VALU_DEP_1)
	v_cndmask_b32_e64 v17, 0, v23, s4
	s_and_b32 s4, s7, s6
	v_cndmask_b32_e64 v18, 0, v24, s5
	v_add_f64 v[4:5], v[4:5], v[17:18]
	v_cndmask_b32_e64 v18, 0, v22, s7
	v_cndmask_b32_e64 v17, 0, v21, s4
	v_add_co_u32 v6, s4, v6, s43
	s_delay_alu instid0(VALU_DEP_1) | instskip(NEXT) | instid1(VALU_DEP_3)
	v_add_co_ci_u32_e64 v7, s4, 0, v7, s4
	v_add_f64 v[4:5], v[4:5], v[17:18]
	s_delay_alu instid0(VALU_DEP_2) | instskip(NEXT) | instid1(VALU_DEP_1)
	v_lshlrev_b64 v[17:18], 1, v[6:7]
	v_cmp_le_i64_e64 s4, s[12:13], v[17:18]
	s_delay_alu instid0(VALU_DEP_1) | instskip(NEXT) | instid1(SALU_CYCLE_1)
	s_or_b32 s45, s4, s45
	s_and_not1_b32 exec_lo, exec_lo, s45
	s_cbranch_execnz .LBB33_12
; %bb.13:
	s_or_b32 exec_lo, exec_lo, s45
.LBB33_14:
	s_delay_alu instid0(SALU_CYCLE_1)
	s_or_b32 exec_lo, exec_lo, s44
	ds_bpermute_b32 v6, v9, v4
	ds_bpermute_b32 v7, v9, v5
	s_waitcnt lgkmcnt(0)
	s_barrier
	buffer_gl0_inv
	v_add_f64 v[4:5], v[4:5], v[6:7]
	ds_bpermute_b32 v6, v10, v4
	ds_bpermute_b32 v7, v10, v5
	s_waitcnt lgkmcnt(0)
	v_add_f64 v[4:5], v[4:5], v[6:7]
	ds_bpermute_b32 v6, v11, v4
	ds_bpermute_b32 v7, v11, v5
	s_waitcnt lgkmcnt(0)
	;; [unrolled: 4-line block ×3, first 2 shown]
	v_add_f64 v[4:5], v[4:5], v[6:7]
	ds_bpermute_b32 v6, v13, v4
	ds_bpermute_b32 v7, v13, v5
	s_and_saveexec_b32 s4, s2
	s_cbranch_execz .LBB33_16
; %bb.15:
	s_waitcnt lgkmcnt(0)
	v_add_f64 v[4:5], v[4:5], v[6:7]
	v_add_nc_u32_e32 v6, s15, v14
	ds_store_b64 v6, v[4:5]
.LBB33_16:
	s_or_b32 exec_lo, exec_lo, s4
	v_mov_b32_e32 v4, 0
	v_mov_b32_e32 v5, 0
	s_waitcnt lgkmcnt(0)
	s_barrier
	buffer_gl0_inv
	s_and_saveexec_b32 s2, s0
	s_cbranch_execnz .LBB33_26
; %bb.17:
	s_or_b32 exec_lo, exec_lo, s2
	s_and_saveexec_b32 s0, s1
	s_cbranch_execnz .LBB33_27
.LBB33_18:
	s_or_b32 exec_lo, exec_lo, s0
	s_and_saveexec_b32 s0, s3
	s_cbranch_execz .LBB33_20
.LBB33_19:
	v_mov_b32_e32 v6, s15
	s_waitcnt lgkmcnt(0)
	ds_store_b64 v6, v[4:5]
.LBB33_20:
	s_or_b32 exec_lo, exec_lo, s0
	s_waitcnt lgkmcnt(0)
	s_barrier
	buffer_gl0_inv
	s_and_saveexec_b32 s0, vcc_lo
	s_cbranch_execz .LBB33_23
; %bb.21:
	v_mov_b32_e32 v4, s15
	s_mov_b32 s1, 0x3fe55555
	s_mov_b32 s0, 0x55555555
	;; [unrolled: 1-line block ×4, first 2 shown]
	ds_load_b64 v[9:10], v4
	s_mov_b32 s6, 0xbf559e2b
	s_mov_b32 s5, 0x3fc38538
	;; [unrolled: 1-line block ×3, first 2 shown]
	s_waitcnt lgkmcnt(0)
	v_frexp_mant_f64_e32 v[4:5], v[9:10]
	v_frexp_exp_i32_f64_e32 v6, v[9:10]
	s_delay_alu instid0(VALU_DEP_2) | instskip(SKIP_2) | instid1(VALU_DEP_2)
	v_cmp_gt_f64_e32 vcc_lo, s[0:1], v[4:5]
	s_and_b32 s0, vcc_lo, exec_lo
	s_cselect_b32 s3, 2.0, 0x3ff00000
	v_subrev_co_ci_u32_e64 v21, s0, 0, v6, vcc_lo
	v_mul_f64 v[4:5], v[4:5], s[2:3]
	s_mov_b32 s0, 0x55555780
	v_cmp_class_f64_e64 vcc_lo, v[9:10], 0x204
	s_add_i32 s15, s42, s33
	s_delay_alu instid0(VALU_DEP_2) | instskip(SKIP_1) | instid1(VALU_DEP_2)
	v_add_f64 v[6:7], v[4:5], 1.0
	v_add_f64 v[15:16], v[4:5], -1.0
	v_rcp_f64_e32 v[11:12], v[6:7]
	v_add_f64 v[17:18], v[6:7], -1.0
	s_delay_alu instid0(VALU_DEP_1) | instskip(SKIP_2) | instid1(VALU_DEP_1)
	v_add_f64 v[4:5], v[4:5], -v[17:18]
	s_waitcnt_depctr 0xfff
	v_fma_f64 v[13:14], -v[6:7], v[11:12], 1.0
	v_fma_f64 v[11:12], v[13:14], v[11:12], v[11:12]
	s_delay_alu instid0(VALU_DEP_1) | instskip(NEXT) | instid1(VALU_DEP_1)
	v_fma_f64 v[13:14], -v[6:7], v[11:12], 1.0
	v_fma_f64 v[11:12], v[13:14], v[11:12], v[11:12]
	s_delay_alu instid0(VALU_DEP_1) | instskip(NEXT) | instid1(VALU_DEP_1)
	v_mul_f64 v[13:14], v[15:16], v[11:12]
	v_mul_f64 v[19:20], v[6:7], v[13:14]
	s_delay_alu instid0(VALU_DEP_1) | instskip(NEXT) | instid1(VALU_DEP_1)
	v_fma_f64 v[6:7], v[13:14], v[6:7], -v[19:20]
	v_fma_f64 v[4:5], v[13:14], v[4:5], v[6:7]
	s_delay_alu instid0(VALU_DEP_1) | instskip(NEXT) | instid1(VALU_DEP_1)
	v_add_f64 v[6:7], v[19:20], v[4:5]
	v_add_f64 v[17:18], v[15:16], -v[6:7]
	v_add_f64 v[19:20], v[6:7], -v[19:20]
	s_delay_alu instid0(VALU_DEP_2) | instskip(NEXT) | instid1(VALU_DEP_2)
	v_add_f64 v[15:16], v[15:16], -v[17:18]
	v_add_f64 v[4:5], v[19:20], -v[4:5]
	s_delay_alu instid0(VALU_DEP_2) | instskip(NEXT) | instid1(VALU_DEP_1)
	v_add_f64 v[6:7], v[15:16], -v[6:7]
	v_add_f64 v[4:5], v[4:5], v[6:7]
	s_delay_alu instid0(VALU_DEP_1) | instskip(NEXT) | instid1(VALU_DEP_1)
	v_add_f64 v[4:5], v[17:18], v[4:5]
	v_mul_f64 v[4:5], v[11:12], v[4:5]
	s_delay_alu instid0(VALU_DEP_1) | instskip(NEXT) | instid1(VALU_DEP_1)
	v_add_f64 v[6:7], v[13:14], v[4:5]
	v_mul_f64 v[11:12], v[6:7], v[6:7]
	s_delay_alu instid0(VALU_DEP_1) | instskip(SKIP_3) | instid1(VALU_DEP_2)
	v_fma_f64 v[15:16], v[11:12], s[6:7], s[4:5]
	s_mov_b32 s4, 0xd7f4df2e
	s_mov_b32 s5, 0x3fc7474d
	v_mul_f64 v[17:18], v[6:7], v[11:12]
	v_fma_f64 v[15:16], v[11:12], v[15:16], s[4:5]
	s_mov_b32 s4, 0x16291751
	s_mov_b32 s5, 0x3fcc71c0
	s_delay_alu instid0(VALU_DEP_1) | instid1(SALU_CYCLE_1)
	v_fma_f64 v[15:16], v[11:12], v[15:16], s[4:5]
	s_mov_b32 s4, 0x9b27acf1
	s_mov_b32 s5, 0x3fd24924
	s_delay_alu instid0(VALU_DEP_1) | instid1(SALU_CYCLE_1)
	;; [unrolled: 4-line block ×3, first 2 shown]
	v_fma_f64 v[15:16], v[11:12], v[15:16], s[4:5]
	s_delay_alu instid0(VALU_DEP_1) | instskip(SKIP_4) | instid1(VALU_DEP_3)
	v_fma_f64 v[11:12], v[11:12], v[15:16], s[0:1]
	v_ldexp_f64 v[15:16], v[6:7], 1
	v_add_f64 v[6:7], v[6:7], -v[13:14]
	s_mov_b32 s0, 0xfefa39ef
	s_mov_b32 s1, 0x3fe62e42
	v_mul_f64 v[11:12], v[17:18], v[11:12]
	v_cvt_f64_i32_e32 v[17:18], v21
	s_delay_alu instid0(VALU_DEP_3) | instskip(NEXT) | instid1(VALU_DEP_3)
	v_add_f64 v[4:5], v[4:5], -v[6:7]
	v_add_f64 v[13:14], v[15:16], v[11:12]
	s_delay_alu instid0(VALU_DEP_3) | instskip(NEXT) | instid1(VALU_DEP_3)
	v_mul_f64 v[19:20], v[17:18], s[0:1]
	v_ldexp_f64 v[4:5], v[4:5], 1
	s_delay_alu instid0(VALU_DEP_3) | instskip(NEXT) | instid1(VALU_DEP_3)
	v_add_f64 v[6:7], v[13:14], -v[15:16]
	v_fma_f64 v[15:16], v[17:18], s[0:1], -v[19:20]
	s_mov_b32 s0, 0x3b39803f
	s_mov_b32 s1, 0x3c7abc9e
	s_delay_alu instid0(VALU_DEP_2) | instskip(NEXT) | instid1(VALU_DEP_2)
	v_add_f64 v[6:7], v[11:12], -v[6:7]
	v_fma_f64 v[11:12], v[17:18], s[0:1], v[15:16]
	s_lshl_b64 s[0:1], s[14:15], 3
	s_delay_alu instid0(SALU_CYCLE_1) | instskip(SKIP_1) | instid1(VALU_DEP_2)
	s_add_u32 s0, s8, s0
	s_addc_u32 s1, s9, s1
	v_add_f64 v[4:5], v[4:5], v[6:7]
	s_delay_alu instid0(VALU_DEP_2) | instskip(NEXT) | instid1(VALU_DEP_2)
	v_add_f64 v[6:7], v[19:20], v[11:12]
	v_add_f64 v[15:16], v[13:14], v[4:5]
	s_delay_alu instid0(VALU_DEP_2) | instskip(NEXT) | instid1(VALU_DEP_2)
	v_add_f64 v[19:20], v[6:7], -v[19:20]
	v_add_f64 v[17:18], v[6:7], v[15:16]
	v_add_f64 v[13:14], v[15:16], -v[13:14]
	s_delay_alu instid0(VALU_DEP_3) | instskip(NEXT) | instid1(VALU_DEP_3)
	v_add_f64 v[11:12], v[11:12], -v[19:20]
	v_add_f64 v[21:22], v[17:18], -v[6:7]
	s_delay_alu instid0(VALU_DEP_3) | instskip(NEXT) | instid1(VALU_DEP_2)
	v_add_f64 v[4:5], v[4:5], -v[13:14]
	v_add_f64 v[23:24], v[17:18], -v[21:22]
	;; [unrolled: 1-line block ×3, first 2 shown]
	s_delay_alu instid0(VALU_DEP_3) | instskip(NEXT) | instid1(VALU_DEP_3)
	v_add_f64 v[15:16], v[11:12], v[4:5]
	v_add_f64 v[6:7], v[6:7], -v[23:24]
	s_delay_alu instid0(VALU_DEP_1) | instskip(NEXT) | instid1(VALU_DEP_3)
	v_add_f64 v[6:7], v[13:14], v[6:7]
	v_add_f64 v[13:14], v[15:16], -v[11:12]
	s_delay_alu instid0(VALU_DEP_2) | instskip(NEXT) | instid1(VALU_DEP_2)
	v_add_f64 v[6:7], v[15:16], v[6:7]
	v_add_f64 v[15:16], v[15:16], -v[13:14]
	v_add_f64 v[4:5], v[4:5], -v[13:14]
	s_delay_alu instid0(VALU_DEP_3) | instskip(NEXT) | instid1(VALU_DEP_3)
	v_add_f64 v[19:20], v[17:18], v[6:7]
	v_add_f64 v[11:12], v[11:12], -v[15:16]
	s_delay_alu instid0(VALU_DEP_2) | instskip(NEXT) | instid1(VALU_DEP_2)
	v_add_f64 v[13:14], v[19:20], -v[17:18]
	v_add_f64 v[4:5], v[4:5], v[11:12]
	s_delay_alu instid0(VALU_DEP_2) | instskip(NEXT) | instid1(VALU_DEP_1)
	v_add_f64 v[6:7], v[6:7], -v[13:14]
	v_add_f64 v[4:5], v[4:5], v[6:7]
	s_delay_alu instid0(VALU_DEP_1) | instskip(NEXT) | instid1(VALU_DEP_1)
	v_add_f64 v[4:5], v[19:20], v[4:5]
	v_cndmask_b32_e32 v6, v4, v9, vcc_lo
	s_delay_alu instid0(VALU_DEP_2) | instskip(SKIP_2) | instid1(VALU_DEP_1)
	v_cndmask_b32_e32 v4, v5, v10, vcc_lo
	v_cmp_ngt_f64_e32 vcc_lo, 0, v[9:10]
	v_add_co_u32 v5, s0, s0, v8
	v_add_co_ci_u32_e64 v7, null, s1, 0, s0
	s_lshl_b32 s1, s43, 4
	v_add_nc_u32_e32 v8, 0, v8
	v_cndmask_b32_e32 v11, 0x7ff80000, v4, vcc_lo
	v_add_co_u32 v4, vcc_lo, v5, 8
	v_add_co_ci_u32_e32 v5, vcc_lo, 0, v7, vcc_lo
	v_cmp_nge_f64_e32 vcc_lo, 0, v[9:10]
	v_cndmask_b32_e32 v6, 0, v6, vcc_lo
	v_cmp_neq_f64_e32 vcc_lo, 0, v[9:10]
	v_cndmask_b32_e32 v7, 0xfff00000, v11, vcc_lo
	.p2align	6
.LBB33_22:                              ; =>This Inner Loop Header: Depth=1
	ds_load_b128 v[9:12], v8
	v_add_co_u32 v0, vcc_lo, v0, s43
	v_add_co_ci_u32_e32 v1, vcc_lo, 0, v1, vcc_lo
	v_add_nc_u32_e32 v8, s1, v8
	s_delay_alu instid0(VALU_DEP_2) | instskip(NEXT) | instid1(VALU_DEP_1)
	v_lshlrev_b64 v[13:14], 1, v[0:1]
	v_cmp_le_i64_e32 vcc_lo, s[12:13], v[13:14]
	s_or_b32 s2, vcc_lo, s2
	s_waitcnt lgkmcnt(0)
	v_add_f64 v[9:10], v[9:10], -v[2:3]
	v_add_f64 v[11:12], v[11:12], -v[2:3]
	s_delay_alu instid0(VALU_DEP_2) | instskip(NEXT) | instid1(VALU_DEP_2)
	v_add_f64 v[9:10], v[9:10], -v[6:7]
	v_add_f64 v[11:12], v[11:12], -v[6:7]
	global_store_b128 v[4:5], v[9:12], off offset:-8
	v_add_co_u32 v4, s0, v4, s1
	s_delay_alu instid0(VALU_DEP_1)
	v_add_co_ci_u32_e64 v5, s0, 0, v5, s0
	s_and_not1_b32 exec_lo, exec_lo, s2
	s_cbranch_execnz .LBB33_22
.LBB33_23:
	s_nop 0
	s_sendmsg sendmsg(MSG_DEALLOC_VGPRS)
	s_endpgm
.LBB33_24:
	ds_load_b64 v[2:3], v15
	s_or_b32 exec_lo, exec_lo, s1
	v_cmp_gt_u32_e64 s1, 32, v0
	s_delay_alu instid0(VALU_DEP_1)
	s_and_saveexec_b32 s4, s1
	s_cbranch_execz .LBB33_8
.LBB33_25:
	s_waitcnt lgkmcnt(0)
	ds_bpermute_b32 v4, v9, v2
	ds_bpermute_b32 v5, v9, v3
	s_waitcnt lgkmcnt(0)
	v_cmp_lt_f64_e64 s3, v[2:3], v[4:5]
	s_delay_alu instid0(VALU_DEP_1)
	v_cndmask_b32_e64 v3, v3, v5, s3
	v_cndmask_b32_e64 v2, v2, v4, s3
	ds_bpermute_b32 v5, v10, v3
	ds_bpermute_b32 v4, v10, v2
	s_waitcnt lgkmcnt(0)
	v_cmp_lt_f64_e64 s3, v[2:3], v[4:5]
	s_delay_alu instid0(VALU_DEP_1)
	v_cndmask_b32_e64 v3, v3, v5, s3
	v_cndmask_b32_e64 v2, v2, v4, s3
	;; [unrolled: 7-line block ×4, first 2 shown]
	ds_bpermute_b32 v5, v13, v3
	ds_bpermute_b32 v4, v13, v2
	s_waitcnt lgkmcnt(0)
	v_cmp_lt_f64_e64 s3, v[2:3], v[4:5]
	s_delay_alu instid0(VALU_DEP_1) | instskip(SKIP_3) | instid1(VALU_DEP_1)
	v_cndmask_b32_e64 v3, v3, v5, s3
	v_cndmask_b32_e64 v2, v2, v4, s3
	s_or_b32 exec_lo, exec_lo, s4
	v_cmp_eq_u32_e64 s3, 0, v0
	s_and_saveexec_b32 s4, s3
	s_cbranch_execnz .LBB33_9
	s_branch .LBB33_10
.LBB33_26:
	ds_load_b64 v[4:5], v15
	s_or_b32 exec_lo, exec_lo, s2
	s_and_saveexec_b32 s0, s1
	s_cbranch_execz .LBB33_18
.LBB33_27:
	s_waitcnt lgkmcnt(0)
	ds_bpermute_b32 v6, v9, v4
	ds_bpermute_b32 v7, v9, v5
	s_waitcnt lgkmcnt(0)
	v_add_f64 v[4:5], v[4:5], v[6:7]
	ds_bpermute_b32 v6, v10, v4
	ds_bpermute_b32 v7, v10, v5
	s_waitcnt lgkmcnt(0)
	v_add_f64 v[4:5], v[4:5], v[6:7]
	;; [unrolled: 4-line block ×5, first 2 shown]
	s_or_b32 exec_lo, exec_lo, s0
	s_and_saveexec_b32 s0, s3
	s_cbranch_execnz .LBB33_19
	s_branch .LBB33_20
	.section	.rodata,"a",@progbits
	.p2align	6, 0x0
	.amdhsa_kernel _ZN2at6native12_GLOBAL__N_123cunn_SoftMaxForwardSmemILi2EdddNS1_25LogSoftMaxForwardEpilogueElEEvPT2_PKT0_T4_
		.amdhsa_group_segment_fixed_size 0
		.amdhsa_private_segment_fixed_size 0
		.amdhsa_kernarg_size 280
		.amdhsa_user_sgpr_count 15
		.amdhsa_user_sgpr_dispatch_ptr 0
		.amdhsa_user_sgpr_queue_ptr 0
		.amdhsa_user_sgpr_kernarg_segment_ptr 1
		.amdhsa_user_sgpr_dispatch_id 0
		.amdhsa_user_sgpr_private_segment_size 0
		.amdhsa_wavefront_size32 1
		.amdhsa_uses_dynamic_stack 0
		.amdhsa_enable_private_segment 0
		.amdhsa_system_sgpr_workgroup_id_x 1
		.amdhsa_system_sgpr_workgroup_id_y 0
		.amdhsa_system_sgpr_workgroup_id_z 0
		.amdhsa_system_sgpr_workgroup_info 0
		.amdhsa_system_vgpr_workitem_id 0
		.amdhsa_next_free_vgpr 34
		.amdhsa_next_free_sgpr 47
		.amdhsa_reserve_vcc 1
		.amdhsa_float_round_mode_32 0
		.amdhsa_float_round_mode_16_64 0
		.amdhsa_float_denorm_mode_32 3
		.amdhsa_float_denorm_mode_16_64 3
		.amdhsa_dx10_clamp 1
		.amdhsa_ieee_mode 1
		.amdhsa_fp16_overflow 0
		.amdhsa_workgroup_processor_mode 1
		.amdhsa_memory_ordered 1
		.amdhsa_forward_progress 0
		.amdhsa_shared_vgpr_count 0
		.amdhsa_exception_fp_ieee_invalid_op 0
		.amdhsa_exception_fp_denorm_src 0
		.amdhsa_exception_fp_ieee_div_zero 0
		.amdhsa_exception_fp_ieee_overflow 0
		.amdhsa_exception_fp_ieee_underflow 0
		.amdhsa_exception_fp_ieee_inexact 0
		.amdhsa_exception_int_div_zero 0
	.end_amdhsa_kernel
	.section	.text._ZN2at6native12_GLOBAL__N_123cunn_SoftMaxForwardSmemILi2EdddNS1_25LogSoftMaxForwardEpilogueElEEvPT2_PKT0_T4_,"axG",@progbits,_ZN2at6native12_GLOBAL__N_123cunn_SoftMaxForwardSmemILi2EdddNS1_25LogSoftMaxForwardEpilogueElEEvPT2_PKT0_T4_,comdat
.Lfunc_end33:
	.size	_ZN2at6native12_GLOBAL__N_123cunn_SoftMaxForwardSmemILi2EdddNS1_25LogSoftMaxForwardEpilogueElEEvPT2_PKT0_T4_, .Lfunc_end33-_ZN2at6native12_GLOBAL__N_123cunn_SoftMaxForwardSmemILi2EdddNS1_25LogSoftMaxForwardEpilogueElEEvPT2_PKT0_T4_
                                        ; -- End function
	.section	.AMDGPU.csdata,"",@progbits
; Kernel info:
; codeLenInByte = 3676
; NumSgprs: 49
; NumVgprs: 34
; ScratchSize: 0
; MemoryBound: 0
; FloatMode: 240
; IeeeMode: 1
; LDSByteSize: 0 bytes/workgroup (compile time only)
; SGPRBlocks: 6
; VGPRBlocks: 4
; NumSGPRsForWavesPerEU: 49
; NumVGPRsForWavesPerEU: 34
; Occupancy: 16
; WaveLimiterHint : 0
; COMPUTE_PGM_RSRC2:SCRATCH_EN: 0
; COMPUTE_PGM_RSRC2:USER_SGPR: 15
; COMPUTE_PGM_RSRC2:TRAP_HANDLER: 0
; COMPUTE_PGM_RSRC2:TGID_X_EN: 1
; COMPUTE_PGM_RSRC2:TGID_Y_EN: 0
; COMPUTE_PGM_RSRC2:TGID_Z_EN: 0
; COMPUTE_PGM_RSRC2:TIDIG_COMP_CNT: 0
	.section	.text._ZN2at6native12_GLOBAL__N_119cunn_SoftMaxForwardILi2EdddNS1_25LogSoftMaxForwardEpilogueEEEvPT2_PKT0_i,"axG",@progbits,_ZN2at6native12_GLOBAL__N_119cunn_SoftMaxForwardILi2EdddNS1_25LogSoftMaxForwardEpilogueEEEvPT2_PKT0_i,comdat
	.globl	_ZN2at6native12_GLOBAL__N_119cunn_SoftMaxForwardILi2EdddNS1_25LogSoftMaxForwardEpilogueEEEvPT2_PKT0_i ; -- Begin function _ZN2at6native12_GLOBAL__N_119cunn_SoftMaxForwardILi2EdddNS1_25LogSoftMaxForwardEpilogueEEEvPT2_PKT0_i
	.p2align	8
	.type	_ZN2at6native12_GLOBAL__N_119cunn_SoftMaxForwardILi2EdddNS1_25LogSoftMaxForwardEpilogueEEEvPT2_PKT0_i,@function
_ZN2at6native12_GLOBAL__N_119cunn_SoftMaxForwardILi2EdddNS1_25LogSoftMaxForwardEpilogueEEEvPT2_PKT0_i: ; @_ZN2at6native12_GLOBAL__N_119cunn_SoftMaxForwardILi2EdddNS1_25LogSoftMaxForwardEpilogueEEEvPT2_PKT0_i
; %bb.0:
	s_clause 0x1
	s_load_b32 s33, s[0:1], 0x10
	s_load_b128 s[8:11], s[0:1], 0x0
	s_waitcnt lgkmcnt(0)
	s_ashr_i32 s2, s33, 31
	s_mul_hi_u32 s3, s33, s15
	s_mul_i32 s2, s2, s15
	s_delay_alu instid0(SALU_CYCLE_1) | instskip(SKIP_1) | instid1(SALU_CYCLE_1)
	s_add_i32 s3, s3, s2
	s_mul_i32 s2, s33, s15
	s_lshl_b64 s[12:13], s[2:3], 3
	s_delay_alu instid0(SALU_CYCLE_1) | instskip(SKIP_3) | instid1(SALU_CYCLE_1)
	s_add_u32 s10, s10, s12
	s_addc_u32 s11, s11, s13
	s_bitcmp1_b32 s10, 3
	s_cselect_b32 s14, -1, 0
	s_and_b32 vcc_lo, exec_lo, s14
	s_cbranch_vccz .LBB34_4
; %bb.1:
	s_mov_b32 s4, -1
	v_cmp_ne_u32_e32 vcc_lo, 0, v0
	v_cmp_ge_i32_e64 s2, s33, v0
	s_mov_b32 s5, 0xffefffff
	s_delay_alu instid0(SALU_CYCLE_1) | instskip(SKIP_1) | instid1(VALU_DEP_2)
	v_dual_mov_b32 v1, s4 :: v_dual_mov_b32 v2, s5
	s_mov_b32 s7, 0
	s_and_b32 s3, vcc_lo, s2
	s_delay_alu instid0(SALU_CYCLE_1)
	s_and_saveexec_b32 s2, s3
	s_cbranch_execz .LBB34_3
; %bb.2:
	v_lshlrev_b32_e32 v1, 3, v0
	global_load_b64 v[1:2], v1, s[10:11] offset:-8
	s_waitcnt vmcnt(0)
	v_max_f64 v[1:2], v[1:2], v[1:2]
	s_delay_alu instid0(VALU_DEP_1)
	v_max_f64 v[1:2], v[1:2], s[4:5]
.LBB34_3:
	s_or_b32 exec_lo, exec_lo, s2
	s_load_b32 s2, s[0:1], 0x24
	s_add_i32 s3, s33, 1
	s_add_u32 s4, s0, 24
	s_addc_u32 s5, s1, 0
	s_waitcnt lgkmcnt(0)
	s_and_b32 s2, s2, 0xffff
	s_delay_alu instid0(SALU_CYCLE_1) | instskip(SKIP_1) | instid1(SALU_CYCLE_1)
	v_sub_nc_u32_e64 v3, s3, s2 clamp
	s_lshl_b32 s2, s2, 3
	s_add_u32 s2, s10, s2
	s_addc_u32 s3, s11, 0
	s_add_u32 s2, s2, -8
	v_readfirstlane_b32 s6, v3
	s_addc_u32 s3, s3, -1
	s_and_b32 vcc_lo, exec_lo, s7
	s_cbranch_vccnz .LBB34_5
	s_branch .LBB34_6
.LBB34_4:
                                        ; implicit-def: $sgpr2_sgpr3
                                        ; implicit-def: $sgpr6
                                        ; implicit-def: $vgpr1_vgpr2
                                        ; implicit-def: $sgpr4_sgpr5
	s_cbranch_execz .LBB34_6
.LBB34_5:
	s_mov_b32 s2, -1
	s_mov_b32 s3, 0xffefffff
	s_delay_alu instid0(SALU_CYCLE_1)
	v_dual_mov_b32 v1, s2 :: v_dual_mov_b32 v2, s3
	s_add_u32 s4, s0, 24
	s_addc_u32 s5, s1, 0
	s_mov_b32 s6, s33
	s_mov_b64 s[2:3], s[10:11]
.LBB34_6:
	s_load_b32 s7, s[4:5], 0x0
	v_mov_b32_e32 v3, 0
	v_lshlrev_b32_e32 v7, 1, v0
	s_waitcnt lgkmcnt(0)
	s_cmp_lt_u32 s15, s7
	s_cselect_b32 s7, 12, 18
	s_delay_alu instid0(SALU_CYCLE_1) | instskip(SKIP_4) | instid1(VALU_DEP_1)
	s_add_u32 s4, s4, s7
	s_addc_u32 s5, s5, 0
	global_load_u16 v5, v3, s[4:5]
	s_waitcnt vmcnt(0)
	v_readfirstlane_b32 s4, v5
	s_lshl_b32 s4, s4, 1
	s_delay_alu instid0(SALU_CYCLE_1) | instskip(SKIP_1) | instid1(VALU_DEP_1)
	v_cvt_f32_u32_e32 v3, s4
	s_sub_i32 s7, 0, s4
	v_rcp_iflag_f32_e32 v3, v3
	s_waitcnt_depctr 0xfff
	v_mul_f32_e32 v3, 0x4f7ffffe, v3
	s_delay_alu instid0(VALU_DEP_1) | instskip(NEXT) | instid1(VALU_DEP_1)
	v_cvt_u32_f32_e32 v3, v3
	v_readfirstlane_b32 s5, v3
	s_delay_alu instid0(VALU_DEP_1) | instskip(NEXT) | instid1(SALU_CYCLE_1)
	s_mul_i32 s7, s7, s5
	s_mul_hi_u32 s7, s5, s7
	s_delay_alu instid0(SALU_CYCLE_1) | instskip(NEXT) | instid1(SALU_CYCLE_1)
	s_add_i32 s5, s5, s7
	s_mul_hi_u32 s5, s6, s5
	s_delay_alu instid0(SALU_CYCLE_1) | instskip(NEXT) | instid1(SALU_CYCLE_1)
	s_mul_i32 s5, s5, s4
	s_sub_i32 s5, s6, s5
	s_delay_alu instid0(SALU_CYCLE_1) | instskip(SKIP_2) | instid1(SALU_CYCLE_1)
	s_sub_i32 s7, s5, s4
	s_cmp_ge_u32 s5, s4
	s_cselect_b32 s5, s7, s5
	s_sub_i32 s7, s5, s4
	s_cmp_ge_u32 s5, s4
	s_cselect_b32 s4, s7, s5
	s_mov_b32 s7, 0
	s_sub_i32 s4, s6, s4
	s_mov_b32 s5, exec_lo
	v_cmpx_gt_i32_e64 s4, v7
	s_cbranch_execz .LBB34_10
; %bb.7:
	v_mov_b32_e32 v3, v0
	.p2align	6
.LBB34_8:                               ; =>This Inner Loop Header: Depth=1
	s_delay_alu instid0(VALU_DEP_1) | instskip(NEXT) | instid1(VALU_DEP_2)
	v_ashrrev_i32_e32 v4, 31, v3
	v_max_f64 v[1:2], v[1:2], v[1:2]
	s_delay_alu instid0(VALU_DEP_2) | instskip(SKIP_1) | instid1(VALU_DEP_1)
	v_lshlrev_b64 v[8:9], 4, v[3:4]
	v_add_nc_u32_e32 v3, v3, v5
	v_lshlrev_b32_e32 v4, 1, v3
	s_delay_alu instid0(VALU_DEP_3) | instskip(NEXT) | instid1(VALU_DEP_4)
	v_add_co_u32 v8, vcc_lo, s2, v8
	v_add_co_ci_u32_e32 v9, vcc_lo, s3, v9, vcc_lo
	s_delay_alu instid0(VALU_DEP_3)
	v_cmp_le_i32_e32 vcc_lo, s4, v4
	global_load_b128 v[8:11], v[8:9], off
	s_or_b32 s7, vcc_lo, s7
	s_waitcnt vmcnt(0)
	v_max_f64 v[8:9], v[8:9], v[8:9]
	v_max_f64 v[10:11], v[10:11], v[10:11]
	s_delay_alu instid0(VALU_DEP_2) | instskip(NEXT) | instid1(VALU_DEP_1)
	v_max_f64 v[1:2], v[1:2], v[8:9]
	v_max_f64 v[1:2], v[1:2], v[10:11]
	s_and_not1_b32 exec_lo, exec_lo, s7
	s_cbranch_execnz .LBB34_8
; %bb.9:
	s_or_b32 exec_lo, exec_lo, s7
.LBB34_10:
	s_delay_alu instid0(SALU_CYCLE_1) | instskip(SKIP_3) | instid1(VALU_DEP_1)
	s_or_b32 exec_lo, exec_lo, s5
	v_add_nc_u32_e32 v3, s4, v0
	s_bfe_u32 s44, s10, 0x10003
	s_mov_b32 s4, exec_lo
	v_cmpx_gt_i32_e64 s6, v3
	s_cbranch_execz .LBB34_14
; %bb.11:
	s_mov_b32 s5, 0
	.p2align	6
.LBB34_12:                              ; =>This Inner Loop Header: Depth=1
	v_ashrrev_i32_e32 v4, 31, v3
	s_delay_alu instid0(VALU_DEP_2) | instskip(NEXT) | instid1(VALU_DEP_2)
	v_max_f64 v[1:2], v[1:2], v[1:2]
	v_lshlrev_b64 v[8:9], 3, v[3:4]
	v_add_nc_u32_e32 v3, v3, v5
	s_delay_alu instid0(VALU_DEP_2) | instskip(NEXT) | instid1(VALU_DEP_3)
	v_add_co_u32 v8, vcc_lo, s2, v8
	v_add_co_ci_u32_e32 v9, vcc_lo, s3, v9, vcc_lo
	s_delay_alu instid0(VALU_DEP_3) | instskip(SKIP_4) | instid1(VALU_DEP_1)
	v_cmp_le_i32_e32 vcc_lo, s6, v3
	global_load_b64 v[8:9], v[8:9], off
	s_or_b32 s5, vcc_lo, s5
	s_waitcnt vmcnt(0)
	v_max_f64 v[8:9], v[8:9], v[8:9]
	v_max_f64 v[1:2], v[1:2], v[8:9]
	s_and_not1_b32 exec_lo, exec_lo, s5
	s_cbranch_execnz .LBB34_12
; %bb.13:
	s_or_b32 exec_lo, exec_lo, s5
.LBB34_14:
	s_delay_alu instid0(SALU_CYCLE_1) | instskip(SKIP_4) | instid1(VALU_DEP_2)
	s_or_b32 exec_lo, exec_lo, s4
	v_mbcnt_lo_u32_b32 v5, -1, 0
	v_lshrrev_b32_e32 v15, 2, v0
	s_mov_b32 s4, -1
	s_barrier
	v_cmp_gt_u32_e32 vcc_lo, 16, v5
	v_cmp_gt_u32_e64 s2, 24, v5
	buffer_gl0_inv
	v_cndmask_b32_e64 v3, 0, 1, vcc_lo
	v_cndmask_b32_e64 v6, 0, 1, s2
	v_cmp_gt_u32_e64 s2, 28, v5
	s_delay_alu instid0(VALU_DEP_3) | instskip(NEXT) | instid1(VALU_DEP_1)
	v_lshlrev_b32_e32 v3, 4, v3
	v_add_lshl_u32 v10, v3, v5, 2
	ds_bpermute_b32 v3, v10, v1
	ds_bpermute_b32 v4, v10, v2
	s_waitcnt lgkmcnt(0)
	v_cmp_lt_f64_e32 vcc_lo, v[1:2], v[3:4]
	v_dual_cndmask_b32 v1, v1, v3 :: v_dual_lshlrev_b32 v6, 3, v6
	s_delay_alu instid0(VALU_DEP_1)
	v_add_lshl_u32 v11, v6, v5, 2
	v_cndmask_b32_e32 v2, v2, v4, vcc_lo
	v_cndmask_b32_e64 v6, 0, 1, s2
	v_cmp_gt_u32_e64 s2, 30, v5
	ds_bpermute_b32 v3, v11, v1
	ds_bpermute_b32 v4, v11, v2
	s_waitcnt lgkmcnt(0)
	v_cmp_lt_f64_e32 vcc_lo, v[1:2], v[3:4]
	v_dual_cndmask_b32 v1, v1, v3 :: v_dual_lshlrev_b32 v6, 2, v6
	s_delay_alu instid0(VALU_DEP_1)
	v_add_lshl_u32 v12, v6, v5, 2
	v_cndmask_b32_e64 v6, 0, 1, s2
	v_cmp_ne_u32_e64 s2, 31, v5
	ds_bpermute_b32 v3, v12, v1
	v_cndmask_b32_e32 v2, v2, v4, vcc_lo
	ds_bpermute_b32 v4, v12, v2
	s_waitcnt lgkmcnt(0)
	v_cmp_lt_f64_e32 vcc_lo, v[1:2], v[3:4]
	v_dual_cndmask_b32 v1, v1, v3 :: v_dual_lshlrev_b32 v6, 1, v6
	v_cndmask_b32_e32 v2, v2, v4, vcc_lo
	s_delay_alu instid0(VALU_DEP_2)
	v_add_lshl_u32 v13, v6, v5, 2
	v_add_co_ci_u32_e64 v5, s2, 0, v5, s2
	ds_bpermute_b32 v4, v13, v2
	ds_bpermute_b32 v3, v13, v1
	v_lshlrev_b32_e32 v14, 2, v5
	v_and_b32_e32 v5, 31, v0
	s_delay_alu instid0(VALU_DEP_1)
	v_cmp_eq_u32_e64 s2, 0, v5
	s_waitcnt lgkmcnt(0)
	v_cmp_lt_f64_e32 vcc_lo, v[1:2], v[3:4]
	v_dual_cndmask_b32 v1, v1, v3 :: v_dual_cndmask_b32 v2, v2, v4
	ds_bpermute_b32 v3, v14, v1
	ds_bpermute_b32 v4, v14, v2
	s_and_saveexec_b32 s3, s2
	s_cbranch_execz .LBB34_16
; %bb.15:
	s_waitcnt lgkmcnt(0)
	v_cmp_lt_f64_e32 vcc_lo, v[1:2], v[3:4]
	v_add_nc_u32_e32 v6, 0, v15
	v_dual_cndmask_b32 v2, v2, v4 :: v_dual_cndmask_b32 v1, v1, v3
	ds_store_b64 v6, v[1:2]
.LBB34_16:
	s_or_b32 exec_lo, exec_lo, s3
	s_waitcnt lgkmcnt(0)
	s_barrier
	buffer_gl0_inv
	s_load_b32 s16, s[0:1], 0x24
	s_add_u32 s6, s0, 24
	s_mov_b32 s5, 0xffefffff
	s_addc_u32 s7, s1, 0
	v_dual_mov_b32 v1, s4 :: v_dual_mov_b32 v2, s5
	v_lshl_add_u32 v16, v5, 3, 0
	s_waitcnt lgkmcnt(0)
	s_bfe_u32 s0, s16, 0xb0005
	s_delay_alu instid0(SALU_CYCLE_1) | instskip(NEXT) | instid1(VALU_DEP_1)
	v_cmp_gt_u32_e64 s1, s0, v0
	s_and_saveexec_b32 s0, s1
	s_cbranch_execnz .LBB34_55
; %bb.17:
	s_or_b32 exec_lo, exec_lo, s0
	v_cmp_gt_u32_e64 s3, 32, v0
	s_delay_alu instid0(VALU_DEP_1)
	s_and_saveexec_b32 s0, s3
	s_cbranch_execnz .LBB34_56
.LBB34_18:
	s_or_b32 exec_lo, exec_lo, s0
	v_cmp_eq_u32_e64 s0, 0, v0
	s_delay_alu instid0(VALU_DEP_1)
	s_and_saveexec_b32 s4, s0
	s_cbranch_execz .LBB34_20
.LBB34_19:
	v_mov_b32_e32 v3, 0
	s_waitcnt lgkmcnt(0)
	ds_store_b64 v3, v[1:2]
.LBB34_20:
	s_or_b32 exec_lo, exec_lo, s4
	s_waitcnt lgkmcnt(0)
	v_mov_b32_e32 v1, 0
	v_mov_b32_e32 v3, 0
	;; [unrolled: 1-line block ×3, first 2 shown]
	s_barrier
	buffer_gl0_inv
	ds_load_b64 v[1:2], v1
	v_cndmask_b32_e64 v9, 0, 1, s14
	s_and_b32 s45, s16, 0xffff
	s_and_not1_b32 vcc_lo, exec_lo, s14
	s_mov_b64 s[16:17], s[10:11]
	s_mov_b32 s48, s33
	s_cbranch_vccnz .LBB34_24
; %bb.21:
	v_cmp_ge_i32_e32 vcc_lo, s33, v0
	v_mov_b32_e32 v3, 0
	v_mov_b32_e32 v4, 0
	s_xor_b32 s4, s0, -1
	s_delay_alu instid0(SALU_CYCLE_1) | instskip(NEXT) | instid1(SALU_CYCLE_1)
	s_and_b32 s4, s4, vcc_lo
	s_and_saveexec_b32 s5, s4
	s_cbranch_execz .LBB34_23
; %bb.22:
	v_lshlrev_b32_e32 v3, 3, v0
	s_mov_b32 s16, 0x652b82fe
	s_mov_b32 s17, 0x3ff71547
	;; [unrolled: 1-line block ×4, first 2 shown]
	global_load_b64 v[3:4], v3, s[10:11] offset:-8
	s_waitcnt vmcnt(0) lgkmcnt(0)
	v_add_f64 v[3:4], v[3:4], -v[1:2]
	s_delay_alu instid0(VALU_DEP_1) | instskip(SKIP_4) | instid1(VALU_DEP_3)
	v_mul_f64 v[5:6], v[3:4], s[16:17]
	s_mov_b32 s16, 0xfefa39ef
	s_mov_b32 s17, 0xbfe62e42
	v_cmp_nlt_f64_e32 vcc_lo, 0x40900000, v[3:4]
	v_cmp_ngt_f64_e64 s4, 0xc090cc00, v[3:4]
	v_rndne_f64_e32 v[5:6], v[5:6]
	s_delay_alu instid0(VALU_DEP_1) | instskip(SKIP_3) | instid1(VALU_DEP_2)
	v_fma_f64 v[17:18], v[5:6], s[16:17], v[3:4]
	s_mov_b32 s16, 0x3b39803f
	s_mov_b32 s17, 0xbc7abc9e
	v_cvt_i32_f64_e32 v8, v[5:6]
	v_fma_f64 v[17:18], v[5:6], s[16:17], v[17:18]
	s_mov_b32 s16, 0xfca7ab0c
	s_mov_b32 s17, 0x3e928af3
	s_delay_alu instid0(VALU_DEP_1) | instid1(SALU_CYCLE_1)
	v_fma_f64 v[19:20], v[17:18], s[18:19], s[16:17]
	s_mov_b32 s16, 0x623fde64
	s_mov_b32 s17, 0x3ec71dee
	s_delay_alu instid0(VALU_DEP_1) | instid1(SALU_CYCLE_1)
	;; [unrolled: 4-line block ×9, first 2 shown]
	v_fma_f64 v[19:20], v[17:18], v[19:20], s[16:17]
	s_delay_alu instid0(VALU_DEP_1) | instskip(NEXT) | instid1(VALU_DEP_1)
	v_fma_f64 v[19:20], v[17:18], v[19:20], 1.0
	v_fma_f64 v[5:6], v[17:18], v[19:20], 1.0
	s_delay_alu instid0(VALU_DEP_1) | instskip(NEXT) | instid1(VALU_DEP_1)
	v_ldexp_f64 v[5:6], v[5:6], v8
	v_add_f64 v[5:6], v[5:6], 0
	s_delay_alu instid0(VALU_DEP_1) | instskip(SKIP_1) | instid1(VALU_DEP_2)
	v_cndmask_b32_e32 v6, 0x7ff00000, v6, vcc_lo
	s_and_b32 vcc_lo, s4, vcc_lo
	v_cndmask_b32_e32 v3, 0, v5, vcc_lo
	s_delay_alu instid0(VALU_DEP_2)
	v_cndmask_b32_e64 v4, 0, v6, s4
.LBB34_23:
	s_or_b32 exec_lo, exec_lo, s5
	s_add_i32 s4, s33, 1
	s_delay_alu instid0(SALU_CYCLE_1) | instskip(SKIP_1) | instid1(SALU_CYCLE_1)
	v_sub_nc_u32_e64 v5, s4, s45 clamp
	s_lshl_b32 s4, s45, 3
	s_add_u32 s4, s10, s4
	s_addc_u32 s5, s11, 0
	s_delay_alu instid0(VALU_DEP_1)
	v_readfirstlane_b32 s48, v5
	s_add_u32 s16, s4, -8
	s_addc_u32 s17, s5, -1
.LBB34_24:
	s_load_b32 s4, s[6:7], 0x0
	v_mov_b32_e32 v5, 0
	s_mov_b32 s50, 0
	s_mov_b32 s49, exec_lo
	s_waitcnt lgkmcnt(0)
	s_cmp_lt_u32 s15, s4
	s_cselect_b32 s4, 12, 18
	s_delay_alu instid0(SALU_CYCLE_1) | instskip(SKIP_4) | instid1(VALU_DEP_1)
	s_add_u32 s4, s6, s4
	s_addc_u32 s5, s7, 0
	global_load_u16 v8, v5, s[4:5]
	s_waitcnt vmcnt(0)
	v_readfirstlane_b32 s4, v8
	s_lshl_b32 s46, s4, 1
	s_delay_alu instid0(SALU_CYCLE_1) | instskip(SKIP_1) | instid1(VALU_DEP_1)
	v_cvt_f32_u32_e32 v5, s46
	s_sub_i32 s4, 0, s46
	v_rcp_iflag_f32_e32 v5, v5
	s_waitcnt_depctr 0xfff
	v_mul_f32_e32 v5, 0x4f7ffffe, v5
	s_delay_alu instid0(VALU_DEP_1) | instskip(NEXT) | instid1(VALU_DEP_1)
	v_cvt_u32_f32_e32 v5, v5
	v_readfirstlane_b32 s47, v5
	s_delay_alu instid0(VALU_DEP_1) | instskip(NEXT) | instid1(SALU_CYCLE_1)
	s_mul_i32 s4, s4, s47
	s_mul_hi_u32 s4, s47, s4
	s_delay_alu instid0(SALU_CYCLE_1) | instskip(NEXT) | instid1(SALU_CYCLE_1)
	s_add_i32 s47, s47, s4
	s_mul_hi_u32 s4, s48, s47
	s_delay_alu instid0(SALU_CYCLE_1) | instskip(NEXT) | instid1(SALU_CYCLE_1)
	s_mul_i32 s4, s4, s46
	s_sub_i32 s4, s48, s4
	s_delay_alu instid0(SALU_CYCLE_1) | instskip(SKIP_2) | instid1(SALU_CYCLE_1)
	s_sub_i32 s5, s4, s46
	s_cmp_ge_u32 s4, s46
	s_cselect_b32 s4, s5, s4
	s_sub_i32 s5, s4, s46
	s_cmp_ge_u32 s4, s46
	s_cselect_b32 s4, s5, s4
	s_delay_alu instid0(SALU_CYCLE_1) | instskip(NEXT) | instid1(SALU_CYCLE_1)
	s_sub_i32 s7, s48, s4
	v_cmpx_gt_i32_e64 s7, v7
	s_cbranch_execz .LBB34_28
; %bb.25:
	v_mov_b32_e32 v5, v0
	s_mov_b32 s14, 0x652b82fe
	s_mov_b32 s18, 0xfefa39ef
	;; [unrolled: 1-line block ×26, first 2 shown]
.LBB34_26:                              ; =>This Inner Loop Header: Depth=1
	v_ashrrev_i32_e32 v6, 31, v5
	s_delay_alu instid0(VALU_DEP_1) | instskip(SKIP_1) | instid1(VALU_DEP_2)
	v_lshlrev_b64 v[17:18], 4, v[5:6]
	v_add_nc_u32_e32 v5, v5, v8
	v_add_co_u32 v17, vcc_lo, s16, v17
	s_delay_alu instid0(VALU_DEP_3) | instskip(SKIP_4) | instid1(VALU_DEP_2)
	v_add_co_ci_u32_e32 v18, vcc_lo, s17, v18, vcc_lo
	global_load_b128 v[17:20], v[17:18], off
	s_waitcnt vmcnt(0)
	v_add_f64 v[17:18], v[17:18], -v[1:2]
	v_add_f64 v[19:20], v[19:20], -v[1:2]
	v_mul_f64 v[21:22], v[17:18], s[14:15]
	s_delay_alu instid0(VALU_DEP_2)
	v_mul_f64 v[23:24], v[19:20], s[14:15]
	v_cmp_nlt_f64_e32 vcc_lo, 0x40900000, v[17:18]
	v_cmp_ngt_f64_e64 s4, 0xc090cc00, v[17:18]
	v_cmp_nlt_f64_e64 s5, 0x40900000, v[19:20]
	v_cmp_ngt_f64_e64 s6, 0xc090cc00, v[19:20]
	v_rndne_f64_e32 v[21:22], v[21:22]
	v_rndne_f64_e32 v[23:24], v[23:24]
	s_delay_alu instid0(VALU_DEP_2) | instskip(NEXT) | instid1(VALU_DEP_2)
	v_fma_f64 v[25:26], v[21:22], s[18:19], v[17:18]
	v_fma_f64 v[27:28], v[23:24], s[18:19], v[19:20]
	v_cvt_i32_f64_e32 v6, v[21:22]
	s_delay_alu instid0(VALU_DEP_3) | instskip(NEXT) | instid1(VALU_DEP_3)
	v_fma_f64 v[25:26], v[21:22], s[20:21], v[25:26]
	v_fma_f64 v[27:28], v[23:24], s[20:21], v[27:28]
	s_delay_alu instid0(VALU_DEP_2) | instskip(NEXT) | instid1(VALU_DEP_2)
	v_fma_f64 v[29:30], v[25:26], s[24:25], s[22:23]
	v_fma_f64 v[31:32], v[27:28], s[24:25], s[22:23]
	s_delay_alu instid0(VALU_DEP_2) | instskip(NEXT) | instid1(VALU_DEP_2)
	;; [unrolled: 3-line block ×10, first 2 shown]
	v_fma_f64 v[29:30], v[25:26], v[29:30], 1.0
	v_fma_f64 v[21:22], v[27:28], v[31:32], 1.0
	s_delay_alu instid0(VALU_DEP_2) | instskip(SKIP_1) | instid1(VALU_DEP_3)
	v_fma_f64 v[25:26], v[25:26], v[29:30], 1.0
	v_cvt_i32_f64_e32 v29, v[23:24]
	v_fma_f64 v[21:22], v[27:28], v[21:22], 1.0
	s_delay_alu instid0(VALU_DEP_3) | instskip(NEXT) | instid1(VALU_DEP_2)
	v_ldexp_f64 v[23:24], v[25:26], v6
	v_ldexp_f64 v[21:22], v[21:22], v29
	s_delay_alu instid0(VALU_DEP_2) | instskip(SKIP_1) | instid1(VALU_DEP_2)
	v_cndmask_b32_e32 v6, 0x7ff00000, v24, vcc_lo
	s_and_b32 vcc_lo, s4, vcc_lo
	v_cndmask_b32_e64 v22, 0x7ff00000, v22, s5
	s_delay_alu instid0(VALU_DEP_4) | instskip(SKIP_3) | instid1(VALU_DEP_2)
	v_cndmask_b32_e32 v17, 0, v23, vcc_lo
	s_and_b32 vcc_lo, s6, s5
	v_cndmask_b32_e64 v18, 0, v6, s4
	v_lshlrev_b32_e32 v6, 1, v5
	v_add_f64 v[3:4], v[3:4], v[17:18]
	v_cndmask_b32_e64 v18, 0, v22, s6
	v_cndmask_b32_e32 v17, 0, v21, vcc_lo
	s_delay_alu instid0(VALU_DEP_4) | instskip(SKIP_1) | instid1(VALU_DEP_2)
	v_cmp_le_i32_e32 vcc_lo, s7, v6
	s_or_b32 s50, vcc_lo, s50
	v_add_f64 v[3:4], v[3:4], v[17:18]
	s_and_not1_b32 exec_lo, exec_lo, s50
	s_cbranch_execnz .LBB34_26
; %bb.27:
	s_or_b32 exec_lo, exec_lo, s50
.LBB34_28:
	s_delay_alu instid0(SALU_CYCLE_1) | instskip(SKIP_2) | instid1(VALU_DEP_1)
	s_or_b32 exec_lo, exec_lo, s49
	v_add_nc_u32_e32 v5, s7, v0
	s_mov_b32 s5, exec_lo
	v_cmpx_gt_i32_e64 s48, v5
	s_cbranch_execz .LBB34_32
; %bb.29:
	s_mov_b32 s6, 0x652b82fe
	s_mov_b32 s14, 0xfefa39ef
	s_mov_b32 s18, 0x3b39803f
	s_mov_b32 s20, 0xfca7ab0c
	s_mov_b32 s22, 0x6a5dcb37
	s_mov_b32 s24, 0x623fde64
	s_mov_b32 s26, 0x7c89e6b0
	s_mov_b32 s28, 0x14761f6e
	s_mov_b32 s30, 0x1852b7b0
	s_mov_b32 s34, 0x11122322
	s_mov_b32 s36, 0x555502a1
	s_mov_b32 s38, 0x55555511
	s_mov_b32 s40, 11
	s_mov_b32 s7, 0x3ff71547
	s_mov_b32 s15, 0xbfe62e42
	s_mov_b32 s19, 0xbc7abc9e
	s_mov_b32 s21, 0x3e928af3
	s_mov_b32 s23, 0x3e5ade15
	s_mov_b32 s25, 0x3ec71dee
	s_mov_b32 s27, 0x3efa0199
	s_mov_b32 s29, 0x3f2a01a0
	s_mov_b32 s31, 0x3f56c16c
	s_mov_b32 s35, 0x3f811111
	s_mov_b32 s37, 0x3fa55555
	s_mov_b32 s39, 0x3fc55555
	s_mov_b32 s41, 0x3fe00000
	s_mov_b32 s42, 0
.LBB34_30:                              ; =>This Inner Loop Header: Depth=1
	v_ashrrev_i32_e32 v6, 31, v5
	s_delay_alu instid0(VALU_DEP_1) | instskip(SKIP_1) | instid1(VALU_DEP_2)
	v_lshlrev_b64 v[17:18], 3, v[5:6]
	v_add_nc_u32_e32 v5, v5, v8
	v_add_co_u32 v17, vcc_lo, s16, v17
	s_delay_alu instid0(VALU_DEP_3) | instskip(SKIP_3) | instid1(VALU_DEP_1)
	v_add_co_ci_u32_e32 v18, vcc_lo, s17, v18, vcc_lo
	global_load_b64 v[17:18], v[17:18], off
	s_waitcnt vmcnt(0)
	v_add_f64 v[17:18], v[17:18], -v[1:2]
	v_mul_f64 v[19:20], v[17:18], s[6:7]
	v_cmp_nlt_f64_e32 vcc_lo, 0x40900000, v[17:18]
	v_cmp_ngt_f64_e64 s4, 0xc090cc00, v[17:18]
	s_delay_alu instid0(VALU_DEP_3) | instskip(NEXT) | instid1(VALU_DEP_1)
	v_rndne_f64_e32 v[19:20], v[19:20]
	v_fma_f64 v[21:22], v[19:20], s[14:15], v[17:18]
	v_cvt_i32_f64_e32 v6, v[19:20]
	s_delay_alu instid0(VALU_DEP_2) | instskip(NEXT) | instid1(VALU_DEP_1)
	v_fma_f64 v[21:22], v[19:20], s[18:19], v[21:22]
	v_fma_f64 v[23:24], v[21:22], s[22:23], s[20:21]
	s_delay_alu instid0(VALU_DEP_1) | instskip(NEXT) | instid1(VALU_DEP_1)
	v_fma_f64 v[23:24], v[21:22], v[23:24], s[24:25]
	v_fma_f64 v[23:24], v[21:22], v[23:24], s[26:27]
	s_delay_alu instid0(VALU_DEP_1) | instskip(NEXT) | instid1(VALU_DEP_1)
	;; [unrolled: 3-line block ×5, first 2 shown]
	v_fma_f64 v[23:24], v[21:22], v[23:24], 1.0
	v_fma_f64 v[19:20], v[21:22], v[23:24], 1.0
	s_delay_alu instid0(VALU_DEP_1) | instskip(NEXT) | instid1(VALU_DEP_1)
	v_ldexp_f64 v[19:20], v[19:20], v6
	v_cndmask_b32_e32 v6, 0x7ff00000, v20, vcc_lo
	s_and_b32 vcc_lo, s4, vcc_lo
	s_delay_alu instid0(VALU_DEP_2) | instskip(SKIP_1) | instid1(VALU_DEP_3)
	v_cndmask_b32_e32 v17, 0, v19, vcc_lo
	v_cmp_le_i32_e32 vcc_lo, s48, v5
	v_cndmask_b32_e64 v18, 0, v6, s4
	s_or_b32 s42, vcc_lo, s42
	s_delay_alu instid0(VALU_DEP_1)
	v_add_f64 v[3:4], v[3:4], v[17:18]
	s_and_not1_b32 exec_lo, exec_lo, s42
	s_cbranch_execnz .LBB34_30
; %bb.31:
	s_or_b32 exec_lo, exec_lo, s42
.LBB34_32:
	s_delay_alu instid0(SALU_CYCLE_1)
	s_or_b32 exec_lo, exec_lo, s5
	ds_bpermute_b32 v5, v10, v3
	ds_bpermute_b32 v6, v10, v4
	s_waitcnt lgkmcnt(0)
	s_barrier
	buffer_gl0_inv
	v_add_f64 v[3:4], v[3:4], v[5:6]
	ds_bpermute_b32 v5, v11, v3
	ds_bpermute_b32 v6, v11, v4
	s_waitcnt lgkmcnt(0)
	v_add_f64 v[3:4], v[3:4], v[5:6]
	ds_bpermute_b32 v5, v12, v3
	ds_bpermute_b32 v6, v12, v4
	s_waitcnt lgkmcnt(0)
	;; [unrolled: 4-line block ×3, first 2 shown]
	v_add_f64 v[3:4], v[3:4], v[5:6]
	ds_bpermute_b32 v5, v14, v3
	ds_bpermute_b32 v6, v14, v4
	s_and_saveexec_b32 s4, s2
	s_cbranch_execz .LBB34_34
; %bb.33:
	s_waitcnt lgkmcnt(0)
	v_add_f64 v[3:4], v[3:4], v[5:6]
	v_add_nc_u32_e32 v5, 0, v15
	ds_store_b64 v5, v[3:4]
.LBB34_34:
	s_or_b32 exec_lo, exec_lo, s4
	v_mov_b32_e32 v3, 0
	v_mov_b32_e32 v4, 0
	s_waitcnt lgkmcnt(0)
	s_barrier
	buffer_gl0_inv
	s_and_saveexec_b32 s2, s1
	s_cbranch_execnz .LBB34_57
; %bb.35:
	s_or_b32 exec_lo, exec_lo, s2
	s_and_saveexec_b32 s1, s3
	s_cbranch_execnz .LBB34_58
.LBB34_36:
	s_or_b32 exec_lo, exec_lo, s1
	s_and_saveexec_b32 s1, s0
	s_cbranch_execz .LBB34_38
.LBB34_37:
	v_mov_b32_e32 v5, 0
	s_waitcnt lgkmcnt(0)
	ds_store_b64 v5, v[3:4]
.LBB34_38:
	s_or_b32 exec_lo, exec_lo, s1
	s_waitcnt lgkmcnt(0)
	v_mov_b32_e32 v3, 0
	s_barrier
	buffer_gl0_inv
	s_mov_b32 s5, 0x3fe55555
	ds_load_b64 v[4:5], v3
	s_mov_b32 s4, 0x55555555
	s_add_u32 s2, s8, s12
	s_addc_u32 s3, s9, s13
	s_bfe_u32 s12, s2, 0x10003
	s_mov_b32 s6, 0
	s_mov_b32 s8, 0xbf559e2b
	;; [unrolled: 1-line block ×3, first 2 shown]
	s_waitcnt lgkmcnt(0)
	v_frexp_mant_f64_e32 v[10:11], v[4:5]
	v_frexp_exp_i32_f64_e32 v3, v[4:5]
	s_delay_alu instid0(VALU_DEP_2) | instskip(SKIP_3) | instid1(VALU_DEP_2)
	v_cmp_gt_f64_e32 vcc_lo, s[4:5], v[10:11]
	s_mov_b32 s4, 0x55555780
	s_and_b32 s1, vcc_lo, exec_lo
	s_cselect_b32 s7, 2.0, 0x3ff00000
	v_subrev_co_ci_u32_e64 v3, s1, 0, v3, vcc_lo
	v_mul_f64 v[10:11], v[10:11], s[6:7]
	s_mov_b32 s6, 0x6b47b09a
	s_mov_b32 s7, 0x3fc38538
	v_cmp_class_f64_e64 vcc_lo, v[4:5], 0x204
	s_cmp_lg_u32 s44, s12
	s_mov_b32 s1, -1
	s_delay_alu instid0(VALU_DEP_2) | instskip(SKIP_1) | instid1(VALU_DEP_2)
	v_add_f64 v[12:13], v[10:11], 1.0
	v_add_f64 v[18:19], v[10:11], -1.0
	v_rcp_f64_e32 v[14:15], v[12:13]
	v_add_f64 v[20:21], v[12:13], -1.0
	s_delay_alu instid0(VALU_DEP_1) | instskip(SKIP_2) | instid1(VALU_DEP_1)
	v_add_f64 v[10:11], v[10:11], -v[20:21]
	s_waitcnt_depctr 0xfff
	v_fma_f64 v[16:17], -v[12:13], v[14:15], 1.0
	v_fma_f64 v[14:15], v[16:17], v[14:15], v[14:15]
	s_delay_alu instid0(VALU_DEP_1) | instskip(NEXT) | instid1(VALU_DEP_1)
	v_fma_f64 v[16:17], -v[12:13], v[14:15], 1.0
	v_fma_f64 v[14:15], v[16:17], v[14:15], v[14:15]
	s_delay_alu instid0(VALU_DEP_1) | instskip(NEXT) | instid1(VALU_DEP_1)
	v_mul_f64 v[16:17], v[18:19], v[14:15]
	v_mul_f64 v[22:23], v[12:13], v[16:17]
	s_delay_alu instid0(VALU_DEP_1) | instskip(NEXT) | instid1(VALU_DEP_1)
	v_fma_f64 v[12:13], v[16:17], v[12:13], -v[22:23]
	v_fma_f64 v[10:11], v[16:17], v[10:11], v[12:13]
	s_delay_alu instid0(VALU_DEP_1) | instskip(NEXT) | instid1(VALU_DEP_1)
	v_add_f64 v[12:13], v[22:23], v[10:11]
	v_add_f64 v[20:21], v[18:19], -v[12:13]
	v_add_f64 v[22:23], v[12:13], -v[22:23]
	s_delay_alu instid0(VALU_DEP_2) | instskip(NEXT) | instid1(VALU_DEP_2)
	v_add_f64 v[18:19], v[18:19], -v[20:21]
	v_add_f64 v[10:11], v[22:23], -v[10:11]
	s_delay_alu instid0(VALU_DEP_2) | instskip(NEXT) | instid1(VALU_DEP_1)
	v_add_f64 v[12:13], v[18:19], -v[12:13]
	v_add_f64 v[10:11], v[10:11], v[12:13]
	s_delay_alu instid0(VALU_DEP_1) | instskip(NEXT) | instid1(VALU_DEP_1)
	v_add_f64 v[10:11], v[20:21], v[10:11]
	v_mul_f64 v[10:11], v[14:15], v[10:11]
	s_delay_alu instid0(VALU_DEP_1) | instskip(NEXT) | instid1(VALU_DEP_1)
	v_add_f64 v[12:13], v[16:17], v[10:11]
	v_mul_f64 v[14:15], v[12:13], v[12:13]
	s_delay_alu instid0(VALU_DEP_1) | instskip(SKIP_3) | instid1(VALU_DEP_2)
	v_fma_f64 v[18:19], v[14:15], s[8:9], s[6:7]
	s_mov_b32 s6, 0xd7f4df2e
	s_mov_b32 s7, 0x3fc7474d
	v_mul_f64 v[20:21], v[12:13], v[14:15]
	v_fma_f64 v[18:19], v[14:15], v[18:19], s[6:7]
	s_mov_b32 s6, 0x16291751
	s_mov_b32 s7, 0x3fcc71c0
	s_delay_alu instid0(VALU_DEP_1) | instid1(SALU_CYCLE_1)
	v_fma_f64 v[18:19], v[14:15], v[18:19], s[6:7]
	s_mov_b32 s6, 0x9b27acf1
	s_mov_b32 s7, 0x3fd24924
	s_delay_alu instid0(VALU_DEP_1) | instid1(SALU_CYCLE_1)
	;; [unrolled: 4-line block ×3, first 2 shown]
	v_fma_f64 v[18:19], v[14:15], v[18:19], s[6:7]
	s_delay_alu instid0(VALU_DEP_1) | instskip(SKIP_4) | instid1(VALU_DEP_3)
	v_fma_f64 v[14:15], v[14:15], v[18:19], s[4:5]
	v_ldexp_f64 v[18:19], v[12:13], 1
	v_add_f64 v[12:13], v[12:13], -v[16:17]
	s_mov_b32 s4, 0xfefa39ef
	s_mov_b32 s5, 0x3fe62e42
	v_mul_f64 v[14:15], v[20:21], v[14:15]
	v_cvt_f64_i32_e32 v[20:21], v3
	s_delay_alu instid0(VALU_DEP_3) | instskip(NEXT) | instid1(VALU_DEP_3)
	v_add_f64 v[10:11], v[10:11], -v[12:13]
	v_add_f64 v[16:17], v[18:19], v[14:15]
	s_delay_alu instid0(VALU_DEP_3) | instskip(NEXT) | instid1(VALU_DEP_3)
	v_mul_f64 v[22:23], v[20:21], s[4:5]
	v_ldexp_f64 v[10:11], v[10:11], 1
	s_delay_alu instid0(VALU_DEP_3) | instskip(NEXT) | instid1(VALU_DEP_3)
	v_add_f64 v[12:13], v[16:17], -v[18:19]
	v_fma_f64 v[18:19], v[20:21], s[4:5], -v[22:23]
	s_mov_b32 s4, 0x3b39803f
	s_mov_b32 s5, 0x3c7abc9e
	s_delay_alu instid0(VALU_DEP_2) | instskip(NEXT) | instid1(VALU_DEP_2)
	v_add_f64 v[12:13], v[14:15], -v[12:13]
	v_fma_f64 v[14:15], v[20:21], s[4:5], v[18:19]
	s_delay_alu instid0(VALU_DEP_2) | instskip(NEXT) | instid1(VALU_DEP_2)
	v_add_f64 v[10:11], v[10:11], v[12:13]
	v_add_f64 v[12:13], v[22:23], v[14:15]
	s_delay_alu instid0(VALU_DEP_2) | instskip(NEXT) | instid1(VALU_DEP_2)
	v_add_f64 v[18:19], v[16:17], v[10:11]
	v_add_f64 v[22:23], v[12:13], -v[22:23]
	s_delay_alu instid0(VALU_DEP_2) | instskip(SKIP_1) | instid1(VALU_DEP_3)
	v_add_f64 v[20:21], v[12:13], v[18:19]
	v_add_f64 v[16:17], v[18:19], -v[16:17]
	v_add_f64 v[14:15], v[14:15], -v[22:23]
	s_delay_alu instid0(VALU_DEP_3) | instskip(NEXT) | instid1(VALU_DEP_3)
	v_add_f64 v[24:25], v[20:21], -v[12:13]
	v_add_f64 v[10:11], v[10:11], -v[16:17]
	s_delay_alu instid0(VALU_DEP_2) | instskip(SKIP_1) | instid1(VALU_DEP_3)
	v_add_f64 v[26:27], v[20:21], -v[24:25]
	v_add_f64 v[16:17], v[18:19], -v[24:25]
	v_add_f64 v[18:19], v[14:15], v[10:11]
	s_delay_alu instid0(VALU_DEP_3) | instskip(NEXT) | instid1(VALU_DEP_1)
	v_add_f64 v[12:13], v[12:13], -v[26:27]
	v_add_f64 v[12:13], v[16:17], v[12:13]
	s_delay_alu instid0(VALU_DEP_3) | instskip(NEXT) | instid1(VALU_DEP_2)
	v_add_f64 v[16:17], v[18:19], -v[14:15]
	v_add_f64 v[12:13], v[18:19], v[12:13]
	s_delay_alu instid0(VALU_DEP_2) | instskip(SKIP_1) | instid1(VALU_DEP_3)
	v_add_f64 v[18:19], v[18:19], -v[16:17]
	v_add_f64 v[10:11], v[10:11], -v[16:17]
	v_add_f64 v[22:23], v[20:21], v[12:13]
	s_delay_alu instid0(VALU_DEP_3) | instskip(NEXT) | instid1(VALU_DEP_2)
	v_add_f64 v[14:15], v[14:15], -v[18:19]
	v_add_f64 v[16:17], v[22:23], -v[20:21]
	s_delay_alu instid0(VALU_DEP_2) | instskip(NEXT) | instid1(VALU_DEP_2)
	v_add_f64 v[10:11], v[10:11], v[14:15]
	v_add_f64 v[12:13], v[12:13], -v[16:17]
	s_delay_alu instid0(VALU_DEP_1) | instskip(NEXT) | instid1(VALU_DEP_1)
	v_add_f64 v[10:11], v[10:11], v[12:13]
	v_add_f64 v[10:11], v[22:23], v[10:11]
	s_delay_alu instid0(VALU_DEP_1) | instskip(SKIP_1) | instid1(VALU_DEP_2)
	v_dual_cndmask_b32 v6, v11, v5 :: v_dual_cndmask_b32 v3, v10, v4
	v_cmp_ngt_f64_e32 vcc_lo, 0, v[4:5]
	v_cndmask_b32_e32 v6, 0x7ff80000, v6, vcc_lo
	v_cmp_nge_f64_e32 vcc_lo, 0, v[4:5]
	s_delay_alu instid0(VALU_DEP_4) | instskip(SKIP_1) | instid1(VALU_DEP_4)
	v_cndmask_b32_e32 v3, 0, v3, vcc_lo
	v_cmp_neq_f64_e32 vcc_lo, 0, v[4:5]
	v_cndmask_b32_e32 v4, 0xfff00000, v6, vcc_lo
	s_cbranch_scc0 .LBB34_43
; %bb.39:
	s_mov_b32 s4, exec_lo
	v_cmpx_gt_i32_e64 s33, v0
	s_cbranch_execz .LBB34_42
; %bb.40:
	v_mov_b32_e32 v5, v0
	s_mov_b32 s5, 0
	.p2align	6
.LBB34_41:                              ; =>This Inner Loop Header: Depth=1
	s_delay_alu instid0(VALU_DEP_1) | instskip(NEXT) | instid1(VALU_DEP_1)
	v_ashrrev_i32_e32 v6, 31, v5
	v_lshlrev_b64 v[10:11], 3, v[5:6]
	v_add_nc_u32_e32 v5, s45, v5
	s_delay_alu instid0(VALU_DEP_2) | instskip(NEXT) | instid1(VALU_DEP_3)
	v_add_co_u32 v12, vcc_lo, s10, v10
	v_add_co_ci_u32_e32 v13, vcc_lo, s11, v11, vcc_lo
	s_delay_alu instid0(VALU_DEP_3)
	v_cmp_le_i32_e32 vcc_lo, s33, v5
	v_add_co_u32 v10, s1, s2, v10
	global_load_b64 v[12:13], v[12:13], off
	v_add_co_ci_u32_e64 v11, s1, s3, v11, s1
	s_or_b32 s5, vcc_lo, s5
	s_waitcnt vmcnt(0)
	v_add_f64 v[12:13], v[12:13], -v[1:2]
	s_delay_alu instid0(VALU_DEP_1)
	v_add_f64 v[12:13], v[12:13], -v[3:4]
	global_store_b64 v[10:11], v[12:13], off
	s_and_not1_b32 exec_lo, exec_lo, s5
	s_cbranch_execnz .LBB34_41
.LBB34_42:
	s_or_b32 exec_lo, exec_lo, s4
	s_mov_b32 s1, 0
.LBB34_43:
	s_delay_alu instid0(SALU_CYCLE_1)
	s_and_not1_b32 vcc_lo, exec_lo, s1
	s_cbranch_vccnz .LBB34_54
; %bb.44:
	v_cmp_ne_u32_e32 vcc_lo, 1, v9
	s_cbranch_vccnz .LBB34_48
; %bb.45:
	v_cmp_ge_i32_e32 vcc_lo, s33, v0
	s_xor_b32 s0, s0, -1
	s_delay_alu instid0(SALU_CYCLE_1) | instskip(NEXT) | instid1(SALU_CYCLE_1)
	s_and_b32 s1, s0, vcc_lo
	s_and_saveexec_b32 s0, s1
	s_cbranch_execz .LBB34_47
; %bb.46:
	v_lshlrev_b32_e32 v9, 3, v0
	global_load_b64 v[5:6], v9, s[10:11] offset:-8
	s_waitcnt vmcnt(0)
	v_add_f64 v[5:6], v[5:6], -v[1:2]
	s_delay_alu instid0(VALU_DEP_1)
	v_add_f64 v[5:6], v[5:6], -v[3:4]
	global_store_b64 v9, v[5:6], s[2:3] offset:-8
.LBB34_47:
	s_or_b32 exec_lo, exec_lo, s0
	s_add_i32 s0, s33, 1
	s_lshl_b32 s1, s45, 3
	v_sub_nc_u32_e64 v5, s0, s45 clamp
	s_add_u32 s0, s10, s1
	s_addc_u32 s4, s11, 0
	s_add_u32 s10, s0, -8
	s_addc_u32 s11, s4, -1
	v_readfirstlane_b32 s33, v5
	s_add_u32 s0, s2, s1
	s_addc_u32 s1, s3, 0
	s_add_u32 s2, s0, -8
	s_addc_u32 s3, s1, -1
.LBB34_48:
	s_mul_hi_u32 s0, s33, s47
	s_mov_b32 s4, exec_lo
	s_mul_i32 s0, s0, s46
	s_delay_alu instid0(SALU_CYCLE_1) | instskip(NEXT) | instid1(SALU_CYCLE_1)
	s_sub_i32 s0, s33, s0
	s_sub_i32 s1, s0, s46
	s_cmp_ge_u32 s0, s46
	s_cselect_b32 s0, s1, s0
	s_delay_alu instid0(SALU_CYCLE_1) | instskip(SKIP_2) | instid1(SALU_CYCLE_1)
	s_sub_i32 s1, s0, s46
	s_cmp_ge_u32 s0, s46
	s_cselect_b32 s0, s1, s0
	s_sub_i32 s1, s33, s0
	s_delay_alu instid0(SALU_CYCLE_1)
	v_cmpx_gt_i32_e64 s1, v7
	s_cbranch_execz .LBB34_51
; %bb.49:
	v_mov_b32_e32 v5, v0
	s_mov_b32 s5, 0
	.p2align	6
.LBB34_50:                              ; =>This Inner Loop Header: Depth=1
	s_delay_alu instid0(VALU_DEP_1) | instskip(NEXT) | instid1(VALU_DEP_1)
	v_ashrrev_i32_e32 v6, 31, v5
	v_lshlrev_b64 v[6:7], 4, v[5:6]
	v_add_nc_u32_e32 v5, v5, v8
	s_delay_alu instid0(VALU_DEP_1) | instskip(NEXT) | instid1(VALU_DEP_3)
	v_lshlrev_b32_e32 v13, 1, v5
	v_add_co_u32 v9, vcc_lo, s10, v6
	s_delay_alu instid0(VALU_DEP_4) | instskip(NEXT) | instid1(VALU_DEP_3)
	v_add_co_ci_u32_e32 v10, vcc_lo, s11, v7, vcc_lo
	v_cmp_le_i32_e32 vcc_lo, s1, v13
	v_add_co_u32 v6, s0, s2, v6
	global_load_b128 v[9:12], v[9:10], off
	v_add_co_ci_u32_e64 v7, s0, s3, v7, s0
	s_or_b32 s5, vcc_lo, s5
	s_waitcnt vmcnt(0)
	v_add_f64 v[9:10], v[9:10], -v[1:2]
	v_add_f64 v[11:12], v[11:12], -v[1:2]
	s_delay_alu instid0(VALU_DEP_2) | instskip(NEXT) | instid1(VALU_DEP_2)
	v_add_f64 v[9:10], v[9:10], -v[3:4]
	v_add_f64 v[11:12], v[11:12], -v[3:4]
	global_store_b128 v[6:7], v[9:12], off
	s_and_not1_b32 exec_lo, exec_lo, s5
	s_cbranch_execnz .LBB34_50
.LBB34_51:
	s_or_b32 exec_lo, exec_lo, s4
	v_add_nc_u32_e32 v5, s1, v0
	s_mov_b32 s0, exec_lo
	s_delay_alu instid0(VALU_DEP_1)
	v_cmpx_gt_i32_e64 s33, v5
	s_cbranch_execz .LBB34_54
; %bb.52:
	s_mov_b32 s1, 0
	.p2align	6
.LBB34_53:                              ; =>This Inner Loop Header: Depth=1
	v_ashrrev_i32_e32 v6, 31, v5
	s_delay_alu instid0(VALU_DEP_1) | instskip(SKIP_1) | instid1(VALU_DEP_2)
	v_lshlrev_b64 v[6:7], 3, v[5:6]
	v_add_nc_u32_e32 v5, v5, v8
	v_add_co_u32 v9, vcc_lo, s10, v6
	s_delay_alu instid0(VALU_DEP_3) | instskip(NEXT) | instid1(VALU_DEP_3)
	v_add_co_ci_u32_e32 v10, vcc_lo, s11, v7, vcc_lo
	v_cmp_le_i32_e32 vcc_lo, s33, v5
	v_add_co_u32 v6, s0, s2, v6
	global_load_b64 v[9:10], v[9:10], off
	v_add_co_ci_u32_e64 v7, s0, s3, v7, s0
	s_or_b32 s1, vcc_lo, s1
	s_waitcnt vmcnt(0)
	v_add_f64 v[9:10], v[9:10], -v[1:2]
	s_delay_alu instid0(VALU_DEP_1)
	v_add_f64 v[9:10], v[9:10], -v[3:4]
	global_store_b64 v[6:7], v[9:10], off
	s_and_not1_b32 exec_lo, exec_lo, s1
	s_cbranch_execnz .LBB34_53
.LBB34_54:
	s_nop 0
	s_sendmsg sendmsg(MSG_DEALLOC_VGPRS)
	s_endpgm
.LBB34_55:
	ds_load_b64 v[1:2], v16
	s_or_b32 exec_lo, exec_lo, s0
	v_cmp_gt_u32_e64 s3, 32, v0
	s_delay_alu instid0(VALU_DEP_1)
	s_and_saveexec_b32 s0, s3
	s_cbranch_execz .LBB34_18
.LBB34_56:
	s_waitcnt lgkmcnt(0)
	ds_bpermute_b32 v3, v10, v1
	ds_bpermute_b32 v4, v10, v2
	s_waitcnt lgkmcnt(0)
	v_cmp_lt_f64_e32 vcc_lo, v[1:2], v[3:4]
	v_dual_cndmask_b32 v2, v2, v4 :: v_dual_cndmask_b32 v1, v1, v3
	ds_bpermute_b32 v4, v11, v2
	ds_bpermute_b32 v3, v11, v1
	s_waitcnt lgkmcnt(0)
	v_cmp_lt_f64_e32 vcc_lo, v[1:2], v[3:4]
	v_dual_cndmask_b32 v2, v2, v4 :: v_dual_cndmask_b32 v1, v1, v3
	;; [unrolled: 5-line block ×5, first 2 shown]
	s_or_b32 exec_lo, exec_lo, s0
	v_cmp_eq_u32_e64 s0, 0, v0
	s_delay_alu instid0(VALU_DEP_1)
	s_and_saveexec_b32 s4, s0
	s_cbranch_execnz .LBB34_19
	s_branch .LBB34_20
.LBB34_57:
	ds_load_b64 v[3:4], v16
	s_or_b32 exec_lo, exec_lo, s2
	s_and_saveexec_b32 s1, s3
	s_cbranch_execz .LBB34_36
.LBB34_58:
	s_waitcnt lgkmcnt(0)
	ds_bpermute_b32 v5, v10, v3
	ds_bpermute_b32 v6, v10, v4
	s_waitcnt lgkmcnt(0)
	v_add_f64 v[3:4], v[3:4], v[5:6]
	ds_bpermute_b32 v5, v11, v3
	ds_bpermute_b32 v6, v11, v4
	s_waitcnt lgkmcnt(0)
	v_add_f64 v[3:4], v[3:4], v[5:6]
	ds_bpermute_b32 v5, v12, v3
	ds_bpermute_b32 v6, v12, v4
	s_waitcnt lgkmcnt(0)
	v_add_f64 v[3:4], v[3:4], v[5:6]
	ds_bpermute_b32 v5, v13, v3
	ds_bpermute_b32 v6, v13, v4
	s_waitcnt lgkmcnt(0)
	v_add_f64 v[3:4], v[3:4], v[5:6]
	ds_bpermute_b32 v5, v14, v3
	ds_bpermute_b32 v6, v14, v4
	s_waitcnt lgkmcnt(0)
	v_add_f64 v[3:4], v[3:4], v[5:6]
	s_or_b32 exec_lo, exec_lo, s1
	s_and_saveexec_b32 s1, s0
	s_cbranch_execnz .LBB34_37
	s_branch .LBB34_38
	.section	.rodata,"a",@progbits
	.p2align	6, 0x0
	.amdhsa_kernel _ZN2at6native12_GLOBAL__N_119cunn_SoftMaxForwardILi2EdddNS1_25LogSoftMaxForwardEpilogueEEEvPT2_PKT0_i
		.amdhsa_group_segment_fixed_size 0
		.amdhsa_private_segment_fixed_size 0
		.amdhsa_kernarg_size 280
		.amdhsa_user_sgpr_count 15
		.amdhsa_user_sgpr_dispatch_ptr 0
		.amdhsa_user_sgpr_queue_ptr 0
		.amdhsa_user_sgpr_kernarg_segment_ptr 1
		.amdhsa_user_sgpr_dispatch_id 0
		.amdhsa_user_sgpr_private_segment_size 0
		.amdhsa_wavefront_size32 1
		.amdhsa_uses_dynamic_stack 0
		.amdhsa_enable_private_segment 0
		.amdhsa_system_sgpr_workgroup_id_x 1
		.amdhsa_system_sgpr_workgroup_id_y 0
		.amdhsa_system_sgpr_workgroup_id_z 0
		.amdhsa_system_sgpr_workgroup_info 0
		.amdhsa_system_vgpr_workitem_id 0
		.amdhsa_next_free_vgpr 33
		.amdhsa_next_free_sgpr 51
		.amdhsa_reserve_vcc 1
		.amdhsa_float_round_mode_32 0
		.amdhsa_float_round_mode_16_64 0
		.amdhsa_float_denorm_mode_32 3
		.amdhsa_float_denorm_mode_16_64 3
		.amdhsa_dx10_clamp 1
		.amdhsa_ieee_mode 1
		.amdhsa_fp16_overflow 0
		.amdhsa_workgroup_processor_mode 1
		.amdhsa_memory_ordered 1
		.amdhsa_forward_progress 0
		.amdhsa_shared_vgpr_count 0
		.amdhsa_exception_fp_ieee_invalid_op 0
		.amdhsa_exception_fp_denorm_src 0
		.amdhsa_exception_fp_ieee_div_zero 0
		.amdhsa_exception_fp_ieee_overflow 0
		.amdhsa_exception_fp_ieee_underflow 0
		.amdhsa_exception_fp_ieee_inexact 0
		.amdhsa_exception_int_div_zero 0
	.end_amdhsa_kernel
	.section	.text._ZN2at6native12_GLOBAL__N_119cunn_SoftMaxForwardILi2EdddNS1_25LogSoftMaxForwardEpilogueEEEvPT2_PKT0_i,"axG",@progbits,_ZN2at6native12_GLOBAL__N_119cunn_SoftMaxForwardILi2EdddNS1_25LogSoftMaxForwardEpilogueEEEvPT2_PKT0_i,comdat
.Lfunc_end34:
	.size	_ZN2at6native12_GLOBAL__N_119cunn_SoftMaxForwardILi2EdddNS1_25LogSoftMaxForwardEpilogueEEEvPT2_PKT0_i, .Lfunc_end34-_ZN2at6native12_GLOBAL__N_119cunn_SoftMaxForwardILi2EdddNS1_25LogSoftMaxForwardEpilogueEEEvPT2_PKT0_i
                                        ; -- End function
	.section	.AMDGPU.csdata,"",@progbits
; Kernel info:
; codeLenInByte = 5652
; NumSgprs: 53
; NumVgprs: 33
; ScratchSize: 0
; MemoryBound: 0
; FloatMode: 240
; IeeeMode: 1
; LDSByteSize: 0 bytes/workgroup (compile time only)
; SGPRBlocks: 6
; VGPRBlocks: 4
; NumSGPRsForWavesPerEU: 53
; NumVGPRsForWavesPerEU: 33
; Occupancy: 16
; WaveLimiterHint : 0
; COMPUTE_PGM_RSRC2:SCRATCH_EN: 0
; COMPUTE_PGM_RSRC2:USER_SGPR: 15
; COMPUTE_PGM_RSRC2:TRAP_HANDLER: 0
; COMPUTE_PGM_RSRC2:TGID_X_EN: 1
; COMPUTE_PGM_RSRC2:TGID_Y_EN: 0
; COMPUTE_PGM_RSRC2:TGID_Z_EN: 0
; COMPUTE_PGM_RSRC2:TIDIG_COMP_CNT: 0
	.section	.text._ZN12_GLOBAL__N_120softmax_warp_forwardIfffLi0ELb1ELb0ELi64EEEvPT0_PKT_iiiPKbib,"axG",@progbits,_ZN12_GLOBAL__N_120softmax_warp_forwardIfffLi0ELb1ELb0ELi64EEEvPT0_PKT_iiiPKbib,comdat
	.globl	_ZN12_GLOBAL__N_120softmax_warp_forwardIfffLi0ELb1ELb0ELi64EEEvPT0_PKT_iiiPKbib ; -- Begin function _ZN12_GLOBAL__N_120softmax_warp_forwardIfffLi0ELb1ELb0ELi64EEEvPT0_PKT_iiiPKbib
	.p2align	8
	.type	_ZN12_GLOBAL__N_120softmax_warp_forwardIfffLi0ELb1ELb0ELi64EEEvPT0_PKT_iiiPKbib,@function
_ZN12_GLOBAL__N_120softmax_warp_forwardIfffLi0ELb1ELb0ELi64EEEvPT0_PKT_iiiPKbib: ; @_ZN12_GLOBAL__N_120softmax_warp_forwardIfffLi0ELb1ELb0ELi64EEEvPT0_PKT_iiiPKbib
; %bb.0:
	s_clause 0x1
	s_load_b32 s2, s[0:1], 0x3c
	s_load_b256 s[4:11], s[0:1], 0x0
	v_bfe_u32 v1, v0, 10, 10
	v_and_b32_e32 v2, 0x3ff, v0
	v_dual_mov_b32 v5, 0xff800000 :: v_dual_mov_b32 v6, 0xff800000
	s_waitcnt lgkmcnt(0)
	s_lshr_b32 s0, s2, 16
	s_delay_alu instid0(VALU_DEP_2) | instskip(SKIP_1) | instid1(SALU_CYCLE_1)
	v_cmp_gt_i32_e32 vcc_lo, s10, v2
	s_mul_i32 s15, s15, s0
	v_add_lshl_u32 v3, s15, v1, 1
	s_delay_alu instid0(VALU_DEP_1) | instskip(SKIP_1) | instid1(VALU_DEP_1)
	v_mad_u64_u32 v[0:1], null, v3, s9, v[2:3]
	v_sub_nc_u32_e32 v4, s8, v3
	v_cmp_lt_i32_e64 s0, 0, v4
	s_delay_alu instid0(VALU_DEP_3) | instskip(NEXT) | instid1(VALU_DEP_2)
	v_ashrrev_i32_e32 v1, 31, v0
	s_and_b32 s2, vcc_lo, s0
	s_delay_alu instid0(VALU_DEP_1) | instskip(NEXT) | instid1(VALU_DEP_1)
	v_lshlrev_b64 v[0:1], 2, v[0:1]
	v_add_co_u32 v2, s1, s6, v0
	s_delay_alu instid0(VALU_DEP_1)
	v_add_co_ci_u32_e64 v3, s1, s7, v1, s1
	s_and_saveexec_b32 s1, s2
	s_cbranch_execz .LBB35_2
; %bb.1:
	global_load_b32 v6, v[2:3], off
.LBB35_2:
	s_or_b32 exec_lo, exec_lo, s1
	v_cmp_lt_i32_e64 s1, 1, v4
	s_delay_alu instid0(VALU_DEP_1) | instskip(NEXT) | instid1(SALU_CYCLE_1)
	s_and_b32 s1, vcc_lo, s1
	s_and_saveexec_b32 s2, s1
	s_cbranch_execz .LBB35_4
; %bb.3:
	s_mov_b32 s11, 0
	s_delay_alu instid0(SALU_CYCLE_1) | instskip(NEXT) | instid1(SALU_CYCLE_1)
	s_lshl_b64 s[6:7], s[10:11], 2
	v_add_co_u32 v2, s1, v2, s6
	s_delay_alu instid0(VALU_DEP_1)
	v_add_co_ci_u32_e64 v3, s1, s7, v3, s1
	global_load_b32 v5, v[2:3], off
.LBB35_4:
	s_or_b32 exec_lo, exec_lo, s2
	s_and_saveexec_b32 s1, s0
	s_cbranch_execz .LBB35_10
; %bb.5:
	v_add_co_u32 v0, s0, s4, v0
	s_delay_alu instid0(VALU_DEP_1)
	v_add_co_ci_u32_e64 v1, s0, s5, v1, s0
	s_and_saveexec_b32 s2, vcc_lo
	s_cbranch_execz .LBB35_7
; %bb.6:
	s_waitcnt vmcnt(0)
	v_sub_f32_e32 v2, v6, v6
	s_delay_alu instid0(VALU_DEP_1) | instskip(NEXT) | instid1(VALU_DEP_1)
	v_mul_f32_e32 v3, 0x3fb8aa3b, v2
	v_rndne_f32_e32 v6, v3
	v_fma_f32 v7, 0x3fb8aa3b, v2, -v3
	s_delay_alu instid0(VALU_DEP_2) | instskip(NEXT) | instid1(VALU_DEP_2)
	v_sub_f32_e32 v3, v3, v6
	v_fmamk_f32 v7, v2, 0x32a5705f, v7
	v_cvt_i32_f32_e32 v6, v6
	s_delay_alu instid0(VALU_DEP_2) | instskip(SKIP_1) | instid1(VALU_DEP_2)
	v_add_f32_e32 v3, v3, v7
	v_cmp_ngt_f32_e64 s0, 0xc2ce8ed0, v2
	v_exp_f32_e32 v3, v3
	s_waitcnt_depctr 0xfff
	v_ldexp_f32 v3, v3, v6
	s_delay_alu instid0(VALU_DEP_1) | instskip(SKIP_1) | instid1(VALU_DEP_1)
	v_cndmask_b32_e64 v3, 0, v3, s0
	v_cmp_nlt_f32_e64 s0, 0x42b17218, v2
	v_cndmask_b32_e64 v3, 0x7f800000, v3, s0
	s_delay_alu instid0(VALU_DEP_1) | instskip(NEXT) | instid1(VALU_DEP_1)
	v_cmp_gt_f32_e64 s0, 0x800000, v3
	v_cndmask_b32_e64 v6, 1.0, 0x4f800000, s0
	s_delay_alu instid0(VALU_DEP_1) | instskip(NEXT) | instid1(VALU_DEP_1)
	v_mul_f32_e32 v3, v3, v6
	v_log_f32_e32 v3, v3
	s_waitcnt_depctr 0xfff
	v_mul_f32_e32 v6, 0x3f317217, v3
	v_cmp_gt_f32_e64 s1, 0x7f800000, |v3|
	s_delay_alu instid0(VALU_DEP_2) | instskip(NEXT) | instid1(VALU_DEP_1)
	v_fma_f32 v7, 0x3f317217, v3, -v6
	v_fmamk_f32 v7, v3, 0x3377d1cf, v7
	s_delay_alu instid0(VALU_DEP_1) | instskip(NEXT) | instid1(VALU_DEP_1)
	v_add_f32_e32 v6, v6, v7
	v_cndmask_b32_e64 v3, v3, v6, s1
	v_cndmask_b32_e64 v6, 0, 0x41b17218, s0
	s_delay_alu instid0(VALU_DEP_1) | instskip(NEXT) | instid1(VALU_DEP_1)
	v_sub_f32_e32 v3, v3, v6
	v_sub_f32_e32 v2, v2, v3
	global_store_b32 v[0:1], v2, off
.LBB35_7:
	s_or_b32 exec_lo, exec_lo, s2
	v_cmp_ne_u32_e64 s0, 1, v4
	s_delay_alu instid0(VALU_DEP_1)
	s_and_b32 exec_lo, exec_lo, s0
	s_cbranch_execz .LBB35_10
; %bb.8:
	s_and_b32 exec_lo, exec_lo, vcc_lo
	s_cbranch_execz .LBB35_10
; %bb.9:
	s_waitcnt vmcnt(0)
	v_sub_f32_e32 v2, v5, v5
	s_mov_b32 s11, 0
	s_delay_alu instid0(SALU_CYCLE_1) | instskip(NEXT) | instid1(VALU_DEP_1)
	s_lshl_b64 s[0:1], s[10:11], 2
	v_mul_f32_e32 v3, 0x3fb8aa3b, v2
	s_delay_alu instid0(VALU_DEP_1) | instskip(SKIP_1) | instid1(VALU_DEP_2)
	v_rndne_f32_e32 v4, v3
	v_fma_f32 v5, 0x3fb8aa3b, v2, -v3
	v_sub_f32_e32 v3, v3, v4
	s_delay_alu instid0(VALU_DEP_2) | instskip(SKIP_2) | instid1(VALU_DEP_3)
	v_fmamk_f32 v5, v2, 0x32a5705f, v5
	v_cvt_i32_f32_e32 v4, v4
	v_cmp_ngt_f32_e32 vcc_lo, 0xc2ce8ed0, v2
	v_add_f32_e32 v3, v3, v5
	s_delay_alu instid0(VALU_DEP_1) | instskip(SKIP_2) | instid1(VALU_DEP_1)
	v_exp_f32_e32 v3, v3
	s_waitcnt_depctr 0xfff
	v_ldexp_f32 v3, v3, v4
	v_cndmask_b32_e32 v3, 0, v3, vcc_lo
	v_cmp_nlt_f32_e32 vcc_lo, 0x42b17218, v2
	s_delay_alu instid0(VALU_DEP_2) | instskip(NEXT) | instid1(VALU_DEP_1)
	v_cndmask_b32_e32 v3, 0x7f800000, v3, vcc_lo
	v_cmp_gt_f32_e32 vcc_lo, 0x800000, v3
	v_cndmask_b32_e64 v4, 1.0, 0x4f800000, vcc_lo
	s_delay_alu instid0(VALU_DEP_1) | instskip(NEXT) | instid1(VALU_DEP_1)
	v_mul_f32_e32 v3, v3, v4
	v_log_f32_e32 v3, v3
	s_waitcnt_depctr 0xfff
	v_mul_f32_e32 v4, 0x3f317217, v3
	s_delay_alu instid0(VALU_DEP_1) | instskip(NEXT) | instid1(VALU_DEP_1)
	v_fma_f32 v5, 0x3f317217, v3, -v4
	v_fmamk_f32 v5, v3, 0x3377d1cf, v5
	s_delay_alu instid0(VALU_DEP_1) | instskip(SKIP_2) | instid1(VALU_DEP_3)
	v_add_f32_e32 v4, v4, v5
	v_cndmask_b32_e64 v5, 0, 0x41b17218, vcc_lo
	v_cmp_gt_f32_e64 vcc_lo, 0x7f800000, |v3|
	v_cndmask_b32_e32 v3, v3, v4, vcc_lo
	v_add_co_u32 v0, vcc_lo, v0, s0
	v_add_co_ci_u32_e32 v1, vcc_lo, s1, v1, vcc_lo
	s_delay_alu instid0(VALU_DEP_3) | instskip(NEXT) | instid1(VALU_DEP_1)
	v_sub_f32_e32 v3, v3, v5
	v_sub_f32_e32 v2, v2, v3
	global_store_b32 v[0:1], v2, off
.LBB35_10:
	s_nop 0
	s_sendmsg sendmsg(MSG_DEALLOC_VGPRS)
	s_endpgm
	.section	.rodata,"a",@progbits
	.p2align	6, 0x0
	.amdhsa_kernel _ZN12_GLOBAL__N_120softmax_warp_forwardIfffLi0ELb1ELb0ELi64EEEvPT0_PKT_iiiPKbib
		.amdhsa_group_segment_fixed_size 0
		.amdhsa_private_segment_fixed_size 0
		.amdhsa_kernarg_size 304
		.amdhsa_user_sgpr_count 15
		.amdhsa_user_sgpr_dispatch_ptr 0
		.amdhsa_user_sgpr_queue_ptr 0
		.amdhsa_user_sgpr_kernarg_segment_ptr 1
		.amdhsa_user_sgpr_dispatch_id 0
		.amdhsa_user_sgpr_private_segment_size 0
		.amdhsa_wavefront_size32 1
		.amdhsa_uses_dynamic_stack 0
		.amdhsa_enable_private_segment 0
		.amdhsa_system_sgpr_workgroup_id_x 1
		.amdhsa_system_sgpr_workgroup_id_y 0
		.amdhsa_system_sgpr_workgroup_id_z 0
		.amdhsa_system_sgpr_workgroup_info 0
		.amdhsa_system_vgpr_workitem_id 1
		.amdhsa_next_free_vgpr 8
		.amdhsa_next_free_sgpr 16
		.amdhsa_reserve_vcc 1
		.amdhsa_float_round_mode_32 0
		.amdhsa_float_round_mode_16_64 0
		.amdhsa_float_denorm_mode_32 3
		.amdhsa_float_denorm_mode_16_64 3
		.amdhsa_dx10_clamp 1
		.amdhsa_ieee_mode 1
		.amdhsa_fp16_overflow 0
		.amdhsa_workgroup_processor_mode 1
		.amdhsa_memory_ordered 1
		.amdhsa_forward_progress 0
		.amdhsa_shared_vgpr_count 0
		.amdhsa_exception_fp_ieee_invalid_op 0
		.amdhsa_exception_fp_denorm_src 0
		.amdhsa_exception_fp_ieee_div_zero 0
		.amdhsa_exception_fp_ieee_overflow 0
		.amdhsa_exception_fp_ieee_underflow 0
		.amdhsa_exception_fp_ieee_inexact 0
		.amdhsa_exception_int_div_zero 0
	.end_amdhsa_kernel
	.section	.text._ZN12_GLOBAL__N_120softmax_warp_forwardIfffLi0ELb1ELb0ELi64EEEvPT0_PKT_iiiPKbib,"axG",@progbits,_ZN12_GLOBAL__N_120softmax_warp_forwardIfffLi0ELb1ELb0ELi64EEEvPT0_PKT_iiiPKbib,comdat
.Lfunc_end35:
	.size	_ZN12_GLOBAL__N_120softmax_warp_forwardIfffLi0ELb1ELb0ELi64EEEvPT0_PKT_iiiPKbib, .Lfunc_end35-_ZN12_GLOBAL__N_120softmax_warp_forwardIfffLi0ELb1ELb0ELi64EEEvPT0_PKT_iiiPKbib
                                        ; -- End function
	.section	.AMDGPU.csdata,"",@progbits
; Kernel info:
; codeLenInByte = 836
; NumSgprs: 18
; NumVgprs: 8
; ScratchSize: 0
; MemoryBound: 0
; FloatMode: 240
; IeeeMode: 1
; LDSByteSize: 0 bytes/workgroup (compile time only)
; SGPRBlocks: 2
; VGPRBlocks: 0
; NumSGPRsForWavesPerEU: 18
; NumVGPRsForWavesPerEU: 8
; Occupancy: 16
; WaveLimiterHint : 0
; COMPUTE_PGM_RSRC2:SCRATCH_EN: 0
; COMPUTE_PGM_RSRC2:USER_SGPR: 15
; COMPUTE_PGM_RSRC2:TRAP_HANDLER: 0
; COMPUTE_PGM_RSRC2:TGID_X_EN: 1
; COMPUTE_PGM_RSRC2:TGID_Y_EN: 0
; COMPUTE_PGM_RSRC2:TGID_Z_EN: 0
; COMPUTE_PGM_RSRC2:TIDIG_COMP_CNT: 1
	.section	.text._ZN12_GLOBAL__N_120softmax_warp_forwardIfffLi0ELb1ELb0ELi32EEEvPT0_PKT_iiiPKbib,"axG",@progbits,_ZN12_GLOBAL__N_120softmax_warp_forwardIfffLi0ELb1ELb0ELi32EEEvPT0_PKT_iiiPKbib,comdat
	.globl	_ZN12_GLOBAL__N_120softmax_warp_forwardIfffLi0ELb1ELb0ELi32EEEvPT0_PKT_iiiPKbib ; -- Begin function _ZN12_GLOBAL__N_120softmax_warp_forwardIfffLi0ELb1ELb0ELi32EEEvPT0_PKT_iiiPKbib
	.p2align	8
	.type	_ZN12_GLOBAL__N_120softmax_warp_forwardIfffLi0ELb1ELb0ELi32EEEvPT0_PKT_iiiPKbib,@function
_ZN12_GLOBAL__N_120softmax_warp_forwardIfffLi0ELb1ELb0ELi32EEEvPT0_PKT_iiiPKbib: ; @_ZN12_GLOBAL__N_120softmax_warp_forwardIfffLi0ELb1ELb0ELi32EEEvPT0_PKT_iiiPKbib
; %bb.0:
	s_clause 0x1
	s_load_b32 s2, s[0:1], 0x3c
	s_load_b256 s[4:11], s[0:1], 0x0
	v_bfe_u32 v1, v0, 10, 10
	v_and_b32_e32 v2, 0x3ff, v0
	v_dual_mov_b32 v5, 0xff800000 :: v_dual_mov_b32 v6, 0xff800000
	s_waitcnt lgkmcnt(0)
	s_lshr_b32 s0, s2, 16
	s_delay_alu instid0(VALU_DEP_2) | instskip(SKIP_1) | instid1(SALU_CYCLE_1)
	v_cmp_gt_i32_e32 vcc_lo, s10, v2
	s_mul_i32 s15, s15, s0
	v_add_lshl_u32 v3, s15, v1, 1
	s_delay_alu instid0(VALU_DEP_1) | instskip(SKIP_1) | instid1(VALU_DEP_1)
	v_mad_u64_u32 v[0:1], null, v3, s9, v[2:3]
	v_sub_nc_u32_e32 v4, s8, v3
	v_cmp_lt_i32_e64 s0, 0, v4
	s_delay_alu instid0(VALU_DEP_3) | instskip(NEXT) | instid1(VALU_DEP_2)
	v_ashrrev_i32_e32 v1, 31, v0
	s_and_b32 s2, vcc_lo, s0
	s_delay_alu instid0(VALU_DEP_1) | instskip(NEXT) | instid1(VALU_DEP_1)
	v_lshlrev_b64 v[0:1], 2, v[0:1]
	v_add_co_u32 v2, s1, s6, v0
	s_delay_alu instid0(VALU_DEP_1)
	v_add_co_ci_u32_e64 v3, s1, s7, v1, s1
	s_and_saveexec_b32 s1, s2
	s_cbranch_execz .LBB36_2
; %bb.1:
	global_load_b32 v6, v[2:3], off
.LBB36_2:
	s_or_b32 exec_lo, exec_lo, s1
	v_cmp_lt_i32_e64 s1, 1, v4
	s_delay_alu instid0(VALU_DEP_1) | instskip(NEXT) | instid1(SALU_CYCLE_1)
	s_and_b32 s1, vcc_lo, s1
	s_and_saveexec_b32 s2, s1
	s_cbranch_execz .LBB36_4
; %bb.3:
	s_mov_b32 s11, 0
	s_delay_alu instid0(SALU_CYCLE_1) | instskip(NEXT) | instid1(SALU_CYCLE_1)
	s_lshl_b64 s[6:7], s[10:11], 2
	v_add_co_u32 v2, s1, v2, s6
	s_delay_alu instid0(VALU_DEP_1)
	v_add_co_ci_u32_e64 v3, s1, s7, v3, s1
	global_load_b32 v5, v[2:3], off
.LBB36_4:
	s_or_b32 exec_lo, exec_lo, s2
	s_and_saveexec_b32 s1, s0
	s_cbranch_execz .LBB36_10
; %bb.5:
	v_add_co_u32 v0, s0, s4, v0
	s_delay_alu instid0(VALU_DEP_1)
	v_add_co_ci_u32_e64 v1, s0, s5, v1, s0
	s_and_saveexec_b32 s2, vcc_lo
	s_cbranch_execz .LBB36_7
; %bb.6:
	s_waitcnt vmcnt(0)
	v_sub_f32_e32 v2, v6, v6
	s_delay_alu instid0(VALU_DEP_1) | instskip(NEXT) | instid1(VALU_DEP_1)
	v_mul_f32_e32 v3, 0x3fb8aa3b, v2
	v_rndne_f32_e32 v6, v3
	v_fma_f32 v7, 0x3fb8aa3b, v2, -v3
	s_delay_alu instid0(VALU_DEP_2) | instskip(NEXT) | instid1(VALU_DEP_2)
	v_sub_f32_e32 v3, v3, v6
	v_fmamk_f32 v7, v2, 0x32a5705f, v7
	v_cvt_i32_f32_e32 v6, v6
	s_delay_alu instid0(VALU_DEP_2) | instskip(SKIP_1) | instid1(VALU_DEP_2)
	v_add_f32_e32 v3, v3, v7
	v_cmp_ngt_f32_e64 s0, 0xc2ce8ed0, v2
	v_exp_f32_e32 v3, v3
	s_waitcnt_depctr 0xfff
	v_ldexp_f32 v3, v3, v6
	s_delay_alu instid0(VALU_DEP_1) | instskip(SKIP_1) | instid1(VALU_DEP_1)
	v_cndmask_b32_e64 v3, 0, v3, s0
	v_cmp_nlt_f32_e64 s0, 0x42b17218, v2
	v_cndmask_b32_e64 v3, 0x7f800000, v3, s0
	s_delay_alu instid0(VALU_DEP_1) | instskip(NEXT) | instid1(VALU_DEP_1)
	v_cmp_gt_f32_e64 s0, 0x800000, v3
	v_cndmask_b32_e64 v6, 1.0, 0x4f800000, s0
	s_delay_alu instid0(VALU_DEP_1) | instskip(NEXT) | instid1(VALU_DEP_1)
	v_mul_f32_e32 v3, v3, v6
	v_log_f32_e32 v3, v3
	s_waitcnt_depctr 0xfff
	v_mul_f32_e32 v6, 0x3f317217, v3
	v_cmp_gt_f32_e64 s1, 0x7f800000, |v3|
	s_delay_alu instid0(VALU_DEP_2) | instskip(NEXT) | instid1(VALU_DEP_1)
	v_fma_f32 v7, 0x3f317217, v3, -v6
	v_fmamk_f32 v7, v3, 0x3377d1cf, v7
	s_delay_alu instid0(VALU_DEP_1) | instskip(NEXT) | instid1(VALU_DEP_1)
	v_add_f32_e32 v6, v6, v7
	v_cndmask_b32_e64 v3, v3, v6, s1
	v_cndmask_b32_e64 v6, 0, 0x41b17218, s0
	s_delay_alu instid0(VALU_DEP_1) | instskip(NEXT) | instid1(VALU_DEP_1)
	v_sub_f32_e32 v3, v3, v6
	v_sub_f32_e32 v2, v2, v3
	global_store_b32 v[0:1], v2, off
.LBB36_7:
	s_or_b32 exec_lo, exec_lo, s2
	v_cmp_ne_u32_e64 s0, 1, v4
	s_delay_alu instid0(VALU_DEP_1)
	s_and_b32 exec_lo, exec_lo, s0
	s_cbranch_execz .LBB36_10
; %bb.8:
	s_and_b32 exec_lo, exec_lo, vcc_lo
	s_cbranch_execz .LBB36_10
; %bb.9:
	s_waitcnt vmcnt(0)
	v_sub_f32_e32 v2, v5, v5
	s_mov_b32 s11, 0
	s_delay_alu instid0(SALU_CYCLE_1) | instskip(NEXT) | instid1(VALU_DEP_1)
	s_lshl_b64 s[0:1], s[10:11], 2
	v_mul_f32_e32 v3, 0x3fb8aa3b, v2
	s_delay_alu instid0(VALU_DEP_1) | instskip(SKIP_1) | instid1(VALU_DEP_2)
	v_rndne_f32_e32 v4, v3
	v_fma_f32 v5, 0x3fb8aa3b, v2, -v3
	v_sub_f32_e32 v3, v3, v4
	s_delay_alu instid0(VALU_DEP_2) | instskip(SKIP_2) | instid1(VALU_DEP_3)
	v_fmamk_f32 v5, v2, 0x32a5705f, v5
	v_cvt_i32_f32_e32 v4, v4
	v_cmp_ngt_f32_e32 vcc_lo, 0xc2ce8ed0, v2
	v_add_f32_e32 v3, v3, v5
	s_delay_alu instid0(VALU_DEP_1) | instskip(SKIP_2) | instid1(VALU_DEP_1)
	v_exp_f32_e32 v3, v3
	s_waitcnt_depctr 0xfff
	v_ldexp_f32 v3, v3, v4
	v_cndmask_b32_e32 v3, 0, v3, vcc_lo
	v_cmp_nlt_f32_e32 vcc_lo, 0x42b17218, v2
	s_delay_alu instid0(VALU_DEP_2) | instskip(NEXT) | instid1(VALU_DEP_1)
	v_cndmask_b32_e32 v3, 0x7f800000, v3, vcc_lo
	v_cmp_gt_f32_e32 vcc_lo, 0x800000, v3
	v_cndmask_b32_e64 v4, 1.0, 0x4f800000, vcc_lo
	s_delay_alu instid0(VALU_DEP_1) | instskip(NEXT) | instid1(VALU_DEP_1)
	v_mul_f32_e32 v3, v3, v4
	v_log_f32_e32 v3, v3
	s_waitcnt_depctr 0xfff
	v_mul_f32_e32 v4, 0x3f317217, v3
	s_delay_alu instid0(VALU_DEP_1) | instskip(NEXT) | instid1(VALU_DEP_1)
	v_fma_f32 v5, 0x3f317217, v3, -v4
	v_fmamk_f32 v5, v3, 0x3377d1cf, v5
	s_delay_alu instid0(VALU_DEP_1) | instskip(SKIP_2) | instid1(VALU_DEP_3)
	v_add_f32_e32 v4, v4, v5
	v_cndmask_b32_e64 v5, 0, 0x41b17218, vcc_lo
	v_cmp_gt_f32_e64 vcc_lo, 0x7f800000, |v3|
	v_cndmask_b32_e32 v3, v3, v4, vcc_lo
	v_add_co_u32 v0, vcc_lo, v0, s0
	v_add_co_ci_u32_e32 v1, vcc_lo, s1, v1, vcc_lo
	s_delay_alu instid0(VALU_DEP_3) | instskip(NEXT) | instid1(VALU_DEP_1)
	v_sub_f32_e32 v3, v3, v5
	v_sub_f32_e32 v2, v2, v3
	global_store_b32 v[0:1], v2, off
.LBB36_10:
	s_nop 0
	s_sendmsg sendmsg(MSG_DEALLOC_VGPRS)
	s_endpgm
	.section	.rodata,"a",@progbits
	.p2align	6, 0x0
	.amdhsa_kernel _ZN12_GLOBAL__N_120softmax_warp_forwardIfffLi0ELb1ELb0ELi32EEEvPT0_PKT_iiiPKbib
		.amdhsa_group_segment_fixed_size 0
		.amdhsa_private_segment_fixed_size 0
		.amdhsa_kernarg_size 304
		.amdhsa_user_sgpr_count 15
		.amdhsa_user_sgpr_dispatch_ptr 0
		.amdhsa_user_sgpr_queue_ptr 0
		.amdhsa_user_sgpr_kernarg_segment_ptr 1
		.amdhsa_user_sgpr_dispatch_id 0
		.amdhsa_user_sgpr_private_segment_size 0
		.amdhsa_wavefront_size32 1
		.amdhsa_uses_dynamic_stack 0
		.amdhsa_enable_private_segment 0
		.amdhsa_system_sgpr_workgroup_id_x 1
		.amdhsa_system_sgpr_workgroup_id_y 0
		.amdhsa_system_sgpr_workgroup_id_z 0
		.amdhsa_system_sgpr_workgroup_info 0
		.amdhsa_system_vgpr_workitem_id 1
		.amdhsa_next_free_vgpr 8
		.amdhsa_next_free_sgpr 16
		.amdhsa_reserve_vcc 1
		.amdhsa_float_round_mode_32 0
		.amdhsa_float_round_mode_16_64 0
		.amdhsa_float_denorm_mode_32 3
		.amdhsa_float_denorm_mode_16_64 3
		.amdhsa_dx10_clamp 1
		.amdhsa_ieee_mode 1
		.amdhsa_fp16_overflow 0
		.amdhsa_workgroup_processor_mode 1
		.amdhsa_memory_ordered 1
		.amdhsa_forward_progress 0
		.amdhsa_shared_vgpr_count 0
		.amdhsa_exception_fp_ieee_invalid_op 0
		.amdhsa_exception_fp_denorm_src 0
		.amdhsa_exception_fp_ieee_div_zero 0
		.amdhsa_exception_fp_ieee_overflow 0
		.amdhsa_exception_fp_ieee_underflow 0
		.amdhsa_exception_fp_ieee_inexact 0
		.amdhsa_exception_int_div_zero 0
	.end_amdhsa_kernel
	.section	.text._ZN12_GLOBAL__N_120softmax_warp_forwardIfffLi0ELb1ELb0ELi32EEEvPT0_PKT_iiiPKbib,"axG",@progbits,_ZN12_GLOBAL__N_120softmax_warp_forwardIfffLi0ELb1ELb0ELi32EEEvPT0_PKT_iiiPKbib,comdat
.Lfunc_end36:
	.size	_ZN12_GLOBAL__N_120softmax_warp_forwardIfffLi0ELb1ELb0ELi32EEEvPT0_PKT_iiiPKbib, .Lfunc_end36-_ZN12_GLOBAL__N_120softmax_warp_forwardIfffLi0ELb1ELb0ELi32EEEvPT0_PKT_iiiPKbib
                                        ; -- End function
	.section	.AMDGPU.csdata,"",@progbits
; Kernel info:
; codeLenInByte = 836
; NumSgprs: 18
; NumVgprs: 8
; ScratchSize: 0
; MemoryBound: 0
; FloatMode: 240
; IeeeMode: 1
; LDSByteSize: 0 bytes/workgroup (compile time only)
; SGPRBlocks: 2
; VGPRBlocks: 0
; NumSGPRsForWavesPerEU: 18
; NumVGPRsForWavesPerEU: 8
; Occupancy: 16
; WaveLimiterHint : 0
; COMPUTE_PGM_RSRC2:SCRATCH_EN: 0
; COMPUTE_PGM_RSRC2:USER_SGPR: 15
; COMPUTE_PGM_RSRC2:TRAP_HANDLER: 0
; COMPUTE_PGM_RSRC2:TGID_X_EN: 1
; COMPUTE_PGM_RSRC2:TGID_Y_EN: 0
; COMPUTE_PGM_RSRC2:TGID_Z_EN: 0
; COMPUTE_PGM_RSRC2:TIDIG_COMP_CNT: 1
	.section	.text._ZN12_GLOBAL__N_120softmax_warp_forwardIfffLi1ELb1ELb0ELi64EEEvPT0_PKT_iiiPKbib,"axG",@progbits,_ZN12_GLOBAL__N_120softmax_warp_forwardIfffLi1ELb1ELb0ELi64EEEvPT0_PKT_iiiPKbib,comdat
	.globl	_ZN12_GLOBAL__N_120softmax_warp_forwardIfffLi1ELb1ELb0ELi64EEEvPT0_PKT_iiiPKbib ; -- Begin function _ZN12_GLOBAL__N_120softmax_warp_forwardIfffLi1ELb1ELb0ELi64EEEvPT0_PKT_iiiPKbib
	.p2align	8
	.type	_ZN12_GLOBAL__N_120softmax_warp_forwardIfffLi1ELb1ELb0ELi64EEEvPT0_PKT_iiiPKbib,@function
_ZN12_GLOBAL__N_120softmax_warp_forwardIfffLi1ELb1ELb0ELi64EEEvPT0_PKT_iiiPKbib: ; @_ZN12_GLOBAL__N_120softmax_warp_forwardIfffLi1ELb1ELb0ELi64EEEvPT0_PKT_iiiPKbib
; %bb.0:
	s_clause 0x1
	s_load_b32 s2, s[0:1], 0x3c
	s_load_b256 s[4:11], s[0:1], 0x0
	v_bfe_u32 v1, v0, 10, 10
	v_and_b32_e32 v2, 0x3ff, v0
	v_dual_mov_b32 v5, 0xff800000 :: v_dual_mov_b32 v6, 0xff800000
	s_waitcnt lgkmcnt(0)
	s_lshr_b32 s0, s2, 16
	s_delay_alu instid0(VALU_DEP_2) | instskip(SKIP_1) | instid1(SALU_CYCLE_1)
	v_cmp_gt_i32_e32 vcc_lo, s10, v2
	s_mul_i32 s15, s15, s0
	v_add_lshl_u32 v3, s15, v1, 1
	s_delay_alu instid0(VALU_DEP_1) | instskip(SKIP_1) | instid1(VALU_DEP_1)
	v_mad_u64_u32 v[0:1], null, v3, s9, v[2:3]
	v_sub_nc_u32_e32 v4, s8, v3
	v_cmp_lt_i32_e64 s0, 0, v4
	s_delay_alu instid0(VALU_DEP_3) | instskip(NEXT) | instid1(VALU_DEP_2)
	v_ashrrev_i32_e32 v1, 31, v0
	s_and_b32 s2, vcc_lo, s0
	s_delay_alu instid0(VALU_DEP_1) | instskip(NEXT) | instid1(VALU_DEP_1)
	v_lshlrev_b64 v[0:1], 2, v[0:1]
	v_add_co_u32 v2, s1, s6, v0
	s_delay_alu instid0(VALU_DEP_1)
	v_add_co_ci_u32_e64 v3, s1, s7, v1, s1
	s_and_saveexec_b32 s1, s2
	s_cbranch_execz .LBB37_2
; %bb.1:
	global_load_b32 v6, v[2:3], off
.LBB37_2:
	s_or_b32 exec_lo, exec_lo, s1
	v_cmp_lt_i32_e64 s1, 1, v4
	s_delay_alu instid0(VALU_DEP_1) | instskip(NEXT) | instid1(SALU_CYCLE_1)
	s_and_b32 s1, vcc_lo, s1
	s_and_saveexec_b32 s2, s1
	s_cbranch_execz .LBB37_4
; %bb.3:
	s_mov_b32 s11, 0
	s_delay_alu instid0(SALU_CYCLE_1) | instskip(NEXT) | instid1(SALU_CYCLE_1)
	s_lshl_b64 s[6:7], s[10:11], 2
	v_add_co_u32 v2, s1, v2, s6
	s_delay_alu instid0(VALU_DEP_1)
	v_add_co_ci_u32_e64 v3, s1, s7, v3, s1
	global_load_b32 v5, v[2:3], off
.LBB37_4:
	s_or_b32 exec_lo, exec_lo, s2
	v_mbcnt_lo_u32_b32 v2, -1, 0
	s_delay_alu instid0(VALU_DEP_1) | instskip(SKIP_1) | instid1(VALU_DEP_2)
	v_and_b32_e32 v3, 30, v2
	v_xor_b32_e32 v7, 1, v2
	v_add_nc_u32_e32 v3, 2, v3
	s_delay_alu instid0(VALU_DEP_1) | instskip(NEXT) | instid1(VALU_DEP_1)
	v_cmp_lt_i32_e64 s1, v7, v3
	v_cndmask_b32_e64 v2, v2, v7, s1
	s_delay_alu instid0(VALU_DEP_1)
	v_lshlrev_b32_e32 v9, 2, v2
	s_waitcnt vmcnt(0)
	ds_bpermute_b32 v2, v9, v6
	ds_bpermute_b32 v3, v9, v5
	s_waitcnt lgkmcnt(1)
	v_cmp_lt_f32_e64 s1, v6, v2
	s_delay_alu instid0(VALU_DEP_1) | instskip(SKIP_2) | instid1(VALU_DEP_1)
	v_cndmask_b32_e64 v2, v6, v2, s1
	s_waitcnt lgkmcnt(0)
	v_cmp_lt_f32_e64 s1, v5, v3
	v_cndmask_b32_e64 v7, v5, v3, s1
	s_delay_alu instid0(VALU_DEP_1) | instskip(NEXT) | instid1(VALU_DEP_1)
	v_dual_sub_f32 v3, v6, v2 :: v_dual_sub_f32 v2, v5, v7
	v_cmp_ngt_f32_e64 s1, 0xc2ce8ed0, v3
	s_delay_alu instid0(VALU_DEP_2) | instskip(NEXT) | instid1(VALU_DEP_1)
	v_mul_f32_e32 v6, 0x3fb8aa3b, v2
	v_fma_f32 v10, 0x3fb8aa3b, v2, -v6
	v_rndne_f32_e32 v11, v6
	s_delay_alu instid0(VALU_DEP_2) | instskip(NEXT) | instid1(VALU_DEP_2)
	v_fmac_f32_e32 v10, 0x32a5705f, v2
	v_sub_f32_e32 v6, v6, v11
	s_delay_alu instid0(VALU_DEP_1) | instskip(NEXT) | instid1(VALU_DEP_1)
	v_dual_mul_f32 v5, 0x3fb8aa3b, v3 :: v_dual_add_f32 v6, v6, v10
	v_fma_f32 v7, 0x3fb8aa3b, v3, -v5
	v_rndne_f32_e32 v8, v5
	s_delay_alu instid0(VALU_DEP_3) | instskip(NEXT) | instid1(VALU_DEP_2)
	v_exp_f32_e32 v6, v6
	v_fmac_f32_e32 v7, 0x32a5705f, v3
	s_delay_alu instid0(VALU_DEP_2) | instskip(NEXT) | instid1(VALU_DEP_1)
	v_sub_f32_e32 v5, v5, v8
	v_add_f32_e32 v5, v5, v7
	v_cvt_i32_f32_e32 v7, v8
	v_cvt_i32_f32_e32 v8, v11
	s_delay_alu instid0(VALU_DEP_3)
	v_exp_f32_e32 v5, v5
	s_delay_alu instid0(TRANS32_DEP_2) | instid1(VALU_DEP_1)
	v_ldexp_f32 v6, v6, v8
	s_waitcnt_depctr 0xfff
	v_ldexp_f32 v5, v5, v7
	s_delay_alu instid0(VALU_DEP_1) | instskip(SKIP_1) | instid1(VALU_DEP_1)
	v_cndmask_b32_e64 v5, 0, v5, s1
	v_cmp_ngt_f32_e64 s1, 0xc2ce8ed0, v2
	v_cndmask_b32_e64 v6, 0, v6, s1
	v_cmp_nlt_f32_e64 s1, 0x42b17218, v3
	s_delay_alu instid0(VALU_DEP_1)
	v_cndmask_b32_e64 v7, 0x7f800000, v5, s1
	v_cmp_nlt_f32_e64 s1, 0x42b17218, v2
	ds_bpermute_b32 v8, v9, v7
	v_cndmask_b32_e64 v5, 0x7f800000, v6, s1
	ds_bpermute_b32 v6, v9, v5
	s_and_saveexec_b32 s1, s0
	s_cbranch_execz .LBB37_10
; %bb.5:
	v_add_co_u32 v0, s0, s4, v0
	s_delay_alu instid0(VALU_DEP_1)
	v_add_co_ci_u32_e64 v1, s0, s5, v1, s0
	s_and_saveexec_b32 s2, vcc_lo
	s_cbranch_execz .LBB37_7
; %bb.6:
	s_waitcnt lgkmcnt(1)
	v_add_f32_e32 v7, v7, v8
	s_delay_alu instid0(VALU_DEP_1) | instskip(NEXT) | instid1(VALU_DEP_1)
	v_cmp_gt_f32_e64 s0, 0x800000, v7
	v_cndmask_b32_e64 v8, 1.0, 0x4f800000, s0
	s_delay_alu instid0(VALU_DEP_1) | instskip(NEXT) | instid1(VALU_DEP_1)
	v_mul_f32_e32 v7, v7, v8
	v_log_f32_e32 v7, v7
	s_waitcnt_depctr 0xfff
	v_mul_f32_e32 v8, 0x3f317217, v7
	v_cmp_gt_f32_e64 s1, 0x7f800000, |v7|
	s_delay_alu instid0(VALU_DEP_2) | instskip(NEXT) | instid1(VALU_DEP_1)
	v_fma_f32 v9, 0x3f317217, v7, -v8
	v_fmamk_f32 v9, v7, 0x3377d1cf, v9
	s_delay_alu instid0(VALU_DEP_1) | instskip(NEXT) | instid1(VALU_DEP_1)
	v_add_f32_e32 v8, v8, v9
	v_cndmask_b32_e64 v7, v7, v8, s1
	v_cndmask_b32_e64 v8, 0, 0x41b17218, s0
	s_delay_alu instid0(VALU_DEP_1) | instskip(NEXT) | instid1(VALU_DEP_1)
	v_sub_f32_e32 v7, v7, v8
	v_sub_f32_e32 v3, v3, v7
	global_store_b32 v[0:1], v3, off
.LBB37_7:
	s_or_b32 exec_lo, exec_lo, s2
	v_cmp_ne_u32_e64 s0, 1, v4
	s_delay_alu instid0(VALU_DEP_1)
	s_and_b32 exec_lo, exec_lo, s0
	s_cbranch_execz .LBB37_10
; %bb.8:
	s_and_b32 exec_lo, exec_lo, vcc_lo
	s_cbranch_execz .LBB37_10
; %bb.9:
	s_waitcnt lgkmcnt(0)
	v_add_f32_e32 v3, v5, v6
	s_mov_b32 s11, 0
	s_delay_alu instid0(SALU_CYCLE_1) | instskip(NEXT) | instid1(VALU_DEP_1)
	s_lshl_b64 s[0:1], s[10:11], 2
	v_cmp_gt_f32_e32 vcc_lo, 0x800000, v3
	v_cndmask_b32_e64 v4, 1.0, 0x4f800000, vcc_lo
	s_delay_alu instid0(VALU_DEP_1) | instskip(NEXT) | instid1(VALU_DEP_1)
	v_mul_f32_e32 v3, v3, v4
	v_log_f32_e32 v3, v3
	s_waitcnt_depctr 0xfff
	v_mul_f32_e32 v4, 0x3f317217, v3
	s_delay_alu instid0(VALU_DEP_1) | instskip(NEXT) | instid1(VALU_DEP_1)
	v_fma_f32 v5, 0x3f317217, v3, -v4
	v_fmamk_f32 v5, v3, 0x3377d1cf, v5
	s_delay_alu instid0(VALU_DEP_1) | instskip(SKIP_2) | instid1(VALU_DEP_3)
	v_add_f32_e32 v4, v4, v5
	v_cndmask_b32_e64 v5, 0, 0x41b17218, vcc_lo
	v_cmp_gt_f32_e64 vcc_lo, 0x7f800000, |v3|
	v_cndmask_b32_e32 v3, v3, v4, vcc_lo
	v_add_co_u32 v0, vcc_lo, v0, s0
	v_add_co_ci_u32_e32 v1, vcc_lo, s1, v1, vcc_lo
	s_delay_alu instid0(VALU_DEP_3) | instskip(NEXT) | instid1(VALU_DEP_1)
	v_sub_f32_e32 v3, v3, v5
	v_sub_f32_e32 v2, v2, v3
	global_store_b32 v[0:1], v2, off
.LBB37_10:
	s_nop 0
	s_sendmsg sendmsg(MSG_DEALLOC_VGPRS)
	s_endpgm
	.section	.rodata,"a",@progbits
	.p2align	6, 0x0
	.amdhsa_kernel _ZN12_GLOBAL__N_120softmax_warp_forwardIfffLi1ELb1ELb0ELi64EEEvPT0_PKT_iiiPKbib
		.amdhsa_group_segment_fixed_size 0
		.amdhsa_private_segment_fixed_size 0
		.amdhsa_kernarg_size 304
		.amdhsa_user_sgpr_count 15
		.amdhsa_user_sgpr_dispatch_ptr 0
		.amdhsa_user_sgpr_queue_ptr 0
		.amdhsa_user_sgpr_kernarg_segment_ptr 1
		.amdhsa_user_sgpr_dispatch_id 0
		.amdhsa_user_sgpr_private_segment_size 0
		.amdhsa_wavefront_size32 1
		.amdhsa_uses_dynamic_stack 0
		.amdhsa_enable_private_segment 0
		.amdhsa_system_sgpr_workgroup_id_x 1
		.amdhsa_system_sgpr_workgroup_id_y 0
		.amdhsa_system_sgpr_workgroup_id_z 0
		.amdhsa_system_sgpr_workgroup_info 0
		.amdhsa_system_vgpr_workitem_id 1
		.amdhsa_next_free_vgpr 12
		.amdhsa_next_free_sgpr 16
		.amdhsa_reserve_vcc 1
		.amdhsa_float_round_mode_32 0
		.amdhsa_float_round_mode_16_64 0
		.amdhsa_float_denorm_mode_32 3
		.amdhsa_float_denorm_mode_16_64 3
		.amdhsa_dx10_clamp 1
		.amdhsa_ieee_mode 1
		.amdhsa_fp16_overflow 0
		.amdhsa_workgroup_processor_mode 1
		.amdhsa_memory_ordered 1
		.amdhsa_forward_progress 0
		.amdhsa_shared_vgpr_count 0
		.amdhsa_exception_fp_ieee_invalid_op 0
		.amdhsa_exception_fp_denorm_src 0
		.amdhsa_exception_fp_ieee_div_zero 0
		.amdhsa_exception_fp_ieee_overflow 0
		.amdhsa_exception_fp_ieee_underflow 0
		.amdhsa_exception_fp_ieee_inexact 0
		.amdhsa_exception_int_div_zero 0
	.end_amdhsa_kernel
	.section	.text._ZN12_GLOBAL__N_120softmax_warp_forwardIfffLi1ELb1ELb0ELi64EEEvPT0_PKT_iiiPKbib,"axG",@progbits,_ZN12_GLOBAL__N_120softmax_warp_forwardIfffLi1ELb1ELb0ELi64EEEvPT0_PKT_iiiPKbib,comdat
.Lfunc_end37:
	.size	_ZN12_GLOBAL__N_120softmax_warp_forwardIfffLi1ELb1ELb0ELi64EEEvPT0_PKT_iiiPKbib, .Lfunc_end37-_ZN12_GLOBAL__N_120softmax_warp_forwardIfffLi1ELb1ELb0ELi64EEEvPT0_PKT_iiiPKbib
                                        ; -- End function
	.section	.AMDGPU.csdata,"",@progbits
; Kernel info:
; codeLenInByte = 996
; NumSgprs: 18
; NumVgprs: 12
; ScratchSize: 0
; MemoryBound: 0
; FloatMode: 240
; IeeeMode: 1
; LDSByteSize: 0 bytes/workgroup (compile time only)
; SGPRBlocks: 2
; VGPRBlocks: 1
; NumSGPRsForWavesPerEU: 18
; NumVGPRsForWavesPerEU: 12
; Occupancy: 16
; WaveLimiterHint : 0
; COMPUTE_PGM_RSRC2:SCRATCH_EN: 0
; COMPUTE_PGM_RSRC2:USER_SGPR: 15
; COMPUTE_PGM_RSRC2:TRAP_HANDLER: 0
; COMPUTE_PGM_RSRC2:TGID_X_EN: 1
; COMPUTE_PGM_RSRC2:TGID_Y_EN: 0
; COMPUTE_PGM_RSRC2:TGID_Z_EN: 0
; COMPUTE_PGM_RSRC2:TIDIG_COMP_CNT: 1
	.section	.text._ZN12_GLOBAL__N_120softmax_warp_forwardIfffLi1ELb1ELb0ELi32EEEvPT0_PKT_iiiPKbib,"axG",@progbits,_ZN12_GLOBAL__N_120softmax_warp_forwardIfffLi1ELb1ELb0ELi32EEEvPT0_PKT_iiiPKbib,comdat
	.globl	_ZN12_GLOBAL__N_120softmax_warp_forwardIfffLi1ELb1ELb0ELi32EEEvPT0_PKT_iiiPKbib ; -- Begin function _ZN12_GLOBAL__N_120softmax_warp_forwardIfffLi1ELb1ELb0ELi32EEEvPT0_PKT_iiiPKbib
	.p2align	8
	.type	_ZN12_GLOBAL__N_120softmax_warp_forwardIfffLi1ELb1ELb0ELi32EEEvPT0_PKT_iiiPKbib,@function
_ZN12_GLOBAL__N_120softmax_warp_forwardIfffLi1ELb1ELb0ELi32EEEvPT0_PKT_iiiPKbib: ; @_ZN12_GLOBAL__N_120softmax_warp_forwardIfffLi1ELb1ELb0ELi32EEEvPT0_PKT_iiiPKbib
; %bb.0:
	s_clause 0x1
	s_load_b32 s2, s[0:1], 0x3c
	s_load_b256 s[4:11], s[0:1], 0x0
	v_bfe_u32 v1, v0, 10, 10
	v_and_b32_e32 v2, 0x3ff, v0
	v_dual_mov_b32 v5, 0xff800000 :: v_dual_mov_b32 v6, 0xff800000
	s_waitcnt lgkmcnt(0)
	s_lshr_b32 s0, s2, 16
	s_delay_alu instid0(VALU_DEP_2) | instskip(SKIP_1) | instid1(SALU_CYCLE_1)
	v_cmp_gt_i32_e32 vcc_lo, s10, v2
	s_mul_i32 s15, s15, s0
	v_add_lshl_u32 v3, s15, v1, 1
	s_delay_alu instid0(VALU_DEP_1) | instskip(SKIP_1) | instid1(VALU_DEP_1)
	v_mad_u64_u32 v[0:1], null, v3, s9, v[2:3]
	v_sub_nc_u32_e32 v4, s8, v3
	v_cmp_lt_i32_e64 s0, 0, v4
	s_delay_alu instid0(VALU_DEP_3) | instskip(NEXT) | instid1(VALU_DEP_2)
	v_ashrrev_i32_e32 v1, 31, v0
	s_and_b32 s2, vcc_lo, s0
	s_delay_alu instid0(VALU_DEP_1) | instskip(NEXT) | instid1(VALU_DEP_1)
	v_lshlrev_b64 v[0:1], 2, v[0:1]
	v_add_co_u32 v2, s1, s6, v0
	s_delay_alu instid0(VALU_DEP_1)
	v_add_co_ci_u32_e64 v3, s1, s7, v1, s1
	s_and_saveexec_b32 s1, s2
	s_cbranch_execz .LBB38_2
; %bb.1:
	global_load_b32 v6, v[2:3], off
.LBB38_2:
	s_or_b32 exec_lo, exec_lo, s1
	v_cmp_lt_i32_e64 s1, 1, v4
	s_delay_alu instid0(VALU_DEP_1) | instskip(NEXT) | instid1(SALU_CYCLE_1)
	s_and_b32 s1, vcc_lo, s1
	s_and_saveexec_b32 s2, s1
	s_cbranch_execz .LBB38_4
; %bb.3:
	s_mov_b32 s11, 0
	s_delay_alu instid0(SALU_CYCLE_1) | instskip(NEXT) | instid1(SALU_CYCLE_1)
	s_lshl_b64 s[6:7], s[10:11], 2
	v_add_co_u32 v2, s1, v2, s6
	s_delay_alu instid0(VALU_DEP_1)
	v_add_co_ci_u32_e64 v3, s1, s7, v3, s1
	global_load_b32 v5, v[2:3], off
.LBB38_4:
	s_or_b32 exec_lo, exec_lo, s2
	v_mbcnt_lo_u32_b32 v2, -1, 0
	s_delay_alu instid0(VALU_DEP_1) | instskip(SKIP_1) | instid1(VALU_DEP_2)
	v_and_b32_e32 v3, 30, v2
	v_xor_b32_e32 v7, 1, v2
	v_add_nc_u32_e32 v3, 2, v3
	s_delay_alu instid0(VALU_DEP_1) | instskip(NEXT) | instid1(VALU_DEP_1)
	v_cmp_lt_i32_e64 s1, v7, v3
	v_cndmask_b32_e64 v2, v2, v7, s1
	s_delay_alu instid0(VALU_DEP_1)
	v_lshlrev_b32_e32 v9, 2, v2
	s_waitcnt vmcnt(0)
	ds_bpermute_b32 v2, v9, v6
	ds_bpermute_b32 v3, v9, v5
	s_waitcnt lgkmcnt(1)
	v_cmp_lt_f32_e64 s1, v6, v2
	s_delay_alu instid0(VALU_DEP_1) | instskip(SKIP_2) | instid1(VALU_DEP_1)
	v_cndmask_b32_e64 v2, v6, v2, s1
	s_waitcnt lgkmcnt(0)
	v_cmp_lt_f32_e64 s1, v5, v3
	v_cndmask_b32_e64 v7, v5, v3, s1
	s_delay_alu instid0(VALU_DEP_1) | instskip(NEXT) | instid1(VALU_DEP_1)
	v_dual_sub_f32 v3, v6, v2 :: v_dual_sub_f32 v2, v5, v7
	v_cmp_ngt_f32_e64 s1, 0xc2ce8ed0, v3
	s_delay_alu instid0(VALU_DEP_2) | instskip(NEXT) | instid1(VALU_DEP_1)
	v_mul_f32_e32 v6, 0x3fb8aa3b, v2
	v_fma_f32 v10, 0x3fb8aa3b, v2, -v6
	v_rndne_f32_e32 v11, v6
	s_delay_alu instid0(VALU_DEP_2) | instskip(NEXT) | instid1(VALU_DEP_2)
	v_fmac_f32_e32 v10, 0x32a5705f, v2
	v_sub_f32_e32 v6, v6, v11
	s_delay_alu instid0(VALU_DEP_1) | instskip(NEXT) | instid1(VALU_DEP_1)
	v_dual_mul_f32 v5, 0x3fb8aa3b, v3 :: v_dual_add_f32 v6, v6, v10
	v_fma_f32 v7, 0x3fb8aa3b, v3, -v5
	v_rndne_f32_e32 v8, v5
	s_delay_alu instid0(VALU_DEP_3) | instskip(NEXT) | instid1(VALU_DEP_2)
	v_exp_f32_e32 v6, v6
	v_fmac_f32_e32 v7, 0x32a5705f, v3
	s_delay_alu instid0(VALU_DEP_2) | instskip(NEXT) | instid1(VALU_DEP_1)
	v_sub_f32_e32 v5, v5, v8
	v_add_f32_e32 v5, v5, v7
	v_cvt_i32_f32_e32 v7, v8
	v_cvt_i32_f32_e32 v8, v11
	s_delay_alu instid0(VALU_DEP_3)
	v_exp_f32_e32 v5, v5
	s_delay_alu instid0(TRANS32_DEP_2) | instid1(VALU_DEP_1)
	v_ldexp_f32 v6, v6, v8
	s_waitcnt_depctr 0xfff
	v_ldexp_f32 v5, v5, v7
	s_delay_alu instid0(VALU_DEP_1) | instskip(SKIP_1) | instid1(VALU_DEP_1)
	v_cndmask_b32_e64 v5, 0, v5, s1
	v_cmp_ngt_f32_e64 s1, 0xc2ce8ed0, v2
	v_cndmask_b32_e64 v6, 0, v6, s1
	v_cmp_nlt_f32_e64 s1, 0x42b17218, v3
	s_delay_alu instid0(VALU_DEP_1)
	v_cndmask_b32_e64 v7, 0x7f800000, v5, s1
	v_cmp_nlt_f32_e64 s1, 0x42b17218, v2
	ds_bpermute_b32 v8, v9, v7
	v_cndmask_b32_e64 v5, 0x7f800000, v6, s1
	ds_bpermute_b32 v6, v9, v5
	s_and_saveexec_b32 s1, s0
	s_cbranch_execz .LBB38_10
; %bb.5:
	v_add_co_u32 v0, s0, s4, v0
	s_delay_alu instid0(VALU_DEP_1)
	v_add_co_ci_u32_e64 v1, s0, s5, v1, s0
	s_and_saveexec_b32 s2, vcc_lo
	s_cbranch_execz .LBB38_7
; %bb.6:
	s_waitcnt lgkmcnt(1)
	v_add_f32_e32 v7, v7, v8
	s_delay_alu instid0(VALU_DEP_1) | instskip(NEXT) | instid1(VALU_DEP_1)
	v_cmp_gt_f32_e64 s0, 0x800000, v7
	v_cndmask_b32_e64 v8, 1.0, 0x4f800000, s0
	s_delay_alu instid0(VALU_DEP_1) | instskip(NEXT) | instid1(VALU_DEP_1)
	v_mul_f32_e32 v7, v7, v8
	v_log_f32_e32 v7, v7
	s_waitcnt_depctr 0xfff
	v_mul_f32_e32 v8, 0x3f317217, v7
	v_cmp_gt_f32_e64 s1, 0x7f800000, |v7|
	s_delay_alu instid0(VALU_DEP_2) | instskip(NEXT) | instid1(VALU_DEP_1)
	v_fma_f32 v9, 0x3f317217, v7, -v8
	v_fmamk_f32 v9, v7, 0x3377d1cf, v9
	s_delay_alu instid0(VALU_DEP_1) | instskip(NEXT) | instid1(VALU_DEP_1)
	v_add_f32_e32 v8, v8, v9
	v_cndmask_b32_e64 v7, v7, v8, s1
	v_cndmask_b32_e64 v8, 0, 0x41b17218, s0
	s_delay_alu instid0(VALU_DEP_1) | instskip(NEXT) | instid1(VALU_DEP_1)
	v_sub_f32_e32 v7, v7, v8
	v_sub_f32_e32 v3, v3, v7
	global_store_b32 v[0:1], v3, off
.LBB38_7:
	s_or_b32 exec_lo, exec_lo, s2
	v_cmp_ne_u32_e64 s0, 1, v4
	s_delay_alu instid0(VALU_DEP_1)
	s_and_b32 exec_lo, exec_lo, s0
	s_cbranch_execz .LBB38_10
; %bb.8:
	s_and_b32 exec_lo, exec_lo, vcc_lo
	s_cbranch_execz .LBB38_10
; %bb.9:
	s_waitcnt lgkmcnt(0)
	v_add_f32_e32 v3, v5, v6
	s_mov_b32 s11, 0
	s_delay_alu instid0(SALU_CYCLE_1) | instskip(NEXT) | instid1(VALU_DEP_1)
	s_lshl_b64 s[0:1], s[10:11], 2
	v_cmp_gt_f32_e32 vcc_lo, 0x800000, v3
	v_cndmask_b32_e64 v4, 1.0, 0x4f800000, vcc_lo
	s_delay_alu instid0(VALU_DEP_1) | instskip(NEXT) | instid1(VALU_DEP_1)
	v_mul_f32_e32 v3, v3, v4
	v_log_f32_e32 v3, v3
	s_waitcnt_depctr 0xfff
	v_mul_f32_e32 v4, 0x3f317217, v3
	s_delay_alu instid0(VALU_DEP_1) | instskip(NEXT) | instid1(VALU_DEP_1)
	v_fma_f32 v5, 0x3f317217, v3, -v4
	v_fmamk_f32 v5, v3, 0x3377d1cf, v5
	s_delay_alu instid0(VALU_DEP_1) | instskip(SKIP_2) | instid1(VALU_DEP_3)
	v_add_f32_e32 v4, v4, v5
	v_cndmask_b32_e64 v5, 0, 0x41b17218, vcc_lo
	v_cmp_gt_f32_e64 vcc_lo, 0x7f800000, |v3|
	v_cndmask_b32_e32 v3, v3, v4, vcc_lo
	v_add_co_u32 v0, vcc_lo, v0, s0
	v_add_co_ci_u32_e32 v1, vcc_lo, s1, v1, vcc_lo
	s_delay_alu instid0(VALU_DEP_3) | instskip(NEXT) | instid1(VALU_DEP_1)
	v_sub_f32_e32 v3, v3, v5
	v_sub_f32_e32 v2, v2, v3
	global_store_b32 v[0:1], v2, off
.LBB38_10:
	s_nop 0
	s_sendmsg sendmsg(MSG_DEALLOC_VGPRS)
	s_endpgm
	.section	.rodata,"a",@progbits
	.p2align	6, 0x0
	.amdhsa_kernel _ZN12_GLOBAL__N_120softmax_warp_forwardIfffLi1ELb1ELb0ELi32EEEvPT0_PKT_iiiPKbib
		.amdhsa_group_segment_fixed_size 0
		.amdhsa_private_segment_fixed_size 0
		.amdhsa_kernarg_size 304
		.amdhsa_user_sgpr_count 15
		.amdhsa_user_sgpr_dispatch_ptr 0
		.amdhsa_user_sgpr_queue_ptr 0
		.amdhsa_user_sgpr_kernarg_segment_ptr 1
		.amdhsa_user_sgpr_dispatch_id 0
		.amdhsa_user_sgpr_private_segment_size 0
		.amdhsa_wavefront_size32 1
		.amdhsa_uses_dynamic_stack 0
		.amdhsa_enable_private_segment 0
		.amdhsa_system_sgpr_workgroup_id_x 1
		.amdhsa_system_sgpr_workgroup_id_y 0
		.amdhsa_system_sgpr_workgroup_id_z 0
		.amdhsa_system_sgpr_workgroup_info 0
		.amdhsa_system_vgpr_workitem_id 1
		.amdhsa_next_free_vgpr 12
		.amdhsa_next_free_sgpr 16
		.amdhsa_reserve_vcc 1
		.amdhsa_float_round_mode_32 0
		.amdhsa_float_round_mode_16_64 0
		.amdhsa_float_denorm_mode_32 3
		.amdhsa_float_denorm_mode_16_64 3
		.amdhsa_dx10_clamp 1
		.amdhsa_ieee_mode 1
		.amdhsa_fp16_overflow 0
		.amdhsa_workgroup_processor_mode 1
		.amdhsa_memory_ordered 1
		.amdhsa_forward_progress 0
		.amdhsa_shared_vgpr_count 0
		.amdhsa_exception_fp_ieee_invalid_op 0
		.amdhsa_exception_fp_denorm_src 0
		.amdhsa_exception_fp_ieee_div_zero 0
		.amdhsa_exception_fp_ieee_overflow 0
		.amdhsa_exception_fp_ieee_underflow 0
		.amdhsa_exception_fp_ieee_inexact 0
		.amdhsa_exception_int_div_zero 0
	.end_amdhsa_kernel
	.section	.text._ZN12_GLOBAL__N_120softmax_warp_forwardIfffLi1ELb1ELb0ELi32EEEvPT0_PKT_iiiPKbib,"axG",@progbits,_ZN12_GLOBAL__N_120softmax_warp_forwardIfffLi1ELb1ELb0ELi32EEEvPT0_PKT_iiiPKbib,comdat
.Lfunc_end38:
	.size	_ZN12_GLOBAL__N_120softmax_warp_forwardIfffLi1ELb1ELb0ELi32EEEvPT0_PKT_iiiPKbib, .Lfunc_end38-_ZN12_GLOBAL__N_120softmax_warp_forwardIfffLi1ELb1ELb0ELi32EEEvPT0_PKT_iiiPKbib
                                        ; -- End function
	.section	.AMDGPU.csdata,"",@progbits
; Kernel info:
; codeLenInByte = 996
; NumSgprs: 18
; NumVgprs: 12
; ScratchSize: 0
; MemoryBound: 0
; FloatMode: 240
; IeeeMode: 1
; LDSByteSize: 0 bytes/workgroup (compile time only)
; SGPRBlocks: 2
; VGPRBlocks: 1
; NumSGPRsForWavesPerEU: 18
; NumVGPRsForWavesPerEU: 12
; Occupancy: 16
; WaveLimiterHint : 0
; COMPUTE_PGM_RSRC2:SCRATCH_EN: 0
; COMPUTE_PGM_RSRC2:USER_SGPR: 15
; COMPUTE_PGM_RSRC2:TRAP_HANDLER: 0
; COMPUTE_PGM_RSRC2:TGID_X_EN: 1
; COMPUTE_PGM_RSRC2:TGID_Y_EN: 0
; COMPUTE_PGM_RSRC2:TGID_Z_EN: 0
; COMPUTE_PGM_RSRC2:TIDIG_COMP_CNT: 1
	.section	.text._ZN12_GLOBAL__N_120softmax_warp_forwardIfffLi2ELb1ELb0ELi64EEEvPT0_PKT_iiiPKbib,"axG",@progbits,_ZN12_GLOBAL__N_120softmax_warp_forwardIfffLi2ELb1ELb0ELi64EEEvPT0_PKT_iiiPKbib,comdat
	.globl	_ZN12_GLOBAL__N_120softmax_warp_forwardIfffLi2ELb1ELb0ELi64EEEvPT0_PKT_iiiPKbib ; -- Begin function _ZN12_GLOBAL__N_120softmax_warp_forwardIfffLi2ELb1ELb0ELi64EEEvPT0_PKT_iiiPKbib
	.p2align	8
	.type	_ZN12_GLOBAL__N_120softmax_warp_forwardIfffLi2ELb1ELb0ELi64EEEvPT0_PKT_iiiPKbib,@function
_ZN12_GLOBAL__N_120softmax_warp_forwardIfffLi2ELb1ELb0ELi64EEEvPT0_PKT_iiiPKbib: ; @_ZN12_GLOBAL__N_120softmax_warp_forwardIfffLi2ELb1ELb0ELi64EEEvPT0_PKT_iiiPKbib
; %bb.0:
	s_clause 0x1
	s_load_b32 s2, s[0:1], 0x3c
	s_load_b256 s[4:11], s[0:1], 0x0
	v_bfe_u32 v1, v0, 10, 10
	v_and_b32_e32 v2, 0x3ff, v0
	v_dual_mov_b32 v5, 0xff800000 :: v_dual_mov_b32 v6, 0xff800000
	s_waitcnt lgkmcnt(0)
	s_lshr_b32 s0, s2, 16
	s_delay_alu instid0(VALU_DEP_2) | instskip(SKIP_1) | instid1(SALU_CYCLE_1)
	v_cmp_gt_i32_e32 vcc_lo, s10, v2
	s_mul_i32 s15, s15, s0
	v_add_lshl_u32 v3, s15, v1, 1
	s_delay_alu instid0(VALU_DEP_1) | instskip(SKIP_1) | instid1(VALU_DEP_1)
	v_mad_u64_u32 v[0:1], null, v3, s9, v[2:3]
	v_sub_nc_u32_e32 v4, s8, v3
	v_cmp_lt_i32_e64 s0, 0, v4
	s_delay_alu instid0(VALU_DEP_3) | instskip(NEXT) | instid1(VALU_DEP_2)
	v_ashrrev_i32_e32 v1, 31, v0
	s_and_b32 s2, vcc_lo, s0
	s_delay_alu instid0(VALU_DEP_1) | instskip(NEXT) | instid1(VALU_DEP_1)
	v_lshlrev_b64 v[0:1], 2, v[0:1]
	v_add_co_u32 v2, s1, s6, v0
	s_delay_alu instid0(VALU_DEP_1)
	v_add_co_ci_u32_e64 v3, s1, s7, v1, s1
	s_and_saveexec_b32 s1, s2
	s_cbranch_execz .LBB39_2
; %bb.1:
	global_load_b32 v6, v[2:3], off
.LBB39_2:
	s_or_b32 exec_lo, exec_lo, s1
	v_cmp_lt_i32_e64 s1, 1, v4
	s_delay_alu instid0(VALU_DEP_1) | instskip(NEXT) | instid1(SALU_CYCLE_1)
	s_and_b32 s1, vcc_lo, s1
	s_and_saveexec_b32 s2, s1
	s_cbranch_execz .LBB39_4
; %bb.3:
	s_mov_b32 s11, 0
	s_delay_alu instid0(SALU_CYCLE_1) | instskip(NEXT) | instid1(SALU_CYCLE_1)
	s_lshl_b64 s[6:7], s[10:11], 2
	v_add_co_u32 v2, s1, v2, s6
	s_delay_alu instid0(VALU_DEP_1)
	v_add_co_ci_u32_e64 v3, s1, s7, v3, s1
	global_load_b32 v5, v[2:3], off
.LBB39_4:
	s_or_b32 exec_lo, exec_lo, s2
	v_mbcnt_lo_u32_b32 v2, -1, 0
	s_delay_alu instid0(VALU_DEP_1) | instskip(SKIP_2) | instid1(VALU_DEP_3)
	v_and_b32_e32 v3, 28, v2
	v_xor_b32_e32 v7, 2, v2
	v_xor_b32_e32 v10, 1, v2
	v_add_nc_u32_e32 v3, 4, v3
	s_delay_alu instid0(VALU_DEP_1) | instskip(NEXT) | instid1(VALU_DEP_1)
	v_cmp_lt_i32_e64 s1, v7, v3
	v_cndmask_b32_e64 v7, v2, v7, s1
	s_delay_alu instid0(VALU_DEP_4) | instskip(NEXT) | instid1(VALU_DEP_2)
	v_cmp_lt_i32_e64 s1, v10, v3
	v_lshlrev_b32_e32 v7, 2, v7
	s_delay_alu instid0(VALU_DEP_2)
	v_cndmask_b32_e64 v2, v2, v10, s1
	s_waitcnt vmcnt(0)
	ds_bpermute_b32 v8, v7, v6
	ds_bpermute_b32 v9, v7, v5
	v_lshlrev_b32_e32 v10, 2, v2
	s_waitcnt lgkmcnt(1)
	v_cmp_lt_f32_e64 s1, v6, v8
	s_delay_alu instid0(VALU_DEP_1)
	v_cndmask_b32_e64 v2, v6, v8, s1
	s_waitcnt lgkmcnt(0)
	v_cmp_lt_f32_e64 s1, v5, v9
	ds_bpermute_b32 v8, v10, v2
	v_cndmask_b32_e64 v3, v5, v9, s1
	ds_bpermute_b32 v9, v10, v3
	s_waitcnt lgkmcnt(1)
	v_cmp_lt_f32_e64 s1, v2, v8
	s_delay_alu instid0(VALU_DEP_1) | instskip(SKIP_2) | instid1(VALU_DEP_1)
	v_cndmask_b32_e64 v2, v2, v8, s1
	s_waitcnt lgkmcnt(0)
	v_cmp_lt_f32_e64 s1, v3, v9
	v_cndmask_b32_e64 v8, v3, v9, s1
	s_delay_alu instid0(VALU_DEP_1) | instskip(NEXT) | instid1(VALU_DEP_1)
	v_dual_sub_f32 v3, v6, v2 :: v_dual_sub_f32 v2, v5, v8
	v_mul_f32_e32 v5, 0x3fb8aa3b, v3
	v_cmp_ngt_f32_e64 s1, 0xc2ce8ed0, v3
	s_delay_alu instid0(VALU_DEP_3) | instskip(NEXT) | instid1(VALU_DEP_3)
	v_mul_f32_e32 v6, 0x3fb8aa3b, v2
	v_fma_f32 v8, 0x3fb8aa3b, v3, -v5
	v_rndne_f32_e32 v9, v5
	s_delay_alu instid0(VALU_DEP_3) | instskip(SKIP_1) | instid1(VALU_DEP_3)
	v_fma_f32 v11, 0x3fb8aa3b, v2, -v6
	v_rndne_f32_e32 v12, v6
	v_dual_fmac_f32 v8, 0x32a5705f, v3 :: v_dual_sub_f32 v5, v5, v9
	s_delay_alu instid0(VALU_DEP_2) | instskip(NEXT) | instid1(VALU_DEP_2)
	v_dual_fmac_f32 v11, 0x32a5705f, v2 :: v_dual_sub_f32 v6, v6, v12
	v_add_f32_e32 v5, v5, v8
	v_cvt_i32_f32_e32 v8, v9
	v_cvt_i32_f32_e32 v9, v12
	s_delay_alu instid0(VALU_DEP_4) | instskip(NEXT) | instid1(VALU_DEP_4)
	v_add_f32_e32 v6, v6, v11
	v_exp_f32_e32 v5, v5
	s_delay_alu instid0(VALU_DEP_1) | instskip(SKIP_3) | instid1(VALU_DEP_2)
	v_exp_f32_e32 v6, v6
	s_waitcnt_depctr 0xfff
	v_ldexp_f32 v5, v5, v8
	v_ldexp_f32 v6, v6, v9
	v_cndmask_b32_e64 v5, 0, v5, s1
	v_cmp_ngt_f32_e64 s1, 0xc2ce8ed0, v2
	s_delay_alu instid0(VALU_DEP_1) | instskip(SKIP_1) | instid1(VALU_DEP_1)
	v_cndmask_b32_e64 v6, 0, v6, s1
	v_cmp_nlt_f32_e64 s1, 0x42b17218, v3
	v_cndmask_b32_e64 v5, 0x7f800000, v5, s1
	v_cmp_nlt_f32_e64 s1, 0x42b17218, v2
	ds_bpermute_b32 v8, v7, v5
	v_cndmask_b32_e64 v6, 0x7f800000, v6, s1
	ds_bpermute_b32 v9, v7, v6
	s_waitcnt lgkmcnt(1)
	v_add_f32_e32 v7, v5, v8
	ds_bpermute_b32 v8, v10, v7
	s_waitcnt lgkmcnt(1)
	v_add_f32_e32 v5, v6, v9
	ds_bpermute_b32 v6, v10, v5
	s_and_saveexec_b32 s1, s0
	s_cbranch_execz .LBB39_10
; %bb.5:
	v_add_co_u32 v0, s0, s4, v0
	s_delay_alu instid0(VALU_DEP_1)
	v_add_co_ci_u32_e64 v1, s0, s5, v1, s0
	s_and_saveexec_b32 s2, vcc_lo
	s_cbranch_execz .LBB39_7
; %bb.6:
	s_waitcnt lgkmcnt(1)
	v_add_f32_e32 v7, v7, v8
	s_delay_alu instid0(VALU_DEP_1) | instskip(NEXT) | instid1(VALU_DEP_1)
	v_cmp_gt_f32_e64 s0, 0x800000, v7
	v_cndmask_b32_e64 v8, 1.0, 0x4f800000, s0
	s_delay_alu instid0(VALU_DEP_1) | instskip(NEXT) | instid1(VALU_DEP_1)
	v_mul_f32_e32 v7, v7, v8
	v_log_f32_e32 v7, v7
	s_waitcnt_depctr 0xfff
	v_mul_f32_e32 v8, 0x3f317217, v7
	v_cmp_gt_f32_e64 s1, 0x7f800000, |v7|
	s_delay_alu instid0(VALU_DEP_2) | instskip(NEXT) | instid1(VALU_DEP_1)
	v_fma_f32 v9, 0x3f317217, v7, -v8
	v_fmamk_f32 v9, v7, 0x3377d1cf, v9
	s_delay_alu instid0(VALU_DEP_1) | instskip(NEXT) | instid1(VALU_DEP_1)
	v_add_f32_e32 v8, v8, v9
	v_cndmask_b32_e64 v7, v7, v8, s1
	v_cndmask_b32_e64 v8, 0, 0x41b17218, s0
	s_delay_alu instid0(VALU_DEP_1) | instskip(NEXT) | instid1(VALU_DEP_1)
	v_sub_f32_e32 v7, v7, v8
	v_sub_f32_e32 v3, v3, v7
	global_store_b32 v[0:1], v3, off
.LBB39_7:
	s_or_b32 exec_lo, exec_lo, s2
	v_cmp_ne_u32_e64 s0, 1, v4
	s_delay_alu instid0(VALU_DEP_1)
	s_and_b32 exec_lo, exec_lo, s0
	s_cbranch_execz .LBB39_10
; %bb.8:
	s_and_b32 exec_lo, exec_lo, vcc_lo
	s_cbranch_execz .LBB39_10
; %bb.9:
	s_waitcnt lgkmcnt(0)
	v_add_f32_e32 v3, v5, v6
	s_mov_b32 s11, 0
	s_delay_alu instid0(SALU_CYCLE_1) | instskip(NEXT) | instid1(VALU_DEP_1)
	s_lshl_b64 s[0:1], s[10:11], 2
	v_cmp_gt_f32_e32 vcc_lo, 0x800000, v3
	v_cndmask_b32_e64 v4, 1.0, 0x4f800000, vcc_lo
	s_delay_alu instid0(VALU_DEP_1) | instskip(NEXT) | instid1(VALU_DEP_1)
	v_mul_f32_e32 v3, v3, v4
	v_log_f32_e32 v3, v3
	s_waitcnt_depctr 0xfff
	v_mul_f32_e32 v4, 0x3f317217, v3
	s_delay_alu instid0(VALU_DEP_1) | instskip(NEXT) | instid1(VALU_DEP_1)
	v_fma_f32 v5, 0x3f317217, v3, -v4
	v_fmamk_f32 v5, v3, 0x3377d1cf, v5
	s_delay_alu instid0(VALU_DEP_1) | instskip(SKIP_2) | instid1(VALU_DEP_3)
	v_add_f32_e32 v4, v4, v5
	v_cndmask_b32_e64 v5, 0, 0x41b17218, vcc_lo
	v_cmp_gt_f32_e64 vcc_lo, 0x7f800000, |v3|
	v_cndmask_b32_e32 v3, v3, v4, vcc_lo
	v_add_co_u32 v0, vcc_lo, v0, s0
	v_add_co_ci_u32_e32 v1, vcc_lo, s1, v1, vcc_lo
	s_delay_alu instid0(VALU_DEP_3) | instskip(NEXT) | instid1(VALU_DEP_1)
	v_sub_f32_e32 v3, v3, v5
	v_sub_f32_e32 v2, v2, v3
	global_store_b32 v[0:1], v2, off
.LBB39_10:
	s_nop 0
	s_sendmsg sendmsg(MSG_DEALLOC_VGPRS)
	s_endpgm
	.section	.rodata,"a",@progbits
	.p2align	6, 0x0
	.amdhsa_kernel _ZN12_GLOBAL__N_120softmax_warp_forwardIfffLi2ELb1ELb0ELi64EEEvPT0_PKT_iiiPKbib
		.amdhsa_group_segment_fixed_size 0
		.amdhsa_private_segment_fixed_size 0
		.amdhsa_kernarg_size 304
		.amdhsa_user_sgpr_count 15
		.amdhsa_user_sgpr_dispatch_ptr 0
		.amdhsa_user_sgpr_queue_ptr 0
		.amdhsa_user_sgpr_kernarg_segment_ptr 1
		.amdhsa_user_sgpr_dispatch_id 0
		.amdhsa_user_sgpr_private_segment_size 0
		.amdhsa_wavefront_size32 1
		.amdhsa_uses_dynamic_stack 0
		.amdhsa_enable_private_segment 0
		.amdhsa_system_sgpr_workgroup_id_x 1
		.amdhsa_system_sgpr_workgroup_id_y 0
		.amdhsa_system_sgpr_workgroup_id_z 0
		.amdhsa_system_sgpr_workgroup_info 0
		.amdhsa_system_vgpr_workitem_id 1
		.amdhsa_next_free_vgpr 13
		.amdhsa_next_free_sgpr 16
		.amdhsa_reserve_vcc 1
		.amdhsa_float_round_mode_32 0
		.amdhsa_float_round_mode_16_64 0
		.amdhsa_float_denorm_mode_32 3
		.amdhsa_float_denorm_mode_16_64 3
		.amdhsa_dx10_clamp 1
		.amdhsa_ieee_mode 1
		.amdhsa_fp16_overflow 0
		.amdhsa_workgroup_processor_mode 1
		.amdhsa_memory_ordered 1
		.amdhsa_forward_progress 0
		.amdhsa_shared_vgpr_count 0
		.amdhsa_exception_fp_ieee_invalid_op 0
		.amdhsa_exception_fp_denorm_src 0
		.amdhsa_exception_fp_ieee_div_zero 0
		.amdhsa_exception_fp_ieee_overflow 0
		.amdhsa_exception_fp_ieee_underflow 0
		.amdhsa_exception_fp_ieee_inexact 0
		.amdhsa_exception_int_div_zero 0
	.end_amdhsa_kernel
	.section	.text._ZN12_GLOBAL__N_120softmax_warp_forwardIfffLi2ELb1ELb0ELi64EEEvPT0_PKT_iiiPKbib,"axG",@progbits,_ZN12_GLOBAL__N_120softmax_warp_forwardIfffLi2ELb1ELb0ELi64EEEvPT0_PKT_iiiPKbib,comdat
.Lfunc_end39:
	.size	_ZN12_GLOBAL__N_120softmax_warp_forwardIfffLi2ELb1ELb0ELi64EEEvPT0_PKT_iiiPKbib, .Lfunc_end39-_ZN12_GLOBAL__N_120softmax_warp_forwardIfffLi2ELb1ELb0ELi64EEEvPT0_PKT_iiiPKbib
                                        ; -- End function
	.section	.AMDGPU.csdata,"",@progbits
; Kernel info:
; codeLenInByte = 1104
; NumSgprs: 18
; NumVgprs: 13
; ScratchSize: 0
; MemoryBound: 0
; FloatMode: 240
; IeeeMode: 1
; LDSByteSize: 0 bytes/workgroup (compile time only)
; SGPRBlocks: 2
; VGPRBlocks: 1
; NumSGPRsForWavesPerEU: 18
; NumVGPRsForWavesPerEU: 13
; Occupancy: 16
; WaveLimiterHint : 0
; COMPUTE_PGM_RSRC2:SCRATCH_EN: 0
; COMPUTE_PGM_RSRC2:USER_SGPR: 15
; COMPUTE_PGM_RSRC2:TRAP_HANDLER: 0
; COMPUTE_PGM_RSRC2:TGID_X_EN: 1
; COMPUTE_PGM_RSRC2:TGID_Y_EN: 0
; COMPUTE_PGM_RSRC2:TGID_Z_EN: 0
; COMPUTE_PGM_RSRC2:TIDIG_COMP_CNT: 1
	.section	.text._ZN12_GLOBAL__N_120softmax_warp_forwardIfffLi2ELb1ELb0ELi32EEEvPT0_PKT_iiiPKbib,"axG",@progbits,_ZN12_GLOBAL__N_120softmax_warp_forwardIfffLi2ELb1ELb0ELi32EEEvPT0_PKT_iiiPKbib,comdat
	.globl	_ZN12_GLOBAL__N_120softmax_warp_forwardIfffLi2ELb1ELb0ELi32EEEvPT0_PKT_iiiPKbib ; -- Begin function _ZN12_GLOBAL__N_120softmax_warp_forwardIfffLi2ELb1ELb0ELi32EEEvPT0_PKT_iiiPKbib
	.p2align	8
	.type	_ZN12_GLOBAL__N_120softmax_warp_forwardIfffLi2ELb1ELb0ELi32EEEvPT0_PKT_iiiPKbib,@function
_ZN12_GLOBAL__N_120softmax_warp_forwardIfffLi2ELb1ELb0ELi32EEEvPT0_PKT_iiiPKbib: ; @_ZN12_GLOBAL__N_120softmax_warp_forwardIfffLi2ELb1ELb0ELi32EEEvPT0_PKT_iiiPKbib
; %bb.0:
	s_clause 0x1
	s_load_b32 s2, s[0:1], 0x3c
	s_load_b256 s[4:11], s[0:1], 0x0
	v_bfe_u32 v1, v0, 10, 10
	v_and_b32_e32 v2, 0x3ff, v0
	v_dual_mov_b32 v5, 0xff800000 :: v_dual_mov_b32 v6, 0xff800000
	s_waitcnt lgkmcnt(0)
	s_lshr_b32 s0, s2, 16
	s_delay_alu instid0(VALU_DEP_2) | instskip(SKIP_1) | instid1(SALU_CYCLE_1)
	v_cmp_gt_i32_e32 vcc_lo, s10, v2
	s_mul_i32 s15, s15, s0
	v_add_lshl_u32 v3, s15, v1, 1
	s_delay_alu instid0(VALU_DEP_1) | instskip(SKIP_1) | instid1(VALU_DEP_1)
	v_mad_u64_u32 v[0:1], null, v3, s9, v[2:3]
	v_sub_nc_u32_e32 v4, s8, v3
	v_cmp_lt_i32_e64 s0, 0, v4
	s_delay_alu instid0(VALU_DEP_3) | instskip(NEXT) | instid1(VALU_DEP_2)
	v_ashrrev_i32_e32 v1, 31, v0
	s_and_b32 s2, vcc_lo, s0
	s_delay_alu instid0(VALU_DEP_1) | instskip(NEXT) | instid1(VALU_DEP_1)
	v_lshlrev_b64 v[0:1], 2, v[0:1]
	v_add_co_u32 v2, s1, s6, v0
	s_delay_alu instid0(VALU_DEP_1)
	v_add_co_ci_u32_e64 v3, s1, s7, v1, s1
	s_and_saveexec_b32 s1, s2
	s_cbranch_execz .LBB40_2
; %bb.1:
	global_load_b32 v6, v[2:3], off
.LBB40_2:
	s_or_b32 exec_lo, exec_lo, s1
	v_cmp_lt_i32_e64 s1, 1, v4
	s_delay_alu instid0(VALU_DEP_1) | instskip(NEXT) | instid1(SALU_CYCLE_1)
	s_and_b32 s1, vcc_lo, s1
	s_and_saveexec_b32 s2, s1
	s_cbranch_execz .LBB40_4
; %bb.3:
	s_mov_b32 s11, 0
	s_delay_alu instid0(SALU_CYCLE_1) | instskip(NEXT) | instid1(SALU_CYCLE_1)
	s_lshl_b64 s[6:7], s[10:11], 2
	v_add_co_u32 v2, s1, v2, s6
	s_delay_alu instid0(VALU_DEP_1)
	v_add_co_ci_u32_e64 v3, s1, s7, v3, s1
	global_load_b32 v5, v[2:3], off
.LBB40_4:
	s_or_b32 exec_lo, exec_lo, s2
	v_mbcnt_lo_u32_b32 v2, -1, 0
	s_delay_alu instid0(VALU_DEP_1) | instskip(SKIP_2) | instid1(VALU_DEP_3)
	v_and_b32_e32 v3, 28, v2
	v_xor_b32_e32 v7, 2, v2
	v_xor_b32_e32 v10, 1, v2
	v_add_nc_u32_e32 v3, 4, v3
	s_delay_alu instid0(VALU_DEP_1) | instskip(NEXT) | instid1(VALU_DEP_1)
	v_cmp_lt_i32_e64 s1, v7, v3
	v_cndmask_b32_e64 v7, v2, v7, s1
	s_delay_alu instid0(VALU_DEP_4) | instskip(NEXT) | instid1(VALU_DEP_2)
	v_cmp_lt_i32_e64 s1, v10, v3
	v_lshlrev_b32_e32 v7, 2, v7
	s_delay_alu instid0(VALU_DEP_2)
	v_cndmask_b32_e64 v2, v2, v10, s1
	s_waitcnt vmcnt(0)
	ds_bpermute_b32 v8, v7, v6
	ds_bpermute_b32 v9, v7, v5
	v_lshlrev_b32_e32 v10, 2, v2
	s_waitcnt lgkmcnt(1)
	v_cmp_lt_f32_e64 s1, v6, v8
	s_delay_alu instid0(VALU_DEP_1)
	v_cndmask_b32_e64 v2, v6, v8, s1
	s_waitcnt lgkmcnt(0)
	v_cmp_lt_f32_e64 s1, v5, v9
	ds_bpermute_b32 v8, v10, v2
	v_cndmask_b32_e64 v3, v5, v9, s1
	ds_bpermute_b32 v9, v10, v3
	s_waitcnt lgkmcnt(1)
	v_cmp_lt_f32_e64 s1, v2, v8
	s_delay_alu instid0(VALU_DEP_1) | instskip(SKIP_2) | instid1(VALU_DEP_1)
	v_cndmask_b32_e64 v2, v2, v8, s1
	s_waitcnt lgkmcnt(0)
	v_cmp_lt_f32_e64 s1, v3, v9
	v_cndmask_b32_e64 v8, v3, v9, s1
	s_delay_alu instid0(VALU_DEP_1) | instskip(NEXT) | instid1(VALU_DEP_1)
	v_dual_sub_f32 v3, v6, v2 :: v_dual_sub_f32 v2, v5, v8
	v_mul_f32_e32 v5, 0x3fb8aa3b, v3
	v_cmp_ngt_f32_e64 s1, 0xc2ce8ed0, v3
	s_delay_alu instid0(VALU_DEP_3) | instskip(NEXT) | instid1(VALU_DEP_3)
	v_mul_f32_e32 v6, 0x3fb8aa3b, v2
	v_fma_f32 v8, 0x3fb8aa3b, v3, -v5
	v_rndne_f32_e32 v9, v5
	s_delay_alu instid0(VALU_DEP_3) | instskip(SKIP_1) | instid1(VALU_DEP_3)
	v_fma_f32 v11, 0x3fb8aa3b, v2, -v6
	v_rndne_f32_e32 v12, v6
	v_dual_fmac_f32 v8, 0x32a5705f, v3 :: v_dual_sub_f32 v5, v5, v9
	s_delay_alu instid0(VALU_DEP_2) | instskip(NEXT) | instid1(VALU_DEP_2)
	v_dual_fmac_f32 v11, 0x32a5705f, v2 :: v_dual_sub_f32 v6, v6, v12
	v_add_f32_e32 v5, v5, v8
	v_cvt_i32_f32_e32 v8, v9
	v_cvt_i32_f32_e32 v9, v12
	s_delay_alu instid0(VALU_DEP_4) | instskip(NEXT) | instid1(VALU_DEP_4)
	v_add_f32_e32 v6, v6, v11
	v_exp_f32_e32 v5, v5
	s_delay_alu instid0(VALU_DEP_1) | instskip(SKIP_3) | instid1(VALU_DEP_2)
	v_exp_f32_e32 v6, v6
	s_waitcnt_depctr 0xfff
	v_ldexp_f32 v5, v5, v8
	v_ldexp_f32 v6, v6, v9
	v_cndmask_b32_e64 v5, 0, v5, s1
	v_cmp_ngt_f32_e64 s1, 0xc2ce8ed0, v2
	s_delay_alu instid0(VALU_DEP_1) | instskip(SKIP_1) | instid1(VALU_DEP_1)
	v_cndmask_b32_e64 v6, 0, v6, s1
	v_cmp_nlt_f32_e64 s1, 0x42b17218, v3
	v_cndmask_b32_e64 v5, 0x7f800000, v5, s1
	v_cmp_nlt_f32_e64 s1, 0x42b17218, v2
	ds_bpermute_b32 v8, v7, v5
	v_cndmask_b32_e64 v6, 0x7f800000, v6, s1
	ds_bpermute_b32 v9, v7, v6
	s_waitcnt lgkmcnt(1)
	v_add_f32_e32 v7, v5, v8
	ds_bpermute_b32 v8, v10, v7
	s_waitcnt lgkmcnt(1)
	v_add_f32_e32 v5, v6, v9
	ds_bpermute_b32 v6, v10, v5
	s_and_saveexec_b32 s1, s0
	s_cbranch_execz .LBB40_10
; %bb.5:
	v_add_co_u32 v0, s0, s4, v0
	s_delay_alu instid0(VALU_DEP_1)
	v_add_co_ci_u32_e64 v1, s0, s5, v1, s0
	s_and_saveexec_b32 s2, vcc_lo
	s_cbranch_execz .LBB40_7
; %bb.6:
	s_waitcnt lgkmcnt(1)
	v_add_f32_e32 v7, v7, v8
	s_delay_alu instid0(VALU_DEP_1) | instskip(NEXT) | instid1(VALU_DEP_1)
	v_cmp_gt_f32_e64 s0, 0x800000, v7
	v_cndmask_b32_e64 v8, 1.0, 0x4f800000, s0
	s_delay_alu instid0(VALU_DEP_1) | instskip(NEXT) | instid1(VALU_DEP_1)
	v_mul_f32_e32 v7, v7, v8
	v_log_f32_e32 v7, v7
	s_waitcnt_depctr 0xfff
	v_mul_f32_e32 v8, 0x3f317217, v7
	v_cmp_gt_f32_e64 s1, 0x7f800000, |v7|
	s_delay_alu instid0(VALU_DEP_2) | instskip(NEXT) | instid1(VALU_DEP_1)
	v_fma_f32 v9, 0x3f317217, v7, -v8
	v_fmamk_f32 v9, v7, 0x3377d1cf, v9
	s_delay_alu instid0(VALU_DEP_1) | instskip(NEXT) | instid1(VALU_DEP_1)
	v_add_f32_e32 v8, v8, v9
	v_cndmask_b32_e64 v7, v7, v8, s1
	v_cndmask_b32_e64 v8, 0, 0x41b17218, s0
	s_delay_alu instid0(VALU_DEP_1) | instskip(NEXT) | instid1(VALU_DEP_1)
	v_sub_f32_e32 v7, v7, v8
	v_sub_f32_e32 v3, v3, v7
	global_store_b32 v[0:1], v3, off
.LBB40_7:
	s_or_b32 exec_lo, exec_lo, s2
	v_cmp_ne_u32_e64 s0, 1, v4
	s_delay_alu instid0(VALU_DEP_1)
	s_and_b32 exec_lo, exec_lo, s0
	s_cbranch_execz .LBB40_10
; %bb.8:
	s_and_b32 exec_lo, exec_lo, vcc_lo
	s_cbranch_execz .LBB40_10
; %bb.9:
	s_waitcnt lgkmcnt(0)
	v_add_f32_e32 v3, v5, v6
	s_mov_b32 s11, 0
	s_delay_alu instid0(SALU_CYCLE_1) | instskip(NEXT) | instid1(VALU_DEP_1)
	s_lshl_b64 s[0:1], s[10:11], 2
	v_cmp_gt_f32_e32 vcc_lo, 0x800000, v3
	v_cndmask_b32_e64 v4, 1.0, 0x4f800000, vcc_lo
	s_delay_alu instid0(VALU_DEP_1) | instskip(NEXT) | instid1(VALU_DEP_1)
	v_mul_f32_e32 v3, v3, v4
	v_log_f32_e32 v3, v3
	s_waitcnt_depctr 0xfff
	v_mul_f32_e32 v4, 0x3f317217, v3
	s_delay_alu instid0(VALU_DEP_1) | instskip(NEXT) | instid1(VALU_DEP_1)
	v_fma_f32 v5, 0x3f317217, v3, -v4
	v_fmamk_f32 v5, v3, 0x3377d1cf, v5
	s_delay_alu instid0(VALU_DEP_1) | instskip(SKIP_2) | instid1(VALU_DEP_3)
	v_add_f32_e32 v4, v4, v5
	v_cndmask_b32_e64 v5, 0, 0x41b17218, vcc_lo
	v_cmp_gt_f32_e64 vcc_lo, 0x7f800000, |v3|
	v_cndmask_b32_e32 v3, v3, v4, vcc_lo
	v_add_co_u32 v0, vcc_lo, v0, s0
	v_add_co_ci_u32_e32 v1, vcc_lo, s1, v1, vcc_lo
	s_delay_alu instid0(VALU_DEP_3) | instskip(NEXT) | instid1(VALU_DEP_1)
	v_sub_f32_e32 v3, v3, v5
	v_sub_f32_e32 v2, v2, v3
	global_store_b32 v[0:1], v2, off
.LBB40_10:
	s_nop 0
	s_sendmsg sendmsg(MSG_DEALLOC_VGPRS)
	s_endpgm
	.section	.rodata,"a",@progbits
	.p2align	6, 0x0
	.amdhsa_kernel _ZN12_GLOBAL__N_120softmax_warp_forwardIfffLi2ELb1ELb0ELi32EEEvPT0_PKT_iiiPKbib
		.amdhsa_group_segment_fixed_size 0
		.amdhsa_private_segment_fixed_size 0
		.amdhsa_kernarg_size 304
		.amdhsa_user_sgpr_count 15
		.amdhsa_user_sgpr_dispatch_ptr 0
		.amdhsa_user_sgpr_queue_ptr 0
		.amdhsa_user_sgpr_kernarg_segment_ptr 1
		.amdhsa_user_sgpr_dispatch_id 0
		.amdhsa_user_sgpr_private_segment_size 0
		.amdhsa_wavefront_size32 1
		.amdhsa_uses_dynamic_stack 0
		.amdhsa_enable_private_segment 0
		.amdhsa_system_sgpr_workgroup_id_x 1
		.amdhsa_system_sgpr_workgroup_id_y 0
		.amdhsa_system_sgpr_workgroup_id_z 0
		.amdhsa_system_sgpr_workgroup_info 0
		.amdhsa_system_vgpr_workitem_id 1
		.amdhsa_next_free_vgpr 13
		.amdhsa_next_free_sgpr 16
		.amdhsa_reserve_vcc 1
		.amdhsa_float_round_mode_32 0
		.amdhsa_float_round_mode_16_64 0
		.amdhsa_float_denorm_mode_32 3
		.amdhsa_float_denorm_mode_16_64 3
		.amdhsa_dx10_clamp 1
		.amdhsa_ieee_mode 1
		.amdhsa_fp16_overflow 0
		.amdhsa_workgroup_processor_mode 1
		.amdhsa_memory_ordered 1
		.amdhsa_forward_progress 0
		.amdhsa_shared_vgpr_count 0
		.amdhsa_exception_fp_ieee_invalid_op 0
		.amdhsa_exception_fp_denorm_src 0
		.amdhsa_exception_fp_ieee_div_zero 0
		.amdhsa_exception_fp_ieee_overflow 0
		.amdhsa_exception_fp_ieee_underflow 0
		.amdhsa_exception_fp_ieee_inexact 0
		.amdhsa_exception_int_div_zero 0
	.end_amdhsa_kernel
	.section	.text._ZN12_GLOBAL__N_120softmax_warp_forwardIfffLi2ELb1ELb0ELi32EEEvPT0_PKT_iiiPKbib,"axG",@progbits,_ZN12_GLOBAL__N_120softmax_warp_forwardIfffLi2ELb1ELb0ELi32EEEvPT0_PKT_iiiPKbib,comdat
.Lfunc_end40:
	.size	_ZN12_GLOBAL__N_120softmax_warp_forwardIfffLi2ELb1ELb0ELi32EEEvPT0_PKT_iiiPKbib, .Lfunc_end40-_ZN12_GLOBAL__N_120softmax_warp_forwardIfffLi2ELb1ELb0ELi32EEEvPT0_PKT_iiiPKbib
                                        ; -- End function
	.section	.AMDGPU.csdata,"",@progbits
; Kernel info:
; codeLenInByte = 1104
; NumSgprs: 18
; NumVgprs: 13
; ScratchSize: 0
; MemoryBound: 0
; FloatMode: 240
; IeeeMode: 1
; LDSByteSize: 0 bytes/workgroup (compile time only)
; SGPRBlocks: 2
; VGPRBlocks: 1
; NumSGPRsForWavesPerEU: 18
; NumVGPRsForWavesPerEU: 13
; Occupancy: 16
; WaveLimiterHint : 0
; COMPUTE_PGM_RSRC2:SCRATCH_EN: 0
; COMPUTE_PGM_RSRC2:USER_SGPR: 15
; COMPUTE_PGM_RSRC2:TRAP_HANDLER: 0
; COMPUTE_PGM_RSRC2:TGID_X_EN: 1
; COMPUTE_PGM_RSRC2:TGID_Y_EN: 0
; COMPUTE_PGM_RSRC2:TGID_Z_EN: 0
; COMPUTE_PGM_RSRC2:TIDIG_COMP_CNT: 1
	.section	.text._ZN12_GLOBAL__N_120softmax_warp_forwardIfffLi3ELb1ELb0ELi64EEEvPT0_PKT_iiiPKbib,"axG",@progbits,_ZN12_GLOBAL__N_120softmax_warp_forwardIfffLi3ELb1ELb0ELi64EEEvPT0_PKT_iiiPKbib,comdat
	.globl	_ZN12_GLOBAL__N_120softmax_warp_forwardIfffLi3ELb1ELb0ELi64EEEvPT0_PKT_iiiPKbib ; -- Begin function _ZN12_GLOBAL__N_120softmax_warp_forwardIfffLi3ELb1ELb0ELi64EEEvPT0_PKT_iiiPKbib
	.p2align	8
	.type	_ZN12_GLOBAL__N_120softmax_warp_forwardIfffLi3ELb1ELb0ELi64EEEvPT0_PKT_iiiPKbib,@function
_ZN12_GLOBAL__N_120softmax_warp_forwardIfffLi3ELb1ELb0ELi64EEEvPT0_PKT_iiiPKbib: ; @_ZN12_GLOBAL__N_120softmax_warp_forwardIfffLi3ELb1ELb0ELi64EEEvPT0_PKT_iiiPKbib
; %bb.0:
	s_clause 0x1
	s_load_b32 s2, s[0:1], 0x3c
	s_load_b256 s[4:11], s[0:1], 0x0
	v_bfe_u32 v1, v0, 10, 10
	v_and_b32_e32 v2, 0x3ff, v0
	v_dual_mov_b32 v5, 0xff800000 :: v_dual_mov_b32 v6, 0xff800000
	s_waitcnt lgkmcnt(0)
	s_lshr_b32 s0, s2, 16
	s_delay_alu instid0(VALU_DEP_2) | instskip(SKIP_1) | instid1(SALU_CYCLE_1)
	v_cmp_gt_i32_e32 vcc_lo, s10, v2
	s_mul_i32 s15, s15, s0
	v_add_lshl_u32 v3, s15, v1, 1
	s_delay_alu instid0(VALU_DEP_1) | instskip(SKIP_1) | instid1(VALU_DEP_1)
	v_mad_u64_u32 v[0:1], null, v3, s9, v[2:3]
	v_sub_nc_u32_e32 v4, s8, v3
	v_cmp_lt_i32_e64 s0, 0, v4
	s_delay_alu instid0(VALU_DEP_3) | instskip(NEXT) | instid1(VALU_DEP_2)
	v_ashrrev_i32_e32 v1, 31, v0
	s_and_b32 s2, vcc_lo, s0
	s_delay_alu instid0(VALU_DEP_1) | instskip(NEXT) | instid1(VALU_DEP_1)
	v_lshlrev_b64 v[0:1], 2, v[0:1]
	v_add_co_u32 v2, s1, s6, v0
	s_delay_alu instid0(VALU_DEP_1)
	v_add_co_ci_u32_e64 v3, s1, s7, v1, s1
	s_and_saveexec_b32 s1, s2
	s_cbranch_execz .LBB41_2
; %bb.1:
	global_load_b32 v6, v[2:3], off
.LBB41_2:
	s_or_b32 exec_lo, exec_lo, s1
	v_cmp_lt_i32_e64 s1, 1, v4
	s_delay_alu instid0(VALU_DEP_1) | instskip(NEXT) | instid1(SALU_CYCLE_1)
	s_and_b32 s1, vcc_lo, s1
	s_and_saveexec_b32 s2, s1
	s_cbranch_execz .LBB41_4
; %bb.3:
	s_mov_b32 s11, 0
	s_delay_alu instid0(SALU_CYCLE_1) | instskip(NEXT) | instid1(SALU_CYCLE_1)
	s_lshl_b64 s[6:7], s[10:11], 2
	v_add_co_u32 v2, s1, v2, s6
	s_delay_alu instid0(VALU_DEP_1)
	v_add_co_ci_u32_e64 v3, s1, s7, v3, s1
	global_load_b32 v5, v[2:3], off
.LBB41_4:
	s_or_b32 exec_lo, exec_lo, s2
	v_mbcnt_lo_u32_b32 v2, -1, 0
	s_delay_alu instid0(VALU_DEP_1) | instskip(SKIP_3) | instid1(VALU_DEP_4)
	v_and_b32_e32 v3, 24, v2
	v_xor_b32_e32 v7, 4, v2
	v_xor_b32_e32 v10, 2, v2
	;; [unrolled: 1-line block ×3, first 2 shown]
	v_add_nc_u32_e32 v3, 8, v3
	s_delay_alu instid0(VALU_DEP_1) | instskip(NEXT) | instid1(VALU_DEP_1)
	v_cmp_lt_i32_e64 s1, v7, v3
	v_cndmask_b32_e64 v7, v2, v7, s1
	v_cmp_lt_i32_e64 s1, v10, v3
	s_delay_alu instid0(VALU_DEP_2) | instskip(NEXT) | instid1(VALU_DEP_2)
	v_lshlrev_b32_e32 v7, 2, v7
	v_cndmask_b32_e64 v10, v2, v10, s1
	s_waitcnt vmcnt(0)
	ds_bpermute_b32 v8, v7, v6
	ds_bpermute_b32 v9, v7, v5
	v_lshlrev_b32_e32 v10, 2, v10
	s_waitcnt lgkmcnt(1)
	v_cmp_lt_f32_e64 s1, v6, v8
	s_delay_alu instid0(VALU_DEP_1)
	v_cndmask_b32_e64 v8, v6, v8, s1
	s_waitcnt lgkmcnt(0)
	v_cmp_lt_f32_e64 s1, v5, v9
	ds_bpermute_b32 v11, v10, v8
	v_cndmask_b32_e64 v9, v5, v9, s1
	v_cmp_lt_i32_e64 s1, v13, v3
	ds_bpermute_b32 v12, v10, v9
	v_cndmask_b32_e64 v2, v2, v13, s1
	s_delay_alu instid0(VALU_DEP_1) | instskip(SKIP_2) | instid1(VALU_DEP_1)
	v_lshlrev_b32_e32 v13, 2, v2
	s_waitcnt lgkmcnt(1)
	v_cmp_lt_f32_e64 s1, v8, v11
	v_cndmask_b32_e64 v2, v8, v11, s1
	s_waitcnt lgkmcnt(0)
	v_cmp_lt_f32_e64 s1, v9, v12
	ds_bpermute_b32 v8, v13, v2
	v_cndmask_b32_e64 v3, v9, v12, s1
	ds_bpermute_b32 v9, v13, v3
	s_waitcnt lgkmcnt(1)
	v_cmp_lt_f32_e64 s1, v2, v8
	s_delay_alu instid0(VALU_DEP_1) | instskip(SKIP_2) | instid1(VALU_DEP_1)
	v_cndmask_b32_e64 v2, v2, v8, s1
	s_waitcnt lgkmcnt(0)
	v_cmp_lt_f32_e64 s1, v3, v9
	v_cndmask_b32_e64 v8, v3, v9, s1
	s_delay_alu instid0(VALU_DEP_1) | instskip(NEXT) | instid1(VALU_DEP_1)
	v_dual_sub_f32 v3, v6, v2 :: v_dual_sub_f32 v2, v5, v8
	v_mul_f32_e32 v5, 0x3fb8aa3b, v3
	v_cmp_ngt_f32_e64 s1, 0xc2ce8ed0, v3
	s_delay_alu instid0(VALU_DEP_3) | instskip(NEXT) | instid1(VALU_DEP_3)
	v_mul_f32_e32 v6, 0x3fb8aa3b, v2
	v_fma_f32 v8, 0x3fb8aa3b, v3, -v5
	v_rndne_f32_e32 v9, v5
	s_delay_alu instid0(VALU_DEP_3) | instskip(NEXT) | instid1(VALU_DEP_3)
	v_fma_f32 v11, 0x3fb8aa3b, v2, -v6
	v_fmac_f32_e32 v8, 0x32a5705f, v3
	v_rndne_f32_e32 v12, v6
	s_delay_alu instid0(VALU_DEP_1) | instskip(NEXT) | instid1(VALU_DEP_1)
	v_dual_fmac_f32 v11, 0x32a5705f, v2 :: v_dual_sub_f32 v6, v6, v12
	v_dual_sub_f32 v5, v5, v9 :: v_dual_add_f32 v6, v6, v11
	s_delay_alu instid0(VALU_DEP_1) | instskip(SKIP_2) | instid1(VALU_DEP_4)
	v_add_f32_e32 v5, v5, v8
	v_cvt_i32_f32_e32 v8, v9
	v_cvt_i32_f32_e32 v9, v12
	v_exp_f32_e32 v6, v6
	s_delay_alu instid0(VALU_DEP_3) | instskip(SKIP_3) | instid1(VALU_DEP_1)
	v_exp_f32_e32 v5, v5
	s_waitcnt_depctr 0xfff
	v_ldexp_f32 v6, v6, v9
	v_ldexp_f32 v5, v5, v8
	v_cndmask_b32_e64 v5, 0, v5, s1
	v_cmp_ngt_f32_e64 s1, 0xc2ce8ed0, v2
	s_delay_alu instid0(VALU_DEP_1) | instskip(SKIP_1) | instid1(VALU_DEP_1)
	v_cndmask_b32_e64 v6, 0, v6, s1
	v_cmp_nlt_f32_e64 s1, 0x42b17218, v3
	v_cndmask_b32_e64 v5, 0x7f800000, v5, s1
	v_cmp_nlt_f32_e64 s1, 0x42b17218, v2
	ds_bpermute_b32 v8, v7, v5
	v_cndmask_b32_e64 v6, 0x7f800000, v6, s1
	ds_bpermute_b32 v7, v7, v6
	s_waitcnt lgkmcnt(0)
	v_dual_add_f32 v5, v5, v8 :: v_dual_add_f32 v6, v6, v7
	ds_bpermute_b32 v7, v10, v5
	ds_bpermute_b32 v8, v10, v6
	s_waitcnt lgkmcnt(1)
	v_add_f32_e32 v7, v5, v7
	s_waitcnt lgkmcnt(0)
	v_add_f32_e32 v5, v6, v8
	ds_bpermute_b32 v8, v13, v7
	ds_bpermute_b32 v6, v13, v5
	s_and_saveexec_b32 s1, s0
	s_cbranch_execz .LBB41_10
; %bb.5:
	v_add_co_u32 v0, s0, s4, v0
	s_delay_alu instid0(VALU_DEP_1)
	v_add_co_ci_u32_e64 v1, s0, s5, v1, s0
	s_and_saveexec_b32 s2, vcc_lo
	s_cbranch_execz .LBB41_7
; %bb.6:
	s_waitcnt lgkmcnt(1)
	v_add_f32_e32 v7, v7, v8
	s_delay_alu instid0(VALU_DEP_1) | instskip(NEXT) | instid1(VALU_DEP_1)
	v_cmp_gt_f32_e64 s0, 0x800000, v7
	v_cndmask_b32_e64 v8, 1.0, 0x4f800000, s0
	s_delay_alu instid0(VALU_DEP_1) | instskip(NEXT) | instid1(VALU_DEP_1)
	v_mul_f32_e32 v7, v7, v8
	v_log_f32_e32 v7, v7
	s_waitcnt_depctr 0xfff
	v_mul_f32_e32 v8, 0x3f317217, v7
	v_cmp_gt_f32_e64 s1, 0x7f800000, |v7|
	s_delay_alu instid0(VALU_DEP_2) | instskip(NEXT) | instid1(VALU_DEP_1)
	v_fma_f32 v9, 0x3f317217, v7, -v8
	v_fmamk_f32 v9, v7, 0x3377d1cf, v9
	s_delay_alu instid0(VALU_DEP_1) | instskip(NEXT) | instid1(VALU_DEP_1)
	v_add_f32_e32 v8, v8, v9
	v_cndmask_b32_e64 v7, v7, v8, s1
	v_cndmask_b32_e64 v8, 0, 0x41b17218, s0
	s_delay_alu instid0(VALU_DEP_1) | instskip(NEXT) | instid1(VALU_DEP_1)
	v_sub_f32_e32 v7, v7, v8
	v_sub_f32_e32 v3, v3, v7
	global_store_b32 v[0:1], v3, off
.LBB41_7:
	s_or_b32 exec_lo, exec_lo, s2
	v_cmp_ne_u32_e64 s0, 1, v4
	s_delay_alu instid0(VALU_DEP_1)
	s_and_b32 exec_lo, exec_lo, s0
	s_cbranch_execz .LBB41_10
; %bb.8:
	s_and_b32 exec_lo, exec_lo, vcc_lo
	s_cbranch_execz .LBB41_10
; %bb.9:
	s_waitcnt lgkmcnt(0)
	v_add_f32_e32 v3, v5, v6
	s_mov_b32 s11, 0
	s_delay_alu instid0(SALU_CYCLE_1) | instskip(NEXT) | instid1(VALU_DEP_1)
	s_lshl_b64 s[0:1], s[10:11], 2
	v_cmp_gt_f32_e32 vcc_lo, 0x800000, v3
	v_cndmask_b32_e64 v4, 1.0, 0x4f800000, vcc_lo
	s_delay_alu instid0(VALU_DEP_1) | instskip(NEXT) | instid1(VALU_DEP_1)
	v_mul_f32_e32 v3, v3, v4
	v_log_f32_e32 v3, v3
	s_waitcnt_depctr 0xfff
	v_mul_f32_e32 v4, 0x3f317217, v3
	s_delay_alu instid0(VALU_DEP_1) | instskip(NEXT) | instid1(VALU_DEP_1)
	v_fma_f32 v5, 0x3f317217, v3, -v4
	v_fmamk_f32 v5, v3, 0x3377d1cf, v5
	s_delay_alu instid0(VALU_DEP_1) | instskip(SKIP_2) | instid1(VALU_DEP_3)
	v_add_f32_e32 v4, v4, v5
	v_cndmask_b32_e64 v5, 0, 0x41b17218, vcc_lo
	v_cmp_gt_f32_e64 vcc_lo, 0x7f800000, |v3|
	v_cndmask_b32_e32 v3, v3, v4, vcc_lo
	v_add_co_u32 v0, vcc_lo, v0, s0
	v_add_co_ci_u32_e32 v1, vcc_lo, s1, v1, vcc_lo
	s_delay_alu instid0(VALU_DEP_3) | instskip(NEXT) | instid1(VALU_DEP_1)
	v_sub_f32_e32 v3, v3, v5
	v_sub_f32_e32 v2, v2, v3
	global_store_b32 v[0:1], v2, off
.LBB41_10:
	s_nop 0
	s_sendmsg sendmsg(MSG_DEALLOC_VGPRS)
	s_endpgm
	.section	.rodata,"a",@progbits
	.p2align	6, 0x0
	.amdhsa_kernel _ZN12_GLOBAL__N_120softmax_warp_forwardIfffLi3ELb1ELb0ELi64EEEvPT0_PKT_iiiPKbib
		.amdhsa_group_segment_fixed_size 0
		.amdhsa_private_segment_fixed_size 0
		.amdhsa_kernarg_size 304
		.amdhsa_user_sgpr_count 15
		.amdhsa_user_sgpr_dispatch_ptr 0
		.amdhsa_user_sgpr_queue_ptr 0
		.amdhsa_user_sgpr_kernarg_segment_ptr 1
		.amdhsa_user_sgpr_dispatch_id 0
		.amdhsa_user_sgpr_private_segment_size 0
		.amdhsa_wavefront_size32 1
		.amdhsa_uses_dynamic_stack 0
		.amdhsa_enable_private_segment 0
		.amdhsa_system_sgpr_workgroup_id_x 1
		.amdhsa_system_sgpr_workgroup_id_y 0
		.amdhsa_system_sgpr_workgroup_id_z 0
		.amdhsa_system_sgpr_workgroup_info 0
		.amdhsa_system_vgpr_workitem_id 1
		.amdhsa_next_free_vgpr 14
		.amdhsa_next_free_sgpr 16
		.amdhsa_reserve_vcc 1
		.amdhsa_float_round_mode_32 0
		.amdhsa_float_round_mode_16_64 0
		.amdhsa_float_denorm_mode_32 3
		.amdhsa_float_denorm_mode_16_64 3
		.amdhsa_dx10_clamp 1
		.amdhsa_ieee_mode 1
		.amdhsa_fp16_overflow 0
		.amdhsa_workgroup_processor_mode 1
		.amdhsa_memory_ordered 1
		.amdhsa_forward_progress 0
		.amdhsa_shared_vgpr_count 0
		.amdhsa_exception_fp_ieee_invalid_op 0
		.amdhsa_exception_fp_denorm_src 0
		.amdhsa_exception_fp_ieee_div_zero 0
		.amdhsa_exception_fp_ieee_overflow 0
		.amdhsa_exception_fp_ieee_underflow 0
		.amdhsa_exception_fp_ieee_inexact 0
		.amdhsa_exception_int_div_zero 0
	.end_amdhsa_kernel
	.section	.text._ZN12_GLOBAL__N_120softmax_warp_forwardIfffLi3ELb1ELb0ELi64EEEvPT0_PKT_iiiPKbib,"axG",@progbits,_ZN12_GLOBAL__N_120softmax_warp_forwardIfffLi3ELb1ELb0ELi64EEEvPT0_PKT_iiiPKbib,comdat
.Lfunc_end41:
	.size	_ZN12_GLOBAL__N_120softmax_warp_forwardIfffLi3ELb1ELb0ELi64EEEvPT0_PKT_iiiPKbib, .Lfunc_end41-_ZN12_GLOBAL__N_120softmax_warp_forwardIfffLi3ELb1ELb0ELi64EEEvPT0_PKT_iiiPKbib
                                        ; -- End function
	.section	.AMDGPU.csdata,"",@progbits
; Kernel info:
; codeLenInByte = 1212
; NumSgprs: 18
; NumVgprs: 14
; ScratchSize: 0
; MemoryBound: 0
; FloatMode: 240
; IeeeMode: 1
; LDSByteSize: 0 bytes/workgroup (compile time only)
; SGPRBlocks: 2
; VGPRBlocks: 1
; NumSGPRsForWavesPerEU: 18
; NumVGPRsForWavesPerEU: 14
; Occupancy: 16
; WaveLimiterHint : 0
; COMPUTE_PGM_RSRC2:SCRATCH_EN: 0
; COMPUTE_PGM_RSRC2:USER_SGPR: 15
; COMPUTE_PGM_RSRC2:TRAP_HANDLER: 0
; COMPUTE_PGM_RSRC2:TGID_X_EN: 1
; COMPUTE_PGM_RSRC2:TGID_Y_EN: 0
; COMPUTE_PGM_RSRC2:TGID_Z_EN: 0
; COMPUTE_PGM_RSRC2:TIDIG_COMP_CNT: 1
	.section	.text._ZN12_GLOBAL__N_120softmax_warp_forwardIfffLi3ELb1ELb0ELi32EEEvPT0_PKT_iiiPKbib,"axG",@progbits,_ZN12_GLOBAL__N_120softmax_warp_forwardIfffLi3ELb1ELb0ELi32EEEvPT0_PKT_iiiPKbib,comdat
	.globl	_ZN12_GLOBAL__N_120softmax_warp_forwardIfffLi3ELb1ELb0ELi32EEEvPT0_PKT_iiiPKbib ; -- Begin function _ZN12_GLOBAL__N_120softmax_warp_forwardIfffLi3ELb1ELb0ELi32EEEvPT0_PKT_iiiPKbib
	.p2align	8
	.type	_ZN12_GLOBAL__N_120softmax_warp_forwardIfffLi3ELb1ELb0ELi32EEEvPT0_PKT_iiiPKbib,@function
_ZN12_GLOBAL__N_120softmax_warp_forwardIfffLi3ELb1ELb0ELi32EEEvPT0_PKT_iiiPKbib: ; @_ZN12_GLOBAL__N_120softmax_warp_forwardIfffLi3ELb1ELb0ELi32EEEvPT0_PKT_iiiPKbib
; %bb.0:
	s_clause 0x1
	s_load_b32 s2, s[0:1], 0x3c
	s_load_b256 s[4:11], s[0:1], 0x0
	v_bfe_u32 v1, v0, 10, 10
	v_and_b32_e32 v2, 0x3ff, v0
	v_dual_mov_b32 v5, 0xff800000 :: v_dual_mov_b32 v6, 0xff800000
	s_waitcnt lgkmcnt(0)
	s_lshr_b32 s0, s2, 16
	s_delay_alu instid0(VALU_DEP_2) | instskip(SKIP_1) | instid1(SALU_CYCLE_1)
	v_cmp_gt_i32_e32 vcc_lo, s10, v2
	s_mul_i32 s15, s15, s0
	v_add_lshl_u32 v3, s15, v1, 1
	s_delay_alu instid0(VALU_DEP_1) | instskip(SKIP_1) | instid1(VALU_DEP_1)
	v_mad_u64_u32 v[0:1], null, v3, s9, v[2:3]
	v_sub_nc_u32_e32 v4, s8, v3
	v_cmp_lt_i32_e64 s0, 0, v4
	s_delay_alu instid0(VALU_DEP_3) | instskip(NEXT) | instid1(VALU_DEP_2)
	v_ashrrev_i32_e32 v1, 31, v0
	s_and_b32 s2, vcc_lo, s0
	s_delay_alu instid0(VALU_DEP_1) | instskip(NEXT) | instid1(VALU_DEP_1)
	v_lshlrev_b64 v[0:1], 2, v[0:1]
	v_add_co_u32 v2, s1, s6, v0
	s_delay_alu instid0(VALU_DEP_1)
	v_add_co_ci_u32_e64 v3, s1, s7, v1, s1
	s_and_saveexec_b32 s1, s2
	s_cbranch_execz .LBB42_2
; %bb.1:
	global_load_b32 v6, v[2:3], off
.LBB42_2:
	s_or_b32 exec_lo, exec_lo, s1
	v_cmp_lt_i32_e64 s1, 1, v4
	s_delay_alu instid0(VALU_DEP_1) | instskip(NEXT) | instid1(SALU_CYCLE_1)
	s_and_b32 s1, vcc_lo, s1
	s_and_saveexec_b32 s2, s1
	s_cbranch_execz .LBB42_4
; %bb.3:
	s_mov_b32 s11, 0
	s_delay_alu instid0(SALU_CYCLE_1) | instskip(NEXT) | instid1(SALU_CYCLE_1)
	s_lshl_b64 s[6:7], s[10:11], 2
	v_add_co_u32 v2, s1, v2, s6
	s_delay_alu instid0(VALU_DEP_1)
	v_add_co_ci_u32_e64 v3, s1, s7, v3, s1
	global_load_b32 v5, v[2:3], off
.LBB42_4:
	s_or_b32 exec_lo, exec_lo, s2
	v_mbcnt_lo_u32_b32 v2, -1, 0
	s_delay_alu instid0(VALU_DEP_1) | instskip(SKIP_3) | instid1(VALU_DEP_4)
	v_and_b32_e32 v3, 24, v2
	v_xor_b32_e32 v7, 4, v2
	v_xor_b32_e32 v10, 2, v2
	;; [unrolled: 1-line block ×3, first 2 shown]
	v_add_nc_u32_e32 v3, 8, v3
	s_delay_alu instid0(VALU_DEP_1) | instskip(NEXT) | instid1(VALU_DEP_1)
	v_cmp_lt_i32_e64 s1, v7, v3
	v_cndmask_b32_e64 v7, v2, v7, s1
	v_cmp_lt_i32_e64 s1, v10, v3
	s_delay_alu instid0(VALU_DEP_2) | instskip(NEXT) | instid1(VALU_DEP_2)
	v_lshlrev_b32_e32 v7, 2, v7
	v_cndmask_b32_e64 v10, v2, v10, s1
	s_waitcnt vmcnt(0)
	ds_bpermute_b32 v8, v7, v6
	ds_bpermute_b32 v9, v7, v5
	v_lshlrev_b32_e32 v10, 2, v10
	s_waitcnt lgkmcnt(1)
	v_cmp_lt_f32_e64 s1, v6, v8
	s_delay_alu instid0(VALU_DEP_1)
	v_cndmask_b32_e64 v8, v6, v8, s1
	s_waitcnt lgkmcnt(0)
	v_cmp_lt_f32_e64 s1, v5, v9
	ds_bpermute_b32 v11, v10, v8
	v_cndmask_b32_e64 v9, v5, v9, s1
	v_cmp_lt_i32_e64 s1, v13, v3
	ds_bpermute_b32 v12, v10, v9
	v_cndmask_b32_e64 v2, v2, v13, s1
	s_delay_alu instid0(VALU_DEP_1) | instskip(SKIP_2) | instid1(VALU_DEP_1)
	v_lshlrev_b32_e32 v13, 2, v2
	s_waitcnt lgkmcnt(1)
	v_cmp_lt_f32_e64 s1, v8, v11
	v_cndmask_b32_e64 v2, v8, v11, s1
	s_waitcnt lgkmcnt(0)
	v_cmp_lt_f32_e64 s1, v9, v12
	ds_bpermute_b32 v8, v13, v2
	v_cndmask_b32_e64 v3, v9, v12, s1
	ds_bpermute_b32 v9, v13, v3
	s_waitcnt lgkmcnt(1)
	v_cmp_lt_f32_e64 s1, v2, v8
	s_delay_alu instid0(VALU_DEP_1) | instskip(SKIP_2) | instid1(VALU_DEP_1)
	v_cndmask_b32_e64 v2, v2, v8, s1
	s_waitcnt lgkmcnt(0)
	v_cmp_lt_f32_e64 s1, v3, v9
	v_cndmask_b32_e64 v8, v3, v9, s1
	s_delay_alu instid0(VALU_DEP_1) | instskip(NEXT) | instid1(VALU_DEP_1)
	v_dual_sub_f32 v3, v6, v2 :: v_dual_sub_f32 v2, v5, v8
	v_mul_f32_e32 v5, 0x3fb8aa3b, v3
	v_cmp_ngt_f32_e64 s1, 0xc2ce8ed0, v3
	s_delay_alu instid0(VALU_DEP_3) | instskip(NEXT) | instid1(VALU_DEP_3)
	v_mul_f32_e32 v6, 0x3fb8aa3b, v2
	v_fma_f32 v8, 0x3fb8aa3b, v3, -v5
	v_rndne_f32_e32 v9, v5
	s_delay_alu instid0(VALU_DEP_3) | instskip(NEXT) | instid1(VALU_DEP_3)
	v_fma_f32 v11, 0x3fb8aa3b, v2, -v6
	v_fmac_f32_e32 v8, 0x32a5705f, v3
	v_rndne_f32_e32 v12, v6
	s_delay_alu instid0(VALU_DEP_1) | instskip(NEXT) | instid1(VALU_DEP_1)
	v_dual_fmac_f32 v11, 0x32a5705f, v2 :: v_dual_sub_f32 v6, v6, v12
	v_dual_sub_f32 v5, v5, v9 :: v_dual_add_f32 v6, v6, v11
	s_delay_alu instid0(VALU_DEP_1) | instskip(SKIP_2) | instid1(VALU_DEP_4)
	v_add_f32_e32 v5, v5, v8
	v_cvt_i32_f32_e32 v8, v9
	v_cvt_i32_f32_e32 v9, v12
	v_exp_f32_e32 v6, v6
	s_delay_alu instid0(VALU_DEP_3) | instskip(SKIP_3) | instid1(VALU_DEP_1)
	v_exp_f32_e32 v5, v5
	s_waitcnt_depctr 0xfff
	v_ldexp_f32 v6, v6, v9
	v_ldexp_f32 v5, v5, v8
	v_cndmask_b32_e64 v5, 0, v5, s1
	v_cmp_ngt_f32_e64 s1, 0xc2ce8ed0, v2
	s_delay_alu instid0(VALU_DEP_1) | instskip(SKIP_1) | instid1(VALU_DEP_1)
	v_cndmask_b32_e64 v6, 0, v6, s1
	v_cmp_nlt_f32_e64 s1, 0x42b17218, v3
	v_cndmask_b32_e64 v5, 0x7f800000, v5, s1
	v_cmp_nlt_f32_e64 s1, 0x42b17218, v2
	ds_bpermute_b32 v8, v7, v5
	v_cndmask_b32_e64 v6, 0x7f800000, v6, s1
	ds_bpermute_b32 v7, v7, v6
	s_waitcnt lgkmcnt(0)
	v_dual_add_f32 v5, v5, v8 :: v_dual_add_f32 v6, v6, v7
	ds_bpermute_b32 v7, v10, v5
	ds_bpermute_b32 v8, v10, v6
	s_waitcnt lgkmcnt(1)
	v_add_f32_e32 v7, v5, v7
	s_waitcnt lgkmcnt(0)
	v_add_f32_e32 v5, v6, v8
	ds_bpermute_b32 v8, v13, v7
	ds_bpermute_b32 v6, v13, v5
	s_and_saveexec_b32 s1, s0
	s_cbranch_execz .LBB42_10
; %bb.5:
	v_add_co_u32 v0, s0, s4, v0
	s_delay_alu instid0(VALU_DEP_1)
	v_add_co_ci_u32_e64 v1, s0, s5, v1, s0
	s_and_saveexec_b32 s2, vcc_lo
	s_cbranch_execz .LBB42_7
; %bb.6:
	s_waitcnt lgkmcnt(1)
	v_add_f32_e32 v7, v7, v8
	s_delay_alu instid0(VALU_DEP_1) | instskip(NEXT) | instid1(VALU_DEP_1)
	v_cmp_gt_f32_e64 s0, 0x800000, v7
	v_cndmask_b32_e64 v8, 1.0, 0x4f800000, s0
	s_delay_alu instid0(VALU_DEP_1) | instskip(NEXT) | instid1(VALU_DEP_1)
	v_mul_f32_e32 v7, v7, v8
	v_log_f32_e32 v7, v7
	s_waitcnt_depctr 0xfff
	v_mul_f32_e32 v8, 0x3f317217, v7
	v_cmp_gt_f32_e64 s1, 0x7f800000, |v7|
	s_delay_alu instid0(VALU_DEP_2) | instskip(NEXT) | instid1(VALU_DEP_1)
	v_fma_f32 v9, 0x3f317217, v7, -v8
	v_fmamk_f32 v9, v7, 0x3377d1cf, v9
	s_delay_alu instid0(VALU_DEP_1) | instskip(NEXT) | instid1(VALU_DEP_1)
	v_add_f32_e32 v8, v8, v9
	v_cndmask_b32_e64 v7, v7, v8, s1
	v_cndmask_b32_e64 v8, 0, 0x41b17218, s0
	s_delay_alu instid0(VALU_DEP_1) | instskip(NEXT) | instid1(VALU_DEP_1)
	v_sub_f32_e32 v7, v7, v8
	v_sub_f32_e32 v3, v3, v7
	global_store_b32 v[0:1], v3, off
.LBB42_7:
	s_or_b32 exec_lo, exec_lo, s2
	v_cmp_ne_u32_e64 s0, 1, v4
	s_delay_alu instid0(VALU_DEP_1)
	s_and_b32 exec_lo, exec_lo, s0
	s_cbranch_execz .LBB42_10
; %bb.8:
	s_and_b32 exec_lo, exec_lo, vcc_lo
	s_cbranch_execz .LBB42_10
; %bb.9:
	s_waitcnt lgkmcnt(0)
	v_add_f32_e32 v3, v5, v6
	s_mov_b32 s11, 0
	s_delay_alu instid0(SALU_CYCLE_1) | instskip(NEXT) | instid1(VALU_DEP_1)
	s_lshl_b64 s[0:1], s[10:11], 2
	v_cmp_gt_f32_e32 vcc_lo, 0x800000, v3
	v_cndmask_b32_e64 v4, 1.0, 0x4f800000, vcc_lo
	s_delay_alu instid0(VALU_DEP_1) | instskip(NEXT) | instid1(VALU_DEP_1)
	v_mul_f32_e32 v3, v3, v4
	v_log_f32_e32 v3, v3
	s_waitcnt_depctr 0xfff
	v_mul_f32_e32 v4, 0x3f317217, v3
	s_delay_alu instid0(VALU_DEP_1) | instskip(NEXT) | instid1(VALU_DEP_1)
	v_fma_f32 v5, 0x3f317217, v3, -v4
	v_fmamk_f32 v5, v3, 0x3377d1cf, v5
	s_delay_alu instid0(VALU_DEP_1) | instskip(SKIP_2) | instid1(VALU_DEP_3)
	v_add_f32_e32 v4, v4, v5
	v_cndmask_b32_e64 v5, 0, 0x41b17218, vcc_lo
	v_cmp_gt_f32_e64 vcc_lo, 0x7f800000, |v3|
	v_cndmask_b32_e32 v3, v3, v4, vcc_lo
	v_add_co_u32 v0, vcc_lo, v0, s0
	v_add_co_ci_u32_e32 v1, vcc_lo, s1, v1, vcc_lo
	s_delay_alu instid0(VALU_DEP_3) | instskip(NEXT) | instid1(VALU_DEP_1)
	v_sub_f32_e32 v3, v3, v5
	v_sub_f32_e32 v2, v2, v3
	global_store_b32 v[0:1], v2, off
.LBB42_10:
	s_nop 0
	s_sendmsg sendmsg(MSG_DEALLOC_VGPRS)
	s_endpgm
	.section	.rodata,"a",@progbits
	.p2align	6, 0x0
	.amdhsa_kernel _ZN12_GLOBAL__N_120softmax_warp_forwardIfffLi3ELb1ELb0ELi32EEEvPT0_PKT_iiiPKbib
		.amdhsa_group_segment_fixed_size 0
		.amdhsa_private_segment_fixed_size 0
		.amdhsa_kernarg_size 304
		.amdhsa_user_sgpr_count 15
		.amdhsa_user_sgpr_dispatch_ptr 0
		.amdhsa_user_sgpr_queue_ptr 0
		.amdhsa_user_sgpr_kernarg_segment_ptr 1
		.amdhsa_user_sgpr_dispatch_id 0
		.amdhsa_user_sgpr_private_segment_size 0
		.amdhsa_wavefront_size32 1
		.amdhsa_uses_dynamic_stack 0
		.amdhsa_enable_private_segment 0
		.amdhsa_system_sgpr_workgroup_id_x 1
		.amdhsa_system_sgpr_workgroup_id_y 0
		.amdhsa_system_sgpr_workgroup_id_z 0
		.amdhsa_system_sgpr_workgroup_info 0
		.amdhsa_system_vgpr_workitem_id 1
		.amdhsa_next_free_vgpr 14
		.amdhsa_next_free_sgpr 16
		.amdhsa_reserve_vcc 1
		.amdhsa_float_round_mode_32 0
		.amdhsa_float_round_mode_16_64 0
		.amdhsa_float_denorm_mode_32 3
		.amdhsa_float_denorm_mode_16_64 3
		.amdhsa_dx10_clamp 1
		.amdhsa_ieee_mode 1
		.amdhsa_fp16_overflow 0
		.amdhsa_workgroup_processor_mode 1
		.amdhsa_memory_ordered 1
		.amdhsa_forward_progress 0
		.amdhsa_shared_vgpr_count 0
		.amdhsa_exception_fp_ieee_invalid_op 0
		.amdhsa_exception_fp_denorm_src 0
		.amdhsa_exception_fp_ieee_div_zero 0
		.amdhsa_exception_fp_ieee_overflow 0
		.amdhsa_exception_fp_ieee_underflow 0
		.amdhsa_exception_fp_ieee_inexact 0
		.amdhsa_exception_int_div_zero 0
	.end_amdhsa_kernel
	.section	.text._ZN12_GLOBAL__N_120softmax_warp_forwardIfffLi3ELb1ELb0ELi32EEEvPT0_PKT_iiiPKbib,"axG",@progbits,_ZN12_GLOBAL__N_120softmax_warp_forwardIfffLi3ELb1ELb0ELi32EEEvPT0_PKT_iiiPKbib,comdat
.Lfunc_end42:
	.size	_ZN12_GLOBAL__N_120softmax_warp_forwardIfffLi3ELb1ELb0ELi32EEEvPT0_PKT_iiiPKbib, .Lfunc_end42-_ZN12_GLOBAL__N_120softmax_warp_forwardIfffLi3ELb1ELb0ELi32EEEvPT0_PKT_iiiPKbib
                                        ; -- End function
	.section	.AMDGPU.csdata,"",@progbits
; Kernel info:
; codeLenInByte = 1212
; NumSgprs: 18
; NumVgprs: 14
; ScratchSize: 0
; MemoryBound: 0
; FloatMode: 240
; IeeeMode: 1
; LDSByteSize: 0 bytes/workgroup (compile time only)
; SGPRBlocks: 2
; VGPRBlocks: 1
; NumSGPRsForWavesPerEU: 18
; NumVGPRsForWavesPerEU: 14
; Occupancy: 16
; WaveLimiterHint : 0
; COMPUTE_PGM_RSRC2:SCRATCH_EN: 0
; COMPUTE_PGM_RSRC2:USER_SGPR: 15
; COMPUTE_PGM_RSRC2:TRAP_HANDLER: 0
; COMPUTE_PGM_RSRC2:TGID_X_EN: 1
; COMPUTE_PGM_RSRC2:TGID_Y_EN: 0
; COMPUTE_PGM_RSRC2:TGID_Z_EN: 0
; COMPUTE_PGM_RSRC2:TIDIG_COMP_CNT: 1
	.section	.text._ZN12_GLOBAL__N_120softmax_warp_forwardIfffLi4ELb1ELb0ELi64EEEvPT0_PKT_iiiPKbib,"axG",@progbits,_ZN12_GLOBAL__N_120softmax_warp_forwardIfffLi4ELb1ELb0ELi64EEEvPT0_PKT_iiiPKbib,comdat
	.globl	_ZN12_GLOBAL__N_120softmax_warp_forwardIfffLi4ELb1ELb0ELi64EEEvPT0_PKT_iiiPKbib ; -- Begin function _ZN12_GLOBAL__N_120softmax_warp_forwardIfffLi4ELb1ELb0ELi64EEEvPT0_PKT_iiiPKbib
	.p2align	8
	.type	_ZN12_GLOBAL__N_120softmax_warp_forwardIfffLi4ELb1ELb0ELi64EEEvPT0_PKT_iiiPKbib,@function
_ZN12_GLOBAL__N_120softmax_warp_forwardIfffLi4ELb1ELb0ELi64EEEvPT0_PKT_iiiPKbib: ; @_ZN12_GLOBAL__N_120softmax_warp_forwardIfffLi4ELb1ELb0ELi64EEEvPT0_PKT_iiiPKbib
; %bb.0:
	s_clause 0x1
	s_load_b32 s2, s[0:1], 0x3c
	s_load_b256 s[4:11], s[0:1], 0x0
	v_bfe_u32 v1, v0, 10, 10
	v_and_b32_e32 v2, 0x3ff, v0
	v_dual_mov_b32 v5, 0xff800000 :: v_dual_mov_b32 v6, 0xff800000
	s_waitcnt lgkmcnt(0)
	s_lshr_b32 s0, s2, 16
	s_delay_alu instid0(VALU_DEP_2) | instskip(SKIP_1) | instid1(SALU_CYCLE_1)
	v_cmp_gt_i32_e32 vcc_lo, s10, v2
	s_mul_i32 s15, s15, s0
	v_add_lshl_u32 v3, s15, v1, 1
	s_delay_alu instid0(VALU_DEP_1) | instskip(SKIP_1) | instid1(VALU_DEP_1)
	v_mad_u64_u32 v[0:1], null, v3, s9, v[2:3]
	v_sub_nc_u32_e32 v4, s8, v3
	v_cmp_lt_i32_e64 s0, 0, v4
	s_delay_alu instid0(VALU_DEP_3) | instskip(NEXT) | instid1(VALU_DEP_2)
	v_ashrrev_i32_e32 v1, 31, v0
	s_and_b32 s2, vcc_lo, s0
	s_delay_alu instid0(VALU_DEP_1) | instskip(NEXT) | instid1(VALU_DEP_1)
	v_lshlrev_b64 v[0:1], 2, v[0:1]
	v_add_co_u32 v2, s1, s6, v0
	s_delay_alu instid0(VALU_DEP_1)
	v_add_co_ci_u32_e64 v3, s1, s7, v1, s1
	s_and_saveexec_b32 s1, s2
	s_cbranch_execz .LBB43_2
; %bb.1:
	global_load_b32 v6, v[2:3], off
.LBB43_2:
	s_or_b32 exec_lo, exec_lo, s1
	v_cmp_lt_i32_e64 s1, 1, v4
	s_delay_alu instid0(VALU_DEP_1) | instskip(NEXT) | instid1(SALU_CYCLE_1)
	s_and_b32 s1, vcc_lo, s1
	s_and_saveexec_b32 s2, s1
	s_cbranch_execz .LBB43_4
; %bb.3:
	s_mov_b32 s11, 0
	s_delay_alu instid0(SALU_CYCLE_1) | instskip(NEXT) | instid1(SALU_CYCLE_1)
	s_lshl_b64 s[6:7], s[10:11], 2
	v_add_co_u32 v2, s1, v2, s6
	s_delay_alu instid0(VALU_DEP_1)
	v_add_co_ci_u32_e64 v3, s1, s7, v3, s1
	global_load_b32 v5, v[2:3], off
.LBB43_4:
	s_or_b32 exec_lo, exec_lo, s2
	v_mbcnt_lo_u32_b32 v2, -1, 0
	s_delay_alu instid0(VALU_DEP_1)
	v_and_b32_e32 v3, 16, v2
	v_xor_b32_e32 v7, 8, v2
	v_xor_b32_e32 v10, 4, v2
	;; [unrolled: 1-line block ×4, first 2 shown]
	v_add_nc_u32_e32 v3, 16, v3
	s_delay_alu instid0(VALU_DEP_1) | instskip(NEXT) | instid1(VALU_DEP_1)
	v_cmp_lt_i32_e64 s1, v7, v3
	v_cndmask_b32_e64 v7, v2, v7, s1
	v_cmp_lt_i32_e64 s1, v10, v3
	s_delay_alu instid0(VALU_DEP_2) | instskip(NEXT) | instid1(VALU_DEP_2)
	v_lshlrev_b32_e32 v7, 2, v7
	v_cndmask_b32_e64 v10, v2, v10, s1
	s_waitcnt vmcnt(0)
	ds_bpermute_b32 v8, v7, v6
	ds_bpermute_b32 v9, v7, v5
	v_lshlrev_b32_e32 v10, 2, v10
	s_waitcnt lgkmcnt(1)
	v_cmp_lt_f32_e64 s1, v6, v8
	s_delay_alu instid0(VALU_DEP_1)
	v_cndmask_b32_e64 v8, v6, v8, s1
	s_waitcnt lgkmcnt(0)
	v_cmp_lt_f32_e64 s1, v5, v9
	ds_bpermute_b32 v11, v10, v8
	v_cndmask_b32_e64 v9, v5, v9, s1
	v_cmp_lt_i32_e64 s1, v13, v3
	ds_bpermute_b32 v12, v10, v9
	v_cndmask_b32_e64 v13, v2, v13, s1
	s_delay_alu instid0(VALU_DEP_1) | instskip(SKIP_2) | instid1(VALU_DEP_1)
	v_lshlrev_b32_e32 v13, 2, v13
	s_waitcnt lgkmcnt(1)
	v_cmp_lt_f32_e64 s1, v8, v11
	v_cndmask_b32_e64 v8, v8, v11, s1
	s_waitcnt lgkmcnt(0)
	v_cmp_lt_f32_e64 s1, v9, v12
	ds_bpermute_b32 v11, v13, v8
	v_cndmask_b32_e64 v9, v9, v12, s1
	v_cmp_lt_i32_e64 s1, v14, v3
	ds_bpermute_b32 v12, v13, v9
	v_cndmask_b32_e64 v2, v2, v14, s1
	s_delay_alu instid0(VALU_DEP_1) | instskip(SKIP_2) | instid1(VALU_DEP_1)
	v_lshlrev_b32_e32 v14, 2, v2
	s_waitcnt lgkmcnt(1)
	v_cmp_lt_f32_e64 s1, v8, v11
	v_cndmask_b32_e64 v2, v8, v11, s1
	s_waitcnt lgkmcnt(0)
	v_cmp_lt_f32_e64 s1, v9, v12
	ds_bpermute_b32 v8, v14, v2
	v_cndmask_b32_e64 v3, v9, v12, s1
	ds_bpermute_b32 v9, v14, v3
	s_waitcnt lgkmcnt(1)
	v_cmp_lt_f32_e64 s1, v2, v8
	s_delay_alu instid0(VALU_DEP_1) | instskip(SKIP_2) | instid1(VALU_DEP_1)
	v_cndmask_b32_e64 v2, v2, v8, s1
	s_waitcnt lgkmcnt(0)
	v_cmp_lt_f32_e64 s1, v3, v9
	v_cndmask_b32_e64 v8, v3, v9, s1
	s_delay_alu instid0(VALU_DEP_1) | instskip(NEXT) | instid1(VALU_DEP_1)
	v_dual_sub_f32 v3, v6, v2 :: v_dual_sub_f32 v2, v5, v8
	v_mul_f32_e32 v5, 0x3fb8aa3b, v3
	v_cmp_ngt_f32_e64 s1, 0xc2ce8ed0, v3
	s_delay_alu instid0(VALU_DEP_3) | instskip(NEXT) | instid1(VALU_DEP_3)
	v_mul_f32_e32 v6, 0x3fb8aa3b, v2
	v_fma_f32 v8, 0x3fb8aa3b, v3, -v5
	v_rndne_f32_e32 v9, v5
	s_delay_alu instid0(VALU_DEP_3) | instskip(SKIP_1) | instid1(VALU_DEP_3)
	v_fma_f32 v11, 0x3fb8aa3b, v2, -v6
	v_rndne_f32_e32 v12, v6
	v_dual_sub_f32 v5, v5, v9 :: v_dual_fmac_f32 v8, 0x32a5705f, v3
	s_delay_alu instid0(VALU_DEP_2) | instskip(NEXT) | instid1(VALU_DEP_2)
	v_dual_fmac_f32 v11, 0x32a5705f, v2 :: v_dual_sub_f32 v6, v6, v12
	v_add_f32_e32 v5, v5, v8
	v_cvt_i32_f32_e32 v8, v9
	v_cvt_i32_f32_e32 v9, v12
	s_delay_alu instid0(VALU_DEP_4) | instskip(NEXT) | instid1(VALU_DEP_4)
	v_add_f32_e32 v6, v6, v11
	v_exp_f32_e32 v5, v5
	s_delay_alu instid0(VALU_DEP_1) | instskip(SKIP_3) | instid1(VALU_DEP_2)
	v_exp_f32_e32 v6, v6
	s_waitcnt_depctr 0xfff
	v_ldexp_f32 v5, v5, v8
	v_ldexp_f32 v6, v6, v9
	v_cndmask_b32_e64 v5, 0, v5, s1
	v_cmp_ngt_f32_e64 s1, 0xc2ce8ed0, v2
	s_delay_alu instid0(VALU_DEP_1) | instskip(SKIP_1) | instid1(VALU_DEP_1)
	v_cndmask_b32_e64 v6, 0, v6, s1
	v_cmp_nlt_f32_e64 s1, 0x42b17218, v3
	v_cndmask_b32_e64 v5, 0x7f800000, v5, s1
	v_cmp_nlt_f32_e64 s1, 0x42b17218, v2
	ds_bpermute_b32 v8, v7, v5
	v_cndmask_b32_e64 v6, 0x7f800000, v6, s1
	ds_bpermute_b32 v7, v7, v6
	s_waitcnt lgkmcnt(0)
	v_dual_add_f32 v5, v5, v8 :: v_dual_add_f32 v6, v6, v7
	ds_bpermute_b32 v7, v10, v5
	ds_bpermute_b32 v8, v10, v6
	s_waitcnt lgkmcnt(0)
	v_dual_add_f32 v5, v5, v7 :: v_dual_add_f32 v6, v6, v8
	ds_bpermute_b32 v7, v13, v5
	ds_bpermute_b32 v8, v13, v6
	s_waitcnt lgkmcnt(1)
	v_add_f32_e32 v7, v5, v7
	s_waitcnt lgkmcnt(0)
	v_add_f32_e32 v5, v6, v8
	ds_bpermute_b32 v8, v14, v7
	ds_bpermute_b32 v6, v14, v5
	s_and_saveexec_b32 s1, s0
	s_cbranch_execz .LBB43_10
; %bb.5:
	v_add_co_u32 v0, s0, s4, v0
	s_delay_alu instid0(VALU_DEP_1)
	v_add_co_ci_u32_e64 v1, s0, s5, v1, s0
	s_and_saveexec_b32 s2, vcc_lo
	s_cbranch_execz .LBB43_7
; %bb.6:
	s_waitcnt lgkmcnt(1)
	v_add_f32_e32 v7, v7, v8
	s_delay_alu instid0(VALU_DEP_1) | instskip(NEXT) | instid1(VALU_DEP_1)
	v_cmp_gt_f32_e64 s0, 0x800000, v7
	v_cndmask_b32_e64 v8, 1.0, 0x4f800000, s0
	s_delay_alu instid0(VALU_DEP_1) | instskip(NEXT) | instid1(VALU_DEP_1)
	v_mul_f32_e32 v7, v7, v8
	v_log_f32_e32 v7, v7
	s_waitcnt_depctr 0xfff
	v_mul_f32_e32 v8, 0x3f317217, v7
	v_cmp_gt_f32_e64 s1, 0x7f800000, |v7|
	s_delay_alu instid0(VALU_DEP_2) | instskip(NEXT) | instid1(VALU_DEP_1)
	v_fma_f32 v9, 0x3f317217, v7, -v8
	v_fmamk_f32 v9, v7, 0x3377d1cf, v9
	s_delay_alu instid0(VALU_DEP_1) | instskip(NEXT) | instid1(VALU_DEP_1)
	v_add_f32_e32 v8, v8, v9
	v_cndmask_b32_e64 v7, v7, v8, s1
	v_cndmask_b32_e64 v8, 0, 0x41b17218, s0
	s_delay_alu instid0(VALU_DEP_1) | instskip(NEXT) | instid1(VALU_DEP_1)
	v_sub_f32_e32 v7, v7, v8
	v_sub_f32_e32 v3, v3, v7
	global_store_b32 v[0:1], v3, off
.LBB43_7:
	s_or_b32 exec_lo, exec_lo, s2
	v_cmp_ne_u32_e64 s0, 1, v4
	s_delay_alu instid0(VALU_DEP_1)
	s_and_b32 exec_lo, exec_lo, s0
	s_cbranch_execz .LBB43_10
; %bb.8:
	s_and_b32 exec_lo, exec_lo, vcc_lo
	s_cbranch_execz .LBB43_10
; %bb.9:
	s_waitcnt lgkmcnt(0)
	v_add_f32_e32 v3, v5, v6
	s_mov_b32 s11, 0
	s_delay_alu instid0(SALU_CYCLE_1) | instskip(NEXT) | instid1(VALU_DEP_1)
	s_lshl_b64 s[0:1], s[10:11], 2
	v_cmp_gt_f32_e32 vcc_lo, 0x800000, v3
	v_cndmask_b32_e64 v4, 1.0, 0x4f800000, vcc_lo
	s_delay_alu instid0(VALU_DEP_1) | instskip(NEXT) | instid1(VALU_DEP_1)
	v_mul_f32_e32 v3, v3, v4
	v_log_f32_e32 v3, v3
	s_waitcnt_depctr 0xfff
	v_mul_f32_e32 v4, 0x3f317217, v3
	s_delay_alu instid0(VALU_DEP_1) | instskip(NEXT) | instid1(VALU_DEP_1)
	v_fma_f32 v5, 0x3f317217, v3, -v4
	v_fmamk_f32 v5, v3, 0x3377d1cf, v5
	s_delay_alu instid0(VALU_DEP_1) | instskip(SKIP_2) | instid1(VALU_DEP_3)
	v_add_f32_e32 v4, v4, v5
	v_cndmask_b32_e64 v5, 0, 0x41b17218, vcc_lo
	v_cmp_gt_f32_e64 vcc_lo, 0x7f800000, |v3|
	v_cndmask_b32_e32 v3, v3, v4, vcc_lo
	v_add_co_u32 v0, vcc_lo, v0, s0
	v_add_co_ci_u32_e32 v1, vcc_lo, s1, v1, vcc_lo
	s_delay_alu instid0(VALU_DEP_3) | instskip(NEXT) | instid1(VALU_DEP_1)
	v_sub_f32_e32 v3, v3, v5
	v_sub_f32_e32 v2, v2, v3
	global_store_b32 v[0:1], v2, off
.LBB43_10:
	s_nop 0
	s_sendmsg sendmsg(MSG_DEALLOC_VGPRS)
	s_endpgm
	.section	.rodata,"a",@progbits
	.p2align	6, 0x0
	.amdhsa_kernel _ZN12_GLOBAL__N_120softmax_warp_forwardIfffLi4ELb1ELb0ELi64EEEvPT0_PKT_iiiPKbib
		.amdhsa_group_segment_fixed_size 0
		.amdhsa_private_segment_fixed_size 0
		.amdhsa_kernarg_size 304
		.amdhsa_user_sgpr_count 15
		.amdhsa_user_sgpr_dispatch_ptr 0
		.amdhsa_user_sgpr_queue_ptr 0
		.amdhsa_user_sgpr_kernarg_segment_ptr 1
		.amdhsa_user_sgpr_dispatch_id 0
		.amdhsa_user_sgpr_private_segment_size 0
		.amdhsa_wavefront_size32 1
		.amdhsa_uses_dynamic_stack 0
		.amdhsa_enable_private_segment 0
		.amdhsa_system_sgpr_workgroup_id_x 1
		.amdhsa_system_sgpr_workgroup_id_y 0
		.amdhsa_system_sgpr_workgroup_id_z 0
		.amdhsa_system_sgpr_workgroup_info 0
		.amdhsa_system_vgpr_workitem_id 1
		.amdhsa_next_free_vgpr 15
		.amdhsa_next_free_sgpr 16
		.amdhsa_reserve_vcc 1
		.amdhsa_float_round_mode_32 0
		.amdhsa_float_round_mode_16_64 0
		.amdhsa_float_denorm_mode_32 3
		.amdhsa_float_denorm_mode_16_64 3
		.amdhsa_dx10_clamp 1
		.amdhsa_ieee_mode 1
		.amdhsa_fp16_overflow 0
		.amdhsa_workgroup_processor_mode 1
		.amdhsa_memory_ordered 1
		.amdhsa_forward_progress 0
		.amdhsa_shared_vgpr_count 0
		.amdhsa_exception_fp_ieee_invalid_op 0
		.amdhsa_exception_fp_denorm_src 0
		.amdhsa_exception_fp_ieee_div_zero 0
		.amdhsa_exception_fp_ieee_overflow 0
		.amdhsa_exception_fp_ieee_underflow 0
		.amdhsa_exception_fp_ieee_inexact 0
		.amdhsa_exception_int_div_zero 0
	.end_amdhsa_kernel
	.section	.text._ZN12_GLOBAL__N_120softmax_warp_forwardIfffLi4ELb1ELb0ELi64EEEvPT0_PKT_iiiPKbib,"axG",@progbits,_ZN12_GLOBAL__N_120softmax_warp_forwardIfffLi4ELb1ELb0ELi64EEEvPT0_PKT_iiiPKbib,comdat
.Lfunc_end43:
	.size	_ZN12_GLOBAL__N_120softmax_warp_forwardIfffLi4ELb1ELb0ELi64EEEvPT0_PKT_iiiPKbib, .Lfunc_end43-_ZN12_GLOBAL__N_120softmax_warp_forwardIfffLi4ELb1ELb0ELi64EEEvPT0_PKT_iiiPKbib
                                        ; -- End function
	.section	.AMDGPU.csdata,"",@progbits
; Kernel info:
; codeLenInByte = 1324
; NumSgprs: 18
; NumVgprs: 15
; ScratchSize: 0
; MemoryBound: 0
; FloatMode: 240
; IeeeMode: 1
; LDSByteSize: 0 bytes/workgroup (compile time only)
; SGPRBlocks: 2
; VGPRBlocks: 1
; NumSGPRsForWavesPerEU: 18
; NumVGPRsForWavesPerEU: 15
; Occupancy: 16
; WaveLimiterHint : 0
; COMPUTE_PGM_RSRC2:SCRATCH_EN: 0
; COMPUTE_PGM_RSRC2:USER_SGPR: 15
; COMPUTE_PGM_RSRC2:TRAP_HANDLER: 0
; COMPUTE_PGM_RSRC2:TGID_X_EN: 1
; COMPUTE_PGM_RSRC2:TGID_Y_EN: 0
; COMPUTE_PGM_RSRC2:TGID_Z_EN: 0
; COMPUTE_PGM_RSRC2:TIDIG_COMP_CNT: 1
	.section	.text._ZN12_GLOBAL__N_120softmax_warp_forwardIfffLi4ELb1ELb0ELi32EEEvPT0_PKT_iiiPKbib,"axG",@progbits,_ZN12_GLOBAL__N_120softmax_warp_forwardIfffLi4ELb1ELb0ELi32EEEvPT0_PKT_iiiPKbib,comdat
	.globl	_ZN12_GLOBAL__N_120softmax_warp_forwardIfffLi4ELb1ELb0ELi32EEEvPT0_PKT_iiiPKbib ; -- Begin function _ZN12_GLOBAL__N_120softmax_warp_forwardIfffLi4ELb1ELb0ELi32EEEvPT0_PKT_iiiPKbib
	.p2align	8
	.type	_ZN12_GLOBAL__N_120softmax_warp_forwardIfffLi4ELb1ELb0ELi32EEEvPT0_PKT_iiiPKbib,@function
_ZN12_GLOBAL__N_120softmax_warp_forwardIfffLi4ELb1ELb0ELi32EEEvPT0_PKT_iiiPKbib: ; @_ZN12_GLOBAL__N_120softmax_warp_forwardIfffLi4ELb1ELb0ELi32EEEvPT0_PKT_iiiPKbib
; %bb.0:
	s_clause 0x1
	s_load_b32 s2, s[0:1], 0x3c
	s_load_b256 s[4:11], s[0:1], 0x0
	v_bfe_u32 v1, v0, 10, 10
	v_and_b32_e32 v2, 0x3ff, v0
	v_dual_mov_b32 v5, 0xff800000 :: v_dual_mov_b32 v6, 0xff800000
	s_waitcnt lgkmcnt(0)
	s_lshr_b32 s0, s2, 16
	s_delay_alu instid0(VALU_DEP_2) | instskip(SKIP_1) | instid1(SALU_CYCLE_1)
	v_cmp_gt_i32_e32 vcc_lo, s10, v2
	s_mul_i32 s15, s15, s0
	v_add_lshl_u32 v3, s15, v1, 1
	s_delay_alu instid0(VALU_DEP_1) | instskip(SKIP_1) | instid1(VALU_DEP_1)
	v_mad_u64_u32 v[0:1], null, v3, s9, v[2:3]
	v_sub_nc_u32_e32 v4, s8, v3
	v_cmp_lt_i32_e64 s0, 0, v4
	s_delay_alu instid0(VALU_DEP_3) | instskip(NEXT) | instid1(VALU_DEP_2)
	v_ashrrev_i32_e32 v1, 31, v0
	s_and_b32 s2, vcc_lo, s0
	s_delay_alu instid0(VALU_DEP_1) | instskip(NEXT) | instid1(VALU_DEP_1)
	v_lshlrev_b64 v[0:1], 2, v[0:1]
	v_add_co_u32 v2, s1, s6, v0
	s_delay_alu instid0(VALU_DEP_1)
	v_add_co_ci_u32_e64 v3, s1, s7, v1, s1
	s_and_saveexec_b32 s1, s2
	s_cbranch_execz .LBB44_2
; %bb.1:
	global_load_b32 v6, v[2:3], off
.LBB44_2:
	s_or_b32 exec_lo, exec_lo, s1
	v_cmp_lt_i32_e64 s1, 1, v4
	s_delay_alu instid0(VALU_DEP_1) | instskip(NEXT) | instid1(SALU_CYCLE_1)
	s_and_b32 s1, vcc_lo, s1
	s_and_saveexec_b32 s2, s1
	s_cbranch_execz .LBB44_4
; %bb.3:
	s_mov_b32 s11, 0
	s_delay_alu instid0(SALU_CYCLE_1) | instskip(NEXT) | instid1(SALU_CYCLE_1)
	s_lshl_b64 s[6:7], s[10:11], 2
	v_add_co_u32 v2, s1, v2, s6
	s_delay_alu instid0(VALU_DEP_1)
	v_add_co_ci_u32_e64 v3, s1, s7, v3, s1
	global_load_b32 v5, v[2:3], off
.LBB44_4:
	s_or_b32 exec_lo, exec_lo, s2
	v_mbcnt_lo_u32_b32 v2, -1, 0
	s_delay_alu instid0(VALU_DEP_1)
	v_and_b32_e32 v3, 16, v2
	v_xor_b32_e32 v7, 8, v2
	v_xor_b32_e32 v10, 4, v2
	;; [unrolled: 1-line block ×4, first 2 shown]
	v_add_nc_u32_e32 v3, 16, v3
	s_delay_alu instid0(VALU_DEP_1) | instskip(NEXT) | instid1(VALU_DEP_1)
	v_cmp_lt_i32_e64 s1, v7, v3
	v_cndmask_b32_e64 v7, v2, v7, s1
	v_cmp_lt_i32_e64 s1, v10, v3
	s_delay_alu instid0(VALU_DEP_2) | instskip(NEXT) | instid1(VALU_DEP_2)
	v_lshlrev_b32_e32 v7, 2, v7
	v_cndmask_b32_e64 v10, v2, v10, s1
	s_waitcnt vmcnt(0)
	ds_bpermute_b32 v8, v7, v6
	ds_bpermute_b32 v9, v7, v5
	v_lshlrev_b32_e32 v10, 2, v10
	s_waitcnt lgkmcnt(1)
	v_cmp_lt_f32_e64 s1, v6, v8
	s_delay_alu instid0(VALU_DEP_1)
	v_cndmask_b32_e64 v8, v6, v8, s1
	s_waitcnt lgkmcnt(0)
	v_cmp_lt_f32_e64 s1, v5, v9
	ds_bpermute_b32 v11, v10, v8
	v_cndmask_b32_e64 v9, v5, v9, s1
	v_cmp_lt_i32_e64 s1, v13, v3
	ds_bpermute_b32 v12, v10, v9
	v_cndmask_b32_e64 v13, v2, v13, s1
	s_delay_alu instid0(VALU_DEP_1) | instskip(SKIP_2) | instid1(VALU_DEP_1)
	v_lshlrev_b32_e32 v13, 2, v13
	s_waitcnt lgkmcnt(1)
	v_cmp_lt_f32_e64 s1, v8, v11
	v_cndmask_b32_e64 v8, v8, v11, s1
	s_waitcnt lgkmcnt(0)
	v_cmp_lt_f32_e64 s1, v9, v12
	ds_bpermute_b32 v11, v13, v8
	v_cndmask_b32_e64 v9, v9, v12, s1
	v_cmp_lt_i32_e64 s1, v14, v3
	ds_bpermute_b32 v12, v13, v9
	v_cndmask_b32_e64 v2, v2, v14, s1
	s_delay_alu instid0(VALU_DEP_1) | instskip(SKIP_2) | instid1(VALU_DEP_1)
	v_lshlrev_b32_e32 v14, 2, v2
	s_waitcnt lgkmcnt(1)
	v_cmp_lt_f32_e64 s1, v8, v11
	v_cndmask_b32_e64 v2, v8, v11, s1
	s_waitcnt lgkmcnt(0)
	v_cmp_lt_f32_e64 s1, v9, v12
	ds_bpermute_b32 v8, v14, v2
	v_cndmask_b32_e64 v3, v9, v12, s1
	ds_bpermute_b32 v9, v14, v3
	s_waitcnt lgkmcnt(1)
	v_cmp_lt_f32_e64 s1, v2, v8
	s_delay_alu instid0(VALU_DEP_1) | instskip(SKIP_2) | instid1(VALU_DEP_1)
	v_cndmask_b32_e64 v2, v2, v8, s1
	s_waitcnt lgkmcnt(0)
	v_cmp_lt_f32_e64 s1, v3, v9
	v_cndmask_b32_e64 v8, v3, v9, s1
	s_delay_alu instid0(VALU_DEP_1) | instskip(NEXT) | instid1(VALU_DEP_1)
	v_dual_sub_f32 v3, v6, v2 :: v_dual_sub_f32 v2, v5, v8
	v_mul_f32_e32 v5, 0x3fb8aa3b, v3
	v_cmp_ngt_f32_e64 s1, 0xc2ce8ed0, v3
	s_delay_alu instid0(VALU_DEP_3) | instskip(NEXT) | instid1(VALU_DEP_3)
	v_mul_f32_e32 v6, 0x3fb8aa3b, v2
	v_fma_f32 v8, 0x3fb8aa3b, v3, -v5
	v_rndne_f32_e32 v9, v5
	s_delay_alu instid0(VALU_DEP_3) | instskip(SKIP_1) | instid1(VALU_DEP_3)
	v_fma_f32 v11, 0x3fb8aa3b, v2, -v6
	v_rndne_f32_e32 v12, v6
	v_dual_sub_f32 v5, v5, v9 :: v_dual_fmac_f32 v8, 0x32a5705f, v3
	s_delay_alu instid0(VALU_DEP_2) | instskip(NEXT) | instid1(VALU_DEP_2)
	v_dual_fmac_f32 v11, 0x32a5705f, v2 :: v_dual_sub_f32 v6, v6, v12
	v_add_f32_e32 v5, v5, v8
	v_cvt_i32_f32_e32 v8, v9
	v_cvt_i32_f32_e32 v9, v12
	s_delay_alu instid0(VALU_DEP_4) | instskip(NEXT) | instid1(VALU_DEP_4)
	v_add_f32_e32 v6, v6, v11
	v_exp_f32_e32 v5, v5
	s_delay_alu instid0(VALU_DEP_1) | instskip(SKIP_3) | instid1(VALU_DEP_2)
	v_exp_f32_e32 v6, v6
	s_waitcnt_depctr 0xfff
	v_ldexp_f32 v5, v5, v8
	v_ldexp_f32 v6, v6, v9
	v_cndmask_b32_e64 v5, 0, v5, s1
	v_cmp_ngt_f32_e64 s1, 0xc2ce8ed0, v2
	s_delay_alu instid0(VALU_DEP_1) | instskip(SKIP_1) | instid1(VALU_DEP_1)
	v_cndmask_b32_e64 v6, 0, v6, s1
	v_cmp_nlt_f32_e64 s1, 0x42b17218, v3
	v_cndmask_b32_e64 v5, 0x7f800000, v5, s1
	v_cmp_nlt_f32_e64 s1, 0x42b17218, v2
	ds_bpermute_b32 v8, v7, v5
	v_cndmask_b32_e64 v6, 0x7f800000, v6, s1
	ds_bpermute_b32 v7, v7, v6
	s_waitcnt lgkmcnt(0)
	v_dual_add_f32 v5, v5, v8 :: v_dual_add_f32 v6, v6, v7
	ds_bpermute_b32 v7, v10, v5
	ds_bpermute_b32 v8, v10, v6
	s_waitcnt lgkmcnt(0)
	v_dual_add_f32 v5, v5, v7 :: v_dual_add_f32 v6, v6, v8
	ds_bpermute_b32 v7, v13, v5
	ds_bpermute_b32 v8, v13, v6
	s_waitcnt lgkmcnt(1)
	v_add_f32_e32 v7, v5, v7
	s_waitcnt lgkmcnt(0)
	v_add_f32_e32 v5, v6, v8
	ds_bpermute_b32 v8, v14, v7
	ds_bpermute_b32 v6, v14, v5
	s_and_saveexec_b32 s1, s0
	s_cbranch_execz .LBB44_10
; %bb.5:
	v_add_co_u32 v0, s0, s4, v0
	s_delay_alu instid0(VALU_DEP_1)
	v_add_co_ci_u32_e64 v1, s0, s5, v1, s0
	s_and_saveexec_b32 s2, vcc_lo
	s_cbranch_execz .LBB44_7
; %bb.6:
	s_waitcnt lgkmcnt(1)
	v_add_f32_e32 v7, v7, v8
	s_delay_alu instid0(VALU_DEP_1) | instskip(NEXT) | instid1(VALU_DEP_1)
	v_cmp_gt_f32_e64 s0, 0x800000, v7
	v_cndmask_b32_e64 v8, 1.0, 0x4f800000, s0
	s_delay_alu instid0(VALU_DEP_1) | instskip(NEXT) | instid1(VALU_DEP_1)
	v_mul_f32_e32 v7, v7, v8
	v_log_f32_e32 v7, v7
	s_waitcnt_depctr 0xfff
	v_mul_f32_e32 v8, 0x3f317217, v7
	v_cmp_gt_f32_e64 s1, 0x7f800000, |v7|
	s_delay_alu instid0(VALU_DEP_2) | instskip(NEXT) | instid1(VALU_DEP_1)
	v_fma_f32 v9, 0x3f317217, v7, -v8
	v_fmamk_f32 v9, v7, 0x3377d1cf, v9
	s_delay_alu instid0(VALU_DEP_1) | instskip(NEXT) | instid1(VALU_DEP_1)
	v_add_f32_e32 v8, v8, v9
	v_cndmask_b32_e64 v7, v7, v8, s1
	v_cndmask_b32_e64 v8, 0, 0x41b17218, s0
	s_delay_alu instid0(VALU_DEP_1) | instskip(NEXT) | instid1(VALU_DEP_1)
	v_sub_f32_e32 v7, v7, v8
	v_sub_f32_e32 v3, v3, v7
	global_store_b32 v[0:1], v3, off
.LBB44_7:
	s_or_b32 exec_lo, exec_lo, s2
	v_cmp_ne_u32_e64 s0, 1, v4
	s_delay_alu instid0(VALU_DEP_1)
	s_and_b32 exec_lo, exec_lo, s0
	s_cbranch_execz .LBB44_10
; %bb.8:
	s_and_b32 exec_lo, exec_lo, vcc_lo
	s_cbranch_execz .LBB44_10
; %bb.9:
	s_waitcnt lgkmcnt(0)
	v_add_f32_e32 v3, v5, v6
	s_mov_b32 s11, 0
	s_delay_alu instid0(SALU_CYCLE_1) | instskip(NEXT) | instid1(VALU_DEP_1)
	s_lshl_b64 s[0:1], s[10:11], 2
	v_cmp_gt_f32_e32 vcc_lo, 0x800000, v3
	v_cndmask_b32_e64 v4, 1.0, 0x4f800000, vcc_lo
	s_delay_alu instid0(VALU_DEP_1) | instskip(NEXT) | instid1(VALU_DEP_1)
	v_mul_f32_e32 v3, v3, v4
	v_log_f32_e32 v3, v3
	s_waitcnt_depctr 0xfff
	v_mul_f32_e32 v4, 0x3f317217, v3
	s_delay_alu instid0(VALU_DEP_1) | instskip(NEXT) | instid1(VALU_DEP_1)
	v_fma_f32 v5, 0x3f317217, v3, -v4
	v_fmamk_f32 v5, v3, 0x3377d1cf, v5
	s_delay_alu instid0(VALU_DEP_1) | instskip(SKIP_2) | instid1(VALU_DEP_3)
	v_add_f32_e32 v4, v4, v5
	v_cndmask_b32_e64 v5, 0, 0x41b17218, vcc_lo
	v_cmp_gt_f32_e64 vcc_lo, 0x7f800000, |v3|
	v_cndmask_b32_e32 v3, v3, v4, vcc_lo
	v_add_co_u32 v0, vcc_lo, v0, s0
	v_add_co_ci_u32_e32 v1, vcc_lo, s1, v1, vcc_lo
	s_delay_alu instid0(VALU_DEP_3) | instskip(NEXT) | instid1(VALU_DEP_1)
	v_sub_f32_e32 v3, v3, v5
	v_sub_f32_e32 v2, v2, v3
	global_store_b32 v[0:1], v2, off
.LBB44_10:
	s_nop 0
	s_sendmsg sendmsg(MSG_DEALLOC_VGPRS)
	s_endpgm
	.section	.rodata,"a",@progbits
	.p2align	6, 0x0
	.amdhsa_kernel _ZN12_GLOBAL__N_120softmax_warp_forwardIfffLi4ELb1ELb0ELi32EEEvPT0_PKT_iiiPKbib
		.amdhsa_group_segment_fixed_size 0
		.amdhsa_private_segment_fixed_size 0
		.amdhsa_kernarg_size 304
		.amdhsa_user_sgpr_count 15
		.amdhsa_user_sgpr_dispatch_ptr 0
		.amdhsa_user_sgpr_queue_ptr 0
		.amdhsa_user_sgpr_kernarg_segment_ptr 1
		.amdhsa_user_sgpr_dispatch_id 0
		.amdhsa_user_sgpr_private_segment_size 0
		.amdhsa_wavefront_size32 1
		.amdhsa_uses_dynamic_stack 0
		.amdhsa_enable_private_segment 0
		.amdhsa_system_sgpr_workgroup_id_x 1
		.amdhsa_system_sgpr_workgroup_id_y 0
		.amdhsa_system_sgpr_workgroup_id_z 0
		.amdhsa_system_sgpr_workgroup_info 0
		.amdhsa_system_vgpr_workitem_id 1
		.amdhsa_next_free_vgpr 15
		.amdhsa_next_free_sgpr 16
		.amdhsa_reserve_vcc 1
		.amdhsa_float_round_mode_32 0
		.amdhsa_float_round_mode_16_64 0
		.amdhsa_float_denorm_mode_32 3
		.amdhsa_float_denorm_mode_16_64 3
		.amdhsa_dx10_clamp 1
		.amdhsa_ieee_mode 1
		.amdhsa_fp16_overflow 0
		.amdhsa_workgroup_processor_mode 1
		.amdhsa_memory_ordered 1
		.amdhsa_forward_progress 0
		.amdhsa_shared_vgpr_count 0
		.amdhsa_exception_fp_ieee_invalid_op 0
		.amdhsa_exception_fp_denorm_src 0
		.amdhsa_exception_fp_ieee_div_zero 0
		.amdhsa_exception_fp_ieee_overflow 0
		.amdhsa_exception_fp_ieee_underflow 0
		.amdhsa_exception_fp_ieee_inexact 0
		.amdhsa_exception_int_div_zero 0
	.end_amdhsa_kernel
	.section	.text._ZN12_GLOBAL__N_120softmax_warp_forwardIfffLi4ELb1ELb0ELi32EEEvPT0_PKT_iiiPKbib,"axG",@progbits,_ZN12_GLOBAL__N_120softmax_warp_forwardIfffLi4ELb1ELb0ELi32EEEvPT0_PKT_iiiPKbib,comdat
.Lfunc_end44:
	.size	_ZN12_GLOBAL__N_120softmax_warp_forwardIfffLi4ELb1ELb0ELi32EEEvPT0_PKT_iiiPKbib, .Lfunc_end44-_ZN12_GLOBAL__N_120softmax_warp_forwardIfffLi4ELb1ELb0ELi32EEEvPT0_PKT_iiiPKbib
                                        ; -- End function
	.section	.AMDGPU.csdata,"",@progbits
; Kernel info:
; codeLenInByte = 1324
; NumSgprs: 18
; NumVgprs: 15
; ScratchSize: 0
; MemoryBound: 0
; FloatMode: 240
; IeeeMode: 1
; LDSByteSize: 0 bytes/workgroup (compile time only)
; SGPRBlocks: 2
; VGPRBlocks: 1
; NumSGPRsForWavesPerEU: 18
; NumVGPRsForWavesPerEU: 15
; Occupancy: 16
; WaveLimiterHint : 0
; COMPUTE_PGM_RSRC2:SCRATCH_EN: 0
; COMPUTE_PGM_RSRC2:USER_SGPR: 15
; COMPUTE_PGM_RSRC2:TRAP_HANDLER: 0
; COMPUTE_PGM_RSRC2:TGID_X_EN: 1
; COMPUTE_PGM_RSRC2:TGID_Y_EN: 0
; COMPUTE_PGM_RSRC2:TGID_Z_EN: 0
; COMPUTE_PGM_RSRC2:TIDIG_COMP_CNT: 1
	.section	.text._ZN12_GLOBAL__N_120softmax_warp_forwardIfffLi5ELb1ELb0ELi64EEEvPT0_PKT_iiiPKbib,"axG",@progbits,_ZN12_GLOBAL__N_120softmax_warp_forwardIfffLi5ELb1ELb0ELi64EEEvPT0_PKT_iiiPKbib,comdat
	.globl	_ZN12_GLOBAL__N_120softmax_warp_forwardIfffLi5ELb1ELb0ELi64EEEvPT0_PKT_iiiPKbib ; -- Begin function _ZN12_GLOBAL__N_120softmax_warp_forwardIfffLi5ELb1ELb0ELi64EEEvPT0_PKT_iiiPKbib
	.p2align	8
	.type	_ZN12_GLOBAL__N_120softmax_warp_forwardIfffLi5ELb1ELb0ELi64EEEvPT0_PKT_iiiPKbib,@function
_ZN12_GLOBAL__N_120softmax_warp_forwardIfffLi5ELb1ELb0ELi64EEEvPT0_PKT_iiiPKbib: ; @_ZN12_GLOBAL__N_120softmax_warp_forwardIfffLi5ELb1ELb0ELi64EEEvPT0_PKT_iiiPKbib
; %bb.0:
	s_clause 0x1
	s_load_b32 s2, s[0:1], 0x3c
	s_load_b256 s[4:11], s[0:1], 0x0
	v_bfe_u32 v1, v0, 10, 10
	v_and_b32_e32 v2, 0x3ff, v0
	v_dual_mov_b32 v5, 0xff800000 :: v_dual_mov_b32 v6, 0xff800000
	s_waitcnt lgkmcnt(0)
	s_lshr_b32 s0, s2, 16
	s_delay_alu instid0(VALU_DEP_2) | instskip(SKIP_1) | instid1(SALU_CYCLE_1)
	v_cmp_gt_i32_e32 vcc_lo, s10, v2
	s_mul_i32 s15, s15, s0
	v_add_lshl_u32 v3, s15, v1, 1
	s_delay_alu instid0(VALU_DEP_1) | instskip(SKIP_1) | instid1(VALU_DEP_1)
	v_mad_u64_u32 v[0:1], null, v3, s9, v[2:3]
	v_sub_nc_u32_e32 v4, s8, v3
	v_cmp_lt_i32_e64 s0, 0, v4
	s_delay_alu instid0(VALU_DEP_3) | instskip(NEXT) | instid1(VALU_DEP_2)
	v_ashrrev_i32_e32 v1, 31, v0
	s_and_b32 s2, vcc_lo, s0
	s_delay_alu instid0(VALU_DEP_1) | instskip(NEXT) | instid1(VALU_DEP_1)
	v_lshlrev_b64 v[0:1], 2, v[0:1]
	v_add_co_u32 v2, s1, s6, v0
	s_delay_alu instid0(VALU_DEP_1)
	v_add_co_ci_u32_e64 v3, s1, s7, v1, s1
	s_and_saveexec_b32 s1, s2
	s_cbranch_execz .LBB45_2
; %bb.1:
	global_load_b32 v6, v[2:3], off
.LBB45_2:
	s_or_b32 exec_lo, exec_lo, s1
	v_cmp_lt_i32_e64 s1, 1, v4
	s_delay_alu instid0(VALU_DEP_1) | instskip(NEXT) | instid1(SALU_CYCLE_1)
	s_and_b32 s1, vcc_lo, s1
	s_and_saveexec_b32 s2, s1
	s_cbranch_execz .LBB45_4
; %bb.3:
	s_mov_b32 s11, 0
	s_delay_alu instid0(SALU_CYCLE_1) | instskip(NEXT) | instid1(SALU_CYCLE_1)
	s_lshl_b64 s[6:7], s[10:11], 2
	v_add_co_u32 v2, s1, v2, s6
	s_delay_alu instid0(VALU_DEP_1)
	v_add_co_ci_u32_e64 v3, s1, s7, v3, s1
	global_load_b32 v5, v[2:3], off
.LBB45_4:
	s_or_b32 exec_lo, exec_lo, s2
	v_mbcnt_lo_u32_b32 v2, -1, 0
	s_delay_alu instid0(VALU_DEP_1)
	v_xor_b32_e32 v3, 16, v2
	v_xor_b32_e32 v9, 8, v2
	;; [unrolled: 1-line block ×5, first 2 shown]
	v_cmp_gt_i32_e64 s1, 32, v3
	s_delay_alu instid0(VALU_DEP_1) | instskip(SKIP_1) | instid1(VALU_DEP_2)
	v_cndmask_b32_e64 v3, v2, v3, s1
	v_cmp_gt_i32_e64 s1, 32, v9
	v_lshlrev_b32_e32 v7, 2, v3
	s_delay_alu instid0(VALU_DEP_2)
	v_cndmask_b32_e64 v9, v2, v9, s1
	s_waitcnt vmcnt(0)
	ds_bpermute_b32 v3, v7, v6
	ds_bpermute_b32 v8, v7, v5
	v_lshlrev_b32_e32 v9, 2, v9
	s_waitcnt lgkmcnt(1)
	v_cmp_lt_f32_e64 s1, v6, v3
	s_delay_alu instid0(VALU_DEP_1)
	v_cndmask_b32_e64 v3, v6, v3, s1
	s_waitcnt lgkmcnt(0)
	v_cmp_lt_f32_e64 s1, v5, v8
	ds_bpermute_b32 v10, v9, v3
	v_cndmask_b32_e64 v8, v5, v8, s1
	v_cmp_gt_i32_e64 s1, 32, v12
	ds_bpermute_b32 v11, v9, v8
	v_cndmask_b32_e64 v12, v2, v12, s1
	s_delay_alu instid0(VALU_DEP_1) | instskip(SKIP_2) | instid1(VALU_DEP_1)
	v_lshlrev_b32_e32 v12, 2, v12
	s_waitcnt lgkmcnt(1)
	v_cmp_lt_f32_e64 s1, v3, v10
	v_cndmask_b32_e64 v3, v3, v10, s1
	s_waitcnt lgkmcnt(0)
	v_cmp_lt_f32_e64 s1, v8, v11
	ds_bpermute_b32 v10, v12, v3
	v_cndmask_b32_e64 v8, v8, v11, s1
	v_cmp_gt_i32_e64 s1, 32, v13
	ds_bpermute_b32 v11, v12, v8
	v_cndmask_b32_e64 v13, v2, v13, s1
	s_delay_alu instid0(VALU_DEP_1) | instskip(SKIP_2) | instid1(VALU_DEP_1)
	v_lshlrev_b32_e32 v13, 2, v13
	s_waitcnt lgkmcnt(1)
	v_cmp_lt_f32_e64 s1, v3, v10
	;; [unrolled: 12-line block ×3, first 2 shown]
	v_cndmask_b32_e64 v2, v3, v10, s1
	s_waitcnt lgkmcnt(0)
	v_cmp_lt_f32_e64 s1, v8, v11
	s_delay_alu instid0(VALU_DEP_1) | instskip(SKIP_4) | instid1(VALU_DEP_1)
	v_cndmask_b32_e64 v3, v8, v11, s1
	ds_bpermute_b32 v8, v14, v2
	ds_bpermute_b32 v10, v14, v3
	s_waitcnt lgkmcnt(1)
	v_cmp_lt_f32_e64 s1, v2, v8
	v_cndmask_b32_e64 v2, v2, v8, s1
	s_waitcnt lgkmcnt(0)
	v_cmp_lt_f32_e64 s1, v3, v10
	s_delay_alu instid0(VALU_DEP_1) | instskip(NEXT) | instid1(VALU_DEP_1)
	v_cndmask_b32_e64 v8, v3, v10, s1
	v_dual_sub_f32 v3, v6, v2 :: v_dual_sub_f32 v2, v5, v8
	s_delay_alu instid0(VALU_DEP_1) | instskip(SKIP_1) | instid1(VALU_DEP_3)
	v_mul_f32_e32 v5, 0x3fb8aa3b, v3
	v_cmp_ngt_f32_e64 s1, 0xc2ce8ed0, v3
	v_mul_f32_e32 v6, 0x3fb8aa3b, v2
	s_delay_alu instid0(VALU_DEP_3) | instskip(SKIP_1) | instid1(VALU_DEP_3)
	v_fma_f32 v8, 0x3fb8aa3b, v3, -v5
	v_rndne_f32_e32 v10, v5
	v_fma_f32 v11, 0x3fb8aa3b, v2, -v6
	v_rndne_f32_e32 v15, v6
	s_delay_alu instid0(VALU_DEP_3) | instskip(NEXT) | instid1(VALU_DEP_2)
	v_dual_fmac_f32 v8, 0x32a5705f, v3 :: v_dual_sub_f32 v5, v5, v10
	v_dual_fmac_f32 v11, 0x32a5705f, v2 :: v_dual_sub_f32 v6, v6, v15
	s_delay_alu instid0(VALU_DEP_2) | instskip(SKIP_2) | instid1(VALU_DEP_4)
	v_add_f32_e32 v5, v5, v8
	v_cvt_i32_f32_e32 v8, v10
	v_cvt_i32_f32_e32 v10, v15
	v_add_f32_e32 v6, v6, v11
	s_delay_alu instid0(VALU_DEP_4) | instskip(NEXT) | instid1(VALU_DEP_1)
	v_exp_f32_e32 v5, v5
	v_exp_f32_e32 v6, v6
	s_waitcnt_depctr 0xfff
	v_ldexp_f32 v5, v5, v8
	v_ldexp_f32 v6, v6, v10
	s_delay_alu instid0(VALU_DEP_2) | instskip(SKIP_1) | instid1(VALU_DEP_1)
	v_cndmask_b32_e64 v5, 0, v5, s1
	v_cmp_ngt_f32_e64 s1, 0xc2ce8ed0, v2
	v_cndmask_b32_e64 v6, 0, v6, s1
	v_cmp_nlt_f32_e64 s1, 0x42b17218, v3
	s_delay_alu instid0(VALU_DEP_1)
	v_cndmask_b32_e64 v5, 0x7f800000, v5, s1
	v_cmp_nlt_f32_e64 s1, 0x42b17218, v2
	ds_bpermute_b32 v8, v7, v5
	v_cndmask_b32_e64 v6, 0x7f800000, v6, s1
	ds_bpermute_b32 v7, v7, v6
	s_waitcnt lgkmcnt(0)
	v_dual_add_f32 v5, v5, v8 :: v_dual_add_f32 v6, v6, v7
	ds_bpermute_b32 v7, v9, v5
	ds_bpermute_b32 v8, v9, v6
	s_waitcnt lgkmcnt(0)
	v_dual_add_f32 v5, v5, v7 :: v_dual_add_f32 v6, v6, v8
	ds_bpermute_b32 v7, v12, v5
	;; [unrolled: 4-line block ×3, first 2 shown]
	ds_bpermute_b32 v8, v13, v6
	s_waitcnt lgkmcnt(1)
	v_add_f32_e32 v7, v5, v7
	s_waitcnt lgkmcnt(0)
	v_add_f32_e32 v5, v6, v8
	ds_bpermute_b32 v8, v14, v7
	ds_bpermute_b32 v6, v14, v5
	s_and_saveexec_b32 s1, s0
	s_cbranch_execz .LBB45_10
; %bb.5:
	v_add_co_u32 v0, s0, s4, v0
	s_delay_alu instid0(VALU_DEP_1)
	v_add_co_ci_u32_e64 v1, s0, s5, v1, s0
	s_and_saveexec_b32 s2, vcc_lo
	s_cbranch_execz .LBB45_7
; %bb.6:
	s_waitcnt lgkmcnt(1)
	v_add_f32_e32 v7, v7, v8
	s_delay_alu instid0(VALU_DEP_1) | instskip(NEXT) | instid1(VALU_DEP_1)
	v_cmp_gt_f32_e64 s0, 0x800000, v7
	v_cndmask_b32_e64 v8, 1.0, 0x4f800000, s0
	s_delay_alu instid0(VALU_DEP_1) | instskip(NEXT) | instid1(VALU_DEP_1)
	v_mul_f32_e32 v7, v7, v8
	v_log_f32_e32 v7, v7
	s_waitcnt_depctr 0xfff
	v_mul_f32_e32 v8, 0x3f317217, v7
	v_cmp_gt_f32_e64 s1, 0x7f800000, |v7|
	s_delay_alu instid0(VALU_DEP_2) | instskip(NEXT) | instid1(VALU_DEP_1)
	v_fma_f32 v9, 0x3f317217, v7, -v8
	v_fmamk_f32 v9, v7, 0x3377d1cf, v9
	s_delay_alu instid0(VALU_DEP_1) | instskip(NEXT) | instid1(VALU_DEP_1)
	v_add_f32_e32 v8, v8, v9
	v_cndmask_b32_e64 v7, v7, v8, s1
	v_cndmask_b32_e64 v8, 0, 0x41b17218, s0
	s_delay_alu instid0(VALU_DEP_1) | instskip(NEXT) | instid1(VALU_DEP_1)
	v_sub_f32_e32 v7, v7, v8
	v_sub_f32_e32 v3, v3, v7
	global_store_b32 v[0:1], v3, off
.LBB45_7:
	s_or_b32 exec_lo, exec_lo, s2
	v_cmp_ne_u32_e64 s0, 1, v4
	s_delay_alu instid0(VALU_DEP_1)
	s_and_b32 exec_lo, exec_lo, s0
	s_cbranch_execz .LBB45_10
; %bb.8:
	s_and_b32 exec_lo, exec_lo, vcc_lo
	s_cbranch_execz .LBB45_10
; %bb.9:
	s_waitcnt lgkmcnt(0)
	v_add_f32_e32 v3, v5, v6
	s_mov_b32 s11, 0
	s_delay_alu instid0(SALU_CYCLE_1) | instskip(NEXT) | instid1(VALU_DEP_1)
	s_lshl_b64 s[0:1], s[10:11], 2
	v_cmp_gt_f32_e32 vcc_lo, 0x800000, v3
	v_cndmask_b32_e64 v4, 1.0, 0x4f800000, vcc_lo
	s_delay_alu instid0(VALU_DEP_1) | instskip(NEXT) | instid1(VALU_DEP_1)
	v_mul_f32_e32 v3, v3, v4
	v_log_f32_e32 v3, v3
	s_waitcnt_depctr 0xfff
	v_mul_f32_e32 v4, 0x3f317217, v3
	s_delay_alu instid0(VALU_DEP_1) | instskip(NEXT) | instid1(VALU_DEP_1)
	v_fma_f32 v5, 0x3f317217, v3, -v4
	v_fmamk_f32 v5, v3, 0x3377d1cf, v5
	s_delay_alu instid0(VALU_DEP_1) | instskip(SKIP_2) | instid1(VALU_DEP_3)
	v_add_f32_e32 v4, v4, v5
	v_cndmask_b32_e64 v5, 0, 0x41b17218, vcc_lo
	v_cmp_gt_f32_e64 vcc_lo, 0x7f800000, |v3|
	v_cndmask_b32_e32 v3, v3, v4, vcc_lo
	v_add_co_u32 v0, vcc_lo, v0, s0
	v_add_co_ci_u32_e32 v1, vcc_lo, s1, v1, vcc_lo
	s_delay_alu instid0(VALU_DEP_3) | instskip(NEXT) | instid1(VALU_DEP_1)
	v_sub_f32_e32 v3, v3, v5
	v_sub_f32_e32 v2, v2, v3
	global_store_b32 v[0:1], v2, off
.LBB45_10:
	s_nop 0
	s_sendmsg sendmsg(MSG_DEALLOC_VGPRS)
	s_endpgm
	.section	.rodata,"a",@progbits
	.p2align	6, 0x0
	.amdhsa_kernel _ZN12_GLOBAL__N_120softmax_warp_forwardIfffLi5ELb1ELb0ELi64EEEvPT0_PKT_iiiPKbib
		.amdhsa_group_segment_fixed_size 0
		.amdhsa_private_segment_fixed_size 0
		.amdhsa_kernarg_size 304
		.amdhsa_user_sgpr_count 15
		.amdhsa_user_sgpr_dispatch_ptr 0
		.amdhsa_user_sgpr_queue_ptr 0
		.amdhsa_user_sgpr_kernarg_segment_ptr 1
		.amdhsa_user_sgpr_dispatch_id 0
		.amdhsa_user_sgpr_private_segment_size 0
		.amdhsa_wavefront_size32 1
		.amdhsa_uses_dynamic_stack 0
		.amdhsa_enable_private_segment 0
		.amdhsa_system_sgpr_workgroup_id_x 1
		.amdhsa_system_sgpr_workgroup_id_y 0
		.amdhsa_system_sgpr_workgroup_id_z 0
		.amdhsa_system_sgpr_workgroup_info 0
		.amdhsa_system_vgpr_workitem_id 1
		.amdhsa_next_free_vgpr 16
		.amdhsa_next_free_sgpr 16
		.amdhsa_reserve_vcc 1
		.amdhsa_float_round_mode_32 0
		.amdhsa_float_round_mode_16_64 0
		.amdhsa_float_denorm_mode_32 3
		.amdhsa_float_denorm_mode_16_64 3
		.amdhsa_dx10_clamp 1
		.amdhsa_ieee_mode 1
		.amdhsa_fp16_overflow 0
		.amdhsa_workgroup_processor_mode 1
		.amdhsa_memory_ordered 1
		.amdhsa_forward_progress 0
		.amdhsa_shared_vgpr_count 0
		.amdhsa_exception_fp_ieee_invalid_op 0
		.amdhsa_exception_fp_denorm_src 0
		.amdhsa_exception_fp_ieee_div_zero 0
		.amdhsa_exception_fp_ieee_overflow 0
		.amdhsa_exception_fp_ieee_underflow 0
		.amdhsa_exception_fp_ieee_inexact 0
		.amdhsa_exception_int_div_zero 0
	.end_amdhsa_kernel
	.section	.text._ZN12_GLOBAL__N_120softmax_warp_forwardIfffLi5ELb1ELb0ELi64EEEvPT0_PKT_iiiPKbib,"axG",@progbits,_ZN12_GLOBAL__N_120softmax_warp_forwardIfffLi5ELb1ELb0ELi64EEEvPT0_PKT_iiiPKbib,comdat
.Lfunc_end45:
	.size	_ZN12_GLOBAL__N_120softmax_warp_forwardIfffLi5ELb1ELb0ELi64EEEvPT0_PKT_iiiPKbib, .Lfunc_end45-_ZN12_GLOBAL__N_120softmax_warp_forwardIfffLi5ELb1ELb0ELi64EEEvPT0_PKT_iiiPKbib
                                        ; -- End function
	.section	.AMDGPU.csdata,"",@progbits
; Kernel info:
; codeLenInByte = 1432
; NumSgprs: 18
; NumVgprs: 16
; ScratchSize: 0
; MemoryBound: 0
; FloatMode: 240
; IeeeMode: 1
; LDSByteSize: 0 bytes/workgroup (compile time only)
; SGPRBlocks: 2
; VGPRBlocks: 1
; NumSGPRsForWavesPerEU: 18
; NumVGPRsForWavesPerEU: 16
; Occupancy: 16
; WaveLimiterHint : 0
; COMPUTE_PGM_RSRC2:SCRATCH_EN: 0
; COMPUTE_PGM_RSRC2:USER_SGPR: 15
; COMPUTE_PGM_RSRC2:TRAP_HANDLER: 0
; COMPUTE_PGM_RSRC2:TGID_X_EN: 1
; COMPUTE_PGM_RSRC2:TGID_Y_EN: 0
; COMPUTE_PGM_RSRC2:TGID_Z_EN: 0
; COMPUTE_PGM_RSRC2:TIDIG_COMP_CNT: 1
	.section	.text._ZN12_GLOBAL__N_120softmax_warp_forwardIfffLi5ELb1ELb0ELi32EEEvPT0_PKT_iiiPKbib,"axG",@progbits,_ZN12_GLOBAL__N_120softmax_warp_forwardIfffLi5ELb1ELb0ELi32EEEvPT0_PKT_iiiPKbib,comdat
	.globl	_ZN12_GLOBAL__N_120softmax_warp_forwardIfffLi5ELb1ELb0ELi32EEEvPT0_PKT_iiiPKbib ; -- Begin function _ZN12_GLOBAL__N_120softmax_warp_forwardIfffLi5ELb1ELb0ELi32EEEvPT0_PKT_iiiPKbib
	.p2align	8
	.type	_ZN12_GLOBAL__N_120softmax_warp_forwardIfffLi5ELb1ELb0ELi32EEEvPT0_PKT_iiiPKbib,@function
_ZN12_GLOBAL__N_120softmax_warp_forwardIfffLi5ELb1ELb0ELi32EEEvPT0_PKT_iiiPKbib: ; @_ZN12_GLOBAL__N_120softmax_warp_forwardIfffLi5ELb1ELb0ELi32EEEvPT0_PKT_iiiPKbib
; %bb.0:
	s_clause 0x1
	s_load_b32 s2, s[0:1], 0x3c
	s_load_b256 s[4:11], s[0:1], 0x0
	v_bfe_u32 v1, v0, 10, 10
	v_and_b32_e32 v2, 0x3ff, v0
	v_dual_mov_b32 v5, 0xff800000 :: v_dual_mov_b32 v6, 0xff800000
	s_waitcnt lgkmcnt(0)
	s_lshr_b32 s0, s2, 16
	s_delay_alu instid0(VALU_DEP_2) | instskip(SKIP_1) | instid1(SALU_CYCLE_1)
	v_cmp_gt_i32_e32 vcc_lo, s10, v2
	s_mul_i32 s15, s15, s0
	v_add_lshl_u32 v3, s15, v1, 1
	s_delay_alu instid0(VALU_DEP_1) | instskip(SKIP_1) | instid1(VALU_DEP_1)
	v_mad_u64_u32 v[0:1], null, v3, s9, v[2:3]
	v_sub_nc_u32_e32 v4, s8, v3
	v_cmp_lt_i32_e64 s0, 0, v4
	s_delay_alu instid0(VALU_DEP_3) | instskip(NEXT) | instid1(VALU_DEP_2)
	v_ashrrev_i32_e32 v1, 31, v0
	s_and_b32 s2, vcc_lo, s0
	s_delay_alu instid0(VALU_DEP_1) | instskip(NEXT) | instid1(VALU_DEP_1)
	v_lshlrev_b64 v[0:1], 2, v[0:1]
	v_add_co_u32 v2, s1, s6, v0
	s_delay_alu instid0(VALU_DEP_1)
	v_add_co_ci_u32_e64 v3, s1, s7, v1, s1
	s_and_saveexec_b32 s1, s2
	s_cbranch_execz .LBB46_2
; %bb.1:
	global_load_b32 v6, v[2:3], off
.LBB46_2:
	s_or_b32 exec_lo, exec_lo, s1
	v_cmp_lt_i32_e64 s1, 1, v4
	s_delay_alu instid0(VALU_DEP_1) | instskip(NEXT) | instid1(SALU_CYCLE_1)
	s_and_b32 s1, vcc_lo, s1
	s_and_saveexec_b32 s2, s1
	s_cbranch_execz .LBB46_4
; %bb.3:
	s_mov_b32 s11, 0
	s_delay_alu instid0(SALU_CYCLE_1) | instskip(NEXT) | instid1(SALU_CYCLE_1)
	s_lshl_b64 s[6:7], s[10:11], 2
	v_add_co_u32 v2, s1, v2, s6
	s_delay_alu instid0(VALU_DEP_1)
	v_add_co_ci_u32_e64 v3, s1, s7, v3, s1
	global_load_b32 v5, v[2:3], off
.LBB46_4:
	s_or_b32 exec_lo, exec_lo, s2
	v_mbcnt_lo_u32_b32 v2, -1, 0
	s_delay_alu instid0(VALU_DEP_1)
	v_xor_b32_e32 v3, 16, v2
	v_xor_b32_e32 v9, 8, v2
	;; [unrolled: 1-line block ×5, first 2 shown]
	v_cmp_gt_i32_e64 s1, 32, v3
	s_delay_alu instid0(VALU_DEP_1) | instskip(SKIP_1) | instid1(VALU_DEP_2)
	v_cndmask_b32_e64 v3, v2, v3, s1
	v_cmp_gt_i32_e64 s1, 32, v9
	v_lshlrev_b32_e32 v7, 2, v3
	s_delay_alu instid0(VALU_DEP_2)
	v_cndmask_b32_e64 v9, v2, v9, s1
	s_waitcnt vmcnt(0)
	ds_bpermute_b32 v3, v7, v6
	ds_bpermute_b32 v8, v7, v5
	v_lshlrev_b32_e32 v9, 2, v9
	s_waitcnt lgkmcnt(1)
	v_cmp_lt_f32_e64 s1, v6, v3
	s_delay_alu instid0(VALU_DEP_1)
	v_cndmask_b32_e64 v3, v6, v3, s1
	s_waitcnt lgkmcnt(0)
	v_cmp_lt_f32_e64 s1, v5, v8
	ds_bpermute_b32 v10, v9, v3
	v_cndmask_b32_e64 v8, v5, v8, s1
	v_cmp_gt_i32_e64 s1, 32, v12
	ds_bpermute_b32 v11, v9, v8
	v_cndmask_b32_e64 v12, v2, v12, s1
	s_delay_alu instid0(VALU_DEP_1) | instskip(SKIP_2) | instid1(VALU_DEP_1)
	v_lshlrev_b32_e32 v12, 2, v12
	s_waitcnt lgkmcnt(1)
	v_cmp_lt_f32_e64 s1, v3, v10
	v_cndmask_b32_e64 v3, v3, v10, s1
	s_waitcnt lgkmcnt(0)
	v_cmp_lt_f32_e64 s1, v8, v11
	ds_bpermute_b32 v10, v12, v3
	v_cndmask_b32_e64 v8, v8, v11, s1
	v_cmp_gt_i32_e64 s1, 32, v13
	ds_bpermute_b32 v11, v12, v8
	v_cndmask_b32_e64 v13, v2, v13, s1
	s_delay_alu instid0(VALU_DEP_1) | instskip(SKIP_2) | instid1(VALU_DEP_1)
	v_lshlrev_b32_e32 v13, 2, v13
	s_waitcnt lgkmcnt(1)
	v_cmp_lt_f32_e64 s1, v3, v10
	;; [unrolled: 12-line block ×3, first 2 shown]
	v_cndmask_b32_e64 v2, v3, v10, s1
	s_waitcnt lgkmcnt(0)
	v_cmp_lt_f32_e64 s1, v8, v11
	s_delay_alu instid0(VALU_DEP_1) | instskip(SKIP_4) | instid1(VALU_DEP_1)
	v_cndmask_b32_e64 v3, v8, v11, s1
	ds_bpermute_b32 v8, v14, v2
	ds_bpermute_b32 v10, v14, v3
	s_waitcnt lgkmcnt(1)
	v_cmp_lt_f32_e64 s1, v2, v8
	v_cndmask_b32_e64 v2, v2, v8, s1
	s_waitcnt lgkmcnt(0)
	v_cmp_lt_f32_e64 s1, v3, v10
	s_delay_alu instid0(VALU_DEP_1) | instskip(NEXT) | instid1(VALU_DEP_1)
	v_cndmask_b32_e64 v8, v3, v10, s1
	v_dual_sub_f32 v3, v6, v2 :: v_dual_sub_f32 v2, v5, v8
	s_delay_alu instid0(VALU_DEP_1) | instskip(SKIP_1) | instid1(VALU_DEP_3)
	v_mul_f32_e32 v5, 0x3fb8aa3b, v3
	v_cmp_ngt_f32_e64 s1, 0xc2ce8ed0, v3
	v_mul_f32_e32 v6, 0x3fb8aa3b, v2
	s_delay_alu instid0(VALU_DEP_3) | instskip(SKIP_1) | instid1(VALU_DEP_3)
	v_fma_f32 v8, 0x3fb8aa3b, v3, -v5
	v_rndne_f32_e32 v10, v5
	v_fma_f32 v11, 0x3fb8aa3b, v2, -v6
	v_rndne_f32_e32 v15, v6
	s_delay_alu instid0(VALU_DEP_3) | instskip(NEXT) | instid1(VALU_DEP_2)
	v_dual_fmac_f32 v8, 0x32a5705f, v3 :: v_dual_sub_f32 v5, v5, v10
	v_dual_fmac_f32 v11, 0x32a5705f, v2 :: v_dual_sub_f32 v6, v6, v15
	s_delay_alu instid0(VALU_DEP_2) | instskip(SKIP_2) | instid1(VALU_DEP_4)
	v_add_f32_e32 v5, v5, v8
	v_cvt_i32_f32_e32 v8, v10
	v_cvt_i32_f32_e32 v10, v15
	v_add_f32_e32 v6, v6, v11
	s_delay_alu instid0(VALU_DEP_4) | instskip(NEXT) | instid1(VALU_DEP_1)
	v_exp_f32_e32 v5, v5
	v_exp_f32_e32 v6, v6
	s_waitcnt_depctr 0xfff
	v_ldexp_f32 v5, v5, v8
	v_ldexp_f32 v6, v6, v10
	s_delay_alu instid0(VALU_DEP_2) | instskip(SKIP_1) | instid1(VALU_DEP_1)
	v_cndmask_b32_e64 v5, 0, v5, s1
	v_cmp_ngt_f32_e64 s1, 0xc2ce8ed0, v2
	v_cndmask_b32_e64 v6, 0, v6, s1
	v_cmp_nlt_f32_e64 s1, 0x42b17218, v3
	s_delay_alu instid0(VALU_DEP_1)
	v_cndmask_b32_e64 v5, 0x7f800000, v5, s1
	v_cmp_nlt_f32_e64 s1, 0x42b17218, v2
	ds_bpermute_b32 v8, v7, v5
	v_cndmask_b32_e64 v6, 0x7f800000, v6, s1
	ds_bpermute_b32 v7, v7, v6
	s_waitcnt lgkmcnt(0)
	v_dual_add_f32 v5, v5, v8 :: v_dual_add_f32 v6, v6, v7
	ds_bpermute_b32 v7, v9, v5
	ds_bpermute_b32 v8, v9, v6
	s_waitcnt lgkmcnt(0)
	v_dual_add_f32 v5, v5, v7 :: v_dual_add_f32 v6, v6, v8
	ds_bpermute_b32 v7, v12, v5
	;; [unrolled: 4-line block ×3, first 2 shown]
	ds_bpermute_b32 v8, v13, v6
	s_waitcnt lgkmcnt(1)
	v_add_f32_e32 v7, v5, v7
	s_waitcnt lgkmcnt(0)
	v_add_f32_e32 v5, v6, v8
	ds_bpermute_b32 v8, v14, v7
	ds_bpermute_b32 v6, v14, v5
	s_and_saveexec_b32 s1, s0
	s_cbranch_execz .LBB46_10
; %bb.5:
	v_add_co_u32 v0, s0, s4, v0
	s_delay_alu instid0(VALU_DEP_1)
	v_add_co_ci_u32_e64 v1, s0, s5, v1, s0
	s_and_saveexec_b32 s2, vcc_lo
	s_cbranch_execz .LBB46_7
; %bb.6:
	s_waitcnt lgkmcnt(1)
	v_add_f32_e32 v7, v7, v8
	s_delay_alu instid0(VALU_DEP_1) | instskip(NEXT) | instid1(VALU_DEP_1)
	v_cmp_gt_f32_e64 s0, 0x800000, v7
	v_cndmask_b32_e64 v8, 1.0, 0x4f800000, s0
	s_delay_alu instid0(VALU_DEP_1) | instskip(NEXT) | instid1(VALU_DEP_1)
	v_mul_f32_e32 v7, v7, v8
	v_log_f32_e32 v7, v7
	s_waitcnt_depctr 0xfff
	v_mul_f32_e32 v8, 0x3f317217, v7
	v_cmp_gt_f32_e64 s1, 0x7f800000, |v7|
	s_delay_alu instid0(VALU_DEP_2) | instskip(NEXT) | instid1(VALU_DEP_1)
	v_fma_f32 v9, 0x3f317217, v7, -v8
	v_fmamk_f32 v9, v7, 0x3377d1cf, v9
	s_delay_alu instid0(VALU_DEP_1) | instskip(NEXT) | instid1(VALU_DEP_1)
	v_add_f32_e32 v8, v8, v9
	v_cndmask_b32_e64 v7, v7, v8, s1
	v_cndmask_b32_e64 v8, 0, 0x41b17218, s0
	s_delay_alu instid0(VALU_DEP_1) | instskip(NEXT) | instid1(VALU_DEP_1)
	v_sub_f32_e32 v7, v7, v8
	v_sub_f32_e32 v3, v3, v7
	global_store_b32 v[0:1], v3, off
.LBB46_7:
	s_or_b32 exec_lo, exec_lo, s2
	v_cmp_ne_u32_e64 s0, 1, v4
	s_delay_alu instid0(VALU_DEP_1)
	s_and_b32 exec_lo, exec_lo, s0
	s_cbranch_execz .LBB46_10
; %bb.8:
	s_and_b32 exec_lo, exec_lo, vcc_lo
	s_cbranch_execz .LBB46_10
; %bb.9:
	s_waitcnt lgkmcnt(0)
	v_add_f32_e32 v3, v5, v6
	s_mov_b32 s11, 0
	s_delay_alu instid0(SALU_CYCLE_1) | instskip(NEXT) | instid1(VALU_DEP_1)
	s_lshl_b64 s[0:1], s[10:11], 2
	v_cmp_gt_f32_e32 vcc_lo, 0x800000, v3
	v_cndmask_b32_e64 v4, 1.0, 0x4f800000, vcc_lo
	s_delay_alu instid0(VALU_DEP_1) | instskip(NEXT) | instid1(VALU_DEP_1)
	v_mul_f32_e32 v3, v3, v4
	v_log_f32_e32 v3, v3
	s_waitcnt_depctr 0xfff
	v_mul_f32_e32 v4, 0x3f317217, v3
	s_delay_alu instid0(VALU_DEP_1) | instskip(NEXT) | instid1(VALU_DEP_1)
	v_fma_f32 v5, 0x3f317217, v3, -v4
	v_fmamk_f32 v5, v3, 0x3377d1cf, v5
	s_delay_alu instid0(VALU_DEP_1) | instskip(SKIP_2) | instid1(VALU_DEP_3)
	v_add_f32_e32 v4, v4, v5
	v_cndmask_b32_e64 v5, 0, 0x41b17218, vcc_lo
	v_cmp_gt_f32_e64 vcc_lo, 0x7f800000, |v3|
	v_cndmask_b32_e32 v3, v3, v4, vcc_lo
	v_add_co_u32 v0, vcc_lo, v0, s0
	v_add_co_ci_u32_e32 v1, vcc_lo, s1, v1, vcc_lo
	s_delay_alu instid0(VALU_DEP_3) | instskip(NEXT) | instid1(VALU_DEP_1)
	v_sub_f32_e32 v3, v3, v5
	v_sub_f32_e32 v2, v2, v3
	global_store_b32 v[0:1], v2, off
.LBB46_10:
	s_nop 0
	s_sendmsg sendmsg(MSG_DEALLOC_VGPRS)
	s_endpgm
	.section	.rodata,"a",@progbits
	.p2align	6, 0x0
	.amdhsa_kernel _ZN12_GLOBAL__N_120softmax_warp_forwardIfffLi5ELb1ELb0ELi32EEEvPT0_PKT_iiiPKbib
		.amdhsa_group_segment_fixed_size 0
		.amdhsa_private_segment_fixed_size 0
		.amdhsa_kernarg_size 304
		.amdhsa_user_sgpr_count 15
		.amdhsa_user_sgpr_dispatch_ptr 0
		.amdhsa_user_sgpr_queue_ptr 0
		.amdhsa_user_sgpr_kernarg_segment_ptr 1
		.amdhsa_user_sgpr_dispatch_id 0
		.amdhsa_user_sgpr_private_segment_size 0
		.amdhsa_wavefront_size32 1
		.amdhsa_uses_dynamic_stack 0
		.amdhsa_enable_private_segment 0
		.amdhsa_system_sgpr_workgroup_id_x 1
		.amdhsa_system_sgpr_workgroup_id_y 0
		.amdhsa_system_sgpr_workgroup_id_z 0
		.amdhsa_system_sgpr_workgroup_info 0
		.amdhsa_system_vgpr_workitem_id 1
		.amdhsa_next_free_vgpr 16
		.amdhsa_next_free_sgpr 16
		.amdhsa_reserve_vcc 1
		.amdhsa_float_round_mode_32 0
		.amdhsa_float_round_mode_16_64 0
		.amdhsa_float_denorm_mode_32 3
		.amdhsa_float_denorm_mode_16_64 3
		.amdhsa_dx10_clamp 1
		.amdhsa_ieee_mode 1
		.amdhsa_fp16_overflow 0
		.amdhsa_workgroup_processor_mode 1
		.amdhsa_memory_ordered 1
		.amdhsa_forward_progress 0
		.amdhsa_shared_vgpr_count 0
		.amdhsa_exception_fp_ieee_invalid_op 0
		.amdhsa_exception_fp_denorm_src 0
		.amdhsa_exception_fp_ieee_div_zero 0
		.amdhsa_exception_fp_ieee_overflow 0
		.amdhsa_exception_fp_ieee_underflow 0
		.amdhsa_exception_fp_ieee_inexact 0
		.amdhsa_exception_int_div_zero 0
	.end_amdhsa_kernel
	.section	.text._ZN12_GLOBAL__N_120softmax_warp_forwardIfffLi5ELb1ELb0ELi32EEEvPT0_PKT_iiiPKbib,"axG",@progbits,_ZN12_GLOBAL__N_120softmax_warp_forwardIfffLi5ELb1ELb0ELi32EEEvPT0_PKT_iiiPKbib,comdat
.Lfunc_end46:
	.size	_ZN12_GLOBAL__N_120softmax_warp_forwardIfffLi5ELb1ELb0ELi32EEEvPT0_PKT_iiiPKbib, .Lfunc_end46-_ZN12_GLOBAL__N_120softmax_warp_forwardIfffLi5ELb1ELb0ELi32EEEvPT0_PKT_iiiPKbib
                                        ; -- End function
	.section	.AMDGPU.csdata,"",@progbits
; Kernel info:
; codeLenInByte = 1432
; NumSgprs: 18
; NumVgprs: 16
; ScratchSize: 0
; MemoryBound: 0
; FloatMode: 240
; IeeeMode: 1
; LDSByteSize: 0 bytes/workgroup (compile time only)
; SGPRBlocks: 2
; VGPRBlocks: 1
; NumSGPRsForWavesPerEU: 18
; NumVGPRsForWavesPerEU: 16
; Occupancy: 16
; WaveLimiterHint : 0
; COMPUTE_PGM_RSRC2:SCRATCH_EN: 0
; COMPUTE_PGM_RSRC2:USER_SGPR: 15
; COMPUTE_PGM_RSRC2:TRAP_HANDLER: 0
; COMPUTE_PGM_RSRC2:TGID_X_EN: 1
; COMPUTE_PGM_RSRC2:TGID_Y_EN: 0
; COMPUTE_PGM_RSRC2:TGID_Z_EN: 0
; COMPUTE_PGM_RSRC2:TIDIG_COMP_CNT: 1
	.section	.text._ZN12_GLOBAL__N_120softmax_warp_forwardIfffLi6ELb1ELb0ELi64EEEvPT0_PKT_iiiPKbib,"axG",@progbits,_ZN12_GLOBAL__N_120softmax_warp_forwardIfffLi6ELb1ELb0ELi64EEEvPT0_PKT_iiiPKbib,comdat
	.globl	_ZN12_GLOBAL__N_120softmax_warp_forwardIfffLi6ELb1ELb0ELi64EEEvPT0_PKT_iiiPKbib ; -- Begin function _ZN12_GLOBAL__N_120softmax_warp_forwardIfffLi6ELb1ELb0ELi64EEEvPT0_PKT_iiiPKbib
	.p2align	8
	.type	_ZN12_GLOBAL__N_120softmax_warp_forwardIfffLi6ELb1ELb0ELi64EEEvPT0_PKT_iiiPKbib,@function
_ZN12_GLOBAL__N_120softmax_warp_forwardIfffLi6ELb1ELb0ELi64EEEvPT0_PKT_iiiPKbib: ; @_ZN12_GLOBAL__N_120softmax_warp_forwardIfffLi6ELb1ELb0ELi64EEEvPT0_PKT_iiiPKbib
; %bb.0:
	s_clause 0x1
	s_load_b32 s2, s[0:1], 0x3c
	s_load_b256 s[4:11], s[0:1], 0x0
	v_bfe_u32 v1, v0, 10, 10
	v_and_b32_e32 v2, 0x3ff, v0
	v_dual_mov_b32 v5, 0xff800000 :: v_dual_mov_b32 v6, 0xff800000
	s_waitcnt lgkmcnt(0)
	s_lshr_b32 s0, s2, 16
	s_delay_alu instid0(VALU_DEP_2) | instskip(SKIP_1) | instid1(SALU_CYCLE_1)
	v_cmp_gt_i32_e32 vcc_lo, s10, v2
	s_mul_i32 s15, s15, s0
	v_add_lshl_u32 v3, s15, v1, 1
	s_delay_alu instid0(VALU_DEP_1) | instskip(SKIP_1) | instid1(VALU_DEP_1)
	v_mad_u64_u32 v[0:1], null, v3, s9, v[2:3]
	v_sub_nc_u32_e32 v4, s8, v3
	v_cmp_lt_i32_e64 s0, 0, v4
	s_delay_alu instid0(VALU_DEP_3) | instskip(NEXT) | instid1(VALU_DEP_2)
	v_ashrrev_i32_e32 v1, 31, v0
	s_and_b32 s2, vcc_lo, s0
	s_delay_alu instid0(VALU_DEP_1) | instskip(NEXT) | instid1(VALU_DEP_1)
	v_lshlrev_b64 v[0:1], 2, v[0:1]
	v_add_co_u32 v2, s1, s6, v0
	s_delay_alu instid0(VALU_DEP_1)
	v_add_co_ci_u32_e64 v3, s1, s7, v1, s1
	s_and_saveexec_b32 s1, s2
	s_cbranch_execz .LBB47_2
; %bb.1:
	global_load_b32 v6, v[2:3], off
.LBB47_2:
	s_or_b32 exec_lo, exec_lo, s1
	v_cmp_lt_i32_e64 s1, 1, v4
	s_delay_alu instid0(VALU_DEP_1) | instskip(NEXT) | instid1(SALU_CYCLE_1)
	s_and_b32 s1, vcc_lo, s1
	s_and_saveexec_b32 s2, s1
	s_cbranch_execz .LBB47_4
; %bb.3:
	s_mov_b32 s11, 0
	s_delay_alu instid0(SALU_CYCLE_1) | instskip(NEXT) | instid1(SALU_CYCLE_1)
	s_lshl_b64 s[6:7], s[10:11], 2
	v_add_co_u32 v2, s1, v2, s6
	s_delay_alu instid0(VALU_DEP_1)
	v_add_co_ci_u32_e64 v3, s1, s7, v3, s1
	global_load_b32 v5, v[2:3], off
.LBB47_4:
	s_or_b32 exec_lo, exec_lo, s2
	v_mbcnt_lo_u32_b32 v2, -1, 0
	s_delay_alu instid0(VALU_DEP_1)
	v_or_b32_e32 v3, 32, v2
	v_xor_b32_e32 v9, 16, v2
	v_xor_b32_e32 v12, 8, v2
	;; [unrolled: 1-line block ×4, first 2 shown]
	v_cmp_gt_i32_e64 s1, 64, v3
	v_xor_b32_e32 v15, 1, v2
	s_delay_alu instid0(VALU_DEP_2) | instskip(SKIP_1) | instid1(VALU_DEP_2)
	v_cndmask_b32_e64 v3, v2, v3, s1
	v_cmp_gt_i32_e64 s1, 64, v9
	v_lshlrev_b32_e32 v7, 2, v3
	s_delay_alu instid0(VALU_DEP_2)
	v_cndmask_b32_e64 v9, v2, v9, s1
	s_waitcnt vmcnt(0)
	ds_bpermute_b32 v3, v7, v6
	ds_bpermute_b32 v8, v7, v5
	v_lshlrev_b32_e32 v9, 2, v9
	s_waitcnt lgkmcnt(1)
	v_cmp_lt_f32_e64 s1, v6, v3
	s_delay_alu instid0(VALU_DEP_1)
	v_cndmask_b32_e64 v3, v6, v3, s1
	s_waitcnt lgkmcnt(0)
	v_cmp_lt_f32_e64 s1, v5, v8
	ds_bpermute_b32 v10, v9, v3
	v_cndmask_b32_e64 v8, v5, v8, s1
	v_cmp_gt_i32_e64 s1, 64, v12
	ds_bpermute_b32 v11, v9, v8
	v_cndmask_b32_e64 v12, v2, v12, s1
	s_delay_alu instid0(VALU_DEP_1) | instskip(SKIP_2) | instid1(VALU_DEP_1)
	v_lshlrev_b32_e32 v12, 2, v12
	s_waitcnt lgkmcnt(1)
	v_cmp_lt_f32_e64 s1, v3, v10
	v_cndmask_b32_e64 v3, v3, v10, s1
	s_waitcnt lgkmcnt(0)
	v_cmp_lt_f32_e64 s1, v8, v11
	ds_bpermute_b32 v10, v12, v3
	v_cndmask_b32_e64 v8, v8, v11, s1
	v_cmp_gt_i32_e64 s1, 64, v13
	ds_bpermute_b32 v11, v12, v8
	v_cndmask_b32_e64 v13, v2, v13, s1
	s_delay_alu instid0(VALU_DEP_1) | instskip(SKIP_2) | instid1(VALU_DEP_1)
	v_lshlrev_b32_e32 v13, 2, v13
	s_waitcnt lgkmcnt(1)
	v_cmp_lt_f32_e64 s1, v3, v10
	;; [unrolled: 12-line block ×4, first 2 shown]
	v_cndmask_b32_e64 v2, v3, v10, s1
	s_waitcnt lgkmcnt(0)
	v_cmp_lt_f32_e64 s1, v8, v11
	s_delay_alu instid0(VALU_DEP_1) | instskip(SKIP_4) | instid1(VALU_DEP_1)
	v_cndmask_b32_e64 v3, v8, v11, s1
	ds_bpermute_b32 v8, v15, v2
	ds_bpermute_b32 v10, v15, v3
	s_waitcnt lgkmcnt(1)
	v_cmp_lt_f32_e64 s1, v2, v8
	v_cndmask_b32_e64 v2, v2, v8, s1
	s_waitcnt lgkmcnt(0)
	v_cmp_lt_f32_e64 s1, v3, v10
	s_delay_alu instid0(VALU_DEP_1) | instskip(NEXT) | instid1(VALU_DEP_1)
	v_cndmask_b32_e64 v8, v3, v10, s1
	v_dual_sub_f32 v3, v6, v2 :: v_dual_sub_f32 v2, v5, v8
	s_delay_alu instid0(VALU_DEP_1) | instskip(SKIP_1) | instid1(VALU_DEP_3)
	v_mul_f32_e32 v5, 0x3fb8aa3b, v3
	v_cmp_ngt_f32_e64 s1, 0xc2ce8ed0, v3
	v_mul_f32_e32 v6, 0x3fb8aa3b, v2
	s_delay_alu instid0(VALU_DEP_3) | instskip(SKIP_1) | instid1(VALU_DEP_3)
	v_fma_f32 v8, 0x3fb8aa3b, v3, -v5
	v_rndne_f32_e32 v10, v5
	v_fma_f32 v11, 0x3fb8aa3b, v2, -v6
	v_rndne_f32_e32 v16, v6
	s_delay_alu instid0(VALU_DEP_2) | instskip(NEXT) | instid1(VALU_DEP_2)
	v_dual_fmac_f32 v8, 0x32a5705f, v3 :: v_dual_fmac_f32 v11, 0x32a5705f, v2
	v_dual_sub_f32 v6, v6, v16 :: v_dual_sub_f32 v5, v5, v10
	s_delay_alu instid0(VALU_DEP_1) | instskip(SKIP_2) | instid1(VALU_DEP_3)
	v_dual_add_f32 v6, v6, v11 :: v_dual_add_f32 v5, v5, v8
	v_cvt_i32_f32_e32 v8, v10
	v_cvt_i32_f32_e32 v10, v16
	v_exp_f32_e32 v6, v6
	s_delay_alu instid0(VALU_DEP_3) | instskip(SKIP_3) | instid1(VALU_DEP_1)
	v_exp_f32_e32 v5, v5
	s_waitcnt_depctr 0xfff
	v_ldexp_f32 v6, v6, v10
	v_ldexp_f32 v5, v5, v8
	v_cndmask_b32_e64 v5, 0, v5, s1
	v_cmp_ngt_f32_e64 s1, 0xc2ce8ed0, v2
	s_delay_alu instid0(VALU_DEP_1) | instskip(SKIP_1) | instid1(VALU_DEP_1)
	v_cndmask_b32_e64 v6, 0, v6, s1
	v_cmp_nlt_f32_e64 s1, 0x42b17218, v3
	v_cndmask_b32_e64 v5, 0x7f800000, v5, s1
	v_cmp_nlt_f32_e64 s1, 0x42b17218, v2
	ds_bpermute_b32 v8, v7, v5
	v_cndmask_b32_e64 v6, 0x7f800000, v6, s1
	ds_bpermute_b32 v7, v7, v6
	s_waitcnt lgkmcnt(0)
	v_dual_add_f32 v5, v5, v8 :: v_dual_add_f32 v6, v6, v7
	ds_bpermute_b32 v7, v9, v5
	ds_bpermute_b32 v8, v9, v6
	s_waitcnt lgkmcnt(0)
	v_dual_add_f32 v5, v5, v7 :: v_dual_add_f32 v6, v6, v8
	ds_bpermute_b32 v7, v12, v5
	;; [unrolled: 4-line block ×4, first 2 shown]
	ds_bpermute_b32 v8, v14, v6
	s_waitcnt lgkmcnt(1)
	v_add_f32_e32 v7, v5, v7
	s_waitcnt lgkmcnt(0)
	v_add_f32_e32 v5, v6, v8
	ds_bpermute_b32 v8, v15, v7
	ds_bpermute_b32 v6, v15, v5
	s_and_saveexec_b32 s1, s0
	s_cbranch_execz .LBB47_10
; %bb.5:
	v_add_co_u32 v0, s0, s4, v0
	s_delay_alu instid0(VALU_DEP_1)
	v_add_co_ci_u32_e64 v1, s0, s5, v1, s0
	s_and_saveexec_b32 s2, vcc_lo
	s_cbranch_execz .LBB47_7
; %bb.6:
	s_waitcnt lgkmcnt(1)
	v_add_f32_e32 v7, v7, v8
	s_delay_alu instid0(VALU_DEP_1) | instskip(NEXT) | instid1(VALU_DEP_1)
	v_cmp_gt_f32_e64 s0, 0x800000, v7
	v_cndmask_b32_e64 v8, 1.0, 0x4f800000, s0
	s_delay_alu instid0(VALU_DEP_1) | instskip(NEXT) | instid1(VALU_DEP_1)
	v_mul_f32_e32 v7, v7, v8
	v_log_f32_e32 v7, v7
	s_waitcnt_depctr 0xfff
	v_mul_f32_e32 v8, 0x3f317217, v7
	v_cmp_gt_f32_e64 s1, 0x7f800000, |v7|
	s_delay_alu instid0(VALU_DEP_2) | instskip(NEXT) | instid1(VALU_DEP_1)
	v_fma_f32 v9, 0x3f317217, v7, -v8
	v_fmamk_f32 v9, v7, 0x3377d1cf, v9
	s_delay_alu instid0(VALU_DEP_1) | instskip(NEXT) | instid1(VALU_DEP_1)
	v_add_f32_e32 v8, v8, v9
	v_cndmask_b32_e64 v7, v7, v8, s1
	v_cndmask_b32_e64 v8, 0, 0x41b17218, s0
	s_delay_alu instid0(VALU_DEP_1) | instskip(NEXT) | instid1(VALU_DEP_1)
	v_sub_f32_e32 v7, v7, v8
	v_sub_f32_e32 v3, v3, v7
	global_store_b32 v[0:1], v3, off
.LBB47_7:
	s_or_b32 exec_lo, exec_lo, s2
	v_cmp_ne_u32_e64 s0, 1, v4
	s_delay_alu instid0(VALU_DEP_1)
	s_and_b32 exec_lo, exec_lo, s0
	s_cbranch_execz .LBB47_10
; %bb.8:
	s_and_b32 exec_lo, exec_lo, vcc_lo
	s_cbranch_execz .LBB47_10
; %bb.9:
	s_waitcnt lgkmcnt(0)
	v_add_f32_e32 v3, v5, v6
	s_mov_b32 s11, 0
	s_delay_alu instid0(SALU_CYCLE_1) | instskip(NEXT) | instid1(VALU_DEP_1)
	s_lshl_b64 s[0:1], s[10:11], 2
	v_cmp_gt_f32_e32 vcc_lo, 0x800000, v3
	v_cndmask_b32_e64 v4, 1.0, 0x4f800000, vcc_lo
	s_delay_alu instid0(VALU_DEP_1) | instskip(NEXT) | instid1(VALU_DEP_1)
	v_mul_f32_e32 v3, v3, v4
	v_log_f32_e32 v3, v3
	s_waitcnt_depctr 0xfff
	v_mul_f32_e32 v4, 0x3f317217, v3
	s_delay_alu instid0(VALU_DEP_1) | instskip(NEXT) | instid1(VALU_DEP_1)
	v_fma_f32 v5, 0x3f317217, v3, -v4
	v_fmamk_f32 v5, v3, 0x3377d1cf, v5
	s_delay_alu instid0(VALU_DEP_1) | instskip(SKIP_2) | instid1(VALU_DEP_3)
	v_add_f32_e32 v4, v4, v5
	v_cndmask_b32_e64 v5, 0, 0x41b17218, vcc_lo
	v_cmp_gt_f32_e64 vcc_lo, 0x7f800000, |v3|
	v_cndmask_b32_e32 v3, v3, v4, vcc_lo
	v_add_co_u32 v0, vcc_lo, v0, s0
	v_add_co_ci_u32_e32 v1, vcc_lo, s1, v1, vcc_lo
	s_delay_alu instid0(VALU_DEP_3) | instskip(NEXT) | instid1(VALU_DEP_1)
	v_sub_f32_e32 v3, v3, v5
	v_sub_f32_e32 v2, v2, v3
	global_store_b32 v[0:1], v2, off
.LBB47_10:
	s_nop 0
	s_sendmsg sendmsg(MSG_DEALLOC_VGPRS)
	s_endpgm
	.section	.rodata,"a",@progbits
	.p2align	6, 0x0
	.amdhsa_kernel _ZN12_GLOBAL__N_120softmax_warp_forwardIfffLi6ELb1ELb0ELi64EEEvPT0_PKT_iiiPKbib
		.amdhsa_group_segment_fixed_size 0
		.amdhsa_private_segment_fixed_size 0
		.amdhsa_kernarg_size 304
		.amdhsa_user_sgpr_count 15
		.amdhsa_user_sgpr_dispatch_ptr 0
		.amdhsa_user_sgpr_queue_ptr 0
		.amdhsa_user_sgpr_kernarg_segment_ptr 1
		.amdhsa_user_sgpr_dispatch_id 0
		.amdhsa_user_sgpr_private_segment_size 0
		.amdhsa_wavefront_size32 1
		.amdhsa_uses_dynamic_stack 0
		.amdhsa_enable_private_segment 0
		.amdhsa_system_sgpr_workgroup_id_x 1
		.amdhsa_system_sgpr_workgroup_id_y 0
		.amdhsa_system_sgpr_workgroup_id_z 0
		.amdhsa_system_sgpr_workgroup_info 0
		.amdhsa_system_vgpr_workitem_id 1
		.amdhsa_next_free_vgpr 17
		.amdhsa_next_free_sgpr 16
		.amdhsa_reserve_vcc 1
		.amdhsa_float_round_mode_32 0
		.amdhsa_float_round_mode_16_64 0
		.amdhsa_float_denorm_mode_32 3
		.amdhsa_float_denorm_mode_16_64 3
		.amdhsa_dx10_clamp 1
		.amdhsa_ieee_mode 1
		.amdhsa_fp16_overflow 0
		.amdhsa_workgroup_processor_mode 1
		.amdhsa_memory_ordered 1
		.amdhsa_forward_progress 0
		.amdhsa_shared_vgpr_count 0
		.amdhsa_exception_fp_ieee_invalid_op 0
		.amdhsa_exception_fp_denorm_src 0
		.amdhsa_exception_fp_ieee_div_zero 0
		.amdhsa_exception_fp_ieee_overflow 0
		.amdhsa_exception_fp_ieee_underflow 0
		.amdhsa_exception_fp_ieee_inexact 0
		.amdhsa_exception_int_div_zero 0
	.end_amdhsa_kernel
	.section	.text._ZN12_GLOBAL__N_120softmax_warp_forwardIfffLi6ELb1ELb0ELi64EEEvPT0_PKT_iiiPKbib,"axG",@progbits,_ZN12_GLOBAL__N_120softmax_warp_forwardIfffLi6ELb1ELb0ELi64EEEvPT0_PKT_iiiPKbib,comdat
.Lfunc_end47:
	.size	_ZN12_GLOBAL__N_120softmax_warp_forwardIfffLi6ELb1ELb0ELi64EEEvPT0_PKT_iiiPKbib, .Lfunc_end47-_ZN12_GLOBAL__N_120softmax_warp_forwardIfffLi6ELb1ELb0ELi64EEEvPT0_PKT_iiiPKbib
                                        ; -- End function
	.section	.AMDGPU.csdata,"",@progbits
; Kernel info:
; codeLenInByte = 1536
; NumSgprs: 18
; NumVgprs: 17
; ScratchSize: 0
; MemoryBound: 0
; FloatMode: 240
; IeeeMode: 1
; LDSByteSize: 0 bytes/workgroup (compile time only)
; SGPRBlocks: 2
; VGPRBlocks: 2
; NumSGPRsForWavesPerEU: 18
; NumVGPRsForWavesPerEU: 17
; Occupancy: 16
; WaveLimiterHint : 0
; COMPUTE_PGM_RSRC2:SCRATCH_EN: 0
; COMPUTE_PGM_RSRC2:USER_SGPR: 15
; COMPUTE_PGM_RSRC2:TRAP_HANDLER: 0
; COMPUTE_PGM_RSRC2:TGID_X_EN: 1
; COMPUTE_PGM_RSRC2:TGID_Y_EN: 0
; COMPUTE_PGM_RSRC2:TGID_Z_EN: 0
; COMPUTE_PGM_RSRC2:TIDIG_COMP_CNT: 1
	.section	.text._ZN12_GLOBAL__N_120softmax_warp_forwardIfffLi6ELb1ELb0ELi32EEEvPT0_PKT_iiiPKbib,"axG",@progbits,_ZN12_GLOBAL__N_120softmax_warp_forwardIfffLi6ELb1ELb0ELi32EEEvPT0_PKT_iiiPKbib,comdat
	.globl	_ZN12_GLOBAL__N_120softmax_warp_forwardIfffLi6ELb1ELb0ELi32EEEvPT0_PKT_iiiPKbib ; -- Begin function _ZN12_GLOBAL__N_120softmax_warp_forwardIfffLi6ELb1ELb0ELi32EEEvPT0_PKT_iiiPKbib
	.p2align	8
	.type	_ZN12_GLOBAL__N_120softmax_warp_forwardIfffLi6ELb1ELb0ELi32EEEvPT0_PKT_iiiPKbib,@function
_ZN12_GLOBAL__N_120softmax_warp_forwardIfffLi6ELb1ELb0ELi32EEEvPT0_PKT_iiiPKbib: ; @_ZN12_GLOBAL__N_120softmax_warp_forwardIfffLi6ELb1ELb0ELi32EEEvPT0_PKT_iiiPKbib
; %bb.0:
	s_clause 0x1
	s_load_b32 s2, s[0:1], 0x3c
	s_load_b256 s[4:11], s[0:1], 0x0
	v_bfe_u32 v1, v0, 10, 10
	v_and_b32_e32 v4, 0x3ff, v0
	v_dual_mov_b32 v6, 0xff800000 :: v_dual_mov_b32 v7, 0xff800000
	s_waitcnt lgkmcnt(0)
	s_lshr_b32 s0, s2, 16
	s_delay_alu instid0(SALU_CYCLE_1) | instskip(SKIP_2) | instid1(VALU_DEP_1)
	s_mul_i32 s15, s15, s0
	v_cmp_gt_i32_e64 s0, s10, v4
	v_add_lshl_u32 v2, s15, v1, 1
	v_mad_u64_u32 v[0:1], null, v2, s9, v[4:5]
	v_sub_nc_u32_e32 v5, s8, v2
	s_delay_alu instid0(VALU_DEP_1) | instskip(NEXT) | instid1(VALU_DEP_3)
	v_cmp_lt_i32_e64 s1, 0, v5
	v_ashrrev_i32_e32 v1, 31, v0
	s_delay_alu instid0(VALU_DEP_2) | instskip(NEXT) | instid1(VALU_DEP_1)
	s_and_b32 s3, s1, s0
	v_lshlrev_b64 v[0:1], 2, v[0:1]
	s_delay_alu instid0(VALU_DEP_1) | instskip(NEXT) | instid1(VALU_DEP_2)
	v_add_co_u32 v2, vcc_lo, s6, v0
	v_add_co_ci_u32_e32 v3, vcc_lo, s7, v1, vcc_lo
	s_and_saveexec_b32 s2, s3
	s_cbranch_execz .LBB48_2
; %bb.1:
	global_load_b32 v7, v[2:3], off
.LBB48_2:
	s_or_b32 exec_lo, exec_lo, s2
	v_add_nc_u32_e32 v4, 32, v4
	s_delay_alu instid0(VALU_DEP_1) | instskip(SKIP_1) | instid1(SALU_CYCLE_1)
	v_cmp_gt_i32_e32 vcc_lo, s10, v4
	s_and_b32 s3, s1, vcc_lo
	s_and_saveexec_b32 s2, s3
	s_cbranch_execz .LBB48_4
; %bb.3:
	global_load_b32 v6, v[2:3], off offset:128
.LBB48_4:
	s_or_b32 exec_lo, exec_lo, s2
	v_cmp_lt_i32_e64 s2, 1, v5
	v_mov_b32_e32 v4, 0xff800000
	v_mov_b32_e32 v8, 0xff800000
	s_delay_alu instid0(VALU_DEP_3) | instskip(NEXT) | instid1(SALU_CYCLE_1)
	s_and_b32 s3, s2, s0
	s_and_saveexec_b32 s6, s3
	s_cbranch_execz .LBB48_6
; %bb.5:
	s_mov_b32 s11, 0
	s_delay_alu instid0(SALU_CYCLE_1) | instskip(NEXT) | instid1(SALU_CYCLE_1)
	s_lshl_b64 s[8:9], s[10:11], 2
	v_add_co_u32 v8, s3, v2, s8
	s_delay_alu instid0(VALU_DEP_1)
	v_add_co_ci_u32_e64 v9, s3, s9, v3, s3
	global_load_b32 v8, v[8:9], off
.LBB48_6:
	s_or_b32 exec_lo, exec_lo, s6
	s_and_b32 s2, s2, vcc_lo
	s_delay_alu instid0(SALU_CYCLE_1)
	s_and_saveexec_b32 s3, s2
	s_cbranch_execz .LBB48_8
; %bb.7:
	s_mov_b32 s11, 0
	s_delay_alu instid0(SALU_CYCLE_1) | instskip(NEXT) | instid1(SALU_CYCLE_1)
	s_lshl_b64 s[6:7], s[10:11], 2
	v_add_co_u32 v2, s2, v2, s6
	s_delay_alu instid0(VALU_DEP_1)
	v_add_co_ci_u32_e64 v3, s2, s7, v3, s2
	global_load_b32 v4, v[2:3], off offset:128
.LBB48_8:
	s_or_b32 exec_lo, exec_lo, s3
	v_mbcnt_lo_u32_b32 v2, -1, 0
	s_delay_alu instid0(VALU_DEP_1)
	v_xor_b32_e32 v3, 16, v2
	v_xor_b32_e32 v13, 8, v2
	;; [unrolled: 1-line block ×5, first 2 shown]
	v_cmp_gt_i32_e64 s2, 32, v3
	s_delay_alu instid0(VALU_DEP_1) | instskip(SKIP_2) | instid1(VALU_DEP_2)
	v_cndmask_b32_e64 v3, v2, v3, s2
	s_waitcnt vmcnt(0)
	v_cmp_gt_f32_e64 s2, v7, v6
	v_lshlrev_b32_e32 v10, 2, v3
	s_delay_alu instid0(VALU_DEP_2)
	v_cndmask_b32_e64 v9, v6, v7, s2
	v_cmp_gt_f32_e64 s2, v8, v4
	ds_bpermute_b32 v11, v10, v9
	v_cndmask_b32_e64 v3, v4, v8, s2
	v_cmp_gt_i32_e64 s2, 32, v13
	ds_bpermute_b32 v12, v10, v3
	v_cndmask_b32_e64 v13, v2, v13, s2
	s_delay_alu instid0(VALU_DEP_1) | instskip(SKIP_2) | instid1(VALU_DEP_1)
	v_lshlrev_b32_e32 v13, 2, v13
	s_waitcnt lgkmcnt(1)
	v_cmp_lt_f32_e64 s2, v9, v11
	v_cndmask_b32_e64 v9, v9, v11, s2
	s_waitcnt lgkmcnt(0)
	v_cmp_lt_f32_e64 s2, v3, v12
	ds_bpermute_b32 v11, v13, v9
	v_cndmask_b32_e64 v3, v3, v12, s2
	v_cmp_gt_i32_e64 s2, 32, v14
	ds_bpermute_b32 v12, v13, v3
	v_cndmask_b32_e64 v14, v2, v14, s2
	s_delay_alu instid0(VALU_DEP_1) | instskip(SKIP_2) | instid1(VALU_DEP_1)
	v_lshlrev_b32_e32 v14, 2, v14
	s_waitcnt lgkmcnt(1)
	v_cmp_lt_f32_e64 s2, v9, v11
	v_cndmask_b32_e64 v9, v9, v11, s2
	s_waitcnt lgkmcnt(0)
	v_cmp_lt_f32_e64 s2, v3, v12
	ds_bpermute_b32 v11, v14, v9
	v_cndmask_b32_e64 v3, v3, v12, s2
	v_cmp_gt_i32_e64 s2, 32, v15
	ds_bpermute_b32 v12, v14, v3
	v_cndmask_b32_e64 v15, v2, v15, s2
	s_delay_alu instid0(VALU_DEP_1) | instskip(SKIP_2) | instid1(VALU_DEP_1)
	v_lshlrev_b32_e32 v15, 2, v15
	s_waitcnt lgkmcnt(1)
	v_cmp_lt_f32_e64 s2, v9, v11
	v_cndmask_b32_e64 v9, v9, v11, s2
	s_waitcnt lgkmcnt(0)
	v_cmp_lt_f32_e64 s2, v3, v12
	ds_bpermute_b32 v11, v15, v9
	v_cndmask_b32_e64 v3, v3, v12, s2
	v_cmp_gt_i32_e64 s2, 32, v16
	ds_bpermute_b32 v12, v15, v3
	v_cndmask_b32_e64 v2, v2, v16, s2
	s_delay_alu instid0(VALU_DEP_1) | instskip(SKIP_2) | instid1(VALU_DEP_1)
	v_lshlrev_b32_e32 v16, 2, v2
	s_waitcnt lgkmcnt(1)
	v_cmp_lt_f32_e64 s2, v9, v11
	v_cndmask_b32_e64 v2, v9, v11, s2
	s_waitcnt lgkmcnt(0)
	v_cmp_lt_f32_e64 s2, v3, v12
	ds_bpermute_b32 v9, v16, v2
	v_cndmask_b32_e64 v3, v3, v12, s2
	ds_bpermute_b32 v11, v16, v3
	s_waitcnt lgkmcnt(1)
	v_cmp_lt_f32_e64 s2, v2, v9
	s_delay_alu instid0(VALU_DEP_1) | instskip(SKIP_2) | instid1(VALU_DEP_2)
	v_cndmask_b32_e64 v2, v2, v9, s2
	s_waitcnt lgkmcnt(0)
	v_cmp_lt_f32_e64 s2, v3, v11
	v_sub_f32_e32 v7, v7, v2
	s_delay_alu instid0(VALU_DEP_2) | instskip(SKIP_1) | instid1(VALU_DEP_3)
	v_cndmask_b32_e64 v3, v3, v11, s2
	v_sub_f32_e32 v6, v6, v2
	v_cmp_ngt_f32_e64 s2, 0xc2ce8ed0, v7
	s_delay_alu instid0(VALU_DEP_3) | instskip(SKIP_3) | instid1(VALU_DEP_4)
	v_sub_f32_e32 v2, v8, v3
	v_sub_f32_e32 v3, v4, v3
	v_mul_f32_e32 v4, 0x3fb8aa3b, v7
	v_mul_f32_e32 v8, 0x3fb8aa3b, v6
	;; [unrolled: 1-line block ×3, first 2 shown]
	s_delay_alu instid0(VALU_DEP_4) | instskip(NEXT) | instid1(VALU_DEP_4)
	v_mul_f32_e32 v11, 0x3fb8aa3b, v3
	v_fma_f32 v12, 0x3fb8aa3b, v7, -v4
	v_rndne_f32_e32 v17, v4
	v_fma_f32 v18, 0x3fb8aa3b, v6, -v8
	v_fma_f32 v20, 0x3fb8aa3b, v2, -v9
	v_rndne_f32_e32 v21, v9
	v_rndne_f32_e32 v19, v8
	v_fma_f32 v22, 0x3fb8aa3b, v3, -v11
	v_rndne_f32_e32 v23, v11
	v_sub_f32_e32 v4, v4, v17
	v_dual_sub_f32 v9, v9, v21 :: v_dual_fmac_f32 v20, 0x32a5705f, v2
	v_fmac_f32_e32 v12, 0x32a5705f, v7
	v_fmac_f32_e32 v18, 0x32a5705f, v6
	;; [unrolled: 1-line block ×3, first 2 shown]
	v_sub_f32_e32 v11, v11, v23
	v_dual_sub_f32 v8, v8, v19 :: v_dual_add_f32 v9, v9, v20
	v_add_f32_e32 v4, v4, v12
	v_cvt_i32_f32_e32 v12, v17
	s_delay_alu instid0(VALU_DEP_4) | instskip(NEXT) | instid1(VALU_DEP_4)
	v_add_f32_e32 v11, v11, v22
	v_add_f32_e32 v8, v8, v18
	v_exp_f32_e32 v9, v9
	v_exp_f32_e32 v4, v4
	v_cvt_i32_f32_e32 v17, v19
	v_exp_f32_e32 v11, v11
	v_exp_f32_e32 v8, v8
	v_cvt_i32_f32_e32 v18, v21
	v_cvt_i32_f32_e32 v19, v23
	s_delay_alu instid0(VALU_DEP_2) | instskip(NEXT) | instid1(TRANS32_DEP_3)
	v_ldexp_f32 v9, v9, v18
	v_ldexp_f32 v4, v4, v12
	s_waitcnt_depctr 0xfff
	v_ldexp_f32 v11, v11, v19
	v_ldexp_f32 v8, v8, v17
	v_cndmask_b32_e64 v4, 0, v4, s2
	v_cmp_ngt_f32_e64 s2, 0xc2ce8ed0, v6
	s_delay_alu instid0(VALU_DEP_1) | instskip(SKIP_1) | instid1(VALU_DEP_1)
	v_cndmask_b32_e64 v8, 0, v8, s2
	v_cmp_ngt_f32_e64 s2, 0xc2ce8ed0, v2
	v_cndmask_b32_e64 v9, 0, v9, s2
	v_cmp_ngt_f32_e64 s2, 0xc2ce8ed0, v3
	s_delay_alu instid0(VALU_DEP_1) | instskip(SKIP_1) | instid1(VALU_DEP_1)
	v_cndmask_b32_e64 v11, 0, v11, s2
	v_cmp_nlt_f32_e64 s2, 0x42b17218, v7
	v_cndmask_b32_e64 v4, 0x7f800000, v4, s2
	v_cmp_nlt_f32_e64 s2, 0x42b17218, v6
	s_delay_alu instid0(VALU_DEP_1) | instskip(SKIP_1) | instid1(VALU_DEP_2)
	v_cndmask_b32_e64 v8, 0x7f800000, v8, s2
	v_cmp_nlt_f32_e64 s2, 0x42b17218, v2
	v_add_f32_e32 v4, v4, v8
	s_delay_alu instid0(VALU_DEP_2) | instskip(SKIP_1) | instid1(VALU_DEP_1)
	v_cndmask_b32_e64 v9, 0x7f800000, v9, s2
	v_cmp_nlt_f32_e64 s2, 0x42b17218, v3
	v_cndmask_b32_e64 v11, 0x7f800000, v11, s2
	s_delay_alu instid0(VALU_DEP_1)
	v_add_f32_e32 v8, v9, v11
	ds_bpermute_b32 v9, v10, v4
	ds_bpermute_b32 v10, v10, v8
	s_waitcnt lgkmcnt(1)
	v_add_f32_e32 v4, v4, v9
	s_waitcnt lgkmcnt(0)
	v_add_f32_e32 v8, v8, v10
	ds_bpermute_b32 v9, v13, v4
	ds_bpermute_b32 v10, v13, v8
	s_waitcnt lgkmcnt(1)
	v_add_f32_e32 v4, v4, v9
	s_waitcnt lgkmcnt(0)
	;; [unrolled: 6-line block ×4, first 2 shown]
	v_add_f32_e32 v4, v8, v10
	ds_bpermute_b32 v10, v16, v9
	ds_bpermute_b32 v8, v16, v4
	s_and_saveexec_b32 s2, s1
	s_cbranch_execz .LBB48_16
; %bb.9:
	v_add_co_u32 v0, s1, s4, v0
	s_delay_alu instid0(VALU_DEP_1)
	v_add_co_ci_u32_e64 v1, s1, s5, v1, s1
	s_and_saveexec_b32 s3, s0
	s_cbranch_execz .LBB48_12
; %bb.10:
	s_waitcnt lgkmcnt(1)
	v_add_f32_e32 v9, v9, v10
	s_delay_alu instid0(VALU_DEP_1) | instskip(NEXT) | instid1(VALU_DEP_1)
	v_cmp_gt_f32_e64 s1, 0x800000, v9
	v_cndmask_b32_e64 v10, 1.0, 0x4f800000, s1
	s_delay_alu instid0(VALU_DEP_1) | instskip(NEXT) | instid1(VALU_DEP_1)
	v_mul_f32_e32 v9, v9, v10
	v_log_f32_e32 v9, v9
	s_waitcnt_depctr 0xfff
	v_mul_f32_e32 v10, 0x3f317217, v9
	v_cmp_gt_f32_e64 s2, 0x7f800000, |v9|
	s_delay_alu instid0(VALU_DEP_2) | instskip(NEXT) | instid1(VALU_DEP_1)
	v_fma_f32 v11, 0x3f317217, v9, -v10
	v_fmamk_f32 v11, v9, 0x3377d1cf, v11
	s_delay_alu instid0(VALU_DEP_1) | instskip(NEXT) | instid1(VALU_DEP_1)
	v_add_f32_e32 v10, v10, v11
	v_cndmask_b32_e64 v9, v9, v10, s2
	v_cndmask_b32_e64 v10, 0, 0x41b17218, s1
	s_delay_alu instid0(VALU_DEP_1) | instskip(NEXT) | instid1(VALU_DEP_1)
	v_sub_f32_e32 v9, v9, v10
	v_sub_f32_e32 v7, v7, v9
	global_store_b32 v[0:1], v7, off
	s_and_b32 exec_lo, exec_lo, vcc_lo
	s_cbranch_execz .LBB48_12
; %bb.11:
	v_sub_f32_e32 v6, v6, v9
	global_store_b32 v[0:1], v6, off offset:128
.LBB48_12:
	s_or_b32 exec_lo, exec_lo, s3
	v_cmp_ne_u32_e64 s1, 1, v5
	s_delay_alu instid0(VALU_DEP_1)
	s_and_b32 exec_lo, exec_lo, s1
	s_cbranch_execz .LBB48_16
; %bb.13:
	s_and_b32 exec_lo, exec_lo, s0
	s_cbranch_execz .LBB48_16
; %bb.14:
	s_waitcnt lgkmcnt(0)
	v_add_f32_e32 v4, v4, v8
	s_mov_b32 s11, 0
	s_delay_alu instid0(VALU_DEP_1) | instskip(NEXT) | instid1(VALU_DEP_1)
	v_cmp_gt_f32_e64 s0, 0x800000, v4
	v_cndmask_b32_e64 v5, 1.0, 0x4f800000, s0
	s_delay_alu instid0(VALU_DEP_1) | instskip(NEXT) | instid1(VALU_DEP_1)
	v_mul_f32_e32 v4, v4, v5
	v_log_f32_e32 v4, v4
	s_waitcnt_depctr 0xfff
	v_mul_f32_e32 v5, 0x3f317217, v4
	s_delay_alu instid0(VALU_DEP_1) | instskip(NEXT) | instid1(VALU_DEP_1)
	v_fma_f32 v6, 0x3f317217, v4, -v5
	v_fmamk_f32 v6, v4, 0x3377d1cf, v6
	s_delay_alu instid0(VALU_DEP_1) | instskip(SKIP_2) | instid1(VALU_DEP_1)
	v_add_f32_e32 v5, v5, v6
	v_cndmask_b32_e64 v6, 0, 0x41b17218, s0
	v_cmp_gt_f32_e64 s0, 0x7f800000, |v4|
	v_cndmask_b32_e64 v4, v4, v5, s0
	s_lshl_b64 s[0:1], s[10:11], 2
	s_delay_alu instid0(SALU_CYCLE_1) | instskip(NEXT) | instid1(VALU_DEP_2)
	v_add_co_u32 v5, s0, v0, s0
	v_sub_f32_e32 v4, v4, v6
	v_add_co_ci_u32_e64 v6, s0, s1, v1, s0
	s_delay_alu instid0(VALU_DEP_2)
	v_sub_f32_e32 v2, v2, v4
	global_store_b32 v[5:6], v2, off
	s_and_b32 exec_lo, exec_lo, vcc_lo
	s_cbranch_execz .LBB48_16
; %bb.15:
	s_ashr_i32 s11, s10, 31
	v_sub_f32_e32 v2, v3, v4
	s_lshl_b64 s[0:1], s[10:11], 2
	s_delay_alu instid0(SALU_CYCLE_1)
	v_add_co_u32 v0, vcc_lo, v0, s0
	v_add_co_ci_u32_e32 v1, vcc_lo, s1, v1, vcc_lo
	global_store_b32 v[0:1], v2, off offset:128
.LBB48_16:
	s_nop 0
	s_sendmsg sendmsg(MSG_DEALLOC_VGPRS)
	s_endpgm
	.section	.rodata,"a",@progbits
	.p2align	6, 0x0
	.amdhsa_kernel _ZN12_GLOBAL__N_120softmax_warp_forwardIfffLi6ELb1ELb0ELi32EEEvPT0_PKT_iiiPKbib
		.amdhsa_group_segment_fixed_size 0
		.amdhsa_private_segment_fixed_size 0
		.amdhsa_kernarg_size 304
		.amdhsa_user_sgpr_count 15
		.amdhsa_user_sgpr_dispatch_ptr 0
		.amdhsa_user_sgpr_queue_ptr 0
		.amdhsa_user_sgpr_kernarg_segment_ptr 1
		.amdhsa_user_sgpr_dispatch_id 0
		.amdhsa_user_sgpr_private_segment_size 0
		.amdhsa_wavefront_size32 1
		.amdhsa_uses_dynamic_stack 0
		.amdhsa_enable_private_segment 0
		.amdhsa_system_sgpr_workgroup_id_x 1
		.amdhsa_system_sgpr_workgroup_id_y 0
		.amdhsa_system_sgpr_workgroup_id_z 0
		.amdhsa_system_sgpr_workgroup_info 0
		.amdhsa_system_vgpr_workitem_id 1
		.amdhsa_next_free_vgpr 24
		.amdhsa_next_free_sgpr 16
		.amdhsa_reserve_vcc 1
		.amdhsa_float_round_mode_32 0
		.amdhsa_float_round_mode_16_64 0
		.amdhsa_float_denorm_mode_32 3
		.amdhsa_float_denorm_mode_16_64 3
		.amdhsa_dx10_clamp 1
		.amdhsa_ieee_mode 1
		.amdhsa_fp16_overflow 0
		.amdhsa_workgroup_processor_mode 1
		.amdhsa_memory_ordered 1
		.amdhsa_forward_progress 0
		.amdhsa_shared_vgpr_count 0
		.amdhsa_exception_fp_ieee_invalid_op 0
		.amdhsa_exception_fp_denorm_src 0
		.amdhsa_exception_fp_ieee_div_zero 0
		.amdhsa_exception_fp_ieee_overflow 0
		.amdhsa_exception_fp_ieee_underflow 0
		.amdhsa_exception_fp_ieee_inexact 0
		.amdhsa_exception_int_div_zero 0
	.end_amdhsa_kernel
	.section	.text._ZN12_GLOBAL__N_120softmax_warp_forwardIfffLi6ELb1ELb0ELi32EEEvPT0_PKT_iiiPKbib,"axG",@progbits,_ZN12_GLOBAL__N_120softmax_warp_forwardIfffLi6ELb1ELb0ELi32EEEvPT0_PKT_iiiPKbib,comdat
.Lfunc_end48:
	.size	_ZN12_GLOBAL__N_120softmax_warp_forwardIfffLi6ELb1ELb0ELi32EEEvPT0_PKT_iiiPKbib, .Lfunc_end48-_ZN12_GLOBAL__N_120softmax_warp_forwardIfffLi6ELb1ELb0ELi32EEEvPT0_PKT_iiiPKbib
                                        ; -- End function
	.section	.AMDGPU.csdata,"",@progbits
; Kernel info:
; codeLenInByte = 1888
; NumSgprs: 18
; NumVgprs: 24
; ScratchSize: 0
; MemoryBound: 0
; FloatMode: 240
; IeeeMode: 1
; LDSByteSize: 0 bytes/workgroup (compile time only)
; SGPRBlocks: 2
; VGPRBlocks: 2
; NumSGPRsForWavesPerEU: 18
; NumVGPRsForWavesPerEU: 24
; Occupancy: 16
; WaveLimiterHint : 0
; COMPUTE_PGM_RSRC2:SCRATCH_EN: 0
; COMPUTE_PGM_RSRC2:USER_SGPR: 15
; COMPUTE_PGM_RSRC2:TRAP_HANDLER: 0
; COMPUTE_PGM_RSRC2:TGID_X_EN: 1
; COMPUTE_PGM_RSRC2:TGID_Y_EN: 0
; COMPUTE_PGM_RSRC2:TGID_Z_EN: 0
; COMPUTE_PGM_RSRC2:TIDIG_COMP_CNT: 1
	.section	.text._ZN12_GLOBAL__N_120softmax_warp_forwardIfffLi7ELb1ELb0ELi64EEEvPT0_PKT_iiiPKbib,"axG",@progbits,_ZN12_GLOBAL__N_120softmax_warp_forwardIfffLi7ELb1ELb0ELi64EEEvPT0_PKT_iiiPKbib,comdat
	.globl	_ZN12_GLOBAL__N_120softmax_warp_forwardIfffLi7ELb1ELb0ELi64EEEvPT0_PKT_iiiPKbib ; -- Begin function _ZN12_GLOBAL__N_120softmax_warp_forwardIfffLi7ELb1ELb0ELi64EEEvPT0_PKT_iiiPKbib
	.p2align	8
	.type	_ZN12_GLOBAL__N_120softmax_warp_forwardIfffLi7ELb1ELb0ELi64EEEvPT0_PKT_iiiPKbib,@function
_ZN12_GLOBAL__N_120softmax_warp_forwardIfffLi7ELb1ELb0ELi64EEEvPT0_PKT_iiiPKbib: ; @_ZN12_GLOBAL__N_120softmax_warp_forwardIfffLi7ELb1ELb0ELi64EEEvPT0_PKT_iiiPKbib
; %bb.0:
	s_clause 0x1
	s_load_b32 s2, s[0:1], 0x3c
	s_load_b256 s[4:11], s[0:1], 0x0
	v_bfe_u32 v1, v0, 10, 10
	v_and_b32_e32 v4, 0x3ff, v0
	v_dual_mov_b32 v6, 0xff800000 :: v_dual_mov_b32 v7, 0xff800000
	s_waitcnt lgkmcnt(0)
	s_lshr_b32 s0, s2, 16
	s_delay_alu instid0(SALU_CYCLE_1) | instskip(SKIP_2) | instid1(VALU_DEP_1)
	s_mul_i32 s15, s15, s0
	v_cmp_gt_i32_e64 s0, s10, v4
	v_add_lshl_u32 v2, s15, v1, 1
	v_mad_u64_u32 v[0:1], null, v2, s9, v[4:5]
	v_sub_nc_u32_e32 v5, s8, v2
	s_delay_alu instid0(VALU_DEP_1) | instskip(NEXT) | instid1(VALU_DEP_3)
	v_cmp_lt_i32_e64 s1, 0, v5
	v_ashrrev_i32_e32 v1, 31, v0
	s_delay_alu instid0(VALU_DEP_2) | instskip(NEXT) | instid1(VALU_DEP_1)
	s_and_b32 s3, s1, s0
	v_lshlrev_b64 v[0:1], 2, v[0:1]
	s_delay_alu instid0(VALU_DEP_1) | instskip(NEXT) | instid1(VALU_DEP_2)
	v_add_co_u32 v2, vcc_lo, s6, v0
	v_add_co_ci_u32_e32 v3, vcc_lo, s7, v1, vcc_lo
	s_and_saveexec_b32 s2, s3
	s_cbranch_execz .LBB49_2
; %bb.1:
	global_load_b32 v7, v[2:3], off
.LBB49_2:
	s_or_b32 exec_lo, exec_lo, s2
	v_add_nc_u32_e32 v4, 64, v4
	s_delay_alu instid0(VALU_DEP_1) | instskip(SKIP_1) | instid1(SALU_CYCLE_1)
	v_cmp_gt_i32_e32 vcc_lo, s10, v4
	s_and_b32 s3, s1, vcc_lo
	s_and_saveexec_b32 s2, s3
	s_cbranch_execz .LBB49_4
; %bb.3:
	global_load_b32 v6, v[2:3], off offset:256
.LBB49_4:
	s_or_b32 exec_lo, exec_lo, s2
	v_cmp_lt_i32_e64 s2, 1, v5
	v_mov_b32_e32 v4, 0xff800000
	v_mov_b32_e32 v8, 0xff800000
	s_delay_alu instid0(VALU_DEP_3) | instskip(NEXT) | instid1(SALU_CYCLE_1)
	s_and_b32 s3, s2, s0
	s_and_saveexec_b32 s6, s3
	s_cbranch_execz .LBB49_6
; %bb.5:
	s_mov_b32 s11, 0
	s_delay_alu instid0(SALU_CYCLE_1) | instskip(NEXT) | instid1(SALU_CYCLE_1)
	s_lshl_b64 s[8:9], s[10:11], 2
	v_add_co_u32 v8, s3, v2, s8
	s_delay_alu instid0(VALU_DEP_1)
	v_add_co_ci_u32_e64 v9, s3, s9, v3, s3
	global_load_b32 v8, v[8:9], off
.LBB49_6:
	s_or_b32 exec_lo, exec_lo, s6
	s_and_b32 s2, s2, vcc_lo
	s_delay_alu instid0(SALU_CYCLE_1)
	s_and_saveexec_b32 s3, s2
	s_cbranch_execz .LBB49_8
; %bb.7:
	s_mov_b32 s11, 0
	s_delay_alu instid0(SALU_CYCLE_1) | instskip(NEXT) | instid1(SALU_CYCLE_1)
	s_lshl_b64 s[6:7], s[10:11], 2
	v_add_co_u32 v2, s2, v2, s6
	s_delay_alu instid0(VALU_DEP_1)
	v_add_co_ci_u32_e64 v3, s2, s7, v3, s2
	global_load_b32 v4, v[2:3], off offset:256
.LBB49_8:
	s_or_b32 exec_lo, exec_lo, s3
	v_mbcnt_lo_u32_b32 v2, -1, 0
	s_delay_alu instid0(VALU_DEP_1)
	v_or_b32_e32 v3, 32, v2
	v_xor_b32_e32 v13, 16, v2
	v_xor_b32_e32 v14, 8, v2
	v_xor_b32_e32 v15, 4, v2
	v_xor_b32_e32 v16, 2, v2
	v_cmp_gt_i32_e64 s2, 64, v3
	v_xor_b32_e32 v17, 1, v2
	s_delay_alu instid0(VALU_DEP_2) | instskip(SKIP_2) | instid1(VALU_DEP_2)
	v_cndmask_b32_e64 v3, v2, v3, s2
	s_waitcnt vmcnt(0)
	v_cmp_gt_f32_e64 s2, v7, v6
	v_lshlrev_b32_e32 v10, 2, v3
	s_delay_alu instid0(VALU_DEP_2)
	v_cndmask_b32_e64 v9, v6, v7, s2
	v_cmp_gt_f32_e64 s2, v8, v4
	ds_bpermute_b32 v11, v10, v9
	v_cndmask_b32_e64 v3, v4, v8, s2
	v_cmp_gt_i32_e64 s2, 64, v13
	ds_bpermute_b32 v12, v10, v3
	v_cndmask_b32_e64 v13, v2, v13, s2
	s_delay_alu instid0(VALU_DEP_1) | instskip(SKIP_2) | instid1(VALU_DEP_1)
	v_lshlrev_b32_e32 v13, 2, v13
	s_waitcnt lgkmcnt(1)
	v_cmp_lt_f32_e64 s2, v9, v11
	v_cndmask_b32_e64 v9, v9, v11, s2
	s_waitcnt lgkmcnt(0)
	v_cmp_lt_f32_e64 s2, v3, v12
	ds_bpermute_b32 v11, v13, v9
	v_cndmask_b32_e64 v3, v3, v12, s2
	v_cmp_gt_i32_e64 s2, 64, v14
	ds_bpermute_b32 v12, v13, v3
	v_cndmask_b32_e64 v14, v2, v14, s2
	s_delay_alu instid0(VALU_DEP_1) | instskip(SKIP_2) | instid1(VALU_DEP_1)
	v_lshlrev_b32_e32 v14, 2, v14
	s_waitcnt lgkmcnt(1)
	v_cmp_lt_f32_e64 s2, v9, v11
	v_cndmask_b32_e64 v9, v9, v11, s2
	s_waitcnt lgkmcnt(0)
	v_cmp_lt_f32_e64 s2, v3, v12
	;; [unrolled: 12-line block ×5, first 2 shown]
	ds_bpermute_b32 v9, v17, v2
	v_cndmask_b32_e64 v3, v3, v12, s2
	ds_bpermute_b32 v11, v17, v3
	s_waitcnt lgkmcnt(1)
	v_cmp_lt_f32_e64 s2, v2, v9
	s_delay_alu instid0(VALU_DEP_1) | instskip(SKIP_2) | instid1(VALU_DEP_2)
	v_cndmask_b32_e64 v2, v2, v9, s2
	s_waitcnt lgkmcnt(0)
	v_cmp_lt_f32_e64 s2, v3, v11
	v_sub_f32_e32 v7, v7, v2
	s_delay_alu instid0(VALU_DEP_2) | instskip(SKIP_1) | instid1(VALU_DEP_3)
	v_cndmask_b32_e64 v3, v3, v11, s2
	v_sub_f32_e32 v6, v6, v2
	v_cmp_ngt_f32_e64 s2, 0xc2ce8ed0, v7
	s_delay_alu instid0(VALU_DEP_3) | instskip(NEXT) | instid1(VALU_DEP_3)
	v_sub_f32_e32 v2, v8, v3
	v_dual_sub_f32 v3, v4, v3 :: v_dual_mul_f32 v8, 0x3fb8aa3b, v6
	s_delay_alu instid0(VALU_DEP_2) | instskip(NEXT) | instid1(VALU_DEP_2)
	v_mul_f32_e32 v9, 0x3fb8aa3b, v2
	v_fma_f32 v19, 0x3fb8aa3b, v6, -v8
	v_rndne_f32_e32 v20, v8
	s_delay_alu instid0(VALU_DEP_3) | instskip(SKIP_2) | instid1(VALU_DEP_4)
	v_rndne_f32_e32 v22, v9
	v_mul_f32_e32 v4, 0x3fb8aa3b, v7
	v_fma_f32 v21, 0x3fb8aa3b, v2, -v9
	v_dual_sub_f32 v8, v8, v20 :: v_dual_fmac_f32 v19, 0x32a5705f, v6
	s_delay_alu instid0(VALU_DEP_4) | instskip(NEXT) | instid1(VALU_DEP_4)
	v_sub_f32_e32 v9, v9, v22
	v_fma_f32 v12, 0x3fb8aa3b, v7, -v4
	s_delay_alu instid0(VALU_DEP_4) | instskip(SKIP_3) | instid1(VALU_DEP_4)
	v_fmac_f32_e32 v21, 0x32a5705f, v2
	v_rndne_f32_e32 v18, v4
	v_mul_f32_e32 v11, 0x3fb8aa3b, v3
	v_add_f32_e32 v8, v8, v19
	v_dual_fmac_f32 v12, 0x32a5705f, v7 :: v_dual_add_f32 v9, v9, v21
	s_delay_alu instid0(VALU_DEP_4) | instskip(NEXT) | instid1(VALU_DEP_4)
	v_sub_f32_e32 v4, v4, v18
	v_fma_f32 v23, 0x3fb8aa3b, v3, -v11
	v_rndne_f32_e32 v24, v11
	v_cvt_i32_f32_e32 v19, v22
	v_exp_f32_e32 v9, v9
	s_delay_alu instid0(VALU_DEP_3) | instskip(NEXT) | instid1(VALU_DEP_3)
	v_dual_add_f32 v4, v4, v12 :: v_dual_fmac_f32 v23, 0x32a5705f, v3
	v_sub_f32_e32 v11, v11, v24
	v_exp_f32_e32 v8, v8
	v_cvt_i32_f32_e32 v12, v18
	s_delay_alu instid0(VALU_DEP_3) | instskip(SKIP_3) | instid1(TRANS32_DEP_3)
	v_exp_f32_e32 v4, v4
	v_cvt_i32_f32_e32 v18, v20
	v_add_f32_e32 v11, v11, v23
	v_cvt_i32_f32_e32 v20, v24
	v_ldexp_f32 v9, v9, v19
	s_delay_alu instid0(VALU_DEP_3) | instskip(NEXT) | instid1(TRANS32_DEP_3)
	v_exp_f32_e32 v11, v11
	v_ldexp_f32 v8, v8, v18
	s_delay_alu instid0(TRANS32_DEP_2) | instskip(NEXT) | instid1(VALU_DEP_1)
	v_ldexp_f32 v4, v4, v12
	v_cndmask_b32_e64 v4, 0, v4, s2
	v_cmp_ngt_f32_e64 s2, 0xc2ce8ed0, v6
	s_waitcnt_depctr 0xfff
	v_ldexp_f32 v11, v11, v20
	v_cndmask_b32_e64 v8, 0, v8, s2
	v_cmp_ngt_f32_e64 s2, 0xc2ce8ed0, v2
	s_delay_alu instid0(VALU_DEP_1) | instskip(SKIP_1) | instid1(VALU_DEP_1)
	v_cndmask_b32_e64 v9, 0, v9, s2
	v_cmp_ngt_f32_e64 s2, 0xc2ce8ed0, v3
	v_cndmask_b32_e64 v11, 0, v11, s2
	v_cmp_nlt_f32_e64 s2, 0x42b17218, v7
	s_delay_alu instid0(VALU_DEP_1) | instskip(SKIP_1) | instid1(VALU_DEP_1)
	v_cndmask_b32_e64 v4, 0x7f800000, v4, s2
	v_cmp_nlt_f32_e64 s2, 0x42b17218, v6
	v_cndmask_b32_e64 v8, 0x7f800000, v8, s2
	v_cmp_nlt_f32_e64 s2, 0x42b17218, v2
	s_delay_alu instid0(VALU_DEP_2) | instskip(NEXT) | instid1(VALU_DEP_2)
	v_add_f32_e32 v4, v4, v8
	v_cndmask_b32_e64 v9, 0x7f800000, v9, s2
	v_cmp_nlt_f32_e64 s2, 0x42b17218, v3
	s_delay_alu instid0(VALU_DEP_1) | instskip(NEXT) | instid1(VALU_DEP_1)
	v_cndmask_b32_e64 v11, 0x7f800000, v11, s2
	v_add_f32_e32 v8, v9, v11
	ds_bpermute_b32 v9, v10, v4
	s_waitcnt lgkmcnt(0)
	v_add_f32_e32 v4, v4, v9
	ds_bpermute_b32 v9, v13, v4
	s_waitcnt lgkmcnt(0)
	;; [unrolled: 3-line block ×10, first 2 shown]
	v_add_f32_e32 v4, v8, v10
	ds_bpermute_b32 v10, v17, v9
	ds_bpermute_b32 v8, v17, v4
	s_and_saveexec_b32 s2, s1
	s_cbranch_execz .LBB49_16
; %bb.9:
	v_add_co_u32 v0, s1, s4, v0
	s_delay_alu instid0(VALU_DEP_1)
	v_add_co_ci_u32_e64 v1, s1, s5, v1, s1
	s_and_saveexec_b32 s3, s0
	s_cbranch_execz .LBB49_12
; %bb.10:
	s_waitcnt lgkmcnt(1)
	v_add_f32_e32 v9, v9, v10
	s_delay_alu instid0(VALU_DEP_1) | instskip(NEXT) | instid1(VALU_DEP_1)
	v_cmp_gt_f32_e64 s1, 0x800000, v9
	v_cndmask_b32_e64 v10, 1.0, 0x4f800000, s1
	s_delay_alu instid0(VALU_DEP_1) | instskip(NEXT) | instid1(VALU_DEP_1)
	v_mul_f32_e32 v9, v9, v10
	v_log_f32_e32 v9, v9
	s_waitcnt_depctr 0xfff
	v_mul_f32_e32 v10, 0x3f317217, v9
	v_cmp_gt_f32_e64 s2, 0x7f800000, |v9|
	s_delay_alu instid0(VALU_DEP_2) | instskip(NEXT) | instid1(VALU_DEP_1)
	v_fma_f32 v11, 0x3f317217, v9, -v10
	v_fmamk_f32 v11, v9, 0x3377d1cf, v11
	s_delay_alu instid0(VALU_DEP_1) | instskip(NEXT) | instid1(VALU_DEP_1)
	v_add_f32_e32 v10, v10, v11
	v_cndmask_b32_e64 v9, v9, v10, s2
	v_cndmask_b32_e64 v10, 0, 0x41b17218, s1
	s_delay_alu instid0(VALU_DEP_1) | instskip(NEXT) | instid1(VALU_DEP_1)
	v_sub_f32_e32 v9, v9, v10
	v_sub_f32_e32 v7, v7, v9
	global_store_b32 v[0:1], v7, off
	s_and_b32 exec_lo, exec_lo, vcc_lo
	s_cbranch_execz .LBB49_12
; %bb.11:
	v_sub_f32_e32 v6, v6, v9
	global_store_b32 v[0:1], v6, off offset:256
.LBB49_12:
	s_or_b32 exec_lo, exec_lo, s3
	v_cmp_ne_u32_e64 s1, 1, v5
	s_delay_alu instid0(VALU_DEP_1)
	s_and_b32 exec_lo, exec_lo, s1
	s_cbranch_execz .LBB49_16
; %bb.13:
	s_and_b32 exec_lo, exec_lo, s0
	s_cbranch_execz .LBB49_16
; %bb.14:
	s_waitcnt lgkmcnt(0)
	v_add_f32_e32 v4, v4, v8
	s_mov_b32 s11, 0
	s_delay_alu instid0(VALU_DEP_1) | instskip(NEXT) | instid1(VALU_DEP_1)
	v_cmp_gt_f32_e64 s0, 0x800000, v4
	v_cndmask_b32_e64 v5, 1.0, 0x4f800000, s0
	s_delay_alu instid0(VALU_DEP_1) | instskip(NEXT) | instid1(VALU_DEP_1)
	v_mul_f32_e32 v4, v4, v5
	v_log_f32_e32 v4, v4
	s_waitcnt_depctr 0xfff
	v_mul_f32_e32 v5, 0x3f317217, v4
	s_delay_alu instid0(VALU_DEP_1) | instskip(NEXT) | instid1(VALU_DEP_1)
	v_fma_f32 v6, 0x3f317217, v4, -v5
	v_fmamk_f32 v6, v4, 0x3377d1cf, v6
	s_delay_alu instid0(VALU_DEP_1) | instskip(SKIP_2) | instid1(VALU_DEP_1)
	v_add_f32_e32 v5, v5, v6
	v_cndmask_b32_e64 v6, 0, 0x41b17218, s0
	v_cmp_gt_f32_e64 s0, 0x7f800000, |v4|
	v_cndmask_b32_e64 v4, v4, v5, s0
	s_lshl_b64 s[0:1], s[10:11], 2
	s_delay_alu instid0(SALU_CYCLE_1) | instskip(NEXT) | instid1(VALU_DEP_2)
	v_add_co_u32 v5, s0, v0, s0
	v_sub_f32_e32 v4, v4, v6
	v_add_co_ci_u32_e64 v6, s0, s1, v1, s0
	s_delay_alu instid0(VALU_DEP_2)
	v_sub_f32_e32 v2, v2, v4
	global_store_b32 v[5:6], v2, off
	s_and_b32 exec_lo, exec_lo, vcc_lo
	s_cbranch_execz .LBB49_16
; %bb.15:
	s_ashr_i32 s11, s10, 31
	v_sub_f32_e32 v2, v3, v4
	s_lshl_b64 s[0:1], s[10:11], 2
	s_delay_alu instid0(SALU_CYCLE_1)
	v_add_co_u32 v0, vcc_lo, v0, s0
	v_add_co_ci_u32_e32 v1, vcc_lo, s1, v1, vcc_lo
	global_store_b32 v[0:1], v2, off offset:256
.LBB49_16:
	s_nop 0
	s_sendmsg sendmsg(MSG_DEALLOC_VGPRS)
	s_endpgm
	.section	.rodata,"a",@progbits
	.p2align	6, 0x0
	.amdhsa_kernel _ZN12_GLOBAL__N_120softmax_warp_forwardIfffLi7ELb1ELb0ELi64EEEvPT0_PKT_iiiPKbib
		.amdhsa_group_segment_fixed_size 0
		.amdhsa_private_segment_fixed_size 0
		.amdhsa_kernarg_size 304
		.amdhsa_user_sgpr_count 15
		.amdhsa_user_sgpr_dispatch_ptr 0
		.amdhsa_user_sgpr_queue_ptr 0
		.amdhsa_user_sgpr_kernarg_segment_ptr 1
		.amdhsa_user_sgpr_dispatch_id 0
		.amdhsa_user_sgpr_private_segment_size 0
		.amdhsa_wavefront_size32 1
		.amdhsa_uses_dynamic_stack 0
		.amdhsa_enable_private_segment 0
		.amdhsa_system_sgpr_workgroup_id_x 1
		.amdhsa_system_sgpr_workgroup_id_y 0
		.amdhsa_system_sgpr_workgroup_id_z 0
		.amdhsa_system_sgpr_workgroup_info 0
		.amdhsa_system_vgpr_workitem_id 1
		.amdhsa_next_free_vgpr 25
		.amdhsa_next_free_sgpr 16
		.amdhsa_reserve_vcc 1
		.amdhsa_float_round_mode_32 0
		.amdhsa_float_round_mode_16_64 0
		.amdhsa_float_denorm_mode_32 3
		.amdhsa_float_denorm_mode_16_64 3
		.amdhsa_dx10_clamp 1
		.amdhsa_ieee_mode 1
		.amdhsa_fp16_overflow 0
		.amdhsa_workgroup_processor_mode 1
		.amdhsa_memory_ordered 1
		.amdhsa_forward_progress 0
		.amdhsa_shared_vgpr_count 0
		.amdhsa_exception_fp_ieee_invalid_op 0
		.amdhsa_exception_fp_denorm_src 0
		.amdhsa_exception_fp_ieee_div_zero 0
		.amdhsa_exception_fp_ieee_overflow 0
		.amdhsa_exception_fp_ieee_underflow 0
		.amdhsa_exception_fp_ieee_inexact 0
		.amdhsa_exception_int_div_zero 0
	.end_amdhsa_kernel
	.section	.text._ZN12_GLOBAL__N_120softmax_warp_forwardIfffLi7ELb1ELb0ELi64EEEvPT0_PKT_iiiPKbib,"axG",@progbits,_ZN12_GLOBAL__N_120softmax_warp_forwardIfffLi7ELb1ELb0ELi64EEEvPT0_PKT_iiiPKbib,comdat
.Lfunc_end49:
	.size	_ZN12_GLOBAL__N_120softmax_warp_forwardIfffLi7ELb1ELb0ELi64EEEvPT0_PKT_iiiPKbib, .Lfunc_end49-_ZN12_GLOBAL__N_120softmax_warp_forwardIfffLi7ELb1ELb0ELi64EEEvPT0_PKT_iiiPKbib
                                        ; -- End function
	.section	.AMDGPU.csdata,"",@progbits
; Kernel info:
; codeLenInByte = 2024
; NumSgprs: 18
; NumVgprs: 25
; ScratchSize: 0
; MemoryBound: 0
; FloatMode: 240
; IeeeMode: 1
; LDSByteSize: 0 bytes/workgroup (compile time only)
; SGPRBlocks: 2
; VGPRBlocks: 3
; NumSGPRsForWavesPerEU: 18
; NumVGPRsForWavesPerEU: 25
; Occupancy: 16
; WaveLimiterHint : 0
; COMPUTE_PGM_RSRC2:SCRATCH_EN: 0
; COMPUTE_PGM_RSRC2:USER_SGPR: 15
; COMPUTE_PGM_RSRC2:TRAP_HANDLER: 0
; COMPUTE_PGM_RSRC2:TGID_X_EN: 1
; COMPUTE_PGM_RSRC2:TGID_Y_EN: 0
; COMPUTE_PGM_RSRC2:TGID_Z_EN: 0
; COMPUTE_PGM_RSRC2:TIDIG_COMP_CNT: 1
	.section	.text._ZN12_GLOBAL__N_120softmax_warp_forwardIfffLi7ELb1ELb0ELi32EEEvPT0_PKT_iiiPKbib,"axG",@progbits,_ZN12_GLOBAL__N_120softmax_warp_forwardIfffLi7ELb1ELb0ELi32EEEvPT0_PKT_iiiPKbib,comdat
	.globl	_ZN12_GLOBAL__N_120softmax_warp_forwardIfffLi7ELb1ELb0ELi32EEEvPT0_PKT_iiiPKbib ; -- Begin function _ZN12_GLOBAL__N_120softmax_warp_forwardIfffLi7ELb1ELb0ELi32EEEvPT0_PKT_iiiPKbib
	.p2align	8
	.type	_ZN12_GLOBAL__N_120softmax_warp_forwardIfffLi7ELb1ELb0ELi32EEEvPT0_PKT_iiiPKbib,@function
_ZN12_GLOBAL__N_120softmax_warp_forwardIfffLi7ELb1ELb0ELi32EEEvPT0_PKT_iiiPKbib: ; @_ZN12_GLOBAL__N_120softmax_warp_forwardIfffLi7ELb1ELb0ELi32EEEvPT0_PKT_iiiPKbib
; %bb.0:
	s_clause 0x1
	s_load_b32 s2, s[0:1], 0x3c
	s_load_b256 s[16:23], s[0:1], 0x0
	v_bfe_u32 v1, v0, 10, 10
	v_and_b32_e32 v4, 0x3ff, v0
	v_mov_b32_e32 v6, 0xff800000
	v_mov_b32_e32 v8, 0xff800000
	s_waitcnt lgkmcnt(0)
	s_lshr_b32 s0, s2, 16
	v_cmp_gt_i32_e64 s1, s22, v4
	s_mul_i32 s15, s15, s0
	s_delay_alu instid0(SALU_CYCLE_1) | instskip(NEXT) | instid1(VALU_DEP_1)
	v_add_lshl_u32 v2, s15, v1, 1
	v_mad_u64_u32 v[0:1], null, v2, s21, v[4:5]
	v_sub_nc_u32_e32 v5, s20, v2
	s_delay_alu instid0(VALU_DEP_1) | instskip(NEXT) | instid1(VALU_DEP_3)
	v_cmp_lt_i32_e64 s3, 0, v5
	v_ashrrev_i32_e32 v1, 31, v0
	s_delay_alu instid0(VALU_DEP_2) | instskip(NEXT) | instid1(VALU_DEP_1)
	s_and_b32 s2, s3, s1
	v_lshlrev_b64 v[0:1], 2, v[0:1]
	s_delay_alu instid0(VALU_DEP_1) | instskip(NEXT) | instid1(VALU_DEP_2)
	v_add_co_u32 v2, vcc_lo, s18, v0
	v_add_co_ci_u32_e32 v3, vcc_lo, s19, v1, vcc_lo
	s_and_saveexec_b32 s0, s2
	s_cbranch_execz .LBB50_2
; %bb.1:
	global_load_b32 v8, v[2:3], off
.LBB50_2:
	s_or_b32 exec_lo, exec_lo, s0
	v_add_nc_u32_e32 v7, 32, v4
	s_delay_alu instid0(VALU_DEP_1) | instskip(SKIP_1) | instid1(SALU_CYCLE_1)
	v_cmp_gt_i32_e32 vcc_lo, s22, v7
	s_and_b32 s2, s3, vcc_lo
	s_and_saveexec_b32 s0, s2
	s_cbranch_execz .LBB50_4
; %bb.3:
	global_load_b32 v6, v[2:3], off offset:128
.LBB50_4:
	s_or_b32 exec_lo, exec_lo, s0
	v_add_nc_u32_e32 v7, 64, v4
	v_mov_b32_e32 v9, 0xff800000
	s_delay_alu instid0(VALU_DEP_2) | instskip(SKIP_1) | instid1(VALU_DEP_2)
	v_cmp_gt_i32_e64 s0, s22, v7
	v_mov_b32_e32 v7, 0xff800000
	s_and_b32 s4, s3, s0
	s_delay_alu instid0(SALU_CYCLE_1)
	s_and_saveexec_b32 s2, s4
	s_cbranch_execz .LBB50_6
; %bb.5:
	global_load_b32 v9, v[2:3], off offset:256
.LBB50_6:
	s_or_b32 exec_lo, exec_lo, s2
	v_add_nc_u32_e32 v4, 0x60, v4
	s_delay_alu instid0(VALU_DEP_1) | instskip(NEXT) | instid1(VALU_DEP_1)
	v_cmp_gt_i32_e64 s2, s22, v4
	s_and_b32 s5, s3, s2
	s_delay_alu instid0(SALU_CYCLE_1)
	s_and_saveexec_b32 s4, s5
	s_cbranch_execz .LBB50_8
; %bb.7:
	global_load_b32 v7, v[2:3], off offset:384
.LBB50_8:
	s_or_b32 exec_lo, exec_lo, s4
	v_cmp_lt_i32_e64 s4, 1, v5
	v_mov_b32_e32 v4, 0xff800000
	v_mov_b32_e32 v12, 0xff800000
	s_delay_alu instid0(VALU_DEP_3) | instskip(NEXT) | instid1(SALU_CYCLE_1)
	s_and_b32 s5, s4, s1
	s_and_saveexec_b32 s6, s5
	s_cbranch_execz .LBB50_10
; %bb.9:
	s_mov_b32 s23, 0
	s_delay_alu instid0(SALU_CYCLE_1) | instskip(NEXT) | instid1(SALU_CYCLE_1)
	s_lshl_b64 s[8:9], s[22:23], 2
	v_add_co_u32 v10, s5, v2, s8
	s_delay_alu instid0(VALU_DEP_1)
	v_add_co_ci_u32_e64 v11, s5, s9, v3, s5
	global_load_b32 v12, v[10:11], off
.LBB50_10:
	s_or_b32 exec_lo, exec_lo, s6
	s_and_b32 s5, s4, vcc_lo
	s_delay_alu instid0(SALU_CYCLE_1)
	s_and_saveexec_b32 s6, s5
	s_cbranch_execz .LBB50_12
; %bb.11:
	s_mov_b32 s23, 0
	s_delay_alu instid0(SALU_CYCLE_1) | instskip(NEXT) | instid1(SALU_CYCLE_1)
	s_lshl_b64 s[8:9], s[22:23], 2
	v_add_co_u32 v10, s5, v2, s8
	s_delay_alu instid0(VALU_DEP_1)
	v_add_co_ci_u32_e64 v11, s5, s9, v3, s5
	global_load_b32 v4, v[10:11], off offset:128
.LBB50_12:
	s_or_b32 exec_lo, exec_lo, s6
	v_mov_b32_e32 v11, 0xff800000
	v_mov_b32_e32 v13, 0xff800000
	s_and_b32 s5, s4, s0
	s_delay_alu instid0(SALU_CYCLE_1)
	s_and_saveexec_b32 s6, s5
	s_cbranch_execz .LBB50_14
; %bb.13:
	s_mov_b32 s23, 0
	s_delay_alu instid0(SALU_CYCLE_1) | instskip(NEXT) | instid1(SALU_CYCLE_1)
	s_lshl_b64 s[8:9], s[22:23], 2
	v_add_co_u32 v13, s5, v2, s8
	s_delay_alu instid0(VALU_DEP_1)
	v_add_co_ci_u32_e64 v14, s5, s9, v3, s5
	global_load_b32 v13, v[13:14], off offset:256
.LBB50_14:
	s_or_b32 exec_lo, exec_lo, s6
	s_and_b32 s4, s4, s2
	s_delay_alu instid0(SALU_CYCLE_1)
	s_and_saveexec_b32 s5, s4
	s_cbranch_execz .LBB50_16
; %bb.15:
	s_mov_b32 s23, 0
	s_delay_alu instid0(SALU_CYCLE_1) | instskip(NEXT) | instid1(SALU_CYCLE_1)
	s_lshl_b64 s[6:7], s[22:23], 2
	v_add_co_u32 v2, s4, v2, s6
	s_delay_alu instid0(VALU_DEP_1)
	v_add_co_ci_u32_e64 v3, s4, s7, v3, s4
	global_load_b32 v11, v[2:3], off offset:384
.LBB50_16:
	s_or_b32 exec_lo, exec_lo, s5
	s_waitcnt vmcnt(0)
	v_cmp_gt_f32_e64 s4, v8, v6
	v_mbcnt_lo_u32_b32 v2, -1, 0
	s_delay_alu instid0(VALU_DEP_2) | instskip(SKIP_1) | instid1(VALU_DEP_3)
	v_cndmask_b32_e64 v3, v6, v8, s4
	v_cmp_gt_f32_e64 s4, v12, v4
	v_xor_b32_e32 v10, 16, v2
	v_xor_b32_e32 v17, 8, v2
	;; [unrolled: 1-line block ×4, first 2 shown]
	v_cndmask_b32_e64 v14, v4, v12, s4
	v_cmp_gt_f32_e64 s4, v3, v9
	v_xor_b32_e32 v20, 1, v2
	s_delay_alu instid0(VALU_DEP_2) | instskip(SKIP_1) | instid1(VALU_DEP_1)
	v_cndmask_b32_e64 v3, v9, v3, s4
	v_cmp_gt_i32_e64 s4, 32, v10
	v_cndmask_b32_e64 v10, v2, v10, s4
	v_cmp_gt_f32_e64 s4, v14, v13
	s_delay_alu instid0(VALU_DEP_2) | instskip(NEXT) | instid1(VALU_DEP_2)
	v_lshlrev_b32_e32 v15, 2, v10
	v_cndmask_b32_e64 v14, v13, v14, s4
	v_cmp_gt_f32_e64 s4, v3, v7
	s_delay_alu instid0(VALU_DEP_1) | instskip(NEXT) | instid1(VALU_DEP_3)
	v_cndmask_b32_e64 v3, v7, v3, s4
	v_cmp_gt_f32_e64 s4, v14, v11
	s_delay_alu instid0(VALU_DEP_1) | instskip(SKIP_4) | instid1(VALU_DEP_1)
	v_cndmask_b32_e64 v10, v11, v14, s4
	ds_bpermute_b32 v14, v15, v3
	v_cmp_gt_i32_e64 s4, 32, v17
	ds_bpermute_b32 v16, v15, v10
	v_cndmask_b32_e64 v17, v2, v17, s4
	v_lshlrev_b32_e32 v17, 2, v17
	s_waitcnt lgkmcnt(1)
	v_cmp_lt_f32_e64 s4, v3, v14
	s_delay_alu instid0(VALU_DEP_1)
	v_cndmask_b32_e64 v3, v3, v14, s4
	s_waitcnt lgkmcnt(0)
	v_cmp_lt_f32_e64 s4, v10, v16
	ds_bpermute_b32 v14, v17, v3
	v_cndmask_b32_e64 v10, v10, v16, s4
	v_cmp_gt_i32_e64 s4, 32, v18
	ds_bpermute_b32 v16, v17, v10
	v_cndmask_b32_e64 v18, v2, v18, s4
	s_delay_alu instid0(VALU_DEP_1) | instskip(SKIP_2) | instid1(VALU_DEP_1)
	v_lshlrev_b32_e32 v18, 2, v18
	s_waitcnt lgkmcnt(1)
	v_cmp_lt_f32_e64 s4, v3, v14
	v_cndmask_b32_e64 v3, v3, v14, s4
	s_waitcnt lgkmcnt(0)
	v_cmp_lt_f32_e64 s4, v10, v16
	ds_bpermute_b32 v14, v18, v3
	v_cndmask_b32_e64 v10, v10, v16, s4
	v_cmp_gt_i32_e64 s4, 32, v19
	ds_bpermute_b32 v16, v18, v10
	v_cndmask_b32_e64 v19, v2, v19, s4
	s_delay_alu instid0(VALU_DEP_1) | instskip(SKIP_2) | instid1(VALU_DEP_1)
	v_lshlrev_b32_e32 v19, 2, v19
	s_waitcnt lgkmcnt(1)
	v_cmp_lt_f32_e64 s4, v3, v14
	;; [unrolled: 12-line block ×3, first 2 shown]
	v_cndmask_b32_e64 v2, v3, v14, s4
	s_waitcnt lgkmcnt(0)
	v_cmp_lt_f32_e64 s4, v10, v16
	s_delay_alu instid0(VALU_DEP_1) | instskip(SKIP_4) | instid1(VALU_DEP_1)
	v_cndmask_b32_e64 v3, v10, v16, s4
	ds_bpermute_b32 v10, v20, v2
	ds_bpermute_b32 v14, v20, v3
	s_waitcnt lgkmcnt(1)
	v_cmp_lt_f32_e64 s4, v2, v10
	v_cndmask_b32_e64 v10, v2, v10, s4
	s_waitcnt lgkmcnt(0)
	v_cmp_lt_f32_e64 s4, v3, v14
	s_delay_alu instid0(VALU_DEP_2) | instskip(NEXT) | instid1(VALU_DEP_2)
	v_sub_f32_e32 v2, v8, v10
	v_cndmask_b32_e64 v14, v3, v14, s4
	v_sub_f32_e32 v8, v9, v10
	v_sub_f32_e32 v6, v6, v10
	;; [unrolled: 1-line block ×3, first 2 shown]
	v_cmp_ngt_f32_e64 s4, 0xc2ce8ed0, v2
	v_sub_f32_e32 v9, v11, v14
	v_sub_f32_e32 v7, v13, v14
	v_mul_f32_e32 v11, 0x3fb8aa3b, v2
	v_sub_f32_e32 v3, v12, v14
	s_delay_alu instid0(VALU_DEP_4) | instskip(SKIP_1) | instid1(VALU_DEP_4)
	v_mul_f32_e32 v23, 0x3fb8aa3b, v9
	v_mul_f32_e32 v13, 0x3fb8aa3b, v8
	v_rndne_f32_e32 v25, v11
	v_sub_f32_e32 v4, v4, v14
	s_delay_alu instid0(VALU_DEP_4) | instskip(NEXT) | instid1(VALU_DEP_4)
	v_rndne_f32_e32 v39, v23
	v_rndne_f32_e32 v29, v13
	v_fma_f32 v28, 0x3fb8aa3b, v8, -v13
	s_delay_alu instid0(VALU_DEP_2) | instskip(NEXT) | instid1(VALU_DEP_2)
	v_dual_sub_f32 v13, v13, v29 :: v_dual_mul_f32 v14, 0x3fb8aa3b, v10
	v_fmac_f32_e32 v28, 0x32a5705f, v8
	v_fma_f32 v38, 0x3fb8aa3b, v9, -v23
	v_sub_f32_e32 v23, v23, v39
	v_cvt_i32_f32_e32 v29, v29
	v_rndne_f32_e32 v31, v14
	v_fma_f32 v30, 0x3fb8aa3b, v10, -v14
	v_dual_add_f32 v13, v13, v28 :: v_dual_fmac_f32 v38, 0x32a5705f, v9
	s_delay_alu instid0(VALU_DEP_3)
	v_sub_f32_e32 v14, v14, v31
	v_fma_f32 v24, 0x3fb8aa3b, v2, -v11
	v_sub_f32_e32 v11, v11, v25
	v_mul_f32_e32 v21, 0x3fb8aa3b, v4
	v_cvt_i32_f32_e32 v25, v25
	v_fmac_f32_e32 v30, 0x32a5705f, v10
	v_fmac_f32_e32 v24, 0x32a5705f, v2
	v_exp_f32_e32 v13, v13
	v_rndne_f32_e32 v35, v21
	v_mul_f32_e32 v12, 0x3fb8aa3b, v6
	v_fma_f32 v34, 0x3fb8aa3b, v4, -v21
	v_dual_add_f32 v11, v11, v24 :: v_dual_add_f32 v14, v14, v30
	s_delay_alu instid0(VALU_DEP_4) | instskip(NEXT) | instid1(VALU_DEP_4)
	v_sub_f32_e32 v21, v21, v35
	v_fma_f32 v26, 0x3fb8aa3b, v6, -v12
	v_rndne_f32_e32 v27, v12
	s_delay_alu instid0(VALU_DEP_4) | instskip(SKIP_1) | instid1(VALU_DEP_3)
	v_exp_f32_e32 v11, v11
	v_dual_fmac_f32 v34, 0x32a5705f, v4 :: v_dual_add_f32 v23, v23, v38
	v_fmac_f32_e32 v26, 0x32a5705f, v6
	s_delay_alu instid0(VALU_DEP_3)
	v_sub_f32_e32 v12, v12, v27
	v_mul_f32_e32 v22, 0x3fb8aa3b, v7
	v_mul_f32_e32 v16, 0x3fb8aa3b, v3
	v_cvt_i32_f32_e32 v27, v27
	v_add_f32_e32 v21, v21, v34
	v_add_f32_e32 v12, v12, v26
	s_delay_alu instid0(TRANS32_DEP_1)
	v_ldexp_f32 v11, v11, v25
	v_fma_f32 v32, 0x3fb8aa3b, v3, -v16
	v_rndne_f32_e32 v33, v16
	v_fma_f32 v36, 0x3fb8aa3b, v7, -v22
	v_exp_f32_e32 v12, v12
	v_rndne_f32_e32 v37, v22
	v_fmac_f32_e32 v32, 0x32a5705f, v3
	v_sub_f32_e32 v16, v16, v33
	v_exp_f32_e32 v14, v14
	v_cndmask_b32_e64 v11, 0, v11, s4
	v_cmp_ngt_f32_e64 s4, 0xc2ce8ed0, v6
	v_cvt_i32_f32_e32 v31, v31
	v_add_f32_e32 v16, v16, v32
	v_fmac_f32_e32 v36, 0x32a5705f, v7
	v_ldexp_f32 v12, v12, v27
	v_sub_f32_e32 v22, v22, v37
	v_ldexp_f32 v13, v13, v29
	v_exp_f32_e32 v16, v16
	v_cvt_i32_f32_e32 v33, v33
	v_cndmask_b32_e64 v12, 0, v12, s4
	v_cmp_ngt_f32_e64 s4, 0xc2ce8ed0, v8
	v_add_f32_e32 v22, v22, v36
	v_exp_f32_e32 v21, v21
	v_ldexp_f32 v14, v14, v31
	v_cvt_i32_f32_e32 v35, v35
	v_cndmask_b32_e64 v13, 0, v13, s4
	v_cmp_ngt_f32_e64 s4, 0xc2ce8ed0, v10
	v_exp_f32_e32 v22, v22
	v_ldexp_f32 v16, v16, v33
	v_exp_f32_e32 v23, v23
	v_cvt_i32_f32_e32 v24, v37
	v_cndmask_b32_e64 v14, 0, v14, s4
	v_cmp_ngt_f32_e64 s4, 0xc2ce8ed0, v3
	v_ldexp_f32 v21, v21, v35
	v_cvt_i32_f32_e32 v26, v39
	s_delay_alu instid0(VALU_DEP_3)
	v_cndmask_b32_e64 v16, 0, v16, s4
	v_cmp_ngt_f32_e64 s4, 0xc2ce8ed0, v4
	v_ldexp_f32 v22, v22, v24
	s_delay_alu instid0(TRANS32_DEP_1) | instid1(VALU_DEP_4)
	v_ldexp_f32 v23, v23, v26
	s_delay_alu instid0(VALU_DEP_3) | instskip(SKIP_1) | instid1(VALU_DEP_1)
	v_cndmask_b32_e64 v21, 0, v21, s4
	v_cmp_ngt_f32_e64 s4, 0xc2ce8ed0, v7
	v_cndmask_b32_e64 v22, 0, v22, s4
	v_cmp_ngt_f32_e64 s4, 0xc2ce8ed0, v9
	s_delay_alu instid0(VALU_DEP_1) | instskip(SKIP_1) | instid1(VALU_DEP_1)
	v_cndmask_b32_e64 v23, 0, v23, s4
	v_cmp_nlt_f32_e64 s4, 0x42b17218, v2
	v_cndmask_b32_e64 v11, 0x7f800000, v11, s4
	v_cmp_nlt_f32_e64 s4, 0x42b17218, v6
	s_delay_alu instid0(VALU_DEP_1) | instskip(SKIP_1) | instid1(VALU_DEP_2)
	v_cndmask_b32_e64 v12, 0x7f800000, v12, s4
	v_cmp_nlt_f32_e64 s4, 0x42b17218, v3
	v_add_f32_e32 v11, v11, v12
	s_delay_alu instid0(VALU_DEP_2) | instskip(SKIP_1) | instid1(VALU_DEP_1)
	v_cndmask_b32_e64 v16, 0x7f800000, v16, s4
	v_cmp_nlt_f32_e64 s4, 0x42b17218, v4
	v_cndmask_b32_e64 v21, 0x7f800000, v21, s4
	v_cmp_nlt_f32_e64 s4, 0x42b17218, v8
	s_delay_alu instid0(VALU_DEP_2) | instskip(NEXT) | instid1(VALU_DEP_2)
	v_add_f32_e32 v12, v16, v21
	v_cndmask_b32_e64 v13, 0x7f800000, v13, s4
	v_cmp_nlt_f32_e64 s4, 0x42b17218, v7
	s_delay_alu instid0(VALU_DEP_2) | instskip(NEXT) | instid1(VALU_DEP_2)
	v_add_f32_e32 v11, v11, v13
	;; [unrolled: 4-line block ×4, first 2 shown]
	v_cndmask_b32_e64 v16, 0x7f800000, v23, s4
	ds_bpermute_b32 v13, v15, v11
	v_add_f32_e32 v12, v12, v16
	ds_bpermute_b32 v14, v15, v12
	s_waitcnt lgkmcnt(1)
	v_add_f32_e32 v11, v11, v13
	ds_bpermute_b32 v13, v17, v11
	s_waitcnt lgkmcnt(1)
	v_add_f32_e32 v12, v12, v14
	ds_bpermute_b32 v14, v17, v12
	s_waitcnt lgkmcnt(1)
	v_add_f32_e32 v11, v11, v13
	ds_bpermute_b32 v13, v18, v11
	s_waitcnt lgkmcnt(1)
	v_add_f32_e32 v12, v12, v14
	ds_bpermute_b32 v14, v18, v12
	s_waitcnt lgkmcnt(1)
	v_add_f32_e32 v11, v11, v13
	ds_bpermute_b32 v13, v19, v11
	s_waitcnt lgkmcnt(1)
	v_add_f32_e32 v12, v12, v14
	ds_bpermute_b32 v14, v19, v12
	s_waitcnt lgkmcnt(1)
	v_add_f32_e32 v13, v11, v13
	s_waitcnt lgkmcnt(0)
	v_add_f32_e32 v11, v12, v14
	ds_bpermute_b32 v14, v20, v13
	ds_bpermute_b32 v12, v20, v11
	s_and_saveexec_b32 s4, s3
	s_cbranch_execz .LBB50_28
; %bb.17:
	v_add_co_u32 v0, s3, s16, v0
	s_delay_alu instid0(VALU_DEP_1)
	v_add_co_ci_u32_e64 v1, s3, s17, v1, s3
	s_and_saveexec_b32 s5, s1
	s_cbranch_execz .LBB50_22
; %bb.18:
	s_waitcnt lgkmcnt(1)
	v_add_f32_e32 v13, v13, v14
	s_delay_alu instid0(VALU_DEP_1) | instskip(NEXT) | instid1(VALU_DEP_1)
	v_cmp_gt_f32_e64 s3, 0x800000, v13
	v_cndmask_b32_e64 v14, 1.0, 0x4f800000, s3
	s_delay_alu instid0(VALU_DEP_1) | instskip(NEXT) | instid1(VALU_DEP_1)
	v_mul_f32_e32 v13, v13, v14
	v_log_f32_e32 v13, v13
	s_waitcnt_depctr 0xfff
	v_mul_f32_e32 v14, 0x3f317217, v13
	v_cmp_gt_f32_e64 s4, 0x7f800000, |v13|
	s_delay_alu instid0(VALU_DEP_2) | instskip(NEXT) | instid1(VALU_DEP_1)
	v_fma_f32 v15, 0x3f317217, v13, -v14
	v_fmamk_f32 v15, v13, 0x3377d1cf, v15
	s_delay_alu instid0(VALU_DEP_1) | instskip(NEXT) | instid1(VALU_DEP_1)
	v_add_f32_e32 v14, v14, v15
	v_cndmask_b32_e64 v13, v13, v14, s4
	v_cndmask_b32_e64 v14, 0, 0x41b17218, s3
	s_delay_alu instid0(VALU_DEP_1) | instskip(NEXT) | instid1(VALU_DEP_1)
	v_sub_f32_e32 v13, v13, v14
	v_sub_f32_e32 v2, v2, v13
	global_store_b32 v[0:1], v2, off
	s_and_b32 exec_lo, exec_lo, vcc_lo
	s_cbranch_execz .LBB50_22
; %bb.19:
	v_sub_f32_e32 v2, v6, v13
	global_store_b32 v[0:1], v2, off offset:128
	s_and_b32 exec_lo, exec_lo, s0
	s_cbranch_execz .LBB50_22
; %bb.20:
	v_sub_f32_e32 v2, v8, v13
	global_store_b32 v[0:1], v2, off offset:256
	s_and_b32 exec_lo, exec_lo, s2
	s_cbranch_execz .LBB50_22
; %bb.21:
	v_sub_f32_e32 v2, v10, v13
	global_store_b32 v[0:1], v2, off offset:384
.LBB50_22:
	s_or_b32 exec_lo, exec_lo, s5
	v_cmp_ne_u32_e64 s3, 1, v5
	s_delay_alu instid0(VALU_DEP_1)
	s_and_b32 exec_lo, exec_lo, s3
	s_cbranch_execz .LBB50_28
; %bb.23:
	s_and_b32 exec_lo, exec_lo, s1
	s_cbranch_execz .LBB50_28
; %bb.24:
	s_waitcnt lgkmcnt(0)
	v_add_f32_e32 v2, v11, v12
	s_ashr_i32 s23, s22, 31
	s_delay_alu instid0(SALU_CYCLE_1) | instskip(NEXT) | instid1(VALU_DEP_1)
	s_lshl_b64 s[4:5], s[22:23], 2
	v_cmp_gt_f32_e64 s1, 0x800000, v2
	s_delay_alu instid0(VALU_DEP_1) | instskip(NEXT) | instid1(VALU_DEP_1)
	v_cndmask_b32_e64 v5, 1.0, 0x4f800000, s1
	v_mul_f32_e32 v2, v2, v5
	s_delay_alu instid0(VALU_DEP_1) | instskip(SKIP_2) | instid1(VALU_DEP_1)
	v_log_f32_e32 v2, v2
	s_waitcnt_depctr 0xfff
	v_mul_f32_e32 v5, 0x3f317217, v2
	v_fma_f32 v6, 0x3f317217, v2, -v5
	s_delay_alu instid0(VALU_DEP_1) | instskip(NEXT) | instid1(VALU_DEP_1)
	v_fmamk_f32 v6, v2, 0x3377d1cf, v6
	v_add_f32_e32 v5, v5, v6
	v_cndmask_b32_e64 v6, 0, 0x41b17218, s1
	v_cmp_gt_f32_e64 s1, 0x7f800000, |v2|
	s_delay_alu instid0(VALU_DEP_1) | instskip(SKIP_1) | instid1(VALU_DEP_1)
	v_cndmask_b32_e64 v2, v2, v5, s1
	v_add_co_u32 v0, s1, v0, s4
	v_add_co_ci_u32_e64 v1, s1, s5, v1, s1
	s_delay_alu instid0(VALU_DEP_3) | instskip(NEXT) | instid1(VALU_DEP_1)
	v_sub_f32_e32 v2, v2, v6
	v_sub_f32_e32 v3, v3, v2
	global_store_b32 v[0:1], v3, off
	s_and_b32 exec_lo, exec_lo, vcc_lo
	s_cbranch_execz .LBB50_28
; %bb.25:
	v_sub_f32_e32 v3, v4, v2
	global_store_b32 v[0:1], v3, off offset:128
	s_and_b32 exec_lo, exec_lo, s0
	s_cbranch_execz .LBB50_28
; %bb.26:
	v_sub_f32_e32 v3, v7, v2
	global_store_b32 v[0:1], v3, off offset:256
	s_and_b32 exec_lo, exec_lo, s2
	s_cbranch_execz .LBB50_28
; %bb.27:
	v_sub_f32_e32 v2, v9, v2
	global_store_b32 v[0:1], v2, off offset:384
.LBB50_28:
	s_nop 0
	s_sendmsg sendmsg(MSG_DEALLOC_VGPRS)
	s_endpgm
	.section	.rodata,"a",@progbits
	.p2align	6, 0x0
	.amdhsa_kernel _ZN12_GLOBAL__N_120softmax_warp_forwardIfffLi7ELb1ELb0ELi32EEEvPT0_PKT_iiiPKbib
		.amdhsa_group_segment_fixed_size 0
		.amdhsa_private_segment_fixed_size 0
		.amdhsa_kernarg_size 304
		.amdhsa_user_sgpr_count 15
		.amdhsa_user_sgpr_dispatch_ptr 0
		.amdhsa_user_sgpr_queue_ptr 0
		.amdhsa_user_sgpr_kernarg_segment_ptr 1
		.amdhsa_user_sgpr_dispatch_id 0
		.amdhsa_user_sgpr_private_segment_size 0
		.amdhsa_wavefront_size32 1
		.amdhsa_uses_dynamic_stack 0
		.amdhsa_enable_private_segment 0
		.amdhsa_system_sgpr_workgroup_id_x 1
		.amdhsa_system_sgpr_workgroup_id_y 0
		.amdhsa_system_sgpr_workgroup_id_z 0
		.amdhsa_system_sgpr_workgroup_info 0
		.amdhsa_system_vgpr_workitem_id 1
		.amdhsa_next_free_vgpr 40
		.amdhsa_next_free_sgpr 24
		.amdhsa_reserve_vcc 1
		.amdhsa_float_round_mode_32 0
		.amdhsa_float_round_mode_16_64 0
		.amdhsa_float_denorm_mode_32 3
		.amdhsa_float_denorm_mode_16_64 3
		.amdhsa_dx10_clamp 1
		.amdhsa_ieee_mode 1
		.amdhsa_fp16_overflow 0
		.amdhsa_workgroup_processor_mode 1
		.amdhsa_memory_ordered 1
		.amdhsa_forward_progress 0
		.amdhsa_shared_vgpr_count 0
		.amdhsa_exception_fp_ieee_invalid_op 0
		.amdhsa_exception_fp_denorm_src 0
		.amdhsa_exception_fp_ieee_div_zero 0
		.amdhsa_exception_fp_ieee_overflow 0
		.amdhsa_exception_fp_ieee_underflow 0
		.amdhsa_exception_fp_ieee_inexact 0
		.amdhsa_exception_int_div_zero 0
	.end_amdhsa_kernel
	.section	.text._ZN12_GLOBAL__N_120softmax_warp_forwardIfffLi7ELb1ELb0ELi32EEEvPT0_PKT_iiiPKbib,"axG",@progbits,_ZN12_GLOBAL__N_120softmax_warp_forwardIfffLi7ELb1ELb0ELi32EEEvPT0_PKT_iiiPKbib,comdat
.Lfunc_end50:
	.size	_ZN12_GLOBAL__N_120softmax_warp_forwardIfffLi7ELb1ELb0ELi32EEEvPT0_PKT_iiiPKbib, .Lfunc_end50-_ZN12_GLOBAL__N_120softmax_warp_forwardIfffLi7ELb1ELb0ELi32EEEvPT0_PKT_iiiPKbib
                                        ; -- End function
	.section	.AMDGPU.csdata,"",@progbits
; Kernel info:
; codeLenInByte = 2728
; NumSgprs: 26
; NumVgprs: 40
; ScratchSize: 0
; MemoryBound: 0
; FloatMode: 240
; IeeeMode: 1
; LDSByteSize: 0 bytes/workgroup (compile time only)
; SGPRBlocks: 3
; VGPRBlocks: 4
; NumSGPRsForWavesPerEU: 26
; NumVGPRsForWavesPerEU: 40
; Occupancy: 16
; WaveLimiterHint : 0
; COMPUTE_PGM_RSRC2:SCRATCH_EN: 0
; COMPUTE_PGM_RSRC2:USER_SGPR: 15
; COMPUTE_PGM_RSRC2:TRAP_HANDLER: 0
; COMPUTE_PGM_RSRC2:TGID_X_EN: 1
; COMPUTE_PGM_RSRC2:TGID_Y_EN: 0
; COMPUTE_PGM_RSRC2:TGID_Z_EN: 0
; COMPUTE_PGM_RSRC2:TIDIG_COMP_CNT: 1
	.section	.text._ZN12_GLOBAL__N_120softmax_warp_forwardIfffLi8ELb1ELb0ELi64EEEvPT0_PKT_iiiPKbib,"axG",@progbits,_ZN12_GLOBAL__N_120softmax_warp_forwardIfffLi8ELb1ELb0ELi64EEEvPT0_PKT_iiiPKbib,comdat
	.globl	_ZN12_GLOBAL__N_120softmax_warp_forwardIfffLi8ELb1ELb0ELi64EEEvPT0_PKT_iiiPKbib ; -- Begin function _ZN12_GLOBAL__N_120softmax_warp_forwardIfffLi8ELb1ELb0ELi64EEEvPT0_PKT_iiiPKbib
	.p2align	8
	.type	_ZN12_GLOBAL__N_120softmax_warp_forwardIfffLi8ELb1ELb0ELi64EEEvPT0_PKT_iiiPKbib,@function
_ZN12_GLOBAL__N_120softmax_warp_forwardIfffLi8ELb1ELb0ELi64EEEvPT0_PKT_iiiPKbib: ; @_ZN12_GLOBAL__N_120softmax_warp_forwardIfffLi8ELb1ELb0ELi64EEEvPT0_PKT_iiiPKbib
; %bb.0:
	s_clause 0x1
	s_load_b32 s2, s[0:1], 0x3c
	s_load_b256 s[4:11], s[0:1], 0x0
	v_bfe_u32 v1, v0, 10, 10
	v_mov_b32_e32 v6, 0xff800000
	v_mov_b32_e32 v8, 0xff800000
	s_waitcnt lgkmcnt(0)
	s_lshr_b32 s0, s2, 16
	s_delay_alu instid0(SALU_CYCLE_1) | instskip(SKIP_1) | instid1(VALU_DEP_1)
	v_mad_u64_u32 v[3:4], null, s15, s0, v[1:2]
	v_and_b32_e32 v2, 0x3ff, v0
	v_cmp_gt_i32_e64 s0, s10, v2
	s_delay_alu instid0(VALU_DEP_3) | instskip(SKIP_1) | instid1(VALU_DEP_1)
	v_mad_u64_u32 v[0:1], null, v3, s9, v[2:3]
	v_sub_nc_u32_e32 v5, s8, v3
	v_cmp_lt_i32_e64 s3, 0, v5
	s_delay_alu instid0(VALU_DEP_3) | instskip(NEXT) | instid1(VALU_DEP_2)
	v_ashrrev_i32_e32 v1, 31, v0
	s_and_b32 s2, s3, s0
	s_delay_alu instid0(VALU_DEP_1) | instskip(NEXT) | instid1(VALU_DEP_1)
	v_lshlrev_b64 v[0:1], 2, v[0:1]
	v_add_co_u32 v3, vcc_lo, s6, v0
	s_delay_alu instid0(VALU_DEP_2)
	v_add_co_ci_u32_e32 v4, vcc_lo, s7, v1, vcc_lo
	s_and_saveexec_b32 s1, s2
	s_cbranch_execz .LBB51_2
; %bb.1:
	global_load_b32 v8, v[3:4], off
.LBB51_2:
	s_or_b32 exec_lo, exec_lo, s1
	v_add_nc_u32_e32 v7, 64, v2
	s_delay_alu instid0(VALU_DEP_1) | instskip(SKIP_1) | instid1(SALU_CYCLE_1)
	v_cmp_gt_i32_e32 vcc_lo, s10, v7
	s_and_b32 s2, s3, vcc_lo
	s_and_saveexec_b32 s1, s2
	s_cbranch_execz .LBB51_4
; %bb.3:
	global_load_b32 v6, v[3:4], off offset:256
.LBB51_4:
	s_or_b32 exec_lo, exec_lo, s1
	v_add_nc_u32_e32 v7, 0x80, v2
	v_mov_b32_e32 v9, 0xff800000
	s_delay_alu instid0(VALU_DEP_2) | instskip(SKIP_1) | instid1(VALU_DEP_2)
	v_cmp_gt_i32_e64 s1, s10, v7
	v_mov_b32_e32 v7, 0xff800000
	s_and_b32 s6, s3, s1
	s_delay_alu instid0(SALU_CYCLE_1)
	s_and_saveexec_b32 s2, s6
	s_cbranch_execz .LBB51_6
; %bb.5:
	global_load_b32 v9, v[3:4], off offset:512
.LBB51_6:
	s_or_b32 exec_lo, exec_lo, s2
	v_add_nc_u32_e32 v2, 0xc0, v2
	s_delay_alu instid0(VALU_DEP_1) | instskip(NEXT) | instid1(VALU_DEP_1)
	v_cmp_gt_i32_e64 s2, s10, v2
	s_and_b32 s6, s3, s2
	s_delay_alu instid0(SALU_CYCLE_1)
	s_and_saveexec_b32 s3, s6
	s_cbranch_execz .LBB51_8
; %bb.7:
	global_load_b32 v7, v[3:4], off offset:768
.LBB51_8:
	s_or_b32 exec_lo, exec_lo, s3
	s_waitcnt vmcnt(0)
	v_cmp_gt_f32_e64 s3, v8, v6
	v_mbcnt_lo_u32_b32 v2, -1, 0
	s_mov_b32 s6, exec_lo
	s_delay_alu instid0(VALU_DEP_2) | instskip(NEXT) | instid1(VALU_DEP_2)
	v_cndmask_b32_e64 v3, v6, v8, s3
	v_or_b32_e32 v4, 32, v2
	v_xor_b32_e32 v11, 16, v2
	v_xor_b32_e32 v12, 8, v2
	;; [unrolled: 1-line block ×3, first 2 shown]
	v_cmp_gt_f32_e64 s3, v3, v9
	v_xor_b32_e32 v14, 2, v2
	v_xor_b32_e32 v15, 1, v2
	s_delay_alu instid0(VALU_DEP_3) | instskip(SKIP_1) | instid1(VALU_DEP_1)
	v_cndmask_b32_e64 v3, v9, v3, s3
	v_cmp_gt_i32_e64 s3, 64, v4
	v_cndmask_b32_e64 v4, v2, v4, s3
	s_delay_alu instid0(VALU_DEP_3) | instskip(NEXT) | instid1(VALU_DEP_2)
	v_cmp_gt_f32_e64 s3, v3, v7
	v_lshlrev_b32_e32 v10, 2, v4
	s_delay_alu instid0(VALU_DEP_2) | instskip(SKIP_3) | instid1(VALU_DEP_1)
	v_cndmask_b32_e64 v3, v7, v3, s3
	v_cmp_gt_i32_e64 s3, 64, v11
	ds_bpermute_b32 v4, v10, v3
	v_cndmask_b32_e64 v11, v2, v11, s3
	v_lshlrev_b32_e32 v11, 2, v11
	s_waitcnt lgkmcnt(0)
	v_cmp_lt_f32_e64 s3, v3, v4
	s_delay_alu instid0(VALU_DEP_1) | instskip(SKIP_3) | instid1(VALU_DEP_1)
	v_cndmask_b32_e64 v3, v3, v4, s3
	v_cmp_gt_i32_e64 s3, 64, v12
	ds_bpermute_b32 v4, v11, v3
	v_cndmask_b32_e64 v12, v2, v12, s3
	v_lshlrev_b32_e32 v12, 2, v12
	s_waitcnt lgkmcnt(0)
	v_cmp_lt_f32_e64 s3, v3, v4
	s_delay_alu instid0(VALU_DEP_1) | instskip(SKIP_3) | instid1(VALU_DEP_1)
	;; [unrolled: 8-line block ×5, first 2 shown]
	v_cndmask_b32_e64 v2, v3, v4, s3
	ds_bpermute_b32 v3, v15, v2
	s_waitcnt lgkmcnt(0)
	v_cmp_lt_f32_e64 s3, v2, v3
	v_cndmask_b32_e64 v16, v2, v3, s3
	s_delay_alu instid0(VALU_DEP_1) | instskip(SKIP_2) | instid1(VALU_DEP_3)
	v_sub_f32_e32 v2, v8, v16
	v_sub_f32_e32 v3, v6, v16
	;; [unrolled: 1-line block ×3, first 2 shown]
	v_dual_sub_f32 v4, v9, v16 :: v_dual_mul_f32 v7, 0x3fb8aa3b, v2
	s_delay_alu instid0(VALU_DEP_3) | instskip(SKIP_1) | instid1(VALU_DEP_3)
	v_mul_f32_e32 v8, 0x3fb8aa3b, v3
	v_cmp_ngt_f32_e64 s3, 0xc2ce8ed0, v2
	v_mul_f32_e32 v9, 0x3fb8aa3b, v4
	s_delay_alu instid0(VALU_DEP_4)
	v_fma_f32 v17, 0x3fb8aa3b, v2, -v7
	v_rndne_f32_e32 v18, v7
	v_rndne_f32_e32 v20, v8
	v_fma_f32 v19, 0x3fb8aa3b, v3, -v8
	v_fma_f32 v21, 0x3fb8aa3b, v4, -v9
	v_fmac_f32_e32 v17, 0x32a5705f, v2
	s_delay_alu instid0(VALU_DEP_4) | instskip(SKIP_3) | instid1(VALU_DEP_4)
	v_dual_sub_f32 v7, v7, v18 :: v_dual_sub_f32 v8, v8, v20
	v_mul_f32_e32 v16, 0x3fb8aa3b, v6
	v_rndne_f32_e32 v22, v9
	v_cvt_i32_f32_e32 v18, v18
	v_add_f32_e32 v7, v7, v17
	s_delay_alu instid0(VALU_DEP_4) | instskip(SKIP_2) | instid1(VALU_DEP_4)
	v_fma_f32 v23, 0x3fb8aa3b, v6, -v16
	v_rndne_f32_e32 v17, v16
	v_fmac_f32_e32 v19, 0x32a5705f, v3
	v_exp_f32_e32 v7, v7
	s_delay_alu instid0(VALU_DEP_2) | instskip(NEXT) | instid1(VALU_DEP_2)
	v_dual_fmac_f32 v23, 0x32a5705f, v6 :: v_dual_sub_f32 v16, v16, v17
	v_dual_fmac_f32 v21, 0x32a5705f, v4 :: v_dual_add_f32 v8, v8, v19
	v_sub_f32_e32 v9, v9, v22
	v_cvt_i32_f32_e32 v19, v20
	s_delay_alu instid0(VALU_DEP_4) | instskip(SKIP_3) | instid1(TRANS32_DEP_2)
	v_add_f32_e32 v16, v16, v23
	v_cvt_i32_f32_e32 v20, v22
	v_exp_f32_e32 v8, v8
	v_add_f32_e32 v9, v9, v21
	v_ldexp_f32 v7, v7, v18
	v_exp_f32_e32 v16, v16
	v_cvt_i32_f32_e32 v17, v17
	s_delay_alu instid0(VALU_DEP_3) | instskip(NEXT) | instid1(VALU_DEP_2)
	v_exp_f32_e32 v9, v9
	v_cndmask_b32_e64 v7, 0, v7, s3
	v_cmp_ngt_f32_e64 s3, 0xc2ce8ed0, v3
	s_delay_alu instid0(TRANS32_DEP_3)
	v_ldexp_f32 v8, v8, v19
	s_waitcnt_depctr 0xfff
	v_ldexp_f32 v16, v16, v17
	v_cndmask_b32_e64 v8, 0, v8, s3
	v_ldexp_f32 v9, v9, v20
	v_cmp_ngt_f32_e64 s3, 0xc2ce8ed0, v4
	s_delay_alu instid0(VALU_DEP_1) | instskip(SKIP_1) | instid1(VALU_DEP_1)
	v_cndmask_b32_e64 v9, 0, v9, s3
	v_cmp_nlt_f32_e64 s3, 0x42b17218, v2
	v_cndmask_b32_e64 v7, 0x7f800000, v7, s3
	v_cmp_nlt_f32_e64 s3, 0x42b17218, v3
	s_delay_alu instid0(VALU_DEP_1) | instskip(SKIP_1) | instid1(VALU_DEP_2)
	v_cndmask_b32_e64 v8, 0x7f800000, v8, s3
	v_cmp_nlt_f32_e64 s3, 0x42b17218, v4
	v_add_f32_e32 v7, v7, v8
	s_delay_alu instid0(VALU_DEP_2) | instskip(SKIP_1) | instid1(VALU_DEP_2)
	v_cndmask_b32_e64 v9, 0x7f800000, v9, s3
	v_cmp_ngt_f32_e64 s3, 0xc2ce8ed0, v6
	v_add_f32_e32 v7, v7, v9
	s_delay_alu instid0(VALU_DEP_2) | instskip(SKIP_1) | instid1(VALU_DEP_1)
	v_cndmask_b32_e64 v8, 0, v16, s3
	v_cmp_nlt_f32_e64 s3, 0x42b17218, v6
	v_cndmask_b32_e64 v8, 0x7f800000, v8, s3
	s_delay_alu instid0(VALU_DEP_1)
	v_add_f32_e32 v7, v7, v8
	ds_bpermute_b32 v8, v10, v7
	s_waitcnt lgkmcnt(0)
	v_add_f32_e32 v7, v7, v8
	ds_bpermute_b32 v8, v11, v7
	s_waitcnt lgkmcnt(0)
	;; [unrolled: 3-line block ×5, first 2 shown]
	v_add_f32_e32 v7, v7, v8
	ds_bpermute_b32 v8, v15, v7
	v_cmpx_lt_i32_e32 0, v5
	s_cbranch_execz .LBB51_14
; %bb.9:
	s_and_b32 exec_lo, exec_lo, s0
	s_cbranch_execz .LBB51_14
; %bb.10:
	s_waitcnt lgkmcnt(0)
	v_add_f32_e32 v5, v7, v8
	s_delay_alu instid0(VALU_DEP_1) | instskip(NEXT) | instid1(VALU_DEP_1)
	v_cmp_gt_f32_e64 s0, 0x800000, v5
	v_cndmask_b32_e64 v7, 1.0, 0x4f800000, s0
	s_delay_alu instid0(VALU_DEP_1) | instskip(NEXT) | instid1(VALU_DEP_1)
	v_mul_f32_e32 v5, v5, v7
	v_log_f32_e32 v5, v5
	s_waitcnt_depctr 0xfff
	v_mul_f32_e32 v7, 0x3f317217, v5
	v_cmp_gt_f32_e64 s3, 0x7f800000, |v5|
	s_delay_alu instid0(VALU_DEP_2) | instskip(NEXT) | instid1(VALU_DEP_1)
	v_fma_f32 v8, 0x3f317217, v5, -v7
	v_fmamk_f32 v8, v5, 0x3377d1cf, v8
	s_delay_alu instid0(VALU_DEP_1) | instskip(NEXT) | instid1(VALU_DEP_1)
	v_add_f32_e32 v7, v7, v8
	v_cndmask_b32_e64 v5, v5, v7, s3
	v_cndmask_b32_e64 v7, 0, 0x41b17218, s0
	v_add_co_u32 v0, s0, s4, v0
	s_delay_alu instid0(VALU_DEP_1) | instskip(NEXT) | instid1(VALU_DEP_3)
	v_add_co_ci_u32_e64 v1, s0, s5, v1, s0
	v_sub_f32_e32 v5, v5, v7
	s_delay_alu instid0(VALU_DEP_1)
	v_sub_f32_e32 v2, v2, v5
	global_store_b32 v[0:1], v2, off
	s_and_b32 exec_lo, exec_lo, vcc_lo
	s_cbranch_execz .LBB51_14
; %bb.11:
	v_sub_f32_e32 v2, v3, v5
	global_store_b32 v[0:1], v2, off offset:256
	s_and_b32 exec_lo, exec_lo, s1
	s_cbranch_execz .LBB51_14
; %bb.12:
	v_sub_f32_e32 v2, v4, v5
	global_store_b32 v[0:1], v2, off offset:512
	s_and_b32 exec_lo, exec_lo, s2
	s_cbranch_execz .LBB51_14
; %bb.13:
	v_sub_f32_e32 v2, v6, v5
	global_store_b32 v[0:1], v2, off offset:768
.LBB51_14:
	s_nop 0
	s_sendmsg sendmsg(MSG_DEALLOC_VGPRS)
	s_endpgm
	.section	.rodata,"a",@progbits
	.p2align	6, 0x0
	.amdhsa_kernel _ZN12_GLOBAL__N_120softmax_warp_forwardIfffLi8ELb1ELb0ELi64EEEvPT0_PKT_iiiPKbib
		.amdhsa_group_segment_fixed_size 0
		.amdhsa_private_segment_fixed_size 0
		.amdhsa_kernarg_size 304
		.amdhsa_user_sgpr_count 15
		.amdhsa_user_sgpr_dispatch_ptr 0
		.amdhsa_user_sgpr_queue_ptr 0
		.amdhsa_user_sgpr_kernarg_segment_ptr 1
		.amdhsa_user_sgpr_dispatch_id 0
		.amdhsa_user_sgpr_private_segment_size 0
		.amdhsa_wavefront_size32 1
		.amdhsa_uses_dynamic_stack 0
		.amdhsa_enable_private_segment 0
		.amdhsa_system_sgpr_workgroup_id_x 1
		.amdhsa_system_sgpr_workgroup_id_y 0
		.amdhsa_system_sgpr_workgroup_id_z 0
		.amdhsa_system_sgpr_workgroup_info 0
		.amdhsa_system_vgpr_workitem_id 1
		.amdhsa_next_free_vgpr 24
		.amdhsa_next_free_sgpr 16
		.amdhsa_reserve_vcc 1
		.amdhsa_float_round_mode_32 0
		.amdhsa_float_round_mode_16_64 0
		.amdhsa_float_denorm_mode_32 3
		.amdhsa_float_denorm_mode_16_64 3
		.amdhsa_dx10_clamp 1
		.amdhsa_ieee_mode 1
		.amdhsa_fp16_overflow 0
		.amdhsa_workgroup_processor_mode 1
		.amdhsa_memory_ordered 1
		.amdhsa_forward_progress 0
		.amdhsa_shared_vgpr_count 0
		.amdhsa_exception_fp_ieee_invalid_op 0
		.amdhsa_exception_fp_denorm_src 0
		.amdhsa_exception_fp_ieee_div_zero 0
		.amdhsa_exception_fp_ieee_overflow 0
		.amdhsa_exception_fp_ieee_underflow 0
		.amdhsa_exception_fp_ieee_inexact 0
		.amdhsa_exception_int_div_zero 0
	.end_amdhsa_kernel
	.section	.text._ZN12_GLOBAL__N_120softmax_warp_forwardIfffLi8ELb1ELb0ELi64EEEvPT0_PKT_iiiPKbib,"axG",@progbits,_ZN12_GLOBAL__N_120softmax_warp_forwardIfffLi8ELb1ELb0ELi64EEEvPT0_PKT_iiiPKbib,comdat
.Lfunc_end51:
	.size	_ZN12_GLOBAL__N_120softmax_warp_forwardIfffLi8ELb1ELb0ELi64EEEvPT0_PKT_iiiPKbib, .Lfunc_end51-_ZN12_GLOBAL__N_120softmax_warp_forwardIfffLi8ELb1ELb0ELi64EEEvPT0_PKT_iiiPKbib
                                        ; -- End function
	.section	.AMDGPU.csdata,"",@progbits
; Kernel info:
; codeLenInByte = 1552
; NumSgprs: 18
; NumVgprs: 24
; ScratchSize: 0
; MemoryBound: 0
; FloatMode: 240
; IeeeMode: 1
; LDSByteSize: 0 bytes/workgroup (compile time only)
; SGPRBlocks: 2
; VGPRBlocks: 2
; NumSGPRsForWavesPerEU: 18
; NumVGPRsForWavesPerEU: 24
; Occupancy: 16
; WaveLimiterHint : 0
; COMPUTE_PGM_RSRC2:SCRATCH_EN: 0
; COMPUTE_PGM_RSRC2:USER_SGPR: 15
; COMPUTE_PGM_RSRC2:TRAP_HANDLER: 0
; COMPUTE_PGM_RSRC2:TGID_X_EN: 1
; COMPUTE_PGM_RSRC2:TGID_Y_EN: 0
; COMPUTE_PGM_RSRC2:TGID_Z_EN: 0
; COMPUTE_PGM_RSRC2:TIDIG_COMP_CNT: 1
	.section	.text._ZN12_GLOBAL__N_120softmax_warp_forwardIfffLi8ELb1ELb0ELi32EEEvPT0_PKT_iiiPKbib,"axG",@progbits,_ZN12_GLOBAL__N_120softmax_warp_forwardIfffLi8ELb1ELb0ELi32EEEvPT0_PKT_iiiPKbib,comdat
	.globl	_ZN12_GLOBAL__N_120softmax_warp_forwardIfffLi8ELb1ELb0ELi32EEEvPT0_PKT_iiiPKbib ; -- Begin function _ZN12_GLOBAL__N_120softmax_warp_forwardIfffLi8ELb1ELb0ELi32EEEvPT0_PKT_iiiPKbib
	.p2align	8
	.type	_ZN12_GLOBAL__N_120softmax_warp_forwardIfffLi8ELb1ELb0ELi32EEEvPT0_PKT_iiiPKbib,@function
_ZN12_GLOBAL__N_120softmax_warp_forwardIfffLi8ELb1ELb0ELi32EEEvPT0_PKT_iiiPKbib: ; @_ZN12_GLOBAL__N_120softmax_warp_forwardIfffLi8ELb1ELb0ELi32EEEvPT0_PKT_iiiPKbib
; %bb.0:
	s_clause 0x1
	s_load_b32 s2, s[0:1], 0x3c
	s_load_b256 s[16:23], s[0:1], 0x0
	v_bfe_u32 v1, v0, 10, 10
	v_dual_mov_b32 v6, 0xff800000 :: v_dual_mov_b32 v9, 0xff800000
	s_waitcnt lgkmcnt(0)
	s_lshr_b32 s0, s2, 16
	s_delay_alu instid0(VALU_DEP_2) | instid1(SALU_CYCLE_1)
	v_mad_u64_u32 v[3:4], null, s15, s0, v[1:2]
	v_and_b32_e32 v2, 0x3ff, v0
	s_delay_alu instid0(VALU_DEP_1) | instskip(NEXT) | instid1(VALU_DEP_3)
	v_cmp_gt_i32_e64 s0, s22, v2
	v_mad_u64_u32 v[0:1], null, v3, s21, v[2:3]
	v_sub_nc_u32_e32 v5, s20, v3
	s_delay_alu instid0(VALU_DEP_1) | instskip(NEXT) | instid1(VALU_DEP_3)
	v_cmp_lt_i32_e64 s7, 0, v5
	v_ashrrev_i32_e32 v1, 31, v0
	s_delay_alu instid0(VALU_DEP_2) | instskip(NEXT) | instid1(VALU_DEP_1)
	s_and_b32 s2, s7, s0
	v_lshlrev_b64 v[0:1], 2, v[0:1]
	s_delay_alu instid0(VALU_DEP_1) | instskip(NEXT) | instid1(VALU_DEP_2)
	v_add_co_u32 v3, vcc_lo, s18, v0
	v_add_co_ci_u32_e32 v4, vcc_lo, s19, v1, vcc_lo
	s_and_saveexec_b32 s1, s2
	s_cbranch_execz .LBB52_2
; %bb.1:
	global_load_b32 v9, v[3:4], off
.LBB52_2:
	s_or_b32 exec_lo, exec_lo, s1
	v_add_nc_u32_e32 v7, 32, v2
	s_delay_alu instid0(VALU_DEP_1) | instskip(SKIP_1) | instid1(SALU_CYCLE_1)
	v_cmp_gt_i32_e32 vcc_lo, s22, v7
	s_and_b32 s2, s7, vcc_lo
	s_and_saveexec_b32 s1, s2
	s_cbranch_execz .LBB52_4
; %bb.3:
	global_load_b32 v6, v[3:4], off offset:128
.LBB52_4:
	s_or_b32 exec_lo, exec_lo, s1
	v_add_nc_u32_e32 v7, 64, v2
	v_mov_b32_e32 v11, 0xff800000
	s_delay_alu instid0(VALU_DEP_2) | instskip(SKIP_1) | instid1(VALU_DEP_2)
	v_cmp_gt_i32_e64 s1, s22, v7
	v_mov_b32_e32 v7, 0xff800000
	s_and_b32 s3, s7, s1
	s_delay_alu instid0(SALU_CYCLE_1)
	s_and_saveexec_b32 s2, s3
	s_cbranch_execz .LBB52_6
; %bb.5:
	global_load_b32 v11, v[3:4], off offset:256
.LBB52_6:
	s_or_b32 exec_lo, exec_lo, s2
	v_add_nc_u32_e32 v8, 0x60, v2
	s_delay_alu instid0(VALU_DEP_1) | instskip(NEXT) | instid1(VALU_DEP_1)
	v_cmp_gt_i32_e64 s2, s22, v8
	s_and_b32 s4, s7, s2
	s_delay_alu instid0(SALU_CYCLE_1)
	s_and_saveexec_b32 s3, s4
	s_cbranch_execz .LBB52_8
; %bb.7:
	global_load_b32 v7, v[3:4], off offset:384
.LBB52_8:
	s_or_b32 exec_lo, exec_lo, s3
	v_add_nc_u32_e32 v8, 0x80, v2
	v_mov_b32_e32 v12, 0xff800000
	s_delay_alu instid0(VALU_DEP_2) | instskip(SKIP_1) | instid1(VALU_DEP_2)
	v_cmp_gt_i32_e64 s3, s22, v8
	v_mov_b32_e32 v8, 0xff800000
	s_and_b32 s5, s7, s3
	s_delay_alu instid0(SALU_CYCLE_1)
	s_and_saveexec_b32 s4, s5
	s_cbranch_execz .LBB52_10
; %bb.9:
	global_load_b32 v12, v[3:4], off offset:512
.LBB52_10:
	s_or_b32 exec_lo, exec_lo, s4
	v_add_nc_u32_e32 v10, 0xa0, v2
	s_delay_alu instid0(VALU_DEP_1) | instskip(NEXT) | instid1(VALU_DEP_1)
	v_cmp_gt_i32_e64 s4, s22, v10
	s_and_b32 s6, s7, s4
	s_delay_alu instid0(SALU_CYCLE_1)
	;; [unrolled: 24-line block ×3, first 2 shown]
	s_and_saveexec_b32 s7, s8
	s_cbranch_execz .LBB52_16
; %bb.15:
	global_load_b32 v10, v[3:4], off offset:896
.LBB52_16:
	s_or_b32 exec_lo, exec_lo, s7
	s_waitcnt vmcnt(0)
	v_cmp_gt_f32_e64 s7, v9, v6
	v_mbcnt_lo_u32_b32 v3, -1, 0
	s_mov_b32 s8, exec_lo
	s_delay_alu instid0(VALU_DEP_2) | instskip(NEXT) | instid1(VALU_DEP_2)
	v_cndmask_b32_e64 v2, v6, v9, s7
	v_xor_b32_e32 v4, 16, v3
	v_xor_b32_e32 v15, 8, v3
	;; [unrolled: 1-line block ×4, first 2 shown]
	v_cmp_gt_f32_e64 s7, v2, v11
	v_xor_b32_e32 v18, 1, v3
	s_delay_alu instid0(VALU_DEP_2) | instskip(NEXT) | instid1(VALU_DEP_1)
	v_cndmask_b32_e64 v2, v11, v2, s7
	v_cmp_gt_f32_e64 s7, v2, v7
	s_delay_alu instid0(VALU_DEP_1) | instskip(NEXT) | instid1(VALU_DEP_1)
	v_cndmask_b32_e64 v2, v7, v2, s7
	v_cmp_gt_f32_e64 s7, v2, v12
	s_delay_alu instid0(VALU_DEP_1) | instskip(NEXT) | instid1(VALU_DEP_1)
	v_cndmask_b32_e64 v2, v12, v2, s7
	v_cmp_gt_f32_e64 s7, v2, v8
	s_delay_alu instid0(VALU_DEP_1) | instskip(SKIP_1) | instid1(VALU_DEP_1)
	v_cndmask_b32_e64 v2, v8, v2, s7
	v_cmp_gt_i32_e64 s7, 32, v4
	v_cndmask_b32_e64 v4, v3, v4, s7
	s_delay_alu instid0(VALU_DEP_3) | instskip(NEXT) | instid1(VALU_DEP_2)
	v_cmp_gt_f32_e64 s7, v2, v13
	v_lshlrev_b32_e32 v14, 2, v4
	s_delay_alu instid0(VALU_DEP_2) | instskip(NEXT) | instid1(VALU_DEP_1)
	v_cndmask_b32_e64 v2, v13, v2, s7
	v_cmp_gt_f32_e64 s7, v2, v10
	s_delay_alu instid0(VALU_DEP_1) | instskip(SKIP_3) | instid1(VALU_DEP_1)
	v_cndmask_b32_e64 v2, v10, v2, s7
	v_cmp_gt_i32_e64 s7, 32, v15
	ds_bpermute_b32 v4, v14, v2
	v_cndmask_b32_e64 v15, v3, v15, s7
	v_lshlrev_b32_e32 v15, 2, v15
	s_waitcnt lgkmcnt(0)
	v_cmp_lt_f32_e64 s7, v2, v4
	s_delay_alu instid0(VALU_DEP_1) | instskip(SKIP_3) | instid1(VALU_DEP_1)
	v_cndmask_b32_e64 v2, v2, v4, s7
	v_cmp_gt_i32_e64 s7, 32, v16
	ds_bpermute_b32 v4, v15, v2
	v_cndmask_b32_e64 v16, v3, v16, s7
	v_lshlrev_b32_e32 v16, 2, v16
	s_waitcnt lgkmcnt(0)
	v_cmp_lt_f32_e64 s7, v2, v4
	;; [unrolled: 8-line block ×4, first 2 shown]
	s_delay_alu instid0(VALU_DEP_1) | instskip(SKIP_3) | instid1(VALU_DEP_1)
	v_cndmask_b32_e64 v2, v2, v4, s7
	ds_bpermute_b32 v3, v18, v2
	s_waitcnt lgkmcnt(0)
	v_cmp_lt_f32_e64 s7, v2, v3
	v_cndmask_b32_e64 v19, v2, v3, s7
	s_delay_alu instid0(VALU_DEP_1)
	v_sub_f32_e32 v2, v9, v19
	v_sub_f32_e32 v3, v6, v19
	;; [unrolled: 1-line block ×5, first 2 shown]
	v_dual_mul_f32 v11, 0x3fb8aa3b, v2 :: v_dual_sub_f32 v10, v10, v19
	v_sub_f32_e32 v8, v8, v19
	v_cmp_ngt_f32_e64 s7, 0xc2ce8ed0, v2
	s_delay_alu instid0(VALU_DEP_3) | instskip(NEXT) | instid1(VALU_DEP_4)
	v_fma_f32 v24, 0x3fb8aa3b, v2, -v11
	v_mul_f32_e32 v23, 0x3fb8aa3b, v10
	v_sub_f32_e32 v9, v13, v19
	v_mul_f32_e32 v19, 0x3fb8aa3b, v6
	v_mul_f32_e32 v13, 0x3fb8aa3b, v4
	v_fmac_f32_e32 v24, 0x32a5705f, v2
	v_rndne_f32_e32 v25, v11
	v_mul_f32_e32 v12, 0x3fb8aa3b, v3
	v_rndne_f32_e32 v31, v19
	v_fma_f32 v28, 0x3fb8aa3b, v4, -v13
	v_rndne_f32_e32 v29, v13
	v_sub_f32_e32 v11, v11, v25
	v_fma_f32 v26, 0x3fb8aa3b, v3, -v12
	v_rndne_f32_e32 v27, v12
	s_delay_alu instid0(VALU_DEP_4) | instskip(SKIP_1) | instid1(VALU_DEP_4)
	v_dual_mul_f32 v20, 0x3fb8aa3b, v7 :: v_dual_sub_f32 v13, v13, v29
	v_fma_f32 v30, 0x3fb8aa3b, v6, -v19
	v_dual_fmac_f32 v26, 0x32a5705f, v3 :: v_dual_add_f32 v11, v11, v24
	v_dual_fmac_f32 v28, 0x32a5705f, v4 :: v_dual_sub_f32 v19, v19, v31
	v_sub_f32_e32 v12, v12, v27
	v_cvt_i32_f32_e32 v25, v25
	s_delay_alu instid0(VALU_DEP_4) | instskip(NEXT) | instid1(VALU_DEP_3)
	v_exp_f32_e32 v11, v11
	v_add_f32_e32 v13, v13, v28
	s_delay_alu instid0(VALU_DEP_3) | instskip(SKIP_2) | instid1(VALU_DEP_4)
	v_dual_mul_f32 v21, 0x3fb8aa3b, v8 :: v_dual_add_f32 v12, v12, v26
	v_cvt_i32_f32_e32 v27, v27
	v_fma_f32 v32, 0x3fb8aa3b, v7, -v20
	v_exp_f32_e32 v13, v13
	s_delay_alu instid0(VALU_DEP_3) | instskip(SKIP_2) | instid1(TRANS32_DEP_3)
	v_rndne_f32_e32 v35, v21
	v_exp_f32_e32 v12, v12
	v_cvt_i32_f32_e32 v29, v29
	v_ldexp_f32 v11, v11, v25
	v_fmac_f32_e32 v30, 0x32a5705f, v6
	v_fma_f32 v34, 0x3fb8aa3b, v8, -v21
	v_sub_f32_e32 v21, v21, v35
	v_fmac_f32_e32 v32, 0x32a5705f, v7
	v_cndmask_b32_e64 v11, 0, v11, s7
	v_add_f32_e32 v19, v19, v30
	v_cmp_ngt_f32_e64 s7, 0xc2ce8ed0, v3
	v_ldexp_f32 v12, v12, v27
	v_ldexp_f32 v13, v13, v29
	v_cvt_i32_f32_e32 v31, v31
	v_exp_f32_e32 v19, v19
	v_mul_f32_e32 v22, 0x3fb8aa3b, v9
	v_cndmask_b32_e64 v12, 0, v12, s7
	v_cmp_ngt_f32_e64 s7, 0xc2ce8ed0, v4
	v_rndne_f32_e32 v33, v20
	v_rndne_f32_e32 v39, v23
	;; [unrolled: 1-line block ×3, first 2 shown]
	v_fma_f32 v36, 0x3fb8aa3b, v9, -v22
	v_cndmask_b32_e64 v13, 0, v13, s7
	v_cmp_nlt_f32_e64 s7, 0x42b17218, v2
	v_ldexp_f32 v19, v19, v31
	v_sub_f32_e32 v20, v20, v33
	v_fma_f32 v38, 0x3fb8aa3b, v10, -v23
	v_sub_f32_e32 v23, v23, v39
	v_cndmask_b32_e64 v11, 0x7f800000, v11, s7
	v_cmp_nlt_f32_e64 s7, 0x42b17218, v3
	v_add_f32_e32 v20, v20, v32
	v_cvt_i32_f32_e32 v33, v33
	v_cvt_i32_f32_e32 v35, v35
	;; [unrolled: 1-line block ×3, first 2 shown]
	v_cndmask_b32_e64 v12, 0x7f800000, v12, s7
	v_cmp_ngt_f32_e64 s7, 0xc2ce8ed0, v6
	v_sub_f32_e32 v22, v22, v37
	v_exp_f32_e32 v20, v20
	v_cvt_i32_f32_e32 v26, v39
	v_add_f32_e32 v11, v11, v12
	v_cndmask_b32_e64 v19, 0, v19, s7
	v_cmp_nlt_f32_e64 s7, 0x42b17218, v4
	s_delay_alu instid0(VALU_DEP_1) | instskip(SKIP_1) | instid1(TRANS32_DEP_1)
	v_cndmask_b32_e64 v13, 0x7f800000, v13, s7
	v_fmac_f32_e32 v38, 0x32a5705f, v10
	v_ldexp_f32 v20, v20, v33
	v_cmp_ngt_f32_e64 s7, 0xc2ce8ed0, v7
	s_delay_alu instid0(VALU_DEP_4) | instskip(NEXT) | instid1(VALU_DEP_4)
	v_dual_add_f32 v11, v11, v13 :: v_dual_fmac_f32 v34, 0x32a5705f, v8
	v_dual_add_f32 v23, v23, v38 :: v_dual_fmac_f32 v36, 0x32a5705f, v9
	s_delay_alu instid0(VALU_DEP_3) | instskip(SKIP_1) | instid1(VALU_DEP_4)
	v_cndmask_b32_e64 v12, 0, v20, s7
	v_cmp_nlt_f32_e64 s7, 0x42b17218, v6
	v_add_f32_e32 v21, v21, v34
	s_delay_alu instid0(VALU_DEP_4) | instskip(SKIP_1) | instid1(VALU_DEP_3)
	v_exp_f32_e32 v23, v23
	v_add_f32_e32 v22, v22, v36
	v_cndmask_b32_e64 v19, 0x7f800000, v19, s7
	s_delay_alu instid0(VALU_DEP_3) | instskip(SKIP_1) | instid1(VALU_DEP_3)
	v_exp_f32_e32 v21, v21
	v_cmp_ngt_f32_e64 s7, 0xc2ce8ed0, v8
	v_exp_f32_e32 v22, v22
	s_delay_alu instid0(VALU_DEP_2) | instskip(SKIP_3) | instid1(VALU_DEP_2)
	v_add_f32_e32 v11, v11, v19
	s_waitcnt_depctr 0xfff
	v_ldexp_f32 v21, v21, v35
	v_ldexp_f32 v22, v22, v24
	v_cndmask_b32_e64 v13, 0, v21, s7
	v_cmp_nlt_f32_e64 s7, 0x42b17218, v7
	s_delay_alu instid0(VALU_DEP_1) | instskip(SKIP_1) | instid1(VALU_DEP_2)
	v_cndmask_b32_e64 v12, 0x7f800000, v12, s7
	v_cmp_ngt_f32_e64 s7, 0xc2ce8ed0, v9
	v_add_f32_e32 v11, v11, v12
	s_delay_alu instid0(VALU_DEP_2) | instskip(SKIP_2) | instid1(VALU_DEP_2)
	v_cndmask_b32_e64 v19, 0, v22, s7
	v_cmp_nlt_f32_e64 s7, 0x42b17218, v8
	v_ldexp_f32 v12, v23, v26
	v_cndmask_b32_e64 v13, 0x7f800000, v13, s7
	v_cmp_nlt_f32_e64 s7, 0x42b17218, v9
	s_delay_alu instid0(VALU_DEP_2) | instskip(NEXT) | instid1(VALU_DEP_2)
	v_add_f32_e32 v11, v11, v13
	v_cndmask_b32_e64 v19, 0x7f800000, v19, s7
	v_cmp_ngt_f32_e64 s7, 0xc2ce8ed0, v10
	s_delay_alu instid0(VALU_DEP_2) | instskip(NEXT) | instid1(VALU_DEP_2)
	v_add_f32_e32 v11, v11, v19
	v_cndmask_b32_e64 v12, 0, v12, s7
	v_cmp_nlt_f32_e64 s7, 0x42b17218, v10
	s_delay_alu instid0(VALU_DEP_1) | instskip(NEXT) | instid1(VALU_DEP_1)
	v_cndmask_b32_e64 v12, 0x7f800000, v12, s7
	v_add_f32_e32 v11, v11, v12
	ds_bpermute_b32 v12, v14, v11
	s_waitcnt lgkmcnt(0)
	v_add_f32_e32 v11, v11, v12
	ds_bpermute_b32 v12, v15, v11
	s_waitcnt lgkmcnt(0)
	;; [unrolled: 3-line block ×4, first 2 shown]
	v_add_f32_e32 v11, v11, v12
	ds_bpermute_b32 v12, v18, v11
	v_cmpx_lt_i32_e32 0, v5
	s_cbranch_execz .LBB52_26
; %bb.17:
	s_and_b32 exec_lo, exec_lo, s0
	s_cbranch_execz .LBB52_26
; %bb.18:
	s_waitcnt lgkmcnt(0)
	v_add_f32_e32 v5, v11, v12
	s_delay_alu instid0(VALU_DEP_1) | instskip(NEXT) | instid1(VALU_DEP_1)
	v_cmp_gt_f32_e64 s0, 0x800000, v5
	v_cndmask_b32_e64 v11, 1.0, 0x4f800000, s0
	s_delay_alu instid0(VALU_DEP_1) | instskip(NEXT) | instid1(VALU_DEP_1)
	v_mul_f32_e32 v5, v5, v11
	v_log_f32_e32 v5, v5
	s_waitcnt_depctr 0xfff
	v_mul_f32_e32 v11, 0x3f317217, v5
	v_cmp_gt_f32_e64 s7, 0x7f800000, |v5|
	s_delay_alu instid0(VALU_DEP_2) | instskip(NEXT) | instid1(VALU_DEP_1)
	v_fma_f32 v12, 0x3f317217, v5, -v11
	v_fmamk_f32 v12, v5, 0x3377d1cf, v12
	s_delay_alu instid0(VALU_DEP_1) | instskip(NEXT) | instid1(VALU_DEP_1)
	v_add_f32_e32 v11, v11, v12
	v_cndmask_b32_e64 v5, v5, v11, s7
	v_cndmask_b32_e64 v11, 0, 0x41b17218, s0
	v_add_co_u32 v0, s0, s16, v0
	s_delay_alu instid0(VALU_DEP_1) | instskip(NEXT) | instid1(VALU_DEP_3)
	v_add_co_ci_u32_e64 v1, s0, s17, v1, s0
	v_sub_f32_e32 v5, v5, v11
	s_delay_alu instid0(VALU_DEP_1)
	v_sub_f32_e32 v2, v2, v5
	global_store_b32 v[0:1], v2, off
	s_and_b32 exec_lo, exec_lo, vcc_lo
	s_cbranch_execz .LBB52_26
; %bb.19:
	v_sub_f32_e32 v2, v3, v5
	global_store_b32 v[0:1], v2, off offset:128
	s_and_b32 exec_lo, exec_lo, s1
	s_cbranch_execz .LBB52_26
; %bb.20:
	v_sub_f32_e32 v2, v4, v5
	global_store_b32 v[0:1], v2, off offset:256
	s_and_b32 exec_lo, exec_lo, s2
	;; [unrolled: 5-line block ×6, first 2 shown]
	s_cbranch_execz .LBB52_26
; %bb.25:
	v_sub_f32_e32 v2, v10, v5
	global_store_b32 v[0:1], v2, off offset:896
.LBB52_26:
	s_nop 0
	s_sendmsg sendmsg(MSG_DEALLOC_VGPRS)
	s_endpgm
	.section	.rodata,"a",@progbits
	.p2align	6, 0x0
	.amdhsa_kernel _ZN12_GLOBAL__N_120softmax_warp_forwardIfffLi8ELb1ELb0ELi32EEEvPT0_PKT_iiiPKbib
		.amdhsa_group_segment_fixed_size 0
		.amdhsa_private_segment_fixed_size 0
		.amdhsa_kernarg_size 304
		.amdhsa_user_sgpr_count 15
		.amdhsa_user_sgpr_dispatch_ptr 0
		.amdhsa_user_sgpr_queue_ptr 0
		.amdhsa_user_sgpr_kernarg_segment_ptr 1
		.amdhsa_user_sgpr_dispatch_id 0
		.amdhsa_user_sgpr_private_segment_size 0
		.amdhsa_wavefront_size32 1
		.amdhsa_uses_dynamic_stack 0
		.amdhsa_enable_private_segment 0
		.amdhsa_system_sgpr_workgroup_id_x 1
		.amdhsa_system_sgpr_workgroup_id_y 0
		.amdhsa_system_sgpr_workgroup_id_z 0
		.amdhsa_system_sgpr_workgroup_info 0
		.amdhsa_system_vgpr_workitem_id 1
		.amdhsa_next_free_vgpr 40
		.amdhsa_next_free_sgpr 24
		.amdhsa_reserve_vcc 1
		.amdhsa_float_round_mode_32 0
		.amdhsa_float_round_mode_16_64 0
		.amdhsa_float_denorm_mode_32 3
		.amdhsa_float_denorm_mode_16_64 3
		.amdhsa_dx10_clamp 1
		.amdhsa_ieee_mode 1
		.amdhsa_fp16_overflow 0
		.amdhsa_workgroup_processor_mode 1
		.amdhsa_memory_ordered 1
		.amdhsa_forward_progress 0
		.amdhsa_shared_vgpr_count 0
		.amdhsa_exception_fp_ieee_invalid_op 0
		.amdhsa_exception_fp_denorm_src 0
		.amdhsa_exception_fp_ieee_div_zero 0
		.amdhsa_exception_fp_ieee_overflow 0
		.amdhsa_exception_fp_ieee_underflow 0
		.amdhsa_exception_fp_ieee_inexact 0
		.amdhsa_exception_int_div_zero 0
	.end_amdhsa_kernel
	.section	.text._ZN12_GLOBAL__N_120softmax_warp_forwardIfffLi8ELb1ELb0ELi32EEEvPT0_PKT_iiiPKbib,"axG",@progbits,_ZN12_GLOBAL__N_120softmax_warp_forwardIfffLi8ELb1ELb0ELi32EEEvPT0_PKT_iiiPKbib,comdat
.Lfunc_end52:
	.size	_ZN12_GLOBAL__N_120softmax_warp_forwardIfffLi8ELb1ELb0ELi32EEEvPT0_PKT_iiiPKbib, .Lfunc_end52-_ZN12_GLOBAL__N_120softmax_warp_forwardIfffLi8ELb1ELb0ELi32EEEvPT0_PKT_iiiPKbib
                                        ; -- End function
	.section	.AMDGPU.csdata,"",@progbits
; Kernel info:
; codeLenInByte = 2300
; NumSgprs: 26
; NumVgprs: 40
; ScratchSize: 0
; MemoryBound: 0
; FloatMode: 240
; IeeeMode: 1
; LDSByteSize: 0 bytes/workgroup (compile time only)
; SGPRBlocks: 3
; VGPRBlocks: 4
; NumSGPRsForWavesPerEU: 26
; NumVGPRsForWavesPerEU: 40
; Occupancy: 16
; WaveLimiterHint : 0
; COMPUTE_PGM_RSRC2:SCRATCH_EN: 0
; COMPUTE_PGM_RSRC2:USER_SGPR: 15
; COMPUTE_PGM_RSRC2:TRAP_HANDLER: 0
; COMPUTE_PGM_RSRC2:TGID_X_EN: 1
; COMPUTE_PGM_RSRC2:TGID_Y_EN: 0
; COMPUTE_PGM_RSRC2:TGID_Z_EN: 0
; COMPUTE_PGM_RSRC2:TIDIG_COMP_CNT: 1
	.section	.text._ZN12_GLOBAL__N_120softmax_warp_forwardIfffLi9ELb1ELb0ELi64EEEvPT0_PKT_iiiPKbib,"axG",@progbits,_ZN12_GLOBAL__N_120softmax_warp_forwardIfffLi9ELb1ELb0ELi64EEEvPT0_PKT_iiiPKbib,comdat
	.globl	_ZN12_GLOBAL__N_120softmax_warp_forwardIfffLi9ELb1ELb0ELi64EEEvPT0_PKT_iiiPKbib ; -- Begin function _ZN12_GLOBAL__N_120softmax_warp_forwardIfffLi9ELb1ELb0ELi64EEEvPT0_PKT_iiiPKbib
	.p2align	8
	.type	_ZN12_GLOBAL__N_120softmax_warp_forwardIfffLi9ELb1ELb0ELi64EEEvPT0_PKT_iiiPKbib,@function
_ZN12_GLOBAL__N_120softmax_warp_forwardIfffLi9ELb1ELb0ELi64EEEvPT0_PKT_iiiPKbib: ; @_ZN12_GLOBAL__N_120softmax_warp_forwardIfffLi9ELb1ELb0ELi64EEEvPT0_PKT_iiiPKbib
; %bb.0:
	s_clause 0x1
	s_load_b32 s2, s[0:1], 0x3c
	s_load_b256 s[16:23], s[0:1], 0x0
	v_bfe_u32 v1, v0, 10, 10
	v_dual_mov_b32 v6, 0xff800000 :: v_dual_mov_b32 v9, 0xff800000
	s_waitcnt lgkmcnt(0)
	s_lshr_b32 s0, s2, 16
	s_delay_alu instid0(VALU_DEP_2) | instid1(SALU_CYCLE_1)
	v_mad_u64_u32 v[3:4], null, s15, s0, v[1:2]
	v_and_b32_e32 v2, 0x3ff, v0
	s_delay_alu instid0(VALU_DEP_1) | instskip(NEXT) | instid1(VALU_DEP_3)
	v_cmp_gt_i32_e64 s0, s22, v2
	v_mad_u64_u32 v[0:1], null, v3, s21, v[2:3]
	v_sub_nc_u32_e32 v5, s20, v3
	s_delay_alu instid0(VALU_DEP_1) | instskip(NEXT) | instid1(VALU_DEP_3)
	v_cmp_lt_i32_e64 s7, 0, v5
	v_ashrrev_i32_e32 v1, 31, v0
	s_delay_alu instid0(VALU_DEP_2) | instskip(NEXT) | instid1(VALU_DEP_1)
	s_and_b32 s2, s7, s0
	v_lshlrev_b64 v[0:1], 2, v[0:1]
	s_delay_alu instid0(VALU_DEP_1) | instskip(NEXT) | instid1(VALU_DEP_2)
	v_add_co_u32 v3, vcc_lo, s18, v0
	v_add_co_ci_u32_e32 v4, vcc_lo, s19, v1, vcc_lo
	s_and_saveexec_b32 s1, s2
	s_cbranch_execz .LBB53_2
; %bb.1:
	global_load_b32 v9, v[3:4], off
.LBB53_2:
	s_or_b32 exec_lo, exec_lo, s1
	v_add_nc_u32_e32 v7, 64, v2
	s_delay_alu instid0(VALU_DEP_1) | instskip(SKIP_1) | instid1(SALU_CYCLE_1)
	v_cmp_gt_i32_e32 vcc_lo, s22, v7
	s_and_b32 s2, s7, vcc_lo
	s_and_saveexec_b32 s1, s2
	s_cbranch_execz .LBB53_4
; %bb.3:
	global_load_b32 v6, v[3:4], off offset:256
.LBB53_4:
	s_or_b32 exec_lo, exec_lo, s1
	v_add_nc_u32_e32 v7, 0x80, v2
	v_mov_b32_e32 v11, 0xff800000
	s_delay_alu instid0(VALU_DEP_2) | instskip(SKIP_1) | instid1(VALU_DEP_2)
	v_cmp_gt_i32_e64 s1, s22, v7
	v_mov_b32_e32 v7, 0xff800000
	s_and_b32 s3, s7, s1
	s_delay_alu instid0(SALU_CYCLE_1)
	s_and_saveexec_b32 s2, s3
	s_cbranch_execz .LBB53_6
; %bb.5:
	global_load_b32 v11, v[3:4], off offset:512
.LBB53_6:
	s_or_b32 exec_lo, exec_lo, s2
	v_add_nc_u32_e32 v8, 0xc0, v2
	s_delay_alu instid0(VALU_DEP_1) | instskip(NEXT) | instid1(VALU_DEP_1)
	v_cmp_gt_i32_e64 s2, s22, v8
	s_and_b32 s4, s7, s2
	s_delay_alu instid0(SALU_CYCLE_1)
	s_and_saveexec_b32 s3, s4
	s_cbranch_execz .LBB53_8
; %bb.7:
	global_load_b32 v7, v[3:4], off offset:768
.LBB53_8:
	s_or_b32 exec_lo, exec_lo, s3
	v_add_nc_u32_e32 v8, 0x100, v2
	v_mov_b32_e32 v12, 0xff800000
	s_delay_alu instid0(VALU_DEP_2) | instskip(SKIP_1) | instid1(VALU_DEP_2)
	v_cmp_gt_i32_e64 s3, s22, v8
	v_mov_b32_e32 v8, 0xff800000
	s_and_b32 s5, s7, s3
	s_delay_alu instid0(SALU_CYCLE_1)
	s_and_saveexec_b32 s4, s5
	s_cbranch_execz .LBB53_10
; %bb.9:
	global_load_b32 v12, v[3:4], off offset:1024
.LBB53_10:
	s_or_b32 exec_lo, exec_lo, s4
	v_add_nc_u32_e32 v10, 0x140, v2
	s_delay_alu instid0(VALU_DEP_1) | instskip(NEXT) | instid1(VALU_DEP_1)
	v_cmp_gt_i32_e64 s4, s22, v10
	s_and_b32 s6, s7, s4
	s_delay_alu instid0(SALU_CYCLE_1)
	;; [unrolled: 24-line block ×3, first 2 shown]
	s_and_saveexec_b32 s7, s8
	s_cbranch_execz .LBB53_16
; %bb.15:
	global_load_b32 v10, v[3:4], off offset:1792
.LBB53_16:
	s_or_b32 exec_lo, exec_lo, s7
	s_waitcnt vmcnt(0)
	v_cmp_gt_f32_e64 s7, v9, v6
	v_mbcnt_lo_u32_b32 v3, -1, 0
	s_mov_b32 s8, exec_lo
	s_delay_alu instid0(VALU_DEP_2) | instskip(NEXT) | instid1(VALU_DEP_2)
	v_cndmask_b32_e64 v2, v6, v9, s7
	v_or_b32_e32 v4, 32, v3
	v_xor_b32_e32 v15, 16, v3
	v_xor_b32_e32 v16, 8, v3
	;; [unrolled: 1-line block ×3, first 2 shown]
	v_cmp_gt_f32_e64 s7, v2, v11
	v_xor_b32_e32 v18, 2, v3
	v_xor_b32_e32 v19, 1, v3
	s_delay_alu instid0(VALU_DEP_3) | instskip(NEXT) | instid1(VALU_DEP_1)
	v_cndmask_b32_e64 v2, v11, v2, s7
	v_cmp_gt_f32_e64 s7, v2, v7
	s_delay_alu instid0(VALU_DEP_1) | instskip(NEXT) | instid1(VALU_DEP_1)
	v_cndmask_b32_e64 v2, v7, v2, s7
	v_cmp_gt_f32_e64 s7, v2, v12
	s_delay_alu instid0(VALU_DEP_1) | instskip(NEXT) | instid1(VALU_DEP_1)
	v_cndmask_b32_e64 v2, v12, v2, s7
	v_cmp_gt_f32_e64 s7, v2, v8
	s_delay_alu instid0(VALU_DEP_1) | instskip(SKIP_1) | instid1(VALU_DEP_1)
	v_cndmask_b32_e64 v2, v8, v2, s7
	v_cmp_gt_i32_e64 s7, 64, v4
	v_cndmask_b32_e64 v4, v3, v4, s7
	s_delay_alu instid0(VALU_DEP_3) | instskip(NEXT) | instid1(VALU_DEP_2)
	v_cmp_gt_f32_e64 s7, v2, v13
	v_lshlrev_b32_e32 v14, 2, v4
	s_delay_alu instid0(VALU_DEP_2) | instskip(NEXT) | instid1(VALU_DEP_1)
	v_cndmask_b32_e64 v2, v13, v2, s7
	v_cmp_gt_f32_e64 s7, v2, v10
	s_delay_alu instid0(VALU_DEP_1) | instskip(SKIP_3) | instid1(VALU_DEP_1)
	v_cndmask_b32_e64 v2, v10, v2, s7
	v_cmp_gt_i32_e64 s7, 64, v15
	ds_bpermute_b32 v4, v14, v2
	v_cndmask_b32_e64 v15, v3, v15, s7
	v_lshlrev_b32_e32 v15, 2, v15
	s_waitcnt lgkmcnt(0)
	v_cmp_lt_f32_e64 s7, v2, v4
	s_delay_alu instid0(VALU_DEP_1) | instskip(SKIP_3) | instid1(VALU_DEP_1)
	v_cndmask_b32_e64 v2, v2, v4, s7
	v_cmp_gt_i32_e64 s7, 64, v16
	ds_bpermute_b32 v4, v15, v2
	v_cndmask_b32_e64 v16, v3, v16, s7
	v_lshlrev_b32_e32 v16, 2, v16
	s_waitcnt lgkmcnt(0)
	v_cmp_lt_f32_e64 s7, v2, v4
	;; [unrolled: 8-line block ×5, first 2 shown]
	s_delay_alu instid0(VALU_DEP_1) | instskip(SKIP_3) | instid1(VALU_DEP_1)
	v_cndmask_b32_e64 v2, v2, v4, s7
	ds_bpermute_b32 v3, v19, v2
	s_waitcnt lgkmcnt(0)
	v_cmp_lt_f32_e64 s7, v2, v3
	v_cndmask_b32_e64 v20, v2, v3, s7
	s_delay_alu instid0(VALU_DEP_1) | instskip(SKIP_4) | instid1(VALU_DEP_4)
	v_sub_f32_e32 v2, v9, v20
	v_sub_f32_e32 v3, v6, v20
	;; [unrolled: 1-line block ×5, first 2 shown]
	v_dual_mul_f32 v11, 0x3fb8aa3b, v2 :: v_dual_mul_f32 v12, 0x3fb8aa3b, v3
	v_sub_f32_e32 v9, v13, v20
	s_delay_alu instid0(VALU_DEP_3) | instskip(NEXT) | instid1(VALU_DEP_3)
	v_dual_sub_f32 v8, v8, v20 :: v_dual_mul_f32 v21, 0x3fb8aa3b, v7
	v_fma_f32 v25, 0x3fb8aa3b, v2, -v11
	v_rndne_f32_e32 v26, v11
	v_sub_f32_e32 v10, v10, v20
	v_dual_mul_f32 v20, 0x3fb8aa3b, v6 :: v_dual_mul_f32 v23, 0x3fb8aa3b, v9
	s_delay_alu instid0(VALU_DEP_4) | instskip(NEXT) | instid1(VALU_DEP_3)
	v_fmac_f32_e32 v25, 0x32a5705f, v2
	v_dual_mul_f32 v13, 0x3fb8aa3b, v4 :: v_dual_mul_f32 v24, 0x3fb8aa3b, v10
	v_dual_mul_f32 v22, 0x3fb8aa3b, v8 :: v_dual_sub_f32 v11, v11, v26
	v_fma_f32 v27, 0x3fb8aa3b, v3, -v12
	v_rndne_f32_e32 v28, v12
	s_delay_alu instid0(VALU_DEP_4) | instskip(SKIP_2) | instid1(VALU_DEP_4)
	v_fma_f32 v29, 0x3fb8aa3b, v4, -v13
	v_rndne_f32_e32 v30, v13
	v_add_f32_e32 v11, v11, v25
	v_dual_fmac_f32 v27, 0x32a5705f, v3 :: v_dual_sub_f32 v12, v12, v28
	v_rndne_f32_e32 v32, v20
	v_fmac_f32_e32 v29, 0x32a5705f, v4
	v_sub_f32_e32 v13, v13, v30
	v_exp_f32_e32 v11, v11
	v_add_f32_e32 v12, v12, v27
	v_fma_f32 v31, 0x3fb8aa3b, v6, -v20
	v_sub_f32_e32 v20, v20, v32
	v_cvt_i32_f32_e32 v26, v26
	v_add_f32_e32 v13, v13, v29
	v_exp_f32_e32 v12, v12
	v_cvt_i32_f32_e32 v28, v28
	v_cmp_ngt_f32_e64 s7, 0xc2ce8ed0, v2
	v_rndne_f32_e32 v34, v21
	v_exp_f32_e32 v13, v13
	v_ldexp_f32 v11, v11, v26
	v_rndne_f32_e32 v36, v22
	v_cvt_i32_f32_e32 v30, v30
	v_fmac_f32_e32 v31, 0x32a5705f, v6
	v_fma_f32 v33, 0x3fb8aa3b, v7, -v21
	v_ldexp_f32 v12, v12, v28
	v_cndmask_b32_e64 v11, 0, v11, s7
	v_cmp_ngt_f32_e64 s7, 0xc2ce8ed0, v3
	v_fma_f32 v35, 0x3fb8aa3b, v8, -v22
	v_dual_sub_f32 v22, v22, v36 :: v_dual_sub_f32 v21, v21, v34
	v_add_f32_e32 v20, v20, v31
	v_ldexp_f32 v13, v13, v30
	v_cndmask_b32_e64 v12, 0, v12, s7
	v_cmp_ngt_f32_e64 s7, 0xc2ce8ed0, v4
	v_rndne_f32_e32 v40, v24
	v_fmac_f32_e32 v33, 0x32a5705f, v7
	v_exp_f32_e32 v20, v20
	v_fma_f32 v39, 0x3fb8aa3b, v10, -v24
	v_cndmask_b32_e64 v13, 0, v13, s7
	v_sub_f32_e32 v24, v24, v40
	v_cmp_nlt_f32_e64 s7, 0x42b17218, v2
	v_cvt_i32_f32_e32 v32, v32
	v_add_f32_e32 v21, v21, v33
	v_fma_f32 v37, 0x3fb8aa3b, v9, -v23
	v_fmac_f32_e32 v39, 0x32a5705f, v10
	v_cndmask_b32_e64 v11, 0x7f800000, v11, s7
	v_cmp_nlt_f32_e64 s7, 0x42b17218, v3
	v_fmac_f32_e32 v35, 0x32a5705f, v8
	v_exp_f32_e32 v21, v21
	v_add_f32_e32 v24, v24, v39
	v_ldexp_f32 v20, v20, v32
	v_cndmask_b32_e64 v12, 0x7f800000, v12, s7
	v_cmp_ngt_f32_e64 s7, 0xc2ce8ed0, v6
	v_rndne_f32_e32 v38, v23
	v_cvt_i32_f32_e32 v34, v34
	v_dual_fmac_f32 v37, 0x32a5705f, v9 :: v_dual_add_f32 v22, v22, v35
	s_delay_alu instid0(VALU_DEP_4)
	v_cndmask_b32_e64 v20, 0, v20, s7
	v_cmp_nlt_f32_e64 s7, 0x42b17218, v4
	v_sub_f32_e32 v23, v23, v38
	v_ldexp_f32 v21, v21, v34
	v_exp_f32_e32 v22, v22
	v_cvt_i32_f32_e32 v36, v36
	v_cndmask_b32_e64 v13, 0x7f800000, v13, s7
	v_cmp_ngt_f32_e64 s7, 0xc2ce8ed0, v7
	v_add_f32_e32 v23, v23, v37
	v_add_f32_e32 v11, v11, v12
	v_cvt_i32_f32_e32 v25, v38
	v_exp_f32_e32 v24, v24
	v_cndmask_b32_e64 v12, 0, v21, s7
	v_cmp_nlt_f32_e64 s7, 0x42b17218, v6
	v_exp_f32_e32 v23, v23
	v_ldexp_f32 v22, v22, v36
	v_add_f32_e32 v11, v11, v13
	v_cvt_i32_f32_e32 v27, v40
	v_cndmask_b32_e64 v20, 0x7f800000, v20, s7
	v_cmp_ngt_f32_e64 s7, 0xc2ce8ed0, v8
	s_delay_alu instid0(VALU_DEP_2) | instskip(NEXT) | instid1(VALU_DEP_2)
	v_add_f32_e32 v11, v11, v20
	v_cndmask_b32_e64 v13, 0, v22, s7
	v_cmp_nlt_f32_e64 s7, 0x42b17218, v7
	s_delay_alu instid0(TRANS32_DEP_1) | instskip(NEXT) | instid1(VALU_DEP_2)
	v_ldexp_f32 v23, v23, v25
	v_cndmask_b32_e64 v12, 0x7f800000, v12, s7
	v_cmp_ngt_f32_e64 s7, 0xc2ce8ed0, v9
	s_delay_alu instid0(VALU_DEP_2) | instskip(NEXT) | instid1(VALU_DEP_2)
	v_add_f32_e32 v11, v11, v12
	v_cndmask_b32_e64 v20, 0, v23, s7
	v_cmp_nlt_f32_e64 s7, 0x42b17218, v8
	v_ldexp_f32 v12, v24, v27
	s_delay_alu instid0(VALU_DEP_2) | instskip(SKIP_1) | instid1(VALU_DEP_2)
	v_cndmask_b32_e64 v13, 0x7f800000, v13, s7
	v_cmp_nlt_f32_e64 s7, 0x42b17218, v9
	v_add_f32_e32 v11, v11, v13
	s_delay_alu instid0(VALU_DEP_2) | instskip(SKIP_1) | instid1(VALU_DEP_2)
	v_cndmask_b32_e64 v20, 0x7f800000, v20, s7
	v_cmp_ngt_f32_e64 s7, 0xc2ce8ed0, v10
	v_add_f32_e32 v11, v11, v20
	s_delay_alu instid0(VALU_DEP_2) | instskip(SKIP_1) | instid1(VALU_DEP_1)
	v_cndmask_b32_e64 v12, 0, v12, s7
	v_cmp_nlt_f32_e64 s7, 0x42b17218, v10
	v_cndmask_b32_e64 v12, 0x7f800000, v12, s7
	s_delay_alu instid0(VALU_DEP_1)
	v_add_f32_e32 v11, v11, v12
	ds_bpermute_b32 v12, v14, v11
	s_waitcnt lgkmcnt(0)
	v_add_f32_e32 v11, v11, v12
	ds_bpermute_b32 v12, v15, v11
	s_waitcnt lgkmcnt(0)
	;; [unrolled: 3-line block ×5, first 2 shown]
	v_add_f32_e32 v11, v11, v12
	ds_bpermute_b32 v12, v19, v11
	v_cmpx_lt_i32_e32 0, v5
	s_cbranch_execz .LBB53_26
; %bb.17:
	s_and_b32 exec_lo, exec_lo, s0
	s_cbranch_execz .LBB53_26
; %bb.18:
	s_waitcnt lgkmcnt(0)
	v_add_f32_e32 v5, v11, v12
	s_delay_alu instid0(VALU_DEP_1) | instskip(NEXT) | instid1(VALU_DEP_1)
	v_cmp_gt_f32_e64 s0, 0x800000, v5
	v_cndmask_b32_e64 v11, 1.0, 0x4f800000, s0
	s_delay_alu instid0(VALU_DEP_1) | instskip(NEXT) | instid1(VALU_DEP_1)
	v_mul_f32_e32 v5, v5, v11
	v_log_f32_e32 v5, v5
	s_waitcnt_depctr 0xfff
	v_mul_f32_e32 v11, 0x3f317217, v5
	v_cmp_gt_f32_e64 s7, 0x7f800000, |v5|
	s_delay_alu instid0(VALU_DEP_2) | instskip(NEXT) | instid1(VALU_DEP_1)
	v_fma_f32 v12, 0x3f317217, v5, -v11
	v_fmamk_f32 v12, v5, 0x3377d1cf, v12
	s_delay_alu instid0(VALU_DEP_1) | instskip(NEXT) | instid1(VALU_DEP_1)
	v_add_f32_e32 v11, v11, v12
	v_cndmask_b32_e64 v5, v5, v11, s7
	v_cndmask_b32_e64 v11, 0, 0x41b17218, s0
	v_add_co_u32 v0, s0, s16, v0
	s_delay_alu instid0(VALU_DEP_1) | instskip(NEXT) | instid1(VALU_DEP_3)
	v_add_co_ci_u32_e64 v1, s0, s17, v1, s0
	v_sub_f32_e32 v5, v5, v11
	s_delay_alu instid0(VALU_DEP_1)
	v_sub_f32_e32 v2, v2, v5
	global_store_b32 v[0:1], v2, off
	s_and_b32 exec_lo, exec_lo, vcc_lo
	s_cbranch_execz .LBB53_26
; %bb.19:
	v_sub_f32_e32 v2, v3, v5
	global_store_b32 v[0:1], v2, off offset:256
	s_and_b32 exec_lo, exec_lo, s1
	s_cbranch_execz .LBB53_26
; %bb.20:
	v_sub_f32_e32 v2, v4, v5
	global_store_b32 v[0:1], v2, off offset:512
	s_and_b32 exec_lo, exec_lo, s2
	;; [unrolled: 5-line block ×6, first 2 shown]
	s_cbranch_execz .LBB53_26
; %bb.25:
	v_sub_f32_e32 v2, v10, v5
	global_store_b32 v[0:1], v2, off offset:1792
.LBB53_26:
	s_nop 0
	s_sendmsg sendmsg(MSG_DEALLOC_VGPRS)
	s_endpgm
	.section	.rodata,"a",@progbits
	.p2align	6, 0x0
	.amdhsa_kernel _ZN12_GLOBAL__N_120softmax_warp_forwardIfffLi9ELb1ELb0ELi64EEEvPT0_PKT_iiiPKbib
		.amdhsa_group_segment_fixed_size 0
		.amdhsa_private_segment_fixed_size 0
		.amdhsa_kernarg_size 304
		.amdhsa_user_sgpr_count 15
		.amdhsa_user_sgpr_dispatch_ptr 0
		.amdhsa_user_sgpr_queue_ptr 0
		.amdhsa_user_sgpr_kernarg_segment_ptr 1
		.amdhsa_user_sgpr_dispatch_id 0
		.amdhsa_user_sgpr_private_segment_size 0
		.amdhsa_wavefront_size32 1
		.amdhsa_uses_dynamic_stack 0
		.amdhsa_enable_private_segment 0
		.amdhsa_system_sgpr_workgroup_id_x 1
		.amdhsa_system_sgpr_workgroup_id_y 0
		.amdhsa_system_sgpr_workgroup_id_z 0
		.amdhsa_system_sgpr_workgroup_info 0
		.amdhsa_system_vgpr_workitem_id 1
		.amdhsa_next_free_vgpr 41
		.amdhsa_next_free_sgpr 24
		.amdhsa_reserve_vcc 1
		.amdhsa_float_round_mode_32 0
		.amdhsa_float_round_mode_16_64 0
		.amdhsa_float_denorm_mode_32 3
		.amdhsa_float_denorm_mode_16_64 3
		.amdhsa_dx10_clamp 1
		.amdhsa_ieee_mode 1
		.amdhsa_fp16_overflow 0
		.amdhsa_workgroup_processor_mode 1
		.amdhsa_memory_ordered 1
		.amdhsa_forward_progress 0
		.amdhsa_shared_vgpr_count 0
		.amdhsa_exception_fp_ieee_invalid_op 0
		.amdhsa_exception_fp_denorm_src 0
		.amdhsa_exception_fp_ieee_div_zero 0
		.amdhsa_exception_fp_ieee_overflow 0
		.amdhsa_exception_fp_ieee_underflow 0
		.amdhsa_exception_fp_ieee_inexact 0
		.amdhsa_exception_int_div_zero 0
	.end_amdhsa_kernel
	.section	.text._ZN12_GLOBAL__N_120softmax_warp_forwardIfffLi9ELb1ELb0ELi64EEEvPT0_PKT_iiiPKbib,"axG",@progbits,_ZN12_GLOBAL__N_120softmax_warp_forwardIfffLi9ELb1ELb0ELi64EEEvPT0_PKT_iiiPKbib,comdat
.Lfunc_end53:
	.size	_ZN12_GLOBAL__N_120softmax_warp_forwardIfffLi9ELb1ELb0ELi64EEEvPT0_PKT_iiiPKbib, .Lfunc_end53-_ZN12_GLOBAL__N_120softmax_warp_forwardIfffLi9ELb1ELb0ELi64EEEvPT0_PKT_iiiPKbib
                                        ; -- End function
	.section	.AMDGPU.csdata,"",@progbits
; Kernel info:
; codeLenInByte = 2340
; NumSgprs: 26
; NumVgprs: 41
; ScratchSize: 0
; MemoryBound: 0
; FloatMode: 240
; IeeeMode: 1
; LDSByteSize: 0 bytes/workgroup (compile time only)
; SGPRBlocks: 3
; VGPRBlocks: 5
; NumSGPRsForWavesPerEU: 26
; NumVGPRsForWavesPerEU: 41
; Occupancy: 16
; WaveLimiterHint : 0
; COMPUTE_PGM_RSRC2:SCRATCH_EN: 0
; COMPUTE_PGM_RSRC2:USER_SGPR: 15
; COMPUTE_PGM_RSRC2:TRAP_HANDLER: 0
; COMPUTE_PGM_RSRC2:TGID_X_EN: 1
; COMPUTE_PGM_RSRC2:TGID_Y_EN: 0
; COMPUTE_PGM_RSRC2:TGID_Z_EN: 0
; COMPUTE_PGM_RSRC2:TIDIG_COMP_CNT: 1
	.section	.text._ZN12_GLOBAL__N_120softmax_warp_forwardIfffLi9ELb1ELb0ELi32EEEvPT0_PKT_iiiPKbib,"axG",@progbits,_ZN12_GLOBAL__N_120softmax_warp_forwardIfffLi9ELb1ELb0ELi32EEEvPT0_PKT_iiiPKbib,comdat
	.globl	_ZN12_GLOBAL__N_120softmax_warp_forwardIfffLi9ELb1ELb0ELi32EEEvPT0_PKT_iiiPKbib ; -- Begin function _ZN12_GLOBAL__N_120softmax_warp_forwardIfffLi9ELb1ELb0ELi32EEEvPT0_PKT_iiiPKbib
	.p2align	8
	.type	_ZN12_GLOBAL__N_120softmax_warp_forwardIfffLi9ELb1ELb0ELi32EEEvPT0_PKT_iiiPKbib,@function
_ZN12_GLOBAL__N_120softmax_warp_forwardIfffLi9ELb1ELb0ELi32EEEvPT0_PKT_iiiPKbib: ; @_ZN12_GLOBAL__N_120softmax_warp_forwardIfffLi9ELb1ELb0ELi32EEEvPT0_PKT_iiiPKbib
; %bb.0:
	s_clause 0x1
	s_load_b32 s2, s[0:1], 0x3c
	s_load_b256 s[16:23], s[0:1], 0x0
	v_bfe_u32 v1, v0, 10, 10
	v_mov_b32_e32 v6, 0xff800000
	v_mov_b32_e32 v8, 0xff800000
	s_waitcnt lgkmcnt(0)
	s_lshr_b32 s0, s2, 16
	s_delay_alu instid0(SALU_CYCLE_1) | instskip(SKIP_1) | instid1(VALU_DEP_1)
	v_mad_u64_u32 v[3:4], null, s15, s0, v[1:2]
	v_and_b32_e32 v2, 0x3ff, v0
	v_cmp_gt_i32_e64 s0, s22, v2
	s_delay_alu instid0(VALU_DEP_3) | instskip(SKIP_1) | instid1(VALU_DEP_1)
	v_mad_u64_u32 v[0:1], null, v3, s21, v[2:3]
	v_sub_nc_u32_e32 v5, s20, v3
	v_cmp_lt_i32_e64 s15, 0, v5
	s_delay_alu instid0(VALU_DEP_3) | instskip(NEXT) | instid1(VALU_DEP_2)
	v_ashrrev_i32_e32 v1, 31, v0
	s_and_b32 s2, s15, s0
	s_delay_alu instid0(VALU_DEP_1) | instskip(NEXT) | instid1(VALU_DEP_1)
	v_lshlrev_b64 v[0:1], 2, v[0:1]
	v_add_co_u32 v3, vcc_lo, s18, v0
	s_delay_alu instid0(VALU_DEP_2)
	v_add_co_ci_u32_e32 v4, vcc_lo, s19, v1, vcc_lo
	s_and_saveexec_b32 s1, s2
	s_cbranch_execz .LBB54_2
; %bb.1:
	global_load_b32 v8, v[3:4], off
.LBB54_2:
	s_or_b32 exec_lo, exec_lo, s1
	v_add_nc_u32_e32 v7, 32, v2
	s_delay_alu instid0(VALU_DEP_1) | instskip(SKIP_1) | instid1(SALU_CYCLE_1)
	v_cmp_gt_i32_e32 vcc_lo, s22, v7
	s_and_b32 s2, s15, vcc_lo
	s_and_saveexec_b32 s1, s2
	s_cbranch_execz .LBB54_4
; %bb.3:
	global_load_b32 v6, v[3:4], off offset:128
.LBB54_4:
	s_or_b32 exec_lo, exec_lo, s1
	v_dual_mov_b32 v10, 0xff800000 :: v_dual_add_nc_u32 v7, 64, v2
	v_mov_b32_e32 v12, 0xff800000
	s_delay_alu instid0(VALU_DEP_2) | instskip(NEXT) | instid1(VALU_DEP_1)
	v_cmp_gt_i32_e64 s1, s22, v7
	s_and_b32 s3, s15, s1
	s_delay_alu instid0(SALU_CYCLE_1)
	s_and_saveexec_b32 s2, s3
	s_cbranch_execz .LBB54_6
; %bb.5:
	global_load_b32 v12, v[3:4], off offset:256
.LBB54_6:
	s_or_b32 exec_lo, exec_lo, s2
	v_add_nc_u32_e32 v7, 0x60, v2
	s_delay_alu instid0(VALU_DEP_1) | instskip(NEXT) | instid1(VALU_DEP_1)
	v_cmp_gt_i32_e64 s2, s22, v7
	s_and_b32 s4, s15, s2
	s_delay_alu instid0(SALU_CYCLE_1)
	s_and_saveexec_b32 s3, s4
	s_cbranch_execz .LBB54_8
; %bb.7:
	global_load_b32 v10, v[3:4], off offset:384
.LBB54_8:
	s_or_b32 exec_lo, exec_lo, s3
	v_add_nc_u32_e32 v7, 0x80, v2
	v_dual_mov_b32 v13, 0xff800000 :: v_dual_mov_b32 v14, 0xff800000
	s_delay_alu instid0(VALU_DEP_2) | instskip(NEXT) | instid1(VALU_DEP_1)
	v_cmp_gt_i32_e64 s3, s22, v7
	s_and_b32 s5, s15, s3
	s_delay_alu instid0(SALU_CYCLE_1)
	s_and_saveexec_b32 s4, s5
	s_cbranch_execz .LBB54_10
; %bb.9:
	global_load_b32 v14, v[3:4], off offset:512
.LBB54_10:
	s_or_b32 exec_lo, exec_lo, s4
	v_add_nc_u32_e32 v7, 0xa0, v2
	s_delay_alu instid0(VALU_DEP_1) | instskip(NEXT) | instid1(VALU_DEP_1)
	v_cmp_gt_i32_e64 s4, s22, v7
	s_and_b32 s6, s15, s4
	s_delay_alu instid0(SALU_CYCLE_1)
	s_and_saveexec_b32 s5, s6
	s_cbranch_execz .LBB54_12
; %bb.11:
	global_load_b32 v13, v[3:4], off offset:640
.LBB54_12:
	s_or_b32 exec_lo, exec_lo, s5
	v_add_nc_u32_e32 v7, 0xc0, v2
	v_dual_mov_b32 v15, 0xff800000 :: v_dual_mov_b32 v16, 0xff800000
	;; [unrolled: 23-line block ×6, first 2 shown]
	s_delay_alu instid0(VALU_DEP_2) | instskip(NEXT) | instid1(VALU_DEP_1)
	v_cmp_gt_i32_e64 s13, s22, v7
	s_and_b32 s18, s15, s13
	s_delay_alu instid0(SALU_CYCLE_1)
	s_and_saveexec_b32 s14, s18
	s_cbranch_execz .LBB54_30
; %bb.29:
	global_load_b32 v24, v[3:4], off offset:1792
.LBB54_30:
	s_or_b32 exec_lo, exec_lo, s14
	v_add_nc_u32_e32 v2, 0x1e0, v2
	s_delay_alu instid0(VALU_DEP_1) | instskip(NEXT) | instid1(VALU_DEP_1)
	v_cmp_gt_i32_e64 s14, s22, v2
	s_and_b32 s18, s15, s14
	s_delay_alu instid0(SALU_CYCLE_1)
	s_and_saveexec_b32 s15, s18
	s_cbranch_execz .LBB54_32
; %bb.31:
	global_load_b32 v23, v[3:4], off offset:1920
.LBB54_32:
	s_or_b32 exec_lo, exec_lo, s15
	s_waitcnt vmcnt(0)
	v_cmp_gt_f32_e64 s15, v8, v6
	v_mbcnt_lo_u32_b32 v3, -1, 0
	s_mov_b32 s18, exec_lo
	s_delay_alu instid0(VALU_DEP_2) | instskip(NEXT) | instid1(VALU_DEP_2)
	v_cndmask_b32_e64 v2, v6, v8, s15
	v_xor_b32_e32 v4, 16, v3
	s_delay_alu instid0(VALU_DEP_2) | instskip(NEXT) | instid1(VALU_DEP_1)
	v_cmp_gt_f32_e64 s15, v2, v12
	v_cndmask_b32_e64 v2, v12, v2, s15
	s_delay_alu instid0(VALU_DEP_1) | instskip(NEXT) | instid1(VALU_DEP_1)
	v_cmp_gt_f32_e64 s15, v2, v10
	v_cndmask_b32_e64 v2, v10, v2, s15
	s_delay_alu instid0(VALU_DEP_1) | instskip(NEXT) | instid1(VALU_DEP_1)
	;; [unrolled: 3-line block ×11, first 2 shown]
	v_cmp_gt_f32_e64 s15, v2, v21
	v_cndmask_b32_e64 v2, v21, v2, s15
	v_cmp_gt_i32_e64 s15, 32, v4
	s_delay_alu instid0(VALU_DEP_1) | instskip(NEXT) | instid1(VALU_DEP_3)
	v_cndmask_b32_e64 v4, v3, v4, s15
	v_cmp_gt_f32_e64 s15, v2, v24
	s_delay_alu instid0(VALU_DEP_1) | instskip(NEXT) | instid1(VALU_DEP_3)
	v_cndmask_b32_e64 v7, v24, v2, s15
	v_lshlrev_b32_e32 v2, 2, v4
	v_xor_b32_e32 v4, 8, v3
	s_delay_alu instid0(VALU_DEP_3) | instskip(NEXT) | instid1(VALU_DEP_1)
	v_cmp_gt_f32_e64 s15, v7, v23
	v_cndmask_b32_e64 v7, v23, v7, s15
	s_delay_alu instid0(VALU_DEP_3) | instskip(SKIP_2) | instid1(VALU_DEP_1)
	v_cmp_gt_i32_e64 s15, 32, v4
	ds_bpermute_b32 v9, v2, v7
	v_cndmask_b32_e64 v4, v3, v4, s15
	v_lshlrev_b32_e32 v4, 2, v4
	s_waitcnt lgkmcnt(0)
	v_cmp_lt_f32_e64 s15, v7, v9
	s_delay_alu instid0(VALU_DEP_1) | instskip(SKIP_3) | instid1(VALU_DEP_1)
	v_cndmask_b32_e64 v9, v7, v9, s15
	v_xor_b32_e32 v7, 4, v3
	ds_bpermute_b32 v11, v4, v9
	v_cmp_gt_i32_e64 s15, 32, v7
	v_cndmask_b32_e64 v7, v3, v7, s15
	s_delay_alu instid0(VALU_DEP_1) | instskip(SKIP_2) | instid1(VALU_DEP_1)
	v_lshlrev_b32_e32 v7, 2, v7
	s_waitcnt lgkmcnt(0)
	v_cmp_lt_f32_e64 s15, v9, v11
	v_cndmask_b32_e64 v11, v9, v11, s15
	v_xor_b32_e32 v9, 2, v3
	ds_bpermute_b32 v25, v7, v11
	v_cmp_gt_i32_e64 s15, 32, v9
	s_delay_alu instid0(VALU_DEP_1) | instskip(NEXT) | instid1(VALU_DEP_1)
	v_cndmask_b32_e64 v9, v3, v9, s15
	v_lshlrev_b32_e32 v9, 2, v9
	s_waitcnt lgkmcnt(0)
	v_cmp_lt_f32_e64 s15, v11, v25
	s_delay_alu instid0(VALU_DEP_1) | instskip(SKIP_3) | instid1(VALU_DEP_1)
	v_cndmask_b32_e64 v25, v11, v25, s15
	v_xor_b32_e32 v11, 1, v3
	ds_bpermute_b32 v26, v9, v25
	v_cmp_gt_i32_e64 s15, 32, v11
	v_cndmask_b32_e64 v3, v3, v11, s15
	s_delay_alu instid0(VALU_DEP_1) | instskip(SKIP_2) | instid1(VALU_DEP_1)
	v_lshlrev_b32_e32 v11, 2, v3
	s_waitcnt lgkmcnt(0)
	v_cmp_lt_f32_e64 s15, v25, v26
	v_cndmask_b32_e64 v3, v25, v26, s15
	ds_bpermute_b32 v25, v11, v3
	s_waitcnt lgkmcnt(0)
	v_cmp_lt_f32_e64 s15, v3, v25
	s_delay_alu instid0(VALU_DEP_1) | instskip(NEXT) | instid1(VALU_DEP_1)
	v_cndmask_b32_e64 v25, v3, v25, s15
	v_sub_f32_e32 v3, v8, v25
	v_sub_f32_e32 v8, v12, v25
	;; [unrolled: 1-line block ×6, first 2 shown]
	v_mul_f32_e32 v26, 0x3fb8aa3b, v8
	v_dual_sub_f32 v14, v16, v25 :: v_dual_mul_f32 v31, 0x3fb8aa3b, v15
	v_sub_f32_e32 v19, v19, v25
	v_sub_f32_e32 v13, v13, v25
	;; [unrolled: 1-line block ×3, first 2 shown]
	s_delay_alu instid0(VALU_DEP_4) | instskip(NEXT) | instid1(VALU_DEP_4)
	v_dual_sub_f32 v23, v23, v25 :: v_dual_mul_f32 v30, 0x3fb8aa3b, v14
	v_dual_sub_f32 v16, v18, v25 :: v_dual_mul_f32 v35, 0x3fb8aa3b, v19
	s_delay_alu instid0(VALU_DEP_2) | instskip(SKIP_1) | instid1(VALU_DEP_3)
	v_dual_sub_f32 v18, v20, v25 :: v_dual_mul_f32 v39, 0x3fb8aa3b, v23
	v_sub_f32_e32 v20, v22, v25
	v_dual_sub_f32 v21, v21, v25 :: v_dual_mul_f32 v32, 0x3fb8aa3b, v16
	v_dual_sub_f32 v22, v24, v25 :: v_dual_mul_f32 v25, 0x3fb8aa3b, v6
	v_dual_mul_f32 v24, 0x3fb8aa3b, v3 :: v_dual_mul_f32 v27, 0x3fb8aa3b, v10
	v_rndne_f32_e32 v55, v31
	v_fma_f32 v54, 0x3fb8aa3b, v15, -v31
	s_delay_alu instid0(VALU_DEP_4) | instskip(NEXT) | instid1(VALU_DEP_4)
	v_rndne_f32_e32 v43, v25
	v_fma_f32 v40, 0x3fb8aa3b, v3, -v24
	v_rndne_f32_e32 v41, v24
	v_fma_f32 v42, 0x3fb8aa3b, v6, -v25
	v_rndne_f32_e32 v47, v27
	v_sub_f32_e32 v25, v25, v43
	v_dual_mul_f32 v29, 0x3fb8aa3b, v13 :: v_dual_mul_f32 v36, 0x3fb8aa3b, v20
	s_delay_alu instid0(VALU_DEP_4) | instskip(SKIP_1) | instid1(VALU_DEP_3)
	v_dual_fmac_f32 v42, 0x32a5705f, v6 :: v_dual_sub_f32 v31, v31, v55
	v_fmac_f32_e32 v40, 0x32a5705f, v3
	v_rndne_f32_e32 v51, v29
	v_sub_f32_e32 v24, v24, v41
	v_mul_f32_e32 v28, 0x3fb8aa3b, v12
	v_fma_f32 v44, 0x3fb8aa3b, v8, -v26
	v_rndne_f32_e32 v45, v26
	v_fma_f32 v46, 0x3fb8aa3b, v10, -v27
	v_fma_f32 v50, 0x3fb8aa3b, v13, -v29
	v_sub_f32_e32 v29, v29, v51
	v_sub_f32_e32 v27, v27, v47
	v_dual_mul_f32 v33, 0x3fb8aa3b, v17 :: v_dual_mul_f32 v38, 0x3fb8aa3b, v22
	v_add_f32_e32 v25, v25, v42
	v_dual_mul_f32 v37, 0x3fb8aa3b, v21 :: v_dual_add_f32 v24, v24, v40
	s_delay_alu instid0(VALU_DEP_3)
	v_rndne_f32_e32 v59, v33
	v_rndne_f32_e32 v63, v35
	v_fmac_f32_e32 v44, 0x32a5705f, v8
	v_sub_f32_e32 v26, v26, v45
	v_exp_f32_e32 v24, v24
	v_fma_f32 v58, 0x3fb8aa3b, v17, -v33
	v_fma_f32 v62, 0x3fb8aa3b, v19, -v35
	v_sub_f32_e32 v35, v35, v63
	v_cvt_i32_f32_e32 v41, v41
	v_dual_sub_f32 v33, v33, v59 :: v_dual_add_f32 v26, v26, v44
	v_exp_f32_e32 v25, v25
	v_cvt_i32_f32_e32 v43, v43
	v_cmp_ngt_f32_e64 s15, 0xc2ce8ed0, v3
	s_delay_alu instid0(TRANS32_DEP_2)
	v_ldexp_f32 v24, v24, v41
	v_exp_f32_e32 v26, v26
	v_rndne_f32_e32 v49, v28
	v_rndne_f32_e32 v67, v37
	v_cvt_i32_f32_e32 v45, v45
	v_fmac_f32_e32 v46, 0x32a5705f, v10
	v_cndmask_b32_e64 v24, 0, v24, s15
	v_ldexp_f32 v25, v25, v43
	v_cmp_ngt_f32_e64 s15, 0xc2ce8ed0, v6
	v_fma_f32 v48, 0x3fb8aa3b, v12, -v28
	v_fma_f32 v66, 0x3fb8aa3b, v21, -v37
	v_dual_sub_f32 v37, v37, v67 :: v_dual_sub_f32 v28, v28, v49
	v_add_f32_e32 v27, v27, v46
	v_ldexp_f32 v26, v26, v45
	v_cndmask_b32_e64 v25, 0, v25, s15
	v_cmp_ngt_f32_e64 s15, 0xc2ce8ed0, v8
	v_mul_f32_e32 v34, 0x3fb8aa3b, v18
	v_fma_f32 v70, 0x3fb8aa3b, v23, -v39
	v_rndne_f32_e32 v71, v39
	v_fmac_f32_e32 v48, 0x32a5705f, v12
	v_exp_f32_e32 v27, v27
	v_cndmask_b32_e64 v26, 0, v26, s15
	v_cmp_nlt_f32_e64 s15, 0x42b17218, v3
	v_sub_f32_e32 v39, v39, v71
	v_cvt_i32_f32_e32 v47, v47
	v_fmac_f32_e32 v70, 0x32a5705f, v23
	v_fmac_f32_e32 v58, 0x32a5705f, v17
	v_add_f32_e32 v28, v28, v48
	v_cndmask_b32_e64 v24, 0x7f800000, v24, s15
	v_cmp_nlt_f32_e64 s15, 0x42b17218, v6
	v_add_f32_e32 v39, v39, v70
	v_rndne_f32_e32 v53, v30
	v_dual_fmac_f32 v54, 0x32a5705f, v15 :: v_dual_add_f32 v33, v33, v58
	v_fmac_f32_e32 v50, 0x32a5705f, v13
	v_exp_f32_e32 v28, v28
	v_ldexp_f32 v27, v27, v47
	s_delay_alu instid0(VALU_DEP_3)
	v_add_f32_e32 v31, v31, v54
	v_cndmask_b32_e64 v25, 0x7f800000, v25, s15
	v_cmp_ngt_f32_e64 s15, 0xc2ce8ed0, v10
	v_fma_f32 v52, 0x3fb8aa3b, v14, -v30
	v_cvt_i32_f32_e32 v49, v49
	v_dual_sub_f32 v30, v30, v53 :: v_dual_add_f32 v29, v29, v50
	s_delay_alu instid0(VALU_DEP_4)
	v_cndmask_b32_e64 v27, 0, v27, s15
	v_cmp_nlt_f32_e64 s15, 0x42b17218, v8
	v_fmac_f32_e32 v52, 0x32a5705f, v14
	v_ldexp_f32 v28, v28, v49
	v_exp_f32_e32 v29, v29
	v_cvt_i32_f32_e32 v51, v51
	v_cndmask_b32_e64 v26, 0x7f800000, v26, s15
	v_cmp_ngt_f32_e64 s15, 0xc2ce8ed0, v12
	v_add_f32_e32 v30, v30, v52
	v_add_f32_e32 v24, v24, v25
	v_fma_f32 v56, 0x3fb8aa3b, v16, -v32
	v_rndne_f32_e32 v57, v32
	v_cndmask_b32_e64 v25, 0, v28, s15
	v_cmp_nlt_f32_e64 s15, 0x42b17218, v10
	v_exp_f32_e32 v30, v30
	v_ldexp_f32 v29, v29, v51
	v_cvt_i32_f32_e32 v53, v53
	v_add_f32_e32 v24, v24, v26
	v_cndmask_b32_e64 v27, 0x7f800000, v27, s15
	v_cmp_ngt_f32_e64 s15, 0xc2ce8ed0, v13
	v_fmac_f32_e32 v62, 0x32a5705f, v19
	v_fmac_f32_e32 v56, 0x32a5705f, v16
	;; [unrolled: 1-line block ×3, first 2 shown]
	v_sub_f32_e32 v32, v32, v57
	v_cndmask_b32_e64 v26, 0, v29, s15
	v_cmp_nlt_f32_e64 s15, 0x42b17218, v12
	v_exp_f32_e32 v31, v31
	v_add_f32_e32 v37, v37, v66
	v_ldexp_f32 v30, v30, v53
	v_cvt_i32_f32_e32 v55, v55
	v_cndmask_b32_e64 v25, 0x7f800000, v25, s15
	v_cmp_ngt_f32_e64 s15, 0xc2ce8ed0, v14
	v_dual_add_f32 v35, v35, v62 :: v_dual_add_f32 v32, v32, v56
	v_add_f32_e32 v24, v24, v27
	v_fma_f32 v60, 0x3fb8aa3b, v18, -v34
	s_delay_alu instid0(VALU_DEP_4)
	v_cndmask_b32_e64 v27, 0, v30, s15
	v_cmp_nlt_f32_e64 s15, 0x42b17218, v13
	v_exp_f32_e32 v32, v32
	v_ldexp_f32 v31, v31, v55
	v_rndne_f32_e32 v61, v34
	v_cvt_i32_f32_e32 v57, v57
	v_cndmask_b32_e64 v26, 0x7f800000, v26, s15
	v_cmp_ngt_f32_e64 s15, 0xc2ce8ed0, v15
	v_add_f32_e32 v24, v24, v25
	v_fmac_f32_e32 v60, 0x32a5705f, v18
	v_sub_f32_e32 v34, v34, v61
	v_exp_f32_e32 v33, v33
	v_cndmask_b32_e64 v25, 0, v31, s15
	v_cmp_nlt_f32_e64 s15, 0x42b17218, v14
	v_ldexp_f32 v32, v32, v57
	v_cvt_i32_f32_e32 v59, v59
	v_add_f32_e32 v34, v34, v60
	v_add_f32_e32 v24, v24, v26
	v_cndmask_b32_e64 v27, 0x7f800000, v27, s15
	v_cmp_ngt_f32_e64 s15, 0xc2ce8ed0, v16
	v_fma_f32 v64, 0x3fb8aa3b, v20, -v36
	v_exp_f32_e32 v34, v34
	v_ldexp_f32 v33, v33, v59
	v_rndne_f32_e32 v65, v36
	v_cndmask_b32_e64 v26, 0, v32, s15
	v_cmp_nlt_f32_e64 s15, 0x42b17218, v15
	v_cvt_i32_f32_e32 v61, v61
	v_add_f32_e32 v24, v24, v27
	v_fmac_f32_e32 v64, 0x32a5705f, v20
	v_sub_f32_e32 v36, v36, v65
	v_cndmask_b32_e64 v25, 0x7f800000, v25, s15
	v_cmp_ngt_f32_e64 s15, 0xc2ce8ed0, v17
	v_exp_f32_e32 v35, v35
	v_ldexp_f32 v34, v34, v61
	v_cvt_i32_f32_e32 v63, v63
	v_add_f32_e32 v36, v36, v64
	v_cndmask_b32_e64 v27, 0, v33, s15
	v_cmp_nlt_f32_e64 s15, 0x42b17218, v16
	v_add_f32_e32 v24, v24, v25
	v_fma_f32 v68, 0x3fb8aa3b, v22, -v38
	v_exp_f32_e32 v36, v36
	v_rndne_f32_e32 v69, v38
	v_cndmask_b32_e64 v26, 0x7f800000, v26, s15
	v_cmp_ngt_f32_e64 s15, 0xc2ce8ed0, v18
	v_ldexp_f32 v35, v35, v63
	v_cvt_i32_f32_e32 v65, v65
	v_fmac_f32_e32 v68, 0x32a5705f, v22
	v_add_f32_e32 v24, v24, v26
	v_cndmask_b32_e64 v25, 0, v34, s15
	v_cmp_nlt_f32_e64 s15, 0x42b17218, v17
	v_sub_f32_e32 v38, v38, v69
	v_exp_f32_e32 v37, v37
	v_ldexp_f32 v36, v36, v65
	v_cvt_i32_f32_e32 v67, v67
	v_cndmask_b32_e64 v27, 0x7f800000, v27, s15
	v_cmp_ngt_f32_e64 s15, 0xc2ce8ed0, v19
	v_add_f32_e32 v38, v38, v68
	v_cvt_i32_f32_e32 v69, v69
	v_exp_f32_e32 v39, v39
	v_add_f32_e32 v24, v24, v27
	v_cndmask_b32_e64 v26, 0, v35, s15
	v_cmp_nlt_f32_e64 s15, 0x42b17218, v18
	v_exp_f32_e32 v38, v38
	v_ldexp_f32 v37, v37, v67
	v_cvt_i32_f32_e32 v71, v71
	s_delay_alu instid0(VALU_DEP_3) | instskip(SKIP_1) | instid1(VALU_DEP_2)
	v_cndmask_b32_e64 v25, 0x7f800000, v25, s15
	v_cmp_ngt_f32_e64 s15, 0xc2ce8ed0, v20
	v_add_f32_e32 v24, v24, v25
	s_delay_alu instid0(VALU_DEP_2) | instskip(SKIP_1) | instid1(TRANS32_DEP_1)
	v_cndmask_b32_e64 v27, 0, v36, s15
	v_cmp_nlt_f32_e64 s15, 0x42b17218, v19
	v_ldexp_f32 v38, v38, v69
	s_delay_alu instid0(VALU_DEP_2) | instskip(SKIP_1) | instid1(VALU_DEP_2)
	v_cndmask_b32_e64 v26, 0x7f800000, v26, s15
	v_cmp_ngt_f32_e64 s15, 0xc2ce8ed0, v21
	v_add_f32_e32 v24, v24, v26
	s_delay_alu instid0(VALU_DEP_2) | instskip(SKIP_1) | instid1(VALU_DEP_1)
	v_cndmask_b32_e64 v25, 0, v37, s15
	v_cmp_nlt_f32_e64 s15, 0x42b17218, v20
	v_cndmask_b32_e64 v27, 0x7f800000, v27, s15
	v_cmp_ngt_f32_e64 s15, 0xc2ce8ed0, v22
	s_delay_alu instid0(VALU_DEP_2) | instskip(NEXT) | instid1(VALU_DEP_2)
	v_add_f32_e32 v24, v24, v27
	v_cndmask_b32_e64 v26, 0, v38, s15
	v_cmp_nlt_f32_e64 s15, 0x42b17218, v21
	v_ldexp_f32 v27, v39, v71
	s_delay_alu instid0(VALU_DEP_2) | instskip(SKIP_1) | instid1(VALU_DEP_2)
	v_cndmask_b32_e64 v25, 0x7f800000, v25, s15
	v_cmp_nlt_f32_e64 s15, 0x42b17218, v22
	v_add_f32_e32 v24, v24, v25
	s_delay_alu instid0(VALU_DEP_2) | instskip(SKIP_1) | instid1(VALU_DEP_2)
	v_cndmask_b32_e64 v26, 0x7f800000, v26, s15
	v_cmp_ngt_f32_e64 s15, 0xc2ce8ed0, v23
	v_add_f32_e32 v24, v24, v26
	s_delay_alu instid0(VALU_DEP_2) | instskip(SKIP_1) | instid1(VALU_DEP_1)
	v_cndmask_b32_e64 v25, 0, v27, s15
	v_cmp_nlt_f32_e64 s15, 0x42b17218, v23
	v_cndmask_b32_e64 v25, 0x7f800000, v25, s15
	s_delay_alu instid0(VALU_DEP_1)
	v_add_f32_e32 v24, v24, v25
	ds_bpermute_b32 v2, v2, v24
	s_waitcnt lgkmcnt(0)
	v_add_f32_e32 v2, v24, v2
	ds_bpermute_b32 v4, v4, v2
	s_waitcnt lgkmcnt(0)
	;; [unrolled: 3-line block ×4, first 2 shown]
	v_add_f32_e32 v2, v2, v4
	ds_bpermute_b32 v4, v11, v2
	v_cmpx_lt_i32_e32 0, v5
	s_cbranch_execz .LBB54_50
; %bb.33:
	s_and_b32 exec_lo, exec_lo, s0
	s_cbranch_execz .LBB54_50
; %bb.34:
	s_waitcnt lgkmcnt(0)
	v_add_f32_e32 v2, v2, v4
	s_delay_alu instid0(VALU_DEP_1) | instskip(NEXT) | instid1(VALU_DEP_1)
	v_cmp_gt_f32_e64 s0, 0x800000, v2
	v_cndmask_b32_e64 v4, 1.0, 0x4f800000, s0
	s_delay_alu instid0(VALU_DEP_1) | instskip(NEXT) | instid1(VALU_DEP_1)
	v_mul_f32_e32 v2, v2, v4
	v_log_f32_e32 v2, v2
	s_waitcnt_depctr 0xfff
	v_mul_f32_e32 v4, 0x3f317217, v2
	v_cmp_gt_f32_e64 s15, 0x7f800000, |v2|
	s_delay_alu instid0(VALU_DEP_2) | instskip(NEXT) | instid1(VALU_DEP_1)
	v_fma_f32 v5, 0x3f317217, v2, -v4
	v_fmamk_f32 v5, v2, 0x3377d1cf, v5
	s_delay_alu instid0(VALU_DEP_1) | instskip(NEXT) | instid1(VALU_DEP_1)
	v_add_f32_e32 v4, v4, v5
	v_cndmask_b32_e64 v2, v2, v4, s15
	v_cndmask_b32_e64 v4, 0, 0x41b17218, s0
	v_add_co_u32 v0, s0, s16, v0
	s_delay_alu instid0(VALU_DEP_1) | instskip(NEXT) | instid1(VALU_DEP_3)
	v_add_co_ci_u32_e64 v1, s0, s17, v1, s0
	v_sub_f32_e32 v2, v2, v4
	s_delay_alu instid0(VALU_DEP_1)
	v_sub_f32_e32 v3, v3, v2
	global_store_b32 v[0:1], v3, off
	s_and_b32 exec_lo, exec_lo, vcc_lo
	s_cbranch_execz .LBB54_50
; %bb.35:
	v_sub_f32_e32 v3, v6, v2
	global_store_b32 v[0:1], v3, off offset:128
	s_and_b32 exec_lo, exec_lo, s1
	s_cbranch_execz .LBB54_50
; %bb.36:
	v_sub_f32_e32 v3, v8, v2
	global_store_b32 v[0:1], v3, off offset:256
	s_and_b32 exec_lo, exec_lo, s2
	;; [unrolled: 5-line block ×14, first 2 shown]
	s_cbranch_execz .LBB54_50
; %bb.49:
	v_sub_f32_e32 v2, v23, v2
	global_store_b32 v[0:1], v2, off offset:1920
.LBB54_50:
	s_nop 0
	s_sendmsg sendmsg(MSG_DEALLOC_VGPRS)
	s_endpgm
	.section	.rodata,"a",@progbits
	.p2align	6, 0x0
	.amdhsa_kernel _ZN12_GLOBAL__N_120softmax_warp_forwardIfffLi9ELb1ELb0ELi32EEEvPT0_PKT_iiiPKbib
		.amdhsa_group_segment_fixed_size 0
		.amdhsa_private_segment_fixed_size 0
		.amdhsa_kernarg_size 304
		.amdhsa_user_sgpr_count 15
		.amdhsa_user_sgpr_dispatch_ptr 0
		.amdhsa_user_sgpr_queue_ptr 0
		.amdhsa_user_sgpr_kernarg_segment_ptr 1
		.amdhsa_user_sgpr_dispatch_id 0
		.amdhsa_user_sgpr_private_segment_size 0
		.amdhsa_wavefront_size32 1
		.amdhsa_uses_dynamic_stack 0
		.amdhsa_enable_private_segment 0
		.amdhsa_system_sgpr_workgroup_id_x 1
		.amdhsa_system_sgpr_workgroup_id_y 0
		.amdhsa_system_sgpr_workgroup_id_z 0
		.amdhsa_system_sgpr_workgroup_info 0
		.amdhsa_system_vgpr_workitem_id 1
		.amdhsa_next_free_vgpr 72
		.amdhsa_next_free_sgpr 24
		.amdhsa_reserve_vcc 1
		.amdhsa_float_round_mode_32 0
		.amdhsa_float_round_mode_16_64 0
		.amdhsa_float_denorm_mode_32 3
		.amdhsa_float_denorm_mode_16_64 3
		.amdhsa_dx10_clamp 1
		.amdhsa_ieee_mode 1
		.amdhsa_fp16_overflow 0
		.amdhsa_workgroup_processor_mode 1
		.amdhsa_memory_ordered 1
		.amdhsa_forward_progress 0
		.amdhsa_shared_vgpr_count 0
		.amdhsa_exception_fp_ieee_invalid_op 0
		.amdhsa_exception_fp_denorm_src 0
		.amdhsa_exception_fp_ieee_div_zero 0
		.amdhsa_exception_fp_ieee_overflow 0
		.amdhsa_exception_fp_ieee_underflow 0
		.amdhsa_exception_fp_ieee_inexact 0
		.amdhsa_exception_int_div_zero 0
	.end_amdhsa_kernel
	.section	.text._ZN12_GLOBAL__N_120softmax_warp_forwardIfffLi9ELb1ELb0ELi32EEEvPT0_PKT_iiiPKbib,"axG",@progbits,_ZN12_GLOBAL__N_120softmax_warp_forwardIfffLi9ELb1ELb0ELi32EEEvPT0_PKT_iiiPKbib,comdat
.Lfunc_end54:
	.size	_ZN12_GLOBAL__N_120softmax_warp_forwardIfffLi9ELb1ELb0ELi32EEEvPT0_PKT_iiiPKbib, .Lfunc_end54-_ZN12_GLOBAL__N_120softmax_warp_forwardIfffLi9ELb1ELb0ELi32EEEvPT0_PKT_iiiPKbib
                                        ; -- End function
	.section	.AMDGPU.csdata,"",@progbits
; Kernel info:
; codeLenInByte = 3912
; NumSgprs: 26
; NumVgprs: 72
; ScratchSize: 0
; MemoryBound: 0
; FloatMode: 240
; IeeeMode: 1
; LDSByteSize: 0 bytes/workgroup (compile time only)
; SGPRBlocks: 3
; VGPRBlocks: 8
; NumSGPRsForWavesPerEU: 26
; NumVGPRsForWavesPerEU: 72
; Occupancy: 16
; WaveLimiterHint : 0
; COMPUTE_PGM_RSRC2:SCRATCH_EN: 0
; COMPUTE_PGM_RSRC2:USER_SGPR: 15
; COMPUTE_PGM_RSRC2:TRAP_HANDLER: 0
; COMPUTE_PGM_RSRC2:TGID_X_EN: 1
; COMPUTE_PGM_RSRC2:TGID_Y_EN: 0
; COMPUTE_PGM_RSRC2:TGID_Z_EN: 0
; COMPUTE_PGM_RSRC2:TIDIG_COMP_CNT: 1
	.section	.text._ZN12_GLOBAL__N_120softmax_warp_forwardIfffLi10ELb1ELb0ELi64EEEvPT0_PKT_iiiPKbib,"axG",@progbits,_ZN12_GLOBAL__N_120softmax_warp_forwardIfffLi10ELb1ELb0ELi64EEEvPT0_PKT_iiiPKbib,comdat
	.globl	_ZN12_GLOBAL__N_120softmax_warp_forwardIfffLi10ELb1ELb0ELi64EEEvPT0_PKT_iiiPKbib ; -- Begin function _ZN12_GLOBAL__N_120softmax_warp_forwardIfffLi10ELb1ELb0ELi64EEEvPT0_PKT_iiiPKbib
	.p2align	8
	.type	_ZN12_GLOBAL__N_120softmax_warp_forwardIfffLi10ELb1ELb0ELi64EEEvPT0_PKT_iiiPKbib,@function
_ZN12_GLOBAL__N_120softmax_warp_forwardIfffLi10ELb1ELb0ELi64EEEvPT0_PKT_iiiPKbib: ; @_ZN12_GLOBAL__N_120softmax_warp_forwardIfffLi10ELb1ELb0ELi64EEEvPT0_PKT_iiiPKbib
; %bb.0:
	s_clause 0x1
	s_load_b32 s2, s[0:1], 0x3c
	s_load_b256 s[16:23], s[0:1], 0x0
	v_bfe_u32 v1, v0, 10, 10
	v_mov_b32_e32 v7, 0xff800000
	v_mov_b32_e32 v9, 0xff800000
	s_waitcnt lgkmcnt(0)
	s_lshr_b32 s0, s2, 16
	s_delay_alu instid0(SALU_CYCLE_1) | instskip(SKIP_1) | instid1(VALU_DEP_1)
	v_mad_u64_u32 v[3:4], null, s15, s0, v[1:2]
	v_and_b32_e32 v2, 0x3ff, v0
	v_cmp_gt_i32_e64 s0, s22, v2
	s_delay_alu instid0(VALU_DEP_3) | instskip(SKIP_1) | instid1(VALU_DEP_1)
	v_mad_u64_u32 v[0:1], null, v3, s21, v[2:3]
	v_sub_nc_u32_e32 v5, s20, v3
	v_cmp_lt_i32_e64 s15, 0, v5
	s_delay_alu instid0(VALU_DEP_3) | instskip(NEXT) | instid1(VALU_DEP_2)
	v_ashrrev_i32_e32 v1, 31, v0
	s_and_b32 s2, s15, s0
	s_delay_alu instid0(VALU_DEP_1) | instskip(NEXT) | instid1(VALU_DEP_1)
	v_lshlrev_b64 v[0:1], 2, v[0:1]
	v_add_co_u32 v3, vcc_lo, s18, v0
	s_delay_alu instid0(VALU_DEP_2)
	v_add_co_ci_u32_e32 v4, vcc_lo, s19, v1, vcc_lo
	s_and_saveexec_b32 s1, s2
	s_cbranch_execz .LBB55_2
; %bb.1:
	global_load_b32 v9, v[3:4], off
.LBB55_2:
	s_or_b32 exec_lo, exec_lo, s1
	v_add_nc_u32_e32 v6, 64, v2
	s_delay_alu instid0(VALU_DEP_1) | instskip(SKIP_1) | instid1(SALU_CYCLE_1)
	v_cmp_gt_i32_e32 vcc_lo, s22, v6
	s_and_b32 s2, s15, vcc_lo
	s_and_saveexec_b32 s1, s2
	s_cbranch_execz .LBB55_4
; %bb.3:
	global_load_b32 v7, v[3:4], off offset:256
.LBB55_4:
	s_or_b32 exec_lo, exec_lo, s1
	v_add_nc_u32_e32 v6, 0x80, v2
	v_mov_b32_e32 v11, 0xff800000
	v_mov_b32_e32 v13, 0xff800000
	s_delay_alu instid0(VALU_DEP_3) | instskip(NEXT) | instid1(VALU_DEP_1)
	v_cmp_gt_i32_e64 s1, s22, v6
	s_and_b32 s3, s15, s1
	s_delay_alu instid0(SALU_CYCLE_1)
	s_and_saveexec_b32 s2, s3
	s_cbranch_execz .LBB55_6
; %bb.5:
	global_load_b32 v13, v[3:4], off offset:512
.LBB55_6:
	s_or_b32 exec_lo, exec_lo, s2
	v_add_nc_u32_e32 v6, 0xc0, v2
	s_delay_alu instid0(VALU_DEP_1) | instskip(NEXT) | instid1(VALU_DEP_1)
	v_cmp_gt_i32_e64 s2, s22, v6
	s_and_b32 s4, s15, s2
	s_delay_alu instid0(SALU_CYCLE_1)
	s_and_saveexec_b32 s3, s4
	s_cbranch_execz .LBB55_8
; %bb.7:
	global_load_b32 v11, v[3:4], off offset:768
.LBB55_8:
	s_or_b32 exec_lo, exec_lo, s3
	v_add_nc_u32_e32 v6, 0x100, v2
	v_dual_mov_b32 v14, 0xff800000 :: v_dual_mov_b32 v15, 0xff800000
	s_delay_alu instid0(VALU_DEP_2) | instskip(NEXT) | instid1(VALU_DEP_1)
	v_cmp_gt_i32_e64 s3, s22, v6
	s_and_b32 s5, s15, s3
	s_delay_alu instid0(SALU_CYCLE_1)
	s_and_saveexec_b32 s4, s5
	s_cbranch_execz .LBB55_10
; %bb.9:
	global_load_b32 v15, v[3:4], off offset:1024
.LBB55_10:
	s_or_b32 exec_lo, exec_lo, s4
	v_add_nc_u32_e32 v6, 0x140, v2
	s_delay_alu instid0(VALU_DEP_1) | instskip(NEXT) | instid1(VALU_DEP_1)
	v_cmp_gt_i32_e64 s4, s22, v6
	s_and_b32 s6, s15, s4
	s_delay_alu instid0(SALU_CYCLE_1)
	s_and_saveexec_b32 s5, s6
	s_cbranch_execz .LBB55_12
; %bb.11:
	global_load_b32 v14, v[3:4], off offset:1280
.LBB55_12:
	s_or_b32 exec_lo, exec_lo, s5
	v_add_nc_u32_e32 v6, 0x180, v2
	v_dual_mov_b32 v16, 0xff800000 :: v_dual_mov_b32 v17, 0xff800000
	s_delay_alu instid0(VALU_DEP_2) | instskip(NEXT) | instid1(VALU_DEP_1)
	v_cmp_gt_i32_e64 s5, s22, v6
	s_and_b32 s7, s15, s5
	s_delay_alu instid0(SALU_CYCLE_1)
	s_and_saveexec_b32 s6, s7
	s_cbranch_execz .LBB55_14
; %bb.13:
	global_load_b32 v17, v[3:4], off offset:1536
.LBB55_14:
	s_or_b32 exec_lo, exec_lo, s6
	v_add_nc_u32_e32 v6, 0x1c0, v2
	s_delay_alu instid0(VALU_DEP_1) | instskip(NEXT) | instid1(VALU_DEP_1)
	v_cmp_gt_i32_e64 s6, s22, v6
	s_and_b32 s8, s15, s6
	s_delay_alu instid0(SALU_CYCLE_1)
	s_and_saveexec_b32 s7, s8
	s_cbranch_execz .LBB55_16
; %bb.15:
	global_load_b32 v16, v[3:4], off offset:1792
.LBB55_16:
	s_or_b32 exec_lo, exec_lo, s7
	v_add_nc_u32_e32 v6, 0x200, v2
	v_dual_mov_b32 v18, 0xff800000 :: v_dual_mov_b32 v19, 0xff800000
	s_delay_alu instid0(VALU_DEP_2) | instskip(NEXT) | instid1(VALU_DEP_1)
	v_cmp_gt_i32_e64 s7, s22, v6
	s_and_b32 s9, s15, s7
	s_delay_alu instid0(SALU_CYCLE_1)
	s_and_saveexec_b32 s8, s9
	s_cbranch_execz .LBB55_18
; %bb.17:
	global_load_b32 v19, v[3:4], off offset:2048
.LBB55_18:
	s_or_b32 exec_lo, exec_lo, s8
	v_add_nc_u32_e32 v6, 0x240, v2
	s_delay_alu instid0(VALU_DEP_1) | instskip(NEXT) | instid1(VALU_DEP_1)
	v_cmp_gt_i32_e64 s8, s22, v6
	s_and_b32 s10, s15, s8
	s_delay_alu instid0(SALU_CYCLE_1)
	s_and_saveexec_b32 s9, s10
	s_cbranch_execz .LBB55_20
; %bb.19:
	global_load_b32 v18, v[3:4], off offset:2304
.LBB55_20:
	s_or_b32 exec_lo, exec_lo, s9
	v_add_nc_u32_e32 v6, 0x280, v2
	v_dual_mov_b32 v20, 0xff800000 :: v_dual_mov_b32 v21, 0xff800000
	s_delay_alu instid0(VALU_DEP_2) | instskip(NEXT) | instid1(VALU_DEP_1)
	v_cmp_gt_i32_e64 s9, s22, v6
	s_and_b32 s11, s15, s9
	s_delay_alu instid0(SALU_CYCLE_1)
	s_and_saveexec_b32 s10, s11
	s_cbranch_execz .LBB55_22
; %bb.21:
	global_load_b32 v21, v[3:4], off offset:2560
.LBB55_22:
	s_or_b32 exec_lo, exec_lo, s10
	v_add_nc_u32_e32 v6, 0x2c0, v2
	s_delay_alu instid0(VALU_DEP_1) | instskip(NEXT) | instid1(VALU_DEP_1)
	v_cmp_gt_i32_e64 s10, s22, v6
	s_and_b32 s12, s15, s10
	s_delay_alu instid0(SALU_CYCLE_1)
	s_and_saveexec_b32 s11, s12
	s_cbranch_execz .LBB55_24
; %bb.23:
	global_load_b32 v20, v[3:4], off offset:2816
.LBB55_24:
	s_or_b32 exec_lo, exec_lo, s11
	v_add_nc_u32_e32 v6, 0x300, v2
	v_dual_mov_b32 v22, 0xff800000 :: v_dual_mov_b32 v23, 0xff800000
	s_delay_alu instid0(VALU_DEP_2) | instskip(NEXT) | instid1(VALU_DEP_1)
	v_cmp_gt_i32_e64 s11, s22, v6
	s_and_b32 s13, s15, s11
	s_delay_alu instid0(SALU_CYCLE_1)
	s_and_saveexec_b32 s12, s13
	s_cbranch_execz .LBB55_26
; %bb.25:
	global_load_b32 v23, v[3:4], off offset:3072
.LBB55_26:
	s_or_b32 exec_lo, exec_lo, s12
	v_add_nc_u32_e32 v6, 0x340, v2
	s_delay_alu instid0(VALU_DEP_1) | instskip(NEXT) | instid1(VALU_DEP_1)
	v_cmp_gt_i32_e64 s12, s22, v6
	s_and_b32 s14, s15, s12
	s_delay_alu instid0(SALU_CYCLE_1)
	s_and_saveexec_b32 s13, s14
	s_cbranch_execz .LBB55_28
; %bb.27:
	global_load_b32 v22, v[3:4], off offset:3328
.LBB55_28:
	s_or_b32 exec_lo, exec_lo, s13
	v_add_nc_u32_e32 v6, 0x380, v2
	v_dual_mov_b32 v24, 0xff800000 :: v_dual_mov_b32 v25, 0xff800000
	s_delay_alu instid0(VALU_DEP_2) | instskip(NEXT) | instid1(VALU_DEP_1)
	v_cmp_gt_i32_e64 s13, s22, v6
	s_and_b32 s18, s15, s13
	s_delay_alu instid0(SALU_CYCLE_1)
	s_and_saveexec_b32 s14, s18
	s_cbranch_execz .LBB55_30
; %bb.29:
	global_load_b32 v25, v[3:4], off offset:3584
.LBB55_30:
	s_or_b32 exec_lo, exec_lo, s14
	v_add_nc_u32_e32 v2, 0x3c0, v2
	s_delay_alu instid0(VALU_DEP_1) | instskip(NEXT) | instid1(VALU_DEP_1)
	v_cmp_gt_i32_e64 s14, s22, v2
	s_and_b32 s18, s15, s14
	s_delay_alu instid0(SALU_CYCLE_1)
	s_and_saveexec_b32 s15, s18
	s_cbranch_execz .LBB55_32
; %bb.31:
	global_load_b32 v24, v[3:4], off offset:3840
.LBB55_32:
	s_or_b32 exec_lo, exec_lo, s15
	s_waitcnt vmcnt(0)
	v_cmp_gt_f32_e64 s15, v9, v7
	v_mbcnt_lo_u32_b32 v4, -1, 0
	s_mov_b32 s18, exec_lo
	s_delay_alu instid0(VALU_DEP_2) | instskip(NEXT) | instid1(VALU_DEP_2)
	v_cndmask_b32_e64 v2, v7, v9, s15
	v_or_b32_e32 v3, 32, v4
	s_delay_alu instid0(VALU_DEP_2) | instskip(NEXT) | instid1(VALU_DEP_1)
	v_cmp_gt_f32_e64 s15, v2, v13
	v_cndmask_b32_e64 v2, v13, v2, s15
	s_delay_alu instid0(VALU_DEP_1) | instskip(NEXT) | instid1(VALU_DEP_1)
	v_cmp_gt_f32_e64 s15, v2, v11
	v_cndmask_b32_e64 v2, v11, v2, s15
	s_delay_alu instid0(VALU_DEP_1) | instskip(NEXT) | instid1(VALU_DEP_1)
	;; [unrolled: 3-line block ×11, first 2 shown]
	v_cmp_gt_f32_e64 s15, v2, v22
	v_cndmask_b32_e64 v2, v22, v2, s15
	v_cmp_gt_i32_e64 s15, 64, v3
	s_delay_alu instid0(VALU_DEP_1) | instskip(NEXT) | instid1(VALU_DEP_3)
	v_cndmask_b32_e64 v3, v4, v3, s15
	v_cmp_gt_f32_e64 s15, v2, v25
	s_delay_alu instid0(VALU_DEP_1) | instskip(NEXT) | instid1(VALU_DEP_3)
	v_cndmask_b32_e64 v6, v25, v2, s15
	v_lshlrev_b32_e32 v2, 2, v3
	v_xor_b32_e32 v3, 16, v4
	s_delay_alu instid0(VALU_DEP_3) | instskip(NEXT) | instid1(VALU_DEP_1)
	v_cmp_gt_f32_e64 s15, v6, v24
	v_cndmask_b32_e64 v6, v24, v6, s15
	s_delay_alu instid0(VALU_DEP_3) | instskip(SKIP_2) | instid1(VALU_DEP_1)
	v_cmp_gt_i32_e64 s15, 64, v3
	ds_bpermute_b32 v8, v2, v6
	v_cndmask_b32_e64 v3, v4, v3, s15
	v_lshlrev_b32_e32 v3, 2, v3
	s_waitcnt lgkmcnt(0)
	v_cmp_lt_f32_e64 s15, v6, v8
	s_delay_alu instid0(VALU_DEP_1) | instskip(SKIP_3) | instid1(VALU_DEP_1)
	v_cndmask_b32_e64 v8, v6, v8, s15
	v_xor_b32_e32 v6, 8, v4
	ds_bpermute_b32 v10, v3, v8
	v_cmp_gt_i32_e64 s15, 64, v6
	v_cndmask_b32_e64 v6, v4, v6, s15
	s_delay_alu instid0(VALU_DEP_1) | instskip(SKIP_2) | instid1(VALU_DEP_1)
	v_lshlrev_b32_e32 v6, 2, v6
	s_waitcnt lgkmcnt(0)
	v_cmp_lt_f32_e64 s15, v8, v10
	v_cndmask_b32_e64 v10, v8, v10, s15
	v_xor_b32_e32 v8, 4, v4
	ds_bpermute_b32 v12, v6, v10
	v_cmp_gt_i32_e64 s15, 64, v8
	s_delay_alu instid0(VALU_DEP_1) | instskip(NEXT) | instid1(VALU_DEP_1)
	v_cndmask_b32_e64 v8, v4, v8, s15
	v_lshlrev_b32_e32 v8, 2, v8
	s_waitcnt lgkmcnt(0)
	v_cmp_lt_f32_e64 s15, v10, v12
	s_delay_alu instid0(VALU_DEP_1) | instskip(SKIP_3) | instid1(VALU_DEP_1)
	v_cndmask_b32_e64 v12, v10, v12, s15
	v_xor_b32_e32 v10, 2, v4
	ds_bpermute_b32 v26, v8, v12
	v_cmp_gt_i32_e64 s15, 64, v10
	v_cndmask_b32_e64 v10, v4, v10, s15
	s_delay_alu instid0(VALU_DEP_1) | instskip(SKIP_2) | instid1(VALU_DEP_1)
	v_lshlrev_b32_e32 v10, 2, v10
	s_waitcnt lgkmcnt(0)
	v_cmp_lt_f32_e64 s15, v12, v26
	v_cndmask_b32_e64 v26, v12, v26, s15
	v_xor_b32_e32 v12, 1, v4
	ds_bpermute_b32 v27, v10, v26
	v_cmp_gt_i32_e64 s15, 64, v12
	s_delay_alu instid0(VALU_DEP_1) | instskip(NEXT) | instid1(VALU_DEP_1)
	v_cndmask_b32_e64 v4, v4, v12, s15
	v_lshlrev_b32_e32 v12, 2, v4
	s_waitcnt lgkmcnt(0)
	v_cmp_lt_f32_e64 s15, v26, v27
	s_delay_alu instid0(VALU_DEP_1) | instskip(SKIP_3) | instid1(VALU_DEP_1)
	v_cndmask_b32_e64 v4, v26, v27, s15
	ds_bpermute_b32 v26, v12, v4
	s_waitcnt lgkmcnt(0)
	v_cmp_lt_f32_e64 s15, v4, v26
	v_cndmask_b32_e64 v26, v4, v26, s15
	s_delay_alu instid0(VALU_DEP_1)
	v_sub_f32_e32 v11, v11, v26
	v_sub_f32_e32 v4, v9, v26
	;; [unrolled: 1-line block ×5, first 2 shown]
	v_dual_sub_f32 v15, v17, v26 :: v_dual_mul_f32 v28, 0x3fb8aa3b, v11
	v_sub_f32_e32 v16, v16, v26
	v_sub_f32_e32 v24, v24, v26
	;; [unrolled: 1-line block ×3, first 2 shown]
	s_delay_alu instid0(VALU_DEP_4) | instskip(NEXT) | instid1(VALU_DEP_4)
	v_dual_sub_f32 v20, v20, v26 :: v_dual_mul_f32 v31, 0x3fb8aa3b, v15
	v_dual_sub_f32 v17, v19, v26 :: v_dual_mul_f32 v32, 0x3fb8aa3b, v16
	v_sub_f32_e32 v18, v18, v26
	s_delay_alu instid0(VALU_DEP_3)
	v_dual_sub_f32 v19, v21, v26 :: v_dual_mul_f32 v36, 0x3fb8aa3b, v20
	v_dual_sub_f32 v21, v23, v26 :: v_dual_mul_f32 v40, 0x3fb8aa3b, v24
	v_sub_f32_e32 v22, v22, v26
	v_sub_f32_e32 v23, v25, v26
	v_dual_mul_f32 v25, 0x3fb8aa3b, v4 :: v_dual_mul_f32 v26, 0x3fb8aa3b, v7
	v_mul_f32_e32 v27, 0x3fb8aa3b, v9
	v_rndne_f32_e32 v48, v28
	v_mul_f32_e32 v29, 0x3fb8aa3b, v13
	s_delay_alu instid0(VALU_DEP_4)
	v_fma_f32 v41, 0x3fb8aa3b, v4, -v25
	v_rndne_f32_e32 v42, v25
	v_fma_f32 v43, 0x3fb8aa3b, v7, -v26
	v_rndne_f32_e32 v44, v26
	;; [unrolled: 2-line block ×3, first 2 shown]
	v_sub_f32_e32 v25, v25, v42
	s_delay_alu instid0(VALU_DEP_4)
	v_dual_fmac_f32 v43, 0x32a5705f, v7 :: v_dual_sub_f32 v26, v26, v44
	v_fmac_f32_e32 v41, 0x32a5705f, v4
	v_fma_f32 v47, 0x3fb8aa3b, v11, -v28
	v_sub_f32_e32 v28, v28, v48
	v_rndne_f32_e32 v56, v32
	v_add_f32_e32 v26, v26, v43
	v_dual_mul_f32 v30, 0x3fb8aa3b, v14 :: v_dual_add_f32 v25, v25, v41
	v_fmac_f32_e32 v45, 0x32a5705f, v9
	v_sub_f32_e32 v27, v27, v46
	v_mul_f32_e32 v33, 0x3fb8aa3b, v17
	v_fma_f32 v55, 0x3fb8aa3b, v16, -v32
	v_exp_f32_e32 v25, v25
	v_cvt_i32_f32_e32 v42, v42
	v_sub_f32_e32 v32, v32, v56
	v_dual_mul_f32 v34, 0x3fb8aa3b, v18 :: v_dual_add_f32 v27, v27, v45
	v_exp_f32_e32 v26, v26
	v_cvt_i32_f32_e32 v44, v44
	v_cmp_ngt_f32_e64 s15, 0xc2ce8ed0, v4
	v_fma_f32 v51, 0x3fb8aa3b, v14, -v30
	v_exp_f32_e32 v27, v27
	s_delay_alu instid0(TRANS32_DEP_3)
	v_ldexp_f32 v25, v25, v42
	v_rndne_f32_e32 v64, v36
	v_cvt_i32_f32_e32 v46, v46
	v_fmac_f32_e32 v47, 0x32a5705f, v11
	v_mul_f32_e32 v35, 0x3fb8aa3b, v19
	v_ldexp_f32 v26, v26, v44
	v_cndmask_b32_e64 v25, 0, v25, s15
	v_cmp_ngt_f32_e64 s15, 0xc2ce8ed0, v7
	v_fma_f32 v49, 0x3fb8aa3b, v13, -v29
	v_rndne_f32_e32 v50, v29
	v_fma_f32 v63, 0x3fb8aa3b, v20, -v36
	v_dual_sub_f32 v36, v36, v64 :: v_dual_fmac_f32 v51, 0x32a5705f, v14
	v_add_f32_e32 v28, v28, v47
	v_ldexp_f32 v27, v27, v46
	v_cndmask_b32_e64 v26, 0, v26, s15
	v_cmp_ngt_f32_e64 s15, 0xc2ce8ed0, v9
	v_rndne_f32_e32 v72, v40
	v_fmac_f32_e32 v49, 0x32a5705f, v13
	v_sub_f32_e32 v29, v29, v50
	v_exp_f32_e32 v28, v28
	v_cndmask_b32_e64 v27, 0, v27, s15
	v_cmp_nlt_f32_e64 s15, 0x42b17218, v4
	v_mul_f32_e32 v37, 0x3fb8aa3b, v21
	v_mul_f32_e32 v39, 0x3fb8aa3b, v23
	v_rndne_f32_e32 v52, v30
	v_fma_f32 v71, 0x3fb8aa3b, v24, -v40
	v_sub_f32_e32 v40, v40, v72
	v_dual_mul_f32 v38, 0x3fb8aa3b, v22 :: v_dual_add_f32 v29, v29, v49
	v_cvt_i32_f32_e32 v48, v48
	v_cndmask_b32_e64 v25, 0x7f800000, v25, s15
	v_cmp_nlt_f32_e64 s15, 0x42b17218, v7
	v_rndne_f32_e32 v54, v31
	v_sub_f32_e32 v30, v30, v52
	v_exp_f32_e32 v29, v29
	v_ldexp_f32 v28, v28, v48
	v_cndmask_b32_e64 v26, 0x7f800000, v26, s15
	v_cmp_ngt_f32_e64 s15, 0xc2ce8ed0, v11
	v_fma_f32 v53, 0x3fb8aa3b, v15, -v31
	v_cvt_i32_f32_e32 v50, v50
	v_dual_sub_f32 v31, v31, v54 :: v_dual_add_f32 v30, v30, v51
	s_delay_alu instid0(VALU_DEP_4)
	v_cndmask_b32_e64 v28, 0, v28, s15
	v_cmp_nlt_f32_e64 s15, 0x42b17218, v9
	v_fma_f32 v67, 0x3fb8aa3b, v22, -v38
	v_rndne_f32_e32 v68, v38
	v_fmac_f32_e32 v53, 0x32a5705f, v15
	v_exp_f32_e32 v30, v30
	v_ldexp_f32 v29, v29, v50
	v_cndmask_b32_e64 v27, 0x7f800000, v27, s15
	v_cmp_ngt_f32_e64 s15, 0xc2ce8ed0, v13
	v_fma_f32 v59, 0x3fb8aa3b, v18, -v34
	v_rndne_f32_e32 v60, v34
	v_cvt_i32_f32_e32 v52, v52
	v_dual_fmac_f32 v67, 0x32a5705f, v22 :: v_dual_sub_f32 v38, v38, v68
	v_add_f32_e32 v31, v31, v53
	v_add_f32_e32 v25, v25, v26
	v_cndmask_b32_e64 v26, 0, v29, s15
	v_cmp_nlt_f32_e64 s15, 0x42b17218, v11
	v_fma_f32 v57, 0x3fb8aa3b, v17, -v33
	v_dual_fmac_f32 v59, 0x32a5705f, v18 :: v_dual_add_f32 v38, v38, v67
	v_sub_f32_e32 v34, v34, v60
	v_fmac_f32_e32 v55, 0x32a5705f, v16
	v_exp_f32_e32 v31, v31
	v_ldexp_f32 v30, v30, v52
	v_cndmask_b32_e64 v28, 0x7f800000, v28, s15
	v_add_f32_e32 v34, v34, v59
	v_cmp_ngt_f32_e64 s15, 0xc2ce8ed0, v14
	v_rndne_f32_e32 v58, v33
	v_cvt_i32_f32_e32 v54, v54
	v_dual_fmac_f32 v57, 0x32a5705f, v17 :: v_dual_add_f32 v32, v32, v55
	v_add_f32_e32 v25, v25, v27
	v_cndmask_b32_e64 v27, 0, v30, s15
	v_cmp_nlt_f32_e64 s15, 0x42b17218, v13
	v_fmac_f32_e32 v63, 0x32a5705f, v20
	v_sub_f32_e32 v33, v33, v58
	v_exp_f32_e32 v32, v32
	v_ldexp_f32 v31, v31, v54
	v_cndmask_b32_e64 v26, 0x7f800000, v26, s15
	v_add_f32_e32 v36, v36, v63
	v_cmp_ngt_f32_e64 s15, 0xc2ce8ed0, v15
	v_cvt_i32_f32_e32 v56, v56
	v_add_f32_e32 v33, v33, v57
	v_add_f32_e32 v25, v25, v28
	v_fma_f32 v61, 0x3fb8aa3b, v19, -v35
	v_cndmask_b32_e64 v28, 0, v31, s15
	v_cmp_nlt_f32_e64 s15, 0x42b17218, v14
	v_exp_f32_e32 v33, v33
	v_ldexp_f32 v32, v32, v56
	v_rndne_f32_e32 v62, v35
	v_cvt_i32_f32_e32 v58, v58
	v_cndmask_b32_e64 v27, 0x7f800000, v27, s15
	v_cmp_ngt_f32_e64 s15, 0xc2ce8ed0, v16
	v_add_f32_e32 v25, v25, v26
	v_fmac_f32_e32 v61, 0x32a5705f, v19
	v_fmac_f32_e32 v71, 0x32a5705f, v24
	v_sub_f32_e32 v35, v35, v62
	v_cndmask_b32_e64 v26, 0, v32, s15
	v_cmp_nlt_f32_e64 s15, 0x42b17218, v15
	v_exp_f32_e32 v34, v34
	v_add_f32_e32 v40, v40, v71
	v_ldexp_f32 v33, v33, v58
	v_cvt_i32_f32_e32 v60, v60
	v_cndmask_b32_e64 v28, 0x7f800000, v28, s15
	v_cmp_ngt_f32_e64 s15, 0xc2ce8ed0, v17
	v_add_f32_e32 v35, v35, v61
	v_add_f32_e32 v25, v25, v27
	v_fma_f32 v65, 0x3fb8aa3b, v21, -v37
	v_rndne_f32_e32 v66, v37
	v_cndmask_b32_e64 v27, 0, v33, s15
	v_cmp_nlt_f32_e64 s15, 0x42b17218, v16
	v_exp_f32_e32 v35, v35
	v_ldexp_f32 v34, v34, v60
	v_cvt_i32_f32_e32 v62, v62
	v_add_f32_e32 v25, v25, v28
	v_cndmask_b32_e64 v26, 0x7f800000, v26, s15
	v_cmp_ngt_f32_e64 s15, 0xc2ce8ed0, v18
	v_fmac_f32_e32 v65, 0x32a5705f, v21
	v_sub_f32_e32 v37, v37, v66
	v_exp_f32_e32 v36, v36
	v_cvt_i32_f32_e32 v64, v64
	v_cndmask_b32_e64 v28, 0, v34, s15
	v_cmp_nlt_f32_e64 s15, 0x42b17218, v17
	v_ldexp_f32 v35, v35, v62
	v_add_f32_e32 v37, v37, v65
	v_add_f32_e32 v25, v25, v26
	v_fma_f32 v69, 0x3fb8aa3b, v23, -v39
	v_cndmask_b32_e64 v27, 0x7f800000, v27, s15
	v_cmp_ngt_f32_e64 s15, 0xc2ce8ed0, v19
	v_exp_f32_e32 v37, v37
	v_ldexp_f32 v36, v36, v64
	v_rndne_f32_e32 v70, v39
	v_cvt_i32_f32_e32 v66, v66
	v_cndmask_b32_e64 v26, 0, v35, s15
	v_cmp_nlt_f32_e64 s15, 0x42b17218, v18
	v_add_f32_e32 v25, v25, v27
	v_fmac_f32_e32 v69, 0x32a5705f, v23
	v_sub_f32_e32 v39, v39, v70
	v_exp_f32_e32 v38, v38
	v_cndmask_b32_e64 v28, 0x7f800000, v28, s15
	v_cmp_ngt_f32_e64 s15, 0xc2ce8ed0, v20
	v_ldexp_f32 v37, v37, v66
	v_cvt_i32_f32_e32 v68, v68
	v_add_f32_e32 v39, v39, v69
	v_add_f32_e32 v25, v25, v28
	v_cndmask_b32_e64 v27, 0, v36, s15
	v_cmp_nlt_f32_e64 s15, 0x42b17218, v19
	v_cvt_i32_f32_e32 v70, v70
	v_exp_f32_e32 v39, v39
	v_ldexp_f32 v38, v38, v68
	v_exp_f32_e32 v40, v40
	v_cndmask_b32_e64 v26, 0x7f800000, v26, s15
	v_cmp_ngt_f32_e64 s15, 0xc2ce8ed0, v21
	v_cvt_i32_f32_e32 v72, v72
	s_delay_alu instid0(VALU_DEP_3) | instskip(NEXT) | instid1(VALU_DEP_3)
	v_add_f32_e32 v25, v25, v26
	v_cndmask_b32_e64 v28, 0, v37, s15
	v_cmp_nlt_f32_e64 s15, 0x42b17218, v20
	s_delay_alu instid0(TRANS32_DEP_2) | instskip(NEXT) | instid1(VALU_DEP_2)
	v_ldexp_f32 v39, v39, v70
	v_cndmask_b32_e64 v27, 0x7f800000, v27, s15
	v_cmp_ngt_f32_e64 s15, 0xc2ce8ed0, v22
	s_delay_alu instid0(VALU_DEP_2) | instskip(NEXT) | instid1(VALU_DEP_2)
	v_add_f32_e32 v25, v25, v27
	v_cndmask_b32_e64 v26, 0, v38, s15
	v_cmp_nlt_f32_e64 s15, 0x42b17218, v21
	s_delay_alu instid0(VALU_DEP_1) | instskip(SKIP_1) | instid1(VALU_DEP_2)
	v_cndmask_b32_e64 v28, 0x7f800000, v28, s15
	v_cmp_ngt_f32_e64 s15, 0xc2ce8ed0, v23
	v_add_f32_e32 v25, v25, v28
	s_delay_alu instid0(VALU_DEP_2) | instskip(SKIP_2) | instid1(VALU_DEP_2)
	v_cndmask_b32_e64 v27, 0, v39, s15
	v_cmp_nlt_f32_e64 s15, 0x42b17218, v22
	v_ldexp_f32 v28, v40, v72
	v_cndmask_b32_e64 v26, 0x7f800000, v26, s15
	v_cmp_nlt_f32_e64 s15, 0x42b17218, v23
	s_delay_alu instid0(VALU_DEP_2) | instskip(NEXT) | instid1(VALU_DEP_2)
	v_add_f32_e32 v25, v25, v26
	v_cndmask_b32_e64 v27, 0x7f800000, v27, s15
	v_cmp_ngt_f32_e64 s15, 0xc2ce8ed0, v24
	s_delay_alu instid0(VALU_DEP_2) | instskip(NEXT) | instid1(VALU_DEP_2)
	v_add_f32_e32 v25, v25, v27
	v_cndmask_b32_e64 v26, 0, v28, s15
	v_cmp_nlt_f32_e64 s15, 0x42b17218, v24
	s_delay_alu instid0(VALU_DEP_1) | instskip(NEXT) | instid1(VALU_DEP_1)
	v_cndmask_b32_e64 v26, 0x7f800000, v26, s15
	v_add_f32_e32 v25, v25, v26
	ds_bpermute_b32 v2, v2, v25
	s_waitcnt lgkmcnt(0)
	v_add_f32_e32 v2, v25, v2
	ds_bpermute_b32 v3, v3, v2
	s_waitcnt lgkmcnt(0)
	;; [unrolled: 3-line block ×5, first 2 shown]
	v_add_f32_e32 v2, v2, v3
	ds_bpermute_b32 v3, v12, v2
	v_cmpx_lt_i32_e32 0, v5
	s_cbranch_execz .LBB55_50
; %bb.33:
	s_and_b32 exec_lo, exec_lo, s0
	s_cbranch_execz .LBB55_50
; %bb.34:
	s_waitcnt lgkmcnt(0)
	v_add_f32_e32 v2, v2, v3
	s_delay_alu instid0(VALU_DEP_1) | instskip(NEXT) | instid1(VALU_DEP_1)
	v_cmp_gt_f32_e64 s0, 0x800000, v2
	v_cndmask_b32_e64 v3, 1.0, 0x4f800000, s0
	s_delay_alu instid0(VALU_DEP_1) | instskip(NEXT) | instid1(VALU_DEP_1)
	v_mul_f32_e32 v2, v2, v3
	v_log_f32_e32 v2, v2
	s_waitcnt_depctr 0xfff
	v_mul_f32_e32 v3, 0x3f317217, v2
	v_cmp_gt_f32_e64 s15, 0x7f800000, |v2|
	s_delay_alu instid0(VALU_DEP_2) | instskip(NEXT) | instid1(VALU_DEP_1)
	v_fma_f32 v5, 0x3f317217, v2, -v3
	v_fmamk_f32 v5, v2, 0x3377d1cf, v5
	s_delay_alu instid0(VALU_DEP_1) | instskip(NEXT) | instid1(VALU_DEP_1)
	v_add_f32_e32 v3, v3, v5
	v_cndmask_b32_e64 v2, v2, v3, s15
	v_cndmask_b32_e64 v3, 0, 0x41b17218, s0
	v_add_co_u32 v0, s0, s16, v0
	s_delay_alu instid0(VALU_DEP_1) | instskip(NEXT) | instid1(VALU_DEP_3)
	v_add_co_ci_u32_e64 v1, s0, s17, v1, s0
	v_sub_f32_e32 v2, v2, v3
	s_delay_alu instid0(VALU_DEP_1)
	v_sub_f32_e32 v3, v4, v2
	global_store_b32 v[0:1], v3, off
	s_and_b32 exec_lo, exec_lo, vcc_lo
	s_cbranch_execz .LBB55_50
; %bb.35:
	v_sub_f32_e32 v3, v7, v2
	global_store_b32 v[0:1], v3, off offset:256
	s_and_b32 exec_lo, exec_lo, s1
	s_cbranch_execz .LBB55_50
; %bb.36:
	v_sub_f32_e32 v3, v9, v2
	global_store_b32 v[0:1], v3, off offset:512
	s_and_b32 exec_lo, exec_lo, s2
	;; [unrolled: 5-line block ×14, first 2 shown]
	s_cbranch_execz .LBB55_50
; %bb.49:
	v_sub_f32_e32 v2, v24, v2
	global_store_b32 v[0:1], v2, off offset:3840
.LBB55_50:
	s_nop 0
	s_sendmsg sendmsg(MSG_DEALLOC_VGPRS)
	s_endpgm
	.section	.rodata,"a",@progbits
	.p2align	6, 0x0
	.amdhsa_kernel _ZN12_GLOBAL__N_120softmax_warp_forwardIfffLi10ELb1ELb0ELi64EEEvPT0_PKT_iiiPKbib
		.amdhsa_group_segment_fixed_size 0
		.amdhsa_private_segment_fixed_size 0
		.amdhsa_kernarg_size 304
		.amdhsa_user_sgpr_count 15
		.amdhsa_user_sgpr_dispatch_ptr 0
		.amdhsa_user_sgpr_queue_ptr 0
		.amdhsa_user_sgpr_kernarg_segment_ptr 1
		.amdhsa_user_sgpr_dispatch_id 0
		.amdhsa_user_sgpr_private_segment_size 0
		.amdhsa_wavefront_size32 1
		.amdhsa_uses_dynamic_stack 0
		.amdhsa_enable_private_segment 0
		.amdhsa_system_sgpr_workgroup_id_x 1
		.amdhsa_system_sgpr_workgroup_id_y 0
		.amdhsa_system_sgpr_workgroup_id_z 0
		.amdhsa_system_sgpr_workgroup_info 0
		.amdhsa_system_vgpr_workitem_id 1
		.amdhsa_next_free_vgpr 73
		.amdhsa_next_free_sgpr 24
		.amdhsa_reserve_vcc 1
		.amdhsa_float_round_mode_32 0
		.amdhsa_float_round_mode_16_64 0
		.amdhsa_float_denorm_mode_32 3
		.amdhsa_float_denorm_mode_16_64 3
		.amdhsa_dx10_clamp 1
		.amdhsa_ieee_mode 1
		.amdhsa_fp16_overflow 0
		.amdhsa_workgroup_processor_mode 1
		.amdhsa_memory_ordered 1
		.amdhsa_forward_progress 0
		.amdhsa_shared_vgpr_count 0
		.amdhsa_exception_fp_ieee_invalid_op 0
		.amdhsa_exception_fp_denorm_src 0
		.amdhsa_exception_fp_ieee_div_zero 0
		.amdhsa_exception_fp_ieee_overflow 0
		.amdhsa_exception_fp_ieee_underflow 0
		.amdhsa_exception_fp_ieee_inexact 0
		.amdhsa_exception_int_div_zero 0
	.end_amdhsa_kernel
	.section	.text._ZN12_GLOBAL__N_120softmax_warp_forwardIfffLi10ELb1ELb0ELi64EEEvPT0_PKT_iiiPKbib,"axG",@progbits,_ZN12_GLOBAL__N_120softmax_warp_forwardIfffLi10ELb1ELb0ELi64EEEvPT0_PKT_iiiPKbib,comdat
.Lfunc_end55:
	.size	_ZN12_GLOBAL__N_120softmax_warp_forwardIfffLi10ELb1ELb0ELi64EEEvPT0_PKT_iiiPKbib, .Lfunc_end55-_ZN12_GLOBAL__N_120softmax_warp_forwardIfffLi10ELb1ELb0ELi64EEEvPT0_PKT_iiiPKbib
                                        ; -- End function
	.section	.AMDGPU.csdata,"",@progbits
; Kernel info:
; codeLenInByte = 3984
; NumSgprs: 26
; NumVgprs: 73
; ScratchSize: 0
; MemoryBound: 0
; FloatMode: 240
; IeeeMode: 1
; LDSByteSize: 0 bytes/workgroup (compile time only)
; SGPRBlocks: 3
; VGPRBlocks: 9
; NumSGPRsForWavesPerEU: 26
; NumVGPRsForWavesPerEU: 73
; Occupancy: 16
; WaveLimiterHint : 0
; COMPUTE_PGM_RSRC2:SCRATCH_EN: 0
; COMPUTE_PGM_RSRC2:USER_SGPR: 15
; COMPUTE_PGM_RSRC2:TRAP_HANDLER: 0
; COMPUTE_PGM_RSRC2:TGID_X_EN: 1
; COMPUTE_PGM_RSRC2:TGID_Y_EN: 0
; COMPUTE_PGM_RSRC2:TGID_Z_EN: 0
; COMPUTE_PGM_RSRC2:TIDIG_COMP_CNT: 1
	.section	.text._ZN12_GLOBAL__N_120softmax_warp_forwardIfffLi10ELb1ELb0ELi32EEEvPT0_PKT_iiiPKbib,"axG",@progbits,_ZN12_GLOBAL__N_120softmax_warp_forwardIfffLi10ELb1ELb0ELi32EEEvPT0_PKT_iiiPKbib,comdat
	.globl	_ZN12_GLOBAL__N_120softmax_warp_forwardIfffLi10ELb1ELb0ELi32EEEvPT0_PKT_iiiPKbib ; -- Begin function _ZN12_GLOBAL__N_120softmax_warp_forwardIfffLi10ELb1ELb0ELi32EEEvPT0_PKT_iiiPKbib
	.p2align	8
	.type	_ZN12_GLOBAL__N_120softmax_warp_forwardIfffLi10ELb1ELb0ELi32EEEvPT0_PKT_iiiPKbib,@function
_ZN12_GLOBAL__N_120softmax_warp_forwardIfffLi10ELb1ELb0ELi32EEEvPT0_PKT_iiiPKbib: ; @_ZN12_GLOBAL__N_120softmax_warp_forwardIfffLi10ELb1ELb0ELi32EEEvPT0_PKT_iiiPKbib
; %bb.0:
	s_clause 0x1
	s_load_b32 s2, s[0:1], 0x3c
	s_load_b256 s[36:43], s[0:1], 0x0
	v_bfe_u32 v1, v0, 10, 10
	v_dual_mov_b32 v12, 0xff800000 :: v_dual_mov_b32 v15, 0xff800000
	s_waitcnt lgkmcnt(0)
	s_lshr_b32 s0, s2, 16
	s_delay_alu instid0(VALU_DEP_2) | instid1(SALU_CYCLE_1)
	v_mad_u64_u32 v[3:4], null, s15, s0, v[1:2]
	v_and_b32_e32 v2, 0x3ff, v0
	s_delay_alu instid0(VALU_DEP_1) | instskip(NEXT) | instid1(VALU_DEP_3)
	v_cmp_gt_i32_e64 s0, s42, v2
	v_mad_u64_u32 v[0:1], null, v3, s41, v[2:3]
	v_sub_nc_u32_e32 v5, s40, v3
	s_delay_alu instid0(VALU_DEP_1) | instskip(NEXT) | instid1(VALU_DEP_3)
	v_cmp_lt_i32_e64 s31, 0, v5
	v_ashrrev_i32_e32 v1, 31, v0
	s_delay_alu instid0(VALU_DEP_2) | instskip(NEXT) | instid1(VALU_DEP_1)
	s_and_b32 s2, s31, s0
	v_lshlrev_b64 v[0:1], 2, v[0:1]
	s_delay_alu instid0(VALU_DEP_1) | instskip(NEXT) | instid1(VALU_DEP_2)
	v_add_co_u32 v3, vcc_lo, s38, v0
	v_add_co_ci_u32_e32 v4, vcc_lo, s39, v1, vcc_lo
	s_and_saveexec_b32 s1, s2
	s_cbranch_execz .LBB56_2
; %bb.1:
	global_load_b32 v15, v[3:4], off
.LBB56_2:
	s_or_b32 exec_lo, exec_lo, s1
	v_add_nc_u32_e32 v6, 32, v2
	s_delay_alu instid0(VALU_DEP_1) | instskip(SKIP_1) | instid1(SALU_CYCLE_1)
	v_cmp_gt_i32_e32 vcc_lo, s42, v6
	s_and_b32 s2, s31, vcc_lo
	s_and_saveexec_b32 s1, s2
	s_cbranch_execz .LBB56_4
; %bb.3:
	global_load_b32 v12, v[3:4], off offset:128
.LBB56_4:
	s_or_b32 exec_lo, exec_lo, s1
	v_dual_mov_b32 v21, 0xff800000 :: v_dual_add_nc_u32 v6, 64, v2
	v_mov_b32_e32 v18, 0xff800000
	s_delay_alu instid0(VALU_DEP_2) | instskip(NEXT) | instid1(VALU_DEP_1)
	v_cmp_gt_i32_e64 s1, s42, v6
	s_and_b32 s3, s31, s1
	s_delay_alu instid0(SALU_CYCLE_1)
	s_and_saveexec_b32 s2, s3
	s_cbranch_execz .LBB56_6
; %bb.5:
	global_load_b32 v21, v[3:4], off offset:256
.LBB56_6:
	s_or_b32 exec_lo, exec_lo, s2
	v_add_nc_u32_e32 v6, 0x60, v2
	s_delay_alu instid0(VALU_DEP_1) | instskip(NEXT) | instid1(VALU_DEP_1)
	v_cmp_gt_i32_e64 s2, s42, v6
	s_and_b32 s4, s31, s2
	s_delay_alu instid0(SALU_CYCLE_1)
	s_and_saveexec_b32 s3, s4
	s_cbranch_execz .LBB56_8
; %bb.7:
	global_load_b32 v18, v[3:4], off offset:384
.LBB56_8:
	s_or_b32 exec_lo, exec_lo, s3
	v_add_nc_u32_e32 v6, 0x80, v2
	v_dual_mov_b32 v22, 0xff800000 :: v_dual_mov_b32 v23, 0xff800000
	s_delay_alu instid0(VALU_DEP_2) | instskip(NEXT) | instid1(VALU_DEP_1)
	v_cmp_gt_i32_e64 s3, s42, v6
	s_and_b32 s5, s31, s3
	s_delay_alu instid0(SALU_CYCLE_1)
	s_and_saveexec_b32 s4, s5
	s_cbranch_execz .LBB56_10
; %bb.9:
	global_load_b32 v23, v[3:4], off offset:512
.LBB56_10:
	s_or_b32 exec_lo, exec_lo, s4
	v_add_nc_u32_e32 v6, 0xa0, v2
	s_delay_alu instid0(VALU_DEP_1) | instskip(NEXT) | instid1(VALU_DEP_1)
	v_cmp_gt_i32_e64 s4, s42, v6
	s_and_b32 s6, s31, s4
	s_delay_alu instid0(SALU_CYCLE_1)
	s_and_saveexec_b32 s5, s6
	s_cbranch_execz .LBB56_12
; %bb.11:
	global_load_b32 v22, v[3:4], off offset:640
.LBB56_12:
	s_or_b32 exec_lo, exec_lo, s5
	v_add_nc_u32_e32 v6, 0xc0, v2
	v_dual_mov_b32 v24, 0xff800000 :: v_dual_mov_b32 v25, 0xff800000
	;; [unrolled: 23-line block ×9, first 2 shown]
	s_delay_alu instid0(VALU_DEP_2) | instskip(NEXT) | instid1(VALU_DEP_1)
	v_cmp_gt_i32_e64 s19, s42, v6
	s_and_b32 s21, s31, s19
	s_delay_alu instid0(SALU_CYCLE_1)
	s_and_saveexec_b32 s20, s21
	s_cbranch_execz .LBB56_42
; %bb.41:
	global_load_b32 v40, v[3:4], off offset:2560
.LBB56_42:
	s_or_b32 exec_lo, exec_lo, s20
	v_add_nc_u32_e32 v6, 0x2a0, v2
	s_delay_alu instid0(VALU_DEP_1) | instskip(NEXT) | instid1(VALU_DEP_1)
	v_cmp_gt_i32_e64 s20, s42, v6
	s_and_b32 s22, s31, s20
	s_delay_alu instid0(SALU_CYCLE_1)
	s_and_saveexec_b32 s21, s22
	s_cbranch_execz .LBB56_44
; %bb.43:
	global_load_b32 v39, v[3:4], off offset:2688
.LBB56_44:
	s_or_b32 exec_lo, exec_lo, s21
	v_add_nc_u32_e32 v6, 0x2c0, v2
	v_mov_b32_e32 v17, 0xff800000
	v_mov_b32_e32 v41, 0xff800000
	s_delay_alu instid0(VALU_DEP_3) | instskip(NEXT) | instid1(VALU_DEP_1)
	v_cmp_gt_i32_e64 s21, s42, v6
	s_and_b32 s23, s31, s21
	s_delay_alu instid0(SALU_CYCLE_1)
	s_and_saveexec_b32 s22, s23
	s_cbranch_execz .LBB56_46
; %bb.45:
	global_load_b32 v41, v[3:4], off offset:2816
.LBB56_46:
	s_or_b32 exec_lo, exec_lo, s22
	v_add_nc_u32_e32 v6, 0x2e0, v2
	s_delay_alu instid0(VALU_DEP_1) | instskip(NEXT) | instid1(VALU_DEP_1)
	v_cmp_gt_i32_e64 s22, s42, v6
	s_and_b32 s24, s31, s22
	s_delay_alu instid0(SALU_CYCLE_1)
	s_and_saveexec_b32 s23, s24
	s_cbranch_execz .LBB56_48
; %bb.47:
	global_load_b32 v17, v[3:4], off offset:2944
.LBB56_48:
	s_or_b32 exec_lo, exec_lo, s23
	v_add_nc_u32_e32 v6, 0x300, v2
	v_dual_mov_b32 v11, 0xff800000 :: v_dual_mov_b32 v20, 0xff800000
	s_delay_alu instid0(VALU_DEP_2) | instskip(NEXT) | instid1(VALU_DEP_1)
	v_cmp_gt_i32_e64 s23, s42, v6
	s_and_b32 s25, s31, s23
	s_delay_alu instid0(SALU_CYCLE_1)
	s_and_saveexec_b32 s24, s25
	s_cbranch_execz .LBB56_50
; %bb.49:
	global_load_b32 v20, v[3:4], off offset:3072
.LBB56_50:
	s_or_b32 exec_lo, exec_lo, s24
	v_add_nc_u32_e32 v6, 0x320, v2
	s_delay_alu instid0(VALU_DEP_1) | instskip(NEXT) | instid1(VALU_DEP_1)
	v_cmp_gt_i32_e64 s24, s42, v6
	s_and_b32 s26, s31, s24
	s_delay_alu instid0(SALU_CYCLE_1)
	s_and_saveexec_b32 s25, s26
	s_cbranch_execz .LBB56_52
; %bb.51:
	global_load_b32 v11, v[3:4], off offset:3200
.LBB56_52:
	s_or_b32 exec_lo, exec_lo, s25
	v_add_nc_u32_e32 v6, 0x340, v2
	v_mov_b32_e32 v10, 0xff800000
	v_mov_b32_e32 v14, 0xff800000
	s_delay_alu instid0(VALU_DEP_3) | instskip(NEXT) | instid1(VALU_DEP_1)
	v_cmp_gt_i32_e64 s25, s42, v6
	s_and_b32 s27, s31, s25
	s_delay_alu instid0(SALU_CYCLE_1)
	s_and_saveexec_b32 s26, s27
	s_cbranch_execz .LBB56_54
; %bb.53:
	global_load_b32 v14, v[3:4], off offset:3328
.LBB56_54:
	s_or_b32 exec_lo, exec_lo, s26
	v_add_nc_u32_e32 v6, 0x360, v2
	s_delay_alu instid0(VALU_DEP_1) | instskip(NEXT) | instid1(VALU_DEP_1)
	v_cmp_gt_i32_e64 s26, s42, v6
	s_and_b32 s28, s31, s26
	s_delay_alu instid0(SALU_CYCLE_1)
	s_and_saveexec_b32 s27, s28
	s_cbranch_execz .LBB56_56
; %bb.55:
	global_load_b32 v10, v[3:4], off offset:3456
.LBB56_56:
	s_or_b32 exec_lo, exec_lo, s27
	v_add_nc_u32_e32 v6, 0x380, v2
	v_mov_b32_e32 v7, 0xff800000
	v_mov_b32_e32 v9, 0xff800000
	s_delay_alu instid0(VALU_DEP_3) | instskip(NEXT) | instid1(VALU_DEP_1)
	v_cmp_gt_i32_e64 s27, s42, v6
	s_and_b32 s29, s31, s27
	s_delay_alu instid0(SALU_CYCLE_1)
	s_and_saveexec_b32 s28, s29
	s_cbranch_execz .LBB56_58
; %bb.57:
	global_load_b32 v9, v[3:4], off offset:3584
.LBB56_58:
	s_or_b32 exec_lo, exec_lo, s28
	v_add_nc_u32_e32 v6, 0x3a0, v2
	s_delay_alu instid0(VALU_DEP_1) | instskip(NEXT) | instid1(VALU_DEP_1)
	v_cmp_gt_i32_e64 s28, s42, v6
	s_and_b32 s30, s31, s28
	s_delay_alu instid0(SALU_CYCLE_1)
	s_and_saveexec_b32 s29, s30
	s_cbranch_execz .LBB56_60
; %bb.59:
	global_load_b32 v7, v[3:4], off offset:3712
.LBB56_60:
	s_or_b32 exec_lo, exec_lo, s29
	v_add_nc_u32_e32 v6, 0x3c0, v2
	v_mov_b32_e32 v8, 0xff800000
	s_delay_alu instid0(VALU_DEP_2) | instskip(SKIP_1) | instid1(VALU_DEP_2)
	v_cmp_gt_i32_e64 s29, s42, v6
	v_mov_b32_e32 v6, 0xff800000
	s_and_b32 s33, s31, s29
	s_delay_alu instid0(SALU_CYCLE_1)
	s_and_saveexec_b32 s30, s33
	s_cbranch_execz .LBB56_62
; %bb.61:
	global_load_b32 v8, v[3:4], off offset:3840
.LBB56_62:
	s_or_b32 exec_lo, exec_lo, s30
	v_add_nc_u32_e32 v2, 0x3e0, v2
	s_delay_alu instid0(VALU_DEP_1) | instskip(NEXT) | instid1(VALU_DEP_1)
	v_cmp_gt_i32_e64 s30, s42, v2
	s_and_b32 s33, s31, s30
	s_delay_alu instid0(SALU_CYCLE_1)
	s_and_saveexec_b32 s31, s33
	s_cbranch_execz .LBB56_64
; %bb.63:
	global_load_b32 v6, v[3:4], off offset:3968
.LBB56_64:
	s_or_b32 exec_lo, exec_lo, s31
	s_waitcnt vmcnt(0)
	v_cmp_gt_f32_e64 s31, v15, v12
	v_mbcnt_lo_u32_b32 v3, -1, 0
	s_mov_b32 s33, exec_lo
	s_delay_alu instid0(VALU_DEP_2) | instskip(NEXT) | instid1(VALU_DEP_2)
	v_cndmask_b32_e64 v2, v12, v15, s31
	v_xor_b32_e32 v4, 16, v3
	s_delay_alu instid0(VALU_DEP_2) | instskip(NEXT) | instid1(VALU_DEP_1)
	v_cmp_gt_f32_e64 s31, v2, v21
	v_cndmask_b32_e64 v2, v21, v2, s31
	s_delay_alu instid0(VALU_DEP_1) | instskip(NEXT) | instid1(VALU_DEP_1)
	v_cmp_gt_f32_e64 s31, v2, v18
	v_cndmask_b32_e64 v2, v18, v2, s31
	s_delay_alu instid0(VALU_DEP_1) | instskip(NEXT) | instid1(VALU_DEP_1)
	;; [unrolled: 3-line block ×27, first 2 shown]
	v_cmp_gt_f32_e64 s31, v2, v7
	v_cndmask_b32_e64 v2, v7, v2, s31
	v_cmp_gt_i32_e64 s31, 32, v4
	s_delay_alu instid0(VALU_DEP_1) | instskip(NEXT) | instid1(VALU_DEP_3)
	v_cndmask_b32_e64 v4, v3, v4, s31
	v_cmp_gt_f32_e64 s31, v2, v8
	s_delay_alu instid0(VALU_DEP_1) | instskip(NEXT) | instid1(VALU_DEP_3)
	v_cndmask_b32_e64 v13, v8, v2, s31
	v_lshlrev_b32_e32 v2, 2, v4
	v_xor_b32_e32 v4, 8, v3
	s_delay_alu instid0(VALU_DEP_3) | instskip(NEXT) | instid1(VALU_DEP_1)
	v_cmp_gt_f32_e64 s31, v13, v6
	v_cndmask_b32_e64 v13, v6, v13, s31
	s_delay_alu instid0(VALU_DEP_3) | instskip(SKIP_2) | instid1(VALU_DEP_1)
	v_cmp_gt_i32_e64 s31, 32, v4
	ds_bpermute_b32 v16, v2, v13
	v_cndmask_b32_e64 v4, v3, v4, s31
	v_lshlrev_b32_e32 v4, 2, v4
	s_waitcnt lgkmcnt(0)
	v_cmp_lt_f32_e64 s31, v13, v16
	s_delay_alu instid0(VALU_DEP_1) | instskip(SKIP_3) | instid1(VALU_DEP_1)
	v_cndmask_b32_e64 v16, v13, v16, s31
	v_xor_b32_e32 v13, 4, v3
	ds_bpermute_b32 v19, v4, v16
	v_cmp_gt_i32_e64 s31, 32, v13
	v_cndmask_b32_e64 v13, v3, v13, s31
	s_delay_alu instid0(VALU_DEP_1) | instskip(SKIP_2) | instid1(VALU_DEP_1)
	v_lshlrev_b32_e32 v13, 2, v13
	s_waitcnt lgkmcnt(0)
	v_cmp_lt_f32_e64 s31, v16, v19
	v_cndmask_b32_e64 v19, v16, v19, s31
	v_xor_b32_e32 v16, 2, v3
	ds_bpermute_b32 v28, v13, v19
	v_cmp_gt_i32_e64 s31, 32, v16
	s_delay_alu instid0(VALU_DEP_1) | instskip(NEXT) | instid1(VALU_DEP_1)
	v_cndmask_b32_e64 v16, v3, v16, s31
	v_lshlrev_b32_e32 v16, 2, v16
	s_waitcnt lgkmcnt(0)
	v_cmp_lt_f32_e64 s31, v19, v28
	s_delay_alu instid0(VALU_DEP_1) | instskip(SKIP_3) | instid1(VALU_DEP_1)
	v_cndmask_b32_e64 v28, v19, v28, s31
	v_xor_b32_e32 v19, 1, v3
	ds_bpermute_b32 v42, v16, v28
	v_cmp_gt_i32_e64 s31, 32, v19
	v_cndmask_b32_e64 v3, v3, v19, s31
	s_delay_alu instid0(VALU_DEP_1) | instskip(SKIP_2) | instid1(VALU_DEP_1)
	v_lshlrev_b32_e32 v19, 2, v3
	s_waitcnt lgkmcnt(0)
	v_cmp_lt_f32_e64 s31, v28, v42
	v_cndmask_b32_e64 v3, v28, v42, s31
	ds_bpermute_b32 v28, v19, v3
	s_waitcnt lgkmcnt(0)
	v_cmp_lt_f32_e64 s31, v3, v28
	s_delay_alu instid0(VALU_DEP_1) | instskip(NEXT) | instid1(VALU_DEP_1)
	v_cndmask_b32_e64 v28, v3, v28, s31
	v_sub_f32_e32 v18, v18, v28
	v_sub_f32_e32 v3, v15, v28
	v_sub_f32_e32 v12, v12, v28
	v_sub_f32_e32 v22, v22, v28
	s_delay_alu instid0(VALU_DEP_4)
	v_dual_sub_f32 v15, v21, v28 :: v_dual_mul_f32 v44, 0x3fb8aa3b, v18
	v_sub_f32_e32 v35, v35, v28
	v_sub_f32_e32 v26, v26, v28
	;; [unrolled: 1-line block ×4, first 2 shown]
	v_mul_f32_e32 v42, 0x3fb8aa3b, v12
	v_dual_mul_f32 v58, 0x3fb8aa3b, v35 :: v_dual_sub_f32 v23, v25, v28
	v_fma_f32 v70, 0x3fb8aa3b, v18, -v44
	s_delay_alu instid0(VALU_DEP_4) | instskip(NEXT) | instid1(VALU_DEP_4)
	v_mul_f32_e32 v52, 0x3fb8aa3b, v29
	v_rndne_f32_e32 v67, v42
	v_sub_f32_e32 v37, v37, v28
	v_dual_mul_f32 v47, 0x3fb8aa3b, v23 :: v_dual_mul_f32 v46, 0x3fb8aa3b, v22
	v_mul_f32_e32 v43, 0x3fb8aa3b, v15
	v_fma_f32 v66, 0x3fb8aa3b, v12, -v42
	v_dual_sub_f32 v42, v42, v67 :: v_dual_sub_f32 v31, v31, v28
	v_mul_f32_e32 v60, 0x3fb8aa3b, v37
	s_delay_alu instid0(VALU_DEP_4) | instskip(SKIP_1) | instid1(VALU_DEP_4)
	v_fma_f32 v68, 0x3fb8aa3b, v15, -v43
	v_sub_f32_e32 v39, v39, v28
	v_dual_sub_f32 v25, v27, v28 :: v_dual_mul_f32 v54, 0x3fb8aa3b, v31
	v_rndne_f32_e32 v69, v43
	v_rndne_f32_e32 v77, v47
	v_dual_fmac_f32 v68, 0x32a5705f, v15 :: v_dual_sub_f32 v33, v33, v28
	v_dual_mul_f32 v62, 0x3fb8aa3b, v39 :: v_dual_sub_f32 v27, v30, v28
	v_sub_f32_e32 v30, v32, v28
	v_sub_f32_e32 v32, v34, v28
	;; [unrolled: 1-line block ×4, first 2 shown]
	v_dual_sub_f32 v38, v40, v28 :: v_dual_sub_f32 v43, v43, v69
	v_dual_sub_f32 v40, v41, v28 :: v_dual_mul_f32 v41, 0x3fb8aa3b, v3
	v_dual_mul_f32 v56, 0x3fb8aa3b, v33 :: v_dual_mul_f32 v51, 0x3fb8aa3b, v27
	v_dual_sub_f32 v24, v24, v28 :: v_dual_mul_f32 v49, 0x3fb8aa3b, v25
	s_delay_alu instid0(VALU_DEP_3) | instskip(SKIP_1) | instid1(VALU_DEP_4)
	v_fma_f32 v64, 0x3fb8aa3b, v3, -v41
	v_rndne_f32_e32 v65, v41
	v_rndne_f32_e32 v85, v51
	v_fmac_f32_e32 v66, 0x32a5705f, v12
	v_mul_f32_e32 v50, 0x3fb8aa3b, v26
	s_delay_alu instid0(VALU_DEP_4)
	v_dual_fmac_f32 v64, 0x32a5705f, v3 :: v_dual_sub_f32 v41, v41, v65
	v_mul_f32_e32 v45, 0x3fb8aa3b, v21
	v_mul_f32_e32 v61, 0x3fb8aa3b, v38
	;; [unrolled: 1-line block ×4, first 2 shown]
	v_dual_add_f32 v41, v41, v64 :: v_dual_fmac_f32 v70, 0x32a5705f, v18
	v_rndne_f32_e32 v81, v49
	v_mul_f32_e32 v48, 0x3fb8aa3b, v24
	v_fma_f32 v84, 0x3fb8aa3b, v27, -v51
	v_sub_f32_e32 v51, v51, v85
	v_dual_mul_f32 v55, 0x3fb8aa3b, v32 :: v_dual_add_f32 v42, v42, v66
	v_exp_f32_e32 v41, v41
	v_fma_f32 v72, 0x3fb8aa3b, v21, -v45
	v_fma_f32 v80, 0x3fb8aa3b, v25, -v49
	v_add_f32_e32 v43, v43, v68
	v_sub_f32_e32 v49, v49, v81
	v_fma_f32 v78, 0x3fb8aa3b, v24, -v48
	v_fmac_f32_e32 v72, 0x32a5705f, v21
	v_rndne_f32_e32 v79, v48
	v_cvt_i32_f32_e32 v65, v65
	v_exp_f32_e32 v42, v42
	v_rndne_f32_e32 v71, v44
	v_mul_f32_e32 v59, 0x3fb8aa3b, v36
	v_rndne_f32_e32 v89, v53
	v_fma_f32 v92, 0x3fb8aa3b, v32, -v55
	v_rndne_f32_e32 v93, v55
	v_sub_f32_e32 v44, v44, v71
	v_fmac_f32_e32 v78, 0x32a5705f, v24
	v_sub_f32_e32 v48, v48, v79
	v_cvt_i32_f32_e32 v67, v67
	v_sub_f32_e32 v55, v55, v93
	v_exp_f32_e32 v43, v43
	v_ldexp_f32 v41, v41, v65
	v_cmp_ngt_f32_e64 s31, 0xc2ce8ed0, v3
	v_fma_f32 v76, 0x3fb8aa3b, v23, -v47
	v_fma_f32 v88, 0x3fb8aa3b, v30, -v53
	v_dual_sub_f32 v53, v53, v89 :: v_dual_fmac_f32 v92, 0x32a5705f, v32
	v_add_f32_e32 v48, v48, v78
	v_rndne_f32_e32 v78, v59
	v_fmac_f32_e32 v84, 0x32a5705f, v27
	v_cvt_i32_f32_e32 v69, v69
	v_ldexp_f32 v42, v42, v67
	v_cndmask_b32_e64 v41, 0, v41, s31
	v_cmp_ngt_f32_e64 s31, 0xc2ce8ed0, v12
	v_rndne_f32_e32 v73, v45
	v_dual_fmac_f32 v76, 0x32a5705f, v23 :: v_dual_add_f32 v51, v51, v84
	v_dual_sub_f32 v47, v47, v77 :: v_dual_add_f32 v44, v44, v70
	v_ldexp_f32 v43, v43, v69
	v_cndmask_b32_e64 v42, 0, v42, s31
	v_cmp_ngt_f32_e64 s31, 0xc2ce8ed0, v15
	s_delay_alu instid0(VALU_DEP_4)
	v_add_f32_e32 v47, v47, v76
	v_fma_f32 v74, 0x3fb8aa3b, v22, -v46
	v_sub_f32_e32 v45, v45, v73
	v_exp_f32_e32 v44, v44
	v_cndmask_b32_e64 v43, 0, v43, s31
	v_cmp_nlt_f32_e64 s31, 0x42b17218, v3
	s_delay_alu instid0(VALU_DEP_3) | instskip(SKIP_2) | instid1(VALU_DEP_4)
	v_dual_fmac_f32 v74, 0x32a5705f, v22 :: v_dual_add_f32 v45, v45, v72
	v_cvt_i32_f32_e32 v71, v71
	v_cvt_i32_f32_e32 v73, v73
	v_cndmask_b32_e64 v41, 0x7f800000, v41, s31
	v_cmp_nlt_f32_e64 s31, 0x42b17218, v12
	v_exp_f32_e32 v45, v45
	s_delay_alu instid0(TRANS32_DEP_2)
	v_ldexp_f32 v44, v44, v71
	v_fma_f32 v86, 0x3fb8aa3b, v29, -v52
	v_rndne_f32_e32 v87, v52
	v_cndmask_b32_e64 v42, 0x7f800000, v42, s31
	v_cmp_ngt_f32_e64 s31, 0xc2ce8ed0, v18
	v_fma_f32 v90, 0x3fb8aa3b, v31, -v54
	v_fma_f32 v76, 0x3fb8aa3b, v36, -v59
	v_rndne_f32_e32 v75, v46
	v_sub_f32_e32 v52, v52, v87
	v_cndmask_b32_e64 v44, 0, v44, s31
	v_cmp_nlt_f32_e64 s31, 0x42b17218, v15
	v_ldexp_f32 v45, v45, v73
	v_dual_fmac_f32 v90, 0x32a5705f, v31 :: v_dual_add_f32 v41, v41, v42
	v_fmac_f32_e32 v76, 0x32a5705f, v36
	s_delay_alu instid0(VALU_DEP_4) | instskip(SKIP_3) | instid1(VALU_DEP_3)
	v_cndmask_b32_e64 v43, 0x7f800000, v43, s31
	v_cmp_ngt_f32_e64 s31, 0xc2ce8ed0, v21
	v_dual_sub_f32 v59, v59, v78 :: v_dual_fmac_f32 v86, 0x32a5705f, v29
	v_dual_mul_f32 v63, 0x3fb8aa3b, v40 :: v_dual_sub_f32 v46, v46, v75
	v_cndmask_b32_e64 v42, 0, v45, s31
	v_cmp_nlt_f32_e64 s31, 0x42b17218, v18
	s_delay_alu instid0(VALU_DEP_4) | instskip(SKIP_2) | instid1(VALU_DEP_4)
	v_dual_add_f32 v59, v59, v76 :: v_dual_add_f32 v52, v52, v86
	v_add_f32_e32 v41, v41, v43
	v_cvt_i32_f32_e32 v75, v75
	v_cndmask_b32_e64 v44, 0x7f800000, v44, s31
	v_fmac_f32_e32 v88, 0x32a5705f, v30
	v_exp_f32_e32 v47, v47
	v_cmp_ngt_f32_e64 s31, 0xc2ce8ed0, v22
	v_cvt_i32_f32_e32 v77, v77
	v_dual_add_f32 v41, v41, v44 :: v_dual_fmac_f32 v80, 0x32a5705f, v25
	v_dual_add_f32 v53, v53, v88 :: v_dual_add_f32 v46, v46, v74
	v_rndne_f32_e32 v91, v54
	v_fma_f32 v82, 0x3fb8aa3b, v26, -v50
	s_delay_alu instid0(VALU_DEP_4) | instskip(NEXT) | instid1(TRANS32_DEP_1)
	v_add_f32_e32 v49, v49, v80
	v_ldexp_f32 v47, v47, v77
	v_exp_f32_e32 v46, v46
	v_rndne_f32_e32 v83, v50
	v_fma_f32 v68, 0x3fb8aa3b, v34, -v57
	v_rndne_f32_e32 v70, v57
	v_cvt_i32_f32_e32 v79, v79
	v_fma_f32 v84, 0x3fb8aa3b, v38, -v61
	v_sub_f32_e32 v50, v50, v83
	v_rndne_f32_e32 v86, v61
	v_sub_f32_e32 v57, v57, v70
	v_fmac_f32_e32 v68, 0x32a5705f, v34
	v_ldexp_f32 v46, v46, v75
	v_fmac_f32_e32 v82, 0x32a5705f, v26
	v_exp_f32_e32 v49, v49
	v_cvt_i32_f32_e32 v81, v81
	v_add_f32_e32 v57, v57, v68
	v_cndmask_b32_e64 v43, 0, v46, s31
	v_cmp_nlt_f32_e64 s31, 0x42b17218, v21
	v_fmac_f32_e32 v84, 0x32a5705f, v38
	v_sub_f32_e32 v61, v61, v86
	v_add_f32_e32 v50, v50, v82
	v_cvt_i32_f32_e32 v83, v83
	v_cndmask_b32_e64 v42, 0x7f800000, v42, s31
	v_cmp_ngt_f32_e64 s31, 0xc2ce8ed0, v23
	v_dual_add_f32 v61, v61, v84 :: v_dual_sub_f32 v54, v54, v91
	v_exp_f32_e32 v50, v50
	s_delay_alu instid0(VALU_DEP_3) | instskip(NEXT) | instid1(VALU_DEP_3)
	v_add_f32_e32 v41, v41, v42
	v_cndmask_b32_e64 v44, 0, v47, s31
	v_cmp_nlt_f32_e64 s31, 0x42b17218, v22
	v_ldexp_f32 v49, v49, v81
	v_exp_f32_e32 v51, v51
	v_cvt_i32_f32_e32 v85, v85
	v_fma_f32 v64, 0x3fb8aa3b, v33, -v56
	v_cndmask_b32_e64 v43, 0x7f800000, v43, s31
	v_cmp_ngt_f32_e64 s31, 0xc2ce8ed0, v24
	v_ldexp_f32 v50, v50, v83
	v_exp_f32_e32 v52, v52
	v_cvt_i32_f32_e32 v87, v87
	v_add_f32_e32 v41, v41, v43
	v_add_f32_e32 v55, v55, v92
	v_exp_f32_e32 v48, v48
	v_ldexp_f32 v51, v51, v85
	v_rndne_f32_e32 v66, v56
	v_exp_f32_e32 v53, v53
	v_cvt_i32_f32_e32 v89, v89
	v_cvt_i32_f32_e32 v91, v91
	v_ldexp_f32 v52, v52, v87
	v_fma_f32 v72, 0x3fb8aa3b, v35, -v58
	v_exp_f32_e32 v55, v55
	v_cvt_i32_f32_e32 v93, v93
	v_ldexp_f32 v48, v48, v79
	v_rndne_f32_e32 v74, v58
	v_fma_f32 v80, 0x3fb8aa3b, v37, -v60
	v_ldexp_f32 v53, v53, v89
	v_exp_f32_e32 v57, v57
	v_cndmask_b32_e64 v42, 0, v48, s31
	v_cmp_nlt_f32_e64 s31, 0x42b17218, v23
	v_cvt_i32_f32_e32 v70, v70
	v_ldexp_f32 v55, v55, v93
	v_sub_f32_e32 v11, v11, v28
	v_sub_f32_e32 v17, v17, v28
	v_cndmask_b32_e64 v44, 0x7f800000, v44, s31
	v_cmp_ngt_f32_e64 s31, 0xc2ce8ed0, v25
	v_add_f32_e32 v54, v54, v90
	v_ldexp_f32 v57, v57, v70
	v_mul_f32_e32 v47, 0x3fb8aa3b, v17
	v_add_f32_e32 v41, v41, v44
	v_cndmask_b32_e64 v43, 0, v49, s31
	v_cmp_nlt_f32_e64 s31, 0x42b17218, v24
	v_exp_f32_e32 v54, v54
	v_rndne_f32_e32 v82, v60
	v_exp_f32_e32 v59, v59
	v_cvt_i32_f32_e32 v78, v78
	v_cndmask_b32_e64 v42, 0x7f800000, v42, s31
	v_cmp_ngt_f32_e64 s31, 0xc2ce8ed0, v26
	v_fmac_f32_e32 v64, 0x32a5705f, v33
	v_fma_f32 v88, 0x3fb8aa3b, v39, -v62
	v_exp_f32_e32 v61, v61
	v_add_f32_e32 v41, v41, v42
	v_cndmask_b32_e64 v44, 0, v50, s31
	v_cmp_nlt_f32_e64 s31, 0x42b17218, v25
	v_ldexp_f32 v54, v54, v91
	v_ldexp_f32 v59, v59, v78
	v_rndne_f32_e32 v90, v62
	v_cvt_i32_f32_e32 v86, v86
	v_cndmask_b32_e64 v43, 0x7f800000, v43, s31
	v_cmp_ngt_f32_e64 s31, 0xc2ce8ed0, v27
	v_sub_f32_e32 v56, v56, v66
	v_cvt_i32_f32_e32 v66, v66
	v_ldexp_f32 v45, v61, v86
	v_add_f32_e32 v41, v41, v43
	v_cndmask_b32_e64 v42, 0, v51, s31
	v_cmp_nlt_f32_e64 s31, 0x42b17218, v26
	v_add_f32_e32 v56, v56, v64
	v_fma_f32 v92, 0x3fb8aa3b, v40, -v63
	v_cvt_i32_f32_e32 v46, v90
	v_sub_f32_e32 v10, v10, v28
	v_cndmask_b32_e64 v44, 0x7f800000, v44, s31
	v_cmp_ngt_f32_e64 s31, 0xc2ce8ed0, v29
	v_exp_f32_e32 v56, v56
	v_mul_f32_e32 v48, 0x3fb8aa3b, v11
	s_delay_alu instid0(VALU_DEP_3) | instskip(NEXT) | instid1(VALU_DEP_3)
	v_dual_mul_f32 v50, 0x3fb8aa3b, v10 :: v_dual_add_f32 v41, v41, v44
	v_cndmask_b32_e64 v43, 0, v52, s31
	v_cmp_nlt_f32_e64 s31, 0x42b17218, v27
	v_sub_f32_e32 v9, v9, v28
	v_sub_f32_e32 v7, v7, v28
	s_delay_alu instid0(VALU_DEP_3) | instskip(SKIP_3) | instid1(VALU_DEP_4)
	v_cndmask_b32_e64 v42, 0x7f800000, v42, s31
	v_cmp_ngt_f32_e64 s31, 0xc2ce8ed0, v30
	v_fmac_f32_e32 v72, 0x32a5705f, v35
	v_ldexp_f32 v56, v56, v66
	v_add_f32_e32 v41, v41, v42
	s_delay_alu instid0(VALU_DEP_4) | instskip(SKIP_1) | instid1(VALU_DEP_1)
	v_cndmask_b32_e64 v44, 0, v53, s31
	v_cmp_nlt_f32_e64 s31, 0x42b17218, v29
	v_cndmask_b32_e64 v43, 0x7f800000, v43, s31
	v_cmp_ngt_f32_e64 s31, 0xc2ce8ed0, v31
	v_sub_f32_e32 v58, v58, v74
	v_cvt_i32_f32_e32 v74, v74
	s_delay_alu instid0(VALU_DEP_4) | instskip(NEXT) | instid1(VALU_DEP_4)
	v_add_f32_e32 v41, v41, v43
	v_cndmask_b32_e64 v42, 0, v54, s31
	v_cmp_nlt_f32_e64 s31, 0x42b17218, v30
	v_add_f32_e32 v58, v58, v72
	s_delay_alu instid0(VALU_DEP_2) | instskip(SKIP_2) | instid1(VALU_DEP_4)
	v_cndmask_b32_e64 v44, 0x7f800000, v44, s31
	v_cmp_ngt_f32_e64 s31, 0xc2ce8ed0, v32
	v_fmac_f32_e32 v80, 0x32a5705f, v37
	v_exp_f32_e32 v58, v58
	s_delay_alu instid0(VALU_DEP_3) | instskip(NEXT) | instid1(VALU_DEP_3)
	v_add_f32_e32 v41, v41, v44
	v_cndmask_b32_e64 v43, 0, v55, s31
	v_cmp_nlt_f32_e64 s31, 0x42b17218, v31
	s_delay_alu instid0(VALU_DEP_1)
	v_cndmask_b32_e64 v42, 0x7f800000, v42, s31
	v_cmp_ngt_f32_e64 s31, 0xc2ce8ed0, v33
	s_waitcnt_depctr 0xfff
	v_ldexp_f32 v58, v58, v74
	v_add_f32_e32 v41, v41, v42
	v_cndmask_b32_e64 v44, 0, v56, s31
	v_cmp_nlt_f32_e64 s31, 0x42b17218, v32
	s_delay_alu instid0(VALU_DEP_1) | instskip(SKIP_3) | instid1(VALU_DEP_4)
	v_cndmask_b32_e64 v43, 0x7f800000, v43, s31
	v_cmp_ngt_f32_e64 s31, 0xc2ce8ed0, v34
	v_sub_f32_e32 v60, v60, v82
	v_cvt_i32_f32_e32 v82, v82
	v_add_f32_e32 v41, v41, v43
	s_delay_alu instid0(VALU_DEP_4) | instskip(SKIP_2) | instid1(VALU_DEP_2)
	v_cndmask_b32_e64 v42, 0, v57, s31
	v_cmp_nlt_f32_e64 s31, 0x42b17218, v33
	v_add_f32_e32 v60, v60, v80
	v_cndmask_b32_e64 v44, 0x7f800000, v44, s31
	v_cmp_ngt_f32_e64 s31, 0xc2ce8ed0, v35
	s_delay_alu instid0(VALU_DEP_3) | instskip(NEXT) | instid1(VALU_DEP_2)
	v_exp_f32_e32 v60, v60
	v_add_f32_e32 v41, v41, v44
	s_delay_alu instid0(VALU_DEP_2) | instskip(SKIP_1) | instid1(VALU_DEP_1)
	v_cndmask_b32_e64 v43, 0, v58, s31
	v_cmp_nlt_f32_e64 s31, 0x42b17218, v34
	v_cndmask_b32_e64 v42, 0x7f800000, v42, s31
	v_cmp_ngt_f32_e64 s31, 0xc2ce8ed0, v36
	s_waitcnt_depctr 0xfff
	v_ldexp_f32 v60, v60, v82
	v_dual_fmac_f32 v88, 0x32a5705f, v39 :: v_dual_add_f32 v41, v41, v42
	v_cndmask_b32_e64 v44, 0, v59, s31
	v_cmp_nlt_f32_e64 s31, 0x42b17218, v35
	s_delay_alu instid0(VALU_DEP_1) | instskip(SKIP_1) | instid1(VALU_DEP_2)
	v_cndmask_b32_e64 v43, 0x7f800000, v43, s31
	v_cmp_ngt_f32_e64 s31, 0xc2ce8ed0, v37
	v_dual_sub_f32 v62, v62, v90 :: v_dual_add_f32 v41, v41, v43
	s_delay_alu instid0(VALU_DEP_2) | instskip(SKIP_1) | instid1(VALU_DEP_1)
	v_cndmask_b32_e64 v42, 0, v60, s31
	v_cmp_nlt_f32_e64 s31, 0x42b17218, v36
	v_cndmask_b32_e64 v44, 0x7f800000, v44, s31
	v_cmp_nlt_f32_e64 s31, 0x42b17218, v37
	s_delay_alu instid0(VALU_DEP_2) | instskip(NEXT) | instid1(VALU_DEP_2)
	v_add_f32_e32 v41, v41, v44
	v_cndmask_b32_e64 v42, 0x7f800000, v42, s31
	v_cmp_ngt_f32_e64 s31, 0xc2ce8ed0, v38
	v_rndne_f32_e32 v44, v63
	s_delay_alu instid0(VALU_DEP_3) | instskip(NEXT) | instid1(VALU_DEP_3)
	v_add_f32_e32 v41, v41, v42
	v_cndmask_b32_e64 v45, 0, v45, s31
	v_cmp_nlt_f32_e64 s31, 0x42b17218, v38
	s_delay_alu instid0(VALU_DEP_1) | instskip(SKIP_1) | instid1(VALU_DEP_2)
	v_cndmask_b32_e64 v45, 0x7f800000, v45, s31
	v_cmp_ngt_f32_e64 s31, 0xc2ce8ed0, v39
	v_add_f32_e32 v41, v41, v45
	v_fma_f32 v45, 0x3fb8aa3b, v17, -v47
	s_delay_alu instid0(VALU_DEP_1) | instskip(SKIP_1) | instid1(VALU_DEP_1)
	v_dual_fmac_f32 v92, 0x32a5705f, v40 :: v_dual_fmac_f32 v45, 0x32a5705f, v17
	v_add_f32_e32 v43, v62, v88
	v_exp_f32_e32 v43, v43
	s_waitcnt_depctr 0xfff
	v_ldexp_f32 v43, v43, v46
	v_rndne_f32_e32 v46, v47
	s_delay_alu instid0(VALU_DEP_2) | instskip(SKIP_1) | instid1(VALU_DEP_3)
	v_cndmask_b32_e64 v43, 0, v43, s31
	v_cmp_nlt_f32_e64 s31, 0x42b17218, v39
	v_sub_f32_e32 v47, v47, v46
	s_delay_alu instid0(VALU_DEP_2) | instskip(SKIP_3) | instid1(VALU_DEP_3)
	v_cndmask_b32_e64 v43, 0x7f800000, v43, s31
	v_sub_f32_e32 v42, v63, v44
	v_cvt_i32_f32_e32 v44, v44
	v_cmp_ngt_f32_e64 s31, 0xc2ce8ed0, v40
	v_dual_add_f32 v41, v41, v43 :: v_dual_add_f32 v42, v42, v92
	s_delay_alu instid0(VALU_DEP_1) | instskip(SKIP_4) | instid1(VALU_DEP_3)
	v_exp_f32_e32 v42, v42
	s_waitcnt_depctr 0xfff
	v_ldexp_f32 v42, v42, v44
	v_add_f32_e32 v44, v47, v45
	v_cvt_i32_f32_e32 v45, v46
	v_cndmask_b32_e64 v42, 0, v42, s31
	v_cmp_nlt_f32_e64 s31, 0x42b17218, v40
	s_delay_alu instid0(VALU_DEP_4) | instskip(NEXT) | instid1(VALU_DEP_1)
	v_exp_f32_e32 v43, v44
	v_cndmask_b32_e64 v42, 0x7f800000, v42, s31
	s_delay_alu instid0(VALU_DEP_1) | instskip(NEXT) | instid1(VALU_DEP_1)
	v_dual_sub_f32 v20, v20, v28 :: v_dual_add_f32 v41, v41, v42
	v_mul_f32_e32 v44, 0x3fb8aa3b, v20
	s_waitcnt_depctr 0xfff
	v_ldexp_f32 v42, v43, v45
	v_rndne_f32_e32 v45, v48
	v_fma_f32 v46, 0x3fb8aa3b, v20, -v44
	v_rndne_f32_e32 v47, v44
	s_delay_alu instid0(VALU_DEP_1) | instskip(SKIP_1) | instid1(VALU_DEP_2)
	v_dual_fmac_f32 v46, 0x32a5705f, v20 :: v_dual_sub_f32 v43, v44, v47
	v_cvt_i32_f32_e32 v47, v47
	v_dual_add_f32 v43, v43, v46 :: v_dual_sub_f32 v46, v48, v45
	v_fma_f32 v44, 0x3fb8aa3b, v11, -v48
	s_delay_alu instid0(VALU_DEP_2) | instskip(NEXT) | instid1(VALU_DEP_1)
	v_exp_f32_e32 v43, v43
	v_fmac_f32_e32 v44, 0x32a5705f, v11
	v_cmp_ngt_f32_e64 s31, 0xc2ce8ed0, v17
	s_delay_alu instid0(VALU_DEP_2) | instskip(NEXT) | instid1(VALU_DEP_2)
	v_add_f32_e32 v44, v46, v44
	v_cndmask_b32_e64 v42, 0, v42, s31
	v_cmp_nlt_f32_e64 s31, 0x42b17218, v17
	s_delay_alu instid0(VALU_DEP_1) | instskip(SKIP_2) | instid1(VALU_DEP_3)
	v_cndmask_b32_e64 v42, 0x7f800000, v42, s31
	v_sub_f32_e32 v14, v14, v28
	v_cmp_ngt_f32_e64 s31, 0xc2ce8ed0, v20
	v_add_f32_e32 v41, v41, v42
	v_ldexp_f32 v42, v43, v47
	v_rndne_f32_e32 v47, v50
	v_mul_f32_e32 v48, 0x3fb8aa3b, v14
	v_cvt_i32_f32_e32 v43, v45
	s_delay_alu instid0(VALU_DEP_4) | instskip(SKIP_1) | instid1(VALU_DEP_4)
	v_cndmask_b32_e64 v42, 0, v42, s31
	v_cmp_nlt_f32_e64 s31, 0x42b17218, v20
	v_fma_f32 v46, 0x3fb8aa3b, v14, -v48
	v_rndne_f32_e32 v49, v48
	s_delay_alu instid0(VALU_DEP_3) | instskip(NEXT) | instid1(VALU_DEP_3)
	v_cndmask_b32_e64 v42, 0x7f800000, v42, s31
	v_fmac_f32_e32 v46, 0x32a5705f, v14
	s_delay_alu instid0(VALU_DEP_3) | instskip(SKIP_1) | instid1(VALU_DEP_4)
	v_sub_f32_e32 v48, v48, v49
	v_cmp_ngt_f32_e64 s31, 0xc2ce8ed0, v11
	v_add_f32_e32 v41, v41, v42
	s_delay_alu instid0(VALU_DEP_3)
	v_add_f32_e32 v45, v48, v46
	v_exp_f32_e32 v44, v44
	v_cvt_i32_f32_e32 v48, v49
	s_waitcnt_depctr 0xfff
	v_ldexp_f32 v43, v44, v43
	v_exp_f32_e32 v44, v45
	s_delay_alu instid0(VALU_DEP_1) | instskip(SKIP_1) | instid1(VALU_DEP_1)
	v_cndmask_b32_e64 v43, 0, v43, s31
	v_cmp_nlt_f32_e64 s31, 0x42b17218, v11
	v_cndmask_b32_e64 v43, 0x7f800000, v43, s31
	s_waitcnt_depctr 0xfff
	v_ldexp_f32 v42, v44, v48
	v_cmp_ngt_f32_e64 s31, 0xc2ce8ed0, v14
	v_add_f32_e32 v41, v41, v43
	v_fma_f32 v46, 0x3fb8aa3b, v10, -v50
	v_sub_f32_e32 v45, v50, v47
	s_delay_alu instid0(VALU_DEP_4) | instskip(SKIP_3) | instid1(VALU_DEP_2)
	v_cndmask_b32_e64 v42, 0, v42, s31
	v_cvt_i32_f32_e32 v43, v47
	v_cmp_nlt_f32_e64 s31, 0x42b17218, v14
	v_fmac_f32_e32 v46, 0x32a5705f, v10
	v_cndmask_b32_e64 v42, 0x7f800000, v42, s31
	s_delay_alu instid0(VALU_DEP_2) | instskip(SKIP_1) | instid1(VALU_DEP_3)
	v_add_f32_e32 v45, v45, v46
	v_cmp_ngt_f32_e64 s31, 0xc2ce8ed0, v10
	v_dual_mul_f32 v46, 0x3fb8aa3b, v7 :: v_dual_add_f32 v41, v41, v42
	s_delay_alu instid0(VALU_DEP_3) | instskip(SKIP_1) | instid1(VALU_DEP_1)
	v_exp_f32_e32 v44, v45
	v_mul_f32_e32 v45, 0x3fb8aa3b, v9
	v_fma_f32 v42, 0x3fb8aa3b, v9, -v45
	s_waitcnt_depctr 0xfff
	v_ldexp_f32 v43, v44, v43
	v_rndne_f32_e32 v44, v45
	v_fmac_f32_e32 v42, 0x32a5705f, v9
	s_delay_alu instid0(VALU_DEP_3) | instskip(SKIP_1) | instid1(VALU_DEP_1)
	v_cndmask_b32_e64 v43, 0, v43, s31
	v_cmp_nlt_f32_e64 s31, 0x42b17218, v10
	v_cndmask_b32_e64 v43, 0x7f800000, v43, s31
	v_sub_f32_e32 v8, v8, v28
	v_cmp_ngt_f32_e64 s31, 0xc2ce8ed0, v9
	s_delay_alu instid0(VALU_DEP_3) | instskip(SKIP_3) | instid1(VALU_DEP_3)
	v_add_f32_e32 v41, v41, v43
	v_fma_f32 v43, 0x3fb8aa3b, v7, -v46
	v_sub_f32_e32 v6, v6, v28
	v_mul_f32_e32 v47, 0x3fb8aa3b, v8
	v_fmac_f32_e32 v43, 0x32a5705f, v7
	v_sub_f32_e32 v45, v45, v44
	s_delay_alu instid0(VALU_DEP_3) | instskip(SKIP_2) | instid1(VALU_DEP_4)
	v_rndne_f32_e32 v48, v47
	v_mul_f32_e32 v49, 0x3fb8aa3b, v6
	v_cvt_i32_f32_e32 v44, v44
	v_add_f32_e32 v42, v45, v42
	v_rndne_f32_e32 v45, v46
	s_delay_alu instid0(VALU_DEP_4) | instskip(NEXT) | instid1(VALU_DEP_3)
	v_rndne_f32_e32 v50, v49
	v_exp_f32_e32 v42, v42
	s_delay_alu instid0(VALU_DEP_2) | instskip(SKIP_2) | instid1(VALU_DEP_3)
	v_sub_f32_e32 v28, v46, v45
	v_fma_f32 v46, 0x3fb8aa3b, v8, -v47
	v_cvt_i32_f32_e32 v45, v45
	v_dual_add_f32 v28, v28, v43 :: v_dual_sub_f32 v43, v47, v48
	v_fma_f32 v47, 0x3fb8aa3b, v6, -v49
	s_delay_alu instid0(VALU_DEP_4) | instskip(NEXT) | instid1(TRANS32_DEP_1)
	v_fmac_f32_e32 v46, 0x32a5705f, v8
	v_ldexp_f32 v42, v42, v44
	s_delay_alu instid0(VALU_DEP_4)
	v_exp_f32_e32 v28, v28
	v_sub_f32_e32 v44, v49, v50
	v_fmac_f32_e32 v47, 0x32a5705f, v6
	v_add_f32_e32 v43, v43, v46
	v_cndmask_b32_e64 v42, 0, v42, s31
	v_cmp_nlt_f32_e64 s31, 0x42b17218, v9
	s_delay_alu instid0(VALU_DEP_4) | instskip(NEXT) | instid1(VALU_DEP_4)
	v_add_f32_e32 v44, v44, v47
	v_exp_f32_e32 v43, v43
	s_delay_alu instid0(TRANS32_DEP_2) | instskip(NEXT) | instid1(VALU_DEP_3)
	v_ldexp_f32 v28, v28, v45
	v_cndmask_b32_e64 v42, 0x7f800000, v42, s31
	v_cmp_ngt_f32_e64 s31, 0xc2ce8ed0, v7
	v_cvt_i32_f32_e32 v45, v48
	v_exp_f32_e32 v44, v44
	s_delay_alu instid0(VALU_DEP_3) | instskip(NEXT) | instid1(VALU_DEP_3)
	v_add_f32_e32 v41, v41, v42
	v_cndmask_b32_e64 v28, 0, v28, s31
	v_cmp_nlt_f32_e64 s31, 0x42b17218, v7
	s_delay_alu instid0(TRANS32_DEP_2) | instskip(SKIP_1) | instid1(VALU_DEP_3)
	v_ldexp_f32 v42, v43, v45
	v_cvt_i32_f32_e32 v43, v50
	v_cndmask_b32_e64 v28, 0x7f800000, v28, s31
	v_cmp_ngt_f32_e64 s31, 0xc2ce8ed0, v8
	s_delay_alu instid0(TRANS32_DEP_1) | instid1(VALU_DEP_3)
	v_ldexp_f32 v43, v44, v43
	s_delay_alu instid0(VALU_DEP_3) | instskip(NEXT) | instid1(VALU_DEP_3)
	v_add_f32_e32 v28, v41, v28
	v_cndmask_b32_e64 v42, 0, v42, s31
	v_cmp_nlt_f32_e64 s31, 0x42b17218, v8
	s_delay_alu instid0(VALU_DEP_1) | instskip(SKIP_1) | instid1(VALU_DEP_2)
	v_cndmask_b32_e64 v41, 0x7f800000, v42, s31
	v_cmp_ngt_f32_e64 s31, 0xc2ce8ed0, v6
	v_add_f32_e32 v28, v28, v41
	s_delay_alu instid0(VALU_DEP_2) | instskip(SKIP_1) | instid1(VALU_DEP_1)
	v_cndmask_b32_e64 v42, 0, v43, s31
	v_cmp_nlt_f32_e64 s31, 0x42b17218, v6
	v_cndmask_b32_e64 v41, 0x7f800000, v42, s31
	s_delay_alu instid0(VALU_DEP_1)
	v_add_f32_e32 v28, v28, v41
	ds_bpermute_b32 v2, v2, v28
	s_waitcnt lgkmcnt(0)
	v_add_f32_e32 v2, v28, v2
	ds_bpermute_b32 v4, v4, v2
	s_waitcnt lgkmcnt(0)
	;; [unrolled: 3-line block ×4, first 2 shown]
	v_add_f32_e32 v2, v2, v4
	ds_bpermute_b32 v4, v19, v2
	v_cmpx_lt_i32_e32 0, v5
	s_cbranch_execz .LBB56_98
; %bb.65:
	s_and_b32 exec_lo, exec_lo, s0
	s_cbranch_execz .LBB56_98
; %bb.66:
	s_waitcnt lgkmcnt(0)
	v_add_f32_e32 v2, v2, v4
	s_delay_alu instid0(VALU_DEP_1) | instskip(NEXT) | instid1(VALU_DEP_1)
	v_cmp_gt_f32_e64 s0, 0x800000, v2
	v_cndmask_b32_e64 v4, 1.0, 0x4f800000, s0
	s_delay_alu instid0(VALU_DEP_1) | instskip(NEXT) | instid1(VALU_DEP_1)
	v_mul_f32_e32 v2, v2, v4
	v_log_f32_e32 v2, v2
	s_waitcnt_depctr 0xfff
	v_mul_f32_e32 v4, 0x3f317217, v2
	v_cmp_gt_f32_e64 s31, 0x7f800000, |v2|
	s_delay_alu instid0(VALU_DEP_2) | instskip(NEXT) | instid1(VALU_DEP_1)
	v_fma_f32 v5, 0x3f317217, v2, -v4
	v_fmamk_f32 v5, v2, 0x3377d1cf, v5
	s_delay_alu instid0(VALU_DEP_1) | instskip(NEXT) | instid1(VALU_DEP_1)
	v_add_f32_e32 v4, v4, v5
	v_cndmask_b32_e64 v2, v2, v4, s31
	v_cndmask_b32_e64 v4, 0, 0x41b17218, s0
	v_add_co_u32 v0, s0, s36, v0
	s_delay_alu instid0(VALU_DEP_1) | instskip(NEXT) | instid1(VALU_DEP_3)
	v_add_co_ci_u32_e64 v1, s0, s37, v1, s0
	v_sub_f32_e32 v2, v2, v4
	s_delay_alu instid0(VALU_DEP_1)
	v_sub_f32_e32 v3, v3, v2
	global_store_b32 v[0:1], v3, off
	s_and_b32 exec_lo, exec_lo, vcc_lo
	s_cbranch_execz .LBB56_98
; %bb.67:
	v_sub_f32_e32 v3, v12, v2
	global_store_b32 v[0:1], v3, off offset:128
	s_and_b32 exec_lo, exec_lo, s1
	s_cbranch_execz .LBB56_98
; %bb.68:
	v_sub_f32_e32 v3, v15, v2
	global_store_b32 v[0:1], v3, off offset:256
	s_and_b32 exec_lo, exec_lo, s2
	;; [unrolled: 5-line block ×30, first 2 shown]
	s_cbranch_execz .LBB56_98
; %bb.97:
	v_sub_f32_e32 v2, v6, v2
	global_store_b32 v[0:1], v2, off offset:3968
.LBB56_98:
	s_nop 0
	s_sendmsg sendmsg(MSG_DEALLOC_VGPRS)
	s_endpgm
	.section	.rodata,"a",@progbits
	.p2align	6, 0x0
	.amdhsa_kernel _ZN12_GLOBAL__N_120softmax_warp_forwardIfffLi10ELb1ELb0ELi32EEEvPT0_PKT_iiiPKbib
		.amdhsa_group_segment_fixed_size 0
		.amdhsa_private_segment_fixed_size 0
		.amdhsa_kernarg_size 304
		.amdhsa_user_sgpr_count 15
		.amdhsa_user_sgpr_dispatch_ptr 0
		.amdhsa_user_sgpr_queue_ptr 0
		.amdhsa_user_sgpr_kernarg_segment_ptr 1
		.amdhsa_user_sgpr_dispatch_id 0
		.amdhsa_user_sgpr_private_segment_size 0
		.amdhsa_wavefront_size32 1
		.amdhsa_uses_dynamic_stack 0
		.amdhsa_enable_private_segment 0
		.amdhsa_system_sgpr_workgroup_id_x 1
		.amdhsa_system_sgpr_workgroup_id_y 0
		.amdhsa_system_sgpr_workgroup_id_z 0
		.amdhsa_system_sgpr_workgroup_info 0
		.amdhsa_system_vgpr_workitem_id 1
		.amdhsa_next_free_vgpr 94
		.amdhsa_next_free_sgpr 44
		.amdhsa_reserve_vcc 1
		.amdhsa_float_round_mode_32 0
		.amdhsa_float_round_mode_16_64 0
		.amdhsa_float_denorm_mode_32 3
		.amdhsa_float_denorm_mode_16_64 3
		.amdhsa_dx10_clamp 1
		.amdhsa_ieee_mode 1
		.amdhsa_fp16_overflow 0
		.amdhsa_workgroup_processor_mode 1
		.amdhsa_memory_ordered 1
		.amdhsa_forward_progress 0
		.amdhsa_shared_vgpr_count 0
		.amdhsa_exception_fp_ieee_invalid_op 0
		.amdhsa_exception_fp_denorm_src 0
		.amdhsa_exception_fp_ieee_div_zero 0
		.amdhsa_exception_fp_ieee_overflow 0
		.amdhsa_exception_fp_ieee_underflow 0
		.amdhsa_exception_fp_ieee_inexact 0
		.amdhsa_exception_int_div_zero 0
	.end_amdhsa_kernel
	.section	.text._ZN12_GLOBAL__N_120softmax_warp_forwardIfffLi10ELb1ELb0ELi32EEEvPT0_PKT_iiiPKbib,"axG",@progbits,_ZN12_GLOBAL__N_120softmax_warp_forwardIfffLi10ELb1ELb0ELi32EEEvPT0_PKT_iiiPKbib,comdat
.Lfunc_end56:
	.size	_ZN12_GLOBAL__N_120softmax_warp_forwardIfffLi10ELb1ELb0ELi32EEEvPT0_PKT_iiiPKbib, .Lfunc_end56-_ZN12_GLOBAL__N_120softmax_warp_forwardIfffLi10ELb1ELb0ELi32EEEvPT0_PKT_iiiPKbib
                                        ; -- End function
	.section	.AMDGPU.csdata,"",@progbits
; Kernel info:
; codeLenInByte = 7364
; NumSgprs: 46
; NumVgprs: 94
; ScratchSize: 0
; MemoryBound: 0
; FloatMode: 240
; IeeeMode: 1
; LDSByteSize: 0 bytes/workgroup (compile time only)
; SGPRBlocks: 5
; VGPRBlocks: 11
; NumSGPRsForWavesPerEU: 46
; NumVGPRsForWavesPerEU: 94
; Occupancy: 16
; WaveLimiterHint : 0
; COMPUTE_PGM_RSRC2:SCRATCH_EN: 0
; COMPUTE_PGM_RSRC2:USER_SGPR: 15
; COMPUTE_PGM_RSRC2:TRAP_HANDLER: 0
; COMPUTE_PGM_RSRC2:TGID_X_EN: 1
; COMPUTE_PGM_RSRC2:TGID_Y_EN: 0
; COMPUTE_PGM_RSRC2:TGID_Z_EN: 0
; COMPUTE_PGM_RSRC2:TIDIG_COMP_CNT: 1
	.section	.text._ZN12_GLOBAL__N_120softmax_warp_forwardIfffLi11ELb1ELb0ELi64EEEvPT0_PKT_iiiPKbib,"axG",@progbits,_ZN12_GLOBAL__N_120softmax_warp_forwardIfffLi11ELb1ELb0ELi64EEEvPT0_PKT_iiiPKbib,comdat
	.globl	_ZN12_GLOBAL__N_120softmax_warp_forwardIfffLi11ELb1ELb0ELi64EEEvPT0_PKT_iiiPKbib ; -- Begin function _ZN12_GLOBAL__N_120softmax_warp_forwardIfffLi11ELb1ELb0ELi64EEEvPT0_PKT_iiiPKbib
	.p2align	8
	.type	_ZN12_GLOBAL__N_120softmax_warp_forwardIfffLi11ELb1ELb0ELi64EEEvPT0_PKT_iiiPKbib,@function
_ZN12_GLOBAL__N_120softmax_warp_forwardIfffLi11ELb1ELb0ELi64EEEvPT0_PKT_iiiPKbib: ; @_ZN12_GLOBAL__N_120softmax_warp_forwardIfffLi11ELb1ELb0ELi64EEEvPT0_PKT_iiiPKbib
; %bb.0:
	s_clause 0x1
	s_load_b32 s2, s[0:1], 0x3c
	s_load_b256 s[36:43], s[0:1], 0x0
	v_bfe_u32 v1, v0, 10, 10
	v_mov_b32_e32 v14, 0xff800000
	v_mov_b32_e32 v16, 0xff800000
	s_waitcnt lgkmcnt(0)
	s_lshr_b32 s0, s2, 16
	s_delay_alu instid0(SALU_CYCLE_1) | instskip(SKIP_1) | instid1(VALU_DEP_1)
	v_mad_u64_u32 v[3:4], null, s15, s0, v[1:2]
	v_and_b32_e32 v2, 0x3ff, v0
	v_cmp_gt_i32_e64 s0, s42, v2
	s_delay_alu instid0(VALU_DEP_3) | instskip(SKIP_1) | instid1(VALU_DEP_1)
	v_mad_u64_u32 v[0:1], null, v3, s41, v[2:3]
	v_sub_nc_u32_e32 v5, s40, v3
	v_cmp_lt_i32_e64 s31, 0, v5
	s_delay_alu instid0(VALU_DEP_3) | instskip(NEXT) | instid1(VALU_DEP_2)
	v_ashrrev_i32_e32 v1, 31, v0
	s_and_b32 s2, s31, s0
	s_delay_alu instid0(VALU_DEP_1) | instskip(NEXT) | instid1(VALU_DEP_1)
	v_lshlrev_b64 v[0:1], 2, v[0:1]
	v_add_co_u32 v3, vcc_lo, s38, v0
	s_delay_alu instid0(VALU_DEP_2)
	v_add_co_ci_u32_e32 v4, vcc_lo, s39, v1, vcc_lo
	s_and_saveexec_b32 s1, s2
	s_cbranch_execz .LBB57_2
; %bb.1:
	global_load_b32 v16, v[3:4], off
.LBB57_2:
	s_or_b32 exec_lo, exec_lo, s1
	v_add_nc_u32_e32 v6, 64, v2
	s_delay_alu instid0(VALU_DEP_1) | instskip(SKIP_1) | instid1(SALU_CYCLE_1)
	v_cmp_gt_i32_e32 vcc_lo, s42, v6
	s_and_b32 s2, s31, vcc_lo
	s_and_saveexec_b32 s1, s2
	s_cbranch_execz .LBB57_4
; %bb.3:
	global_load_b32 v14, v[3:4], off offset:256
.LBB57_4:
	s_or_b32 exec_lo, exec_lo, s1
	v_add_nc_u32_e32 v6, 0x80, v2
	v_mov_b32_e32 v18, 0xff800000
	v_mov_b32_e32 v20, 0xff800000
	s_delay_alu instid0(VALU_DEP_3) | instskip(NEXT) | instid1(VALU_DEP_1)
	v_cmp_gt_i32_e64 s1, s42, v6
	s_and_b32 s3, s31, s1
	s_delay_alu instid0(SALU_CYCLE_1)
	s_and_saveexec_b32 s2, s3
	s_cbranch_execz .LBB57_6
; %bb.5:
	global_load_b32 v20, v[3:4], off offset:512
.LBB57_6:
	s_or_b32 exec_lo, exec_lo, s2
	v_add_nc_u32_e32 v6, 0xc0, v2
	s_delay_alu instid0(VALU_DEP_1) | instskip(NEXT) | instid1(VALU_DEP_1)
	v_cmp_gt_i32_e64 s2, s42, v6
	s_and_b32 s4, s31, s2
	s_delay_alu instid0(SALU_CYCLE_1)
	s_and_saveexec_b32 s3, s4
	s_cbranch_execz .LBB57_8
; %bb.7:
	global_load_b32 v18, v[3:4], off offset:768
.LBB57_8:
	s_or_b32 exec_lo, exec_lo, s3
	v_add_nc_u32_e32 v6, 0x100, v2
	v_dual_mov_b32 v21, 0xff800000 :: v_dual_mov_b32 v22, 0xff800000
	s_delay_alu instid0(VALU_DEP_2) | instskip(NEXT) | instid1(VALU_DEP_1)
	v_cmp_gt_i32_e64 s3, s42, v6
	s_and_b32 s5, s31, s3
	s_delay_alu instid0(SALU_CYCLE_1)
	s_and_saveexec_b32 s4, s5
	s_cbranch_execz .LBB57_10
; %bb.9:
	global_load_b32 v22, v[3:4], off offset:1024
.LBB57_10:
	s_or_b32 exec_lo, exec_lo, s4
	v_add_nc_u32_e32 v6, 0x140, v2
	s_delay_alu instid0(VALU_DEP_1) | instskip(NEXT) | instid1(VALU_DEP_1)
	v_cmp_gt_i32_e64 s4, s42, v6
	s_and_b32 s6, s31, s4
	s_delay_alu instid0(SALU_CYCLE_1)
	s_and_saveexec_b32 s5, s6
	s_cbranch_execz .LBB57_12
; %bb.11:
	global_load_b32 v21, v[3:4], off offset:1280
.LBB57_12:
	s_or_b32 exec_lo, exec_lo, s5
	v_add_nc_u32_e32 v6, 0x180, v2
	v_dual_mov_b32 v23, 0xff800000 :: v_dual_mov_b32 v24, 0xff800000
	s_delay_alu instid0(VALU_DEP_2) | instskip(NEXT) | instid1(VALU_DEP_1)
	;; [unrolled: 23-line block ×3, first 2 shown]
	v_cmp_gt_i32_e64 s7, s42, v6
	s_and_b32 s9, s31, s7
	s_delay_alu instid0(SALU_CYCLE_1)
	s_and_saveexec_b32 s8, s9
	s_cbranch_execz .LBB57_18
; %bb.17:
	global_load_b32 v26, v[3:4], off offset:2048
.LBB57_18:
	s_or_b32 exec_lo, exec_lo, s8
	v_add_nc_u32_e32 v6, 0x240, v2
	s_delay_alu instid0(VALU_DEP_1) | instskip(NEXT) | instid1(VALU_DEP_1)
	v_cmp_gt_i32_e64 s8, s42, v6
	s_and_b32 s10, s31, s8
	s_delay_alu instid0(SALU_CYCLE_1)
	s_and_saveexec_b32 s9, s10
	s_cbranch_execz .LBB57_20
; %bb.19:
	global_load_b32 v25, v[3:4], off offset:2304
.LBB57_20:
	s_or_b32 exec_lo, exec_lo, s9
	v_add_nc_u32_e32 v6, 0x280, v2
	v_mov_b32_e32 v27, 0xff800000
	v_mov_b32_e32 v29, 0xff800000
	s_delay_alu instid0(VALU_DEP_3) | instskip(NEXT) | instid1(VALU_DEP_1)
	v_cmp_gt_i32_e64 s9, s42, v6
	s_and_b32 s11, s31, s9
	s_delay_alu instid0(SALU_CYCLE_1)
	s_and_saveexec_b32 s10, s11
	s_cbranch_execz .LBB57_22
; %bb.21:
	global_load_b32 v29, v[3:4], off offset:2560
.LBB57_22:
	s_or_b32 exec_lo, exec_lo, s10
	v_add_nc_u32_e32 v6, 0x2c0, v2
	s_delay_alu instid0(VALU_DEP_1) | instskip(NEXT) | instid1(VALU_DEP_1)
	v_cmp_gt_i32_e64 s10, s42, v6
	s_and_b32 s12, s31, s10
	s_delay_alu instid0(SALU_CYCLE_1)
	s_and_saveexec_b32 s11, s12
	s_cbranch_execz .LBB57_24
; %bb.23:
	global_load_b32 v27, v[3:4], off offset:2816
.LBB57_24:
	s_or_b32 exec_lo, exec_lo, s11
	v_add_nc_u32_e32 v6, 0x300, v2
	v_dual_mov_b32 v30, 0xff800000 :: v_dual_mov_b32 v31, 0xff800000
	s_delay_alu instid0(VALU_DEP_2) | instskip(NEXT) | instid1(VALU_DEP_1)
	v_cmp_gt_i32_e64 s11, s42, v6
	s_and_b32 s13, s31, s11
	s_delay_alu instid0(SALU_CYCLE_1)
	s_and_saveexec_b32 s12, s13
	s_cbranch_execz .LBB57_26
; %bb.25:
	global_load_b32 v31, v[3:4], off offset:3072
.LBB57_26:
	s_or_b32 exec_lo, exec_lo, s12
	v_add_nc_u32_e32 v6, 0x340, v2
	s_delay_alu instid0(VALU_DEP_1) | instskip(NEXT) | instid1(VALU_DEP_1)
	v_cmp_gt_i32_e64 s12, s42, v6
	s_and_b32 s14, s31, s12
	s_delay_alu instid0(SALU_CYCLE_1)
	s_and_saveexec_b32 s13, s14
	s_cbranch_execz .LBB57_28
; %bb.27:
	global_load_b32 v30, v[3:4], off offset:3328
.LBB57_28:
	s_or_b32 exec_lo, exec_lo, s13
	v_add_nc_u32_e32 v6, 0x380, v2
	v_dual_mov_b32 v32, 0xff800000 :: v_dual_mov_b32 v33, 0xff800000
	s_delay_alu instid0(VALU_DEP_2) | instskip(NEXT) | instid1(VALU_DEP_1)
	v_cmp_gt_i32_e64 s13, s42, v6
	s_and_b32 s15, s31, s13
	s_delay_alu instid0(SALU_CYCLE_1)
	s_and_saveexec_b32 s14, s15
	s_cbranch_execz .LBB57_30
; %bb.29:
	global_load_b32 v33, v[3:4], off offset:3584
.LBB57_30:
	s_or_b32 exec_lo, exec_lo, s14
	v_add_nc_u32_e32 v6, 0x3c0, v2
	s_delay_alu instid0(VALU_DEP_1) | instskip(NEXT) | instid1(VALU_DEP_1)
	v_cmp_gt_i32_e64 s14, s42, v6
	s_and_b32 s16, s31, s14
	s_delay_alu instid0(SALU_CYCLE_1)
	s_and_saveexec_b32 s15, s16
	s_cbranch_execz .LBB57_32
; %bb.31:
	global_load_b32 v32, v[3:4], off offset:3840
.LBB57_32:
	s_or_b32 exec_lo, exec_lo, s15
	v_or_b32_e32 v6, 0x400, v2
	v_dual_mov_b32 v34, 0xff800000 :: v_dual_mov_b32 v35, 0xff800000
	s_delay_alu instid0(VALU_DEP_2) | instskip(NEXT) | instid1(VALU_DEP_1)
	v_cmp_gt_i32_e64 s15, s42, v6
	s_and_b32 s16, s31, s15
	s_delay_alu instid0(SALU_CYCLE_1)
	s_and_saveexec_b32 s17, s16
	s_cbranch_execz .LBB57_34
; %bb.33:
	v_add_co_u32 v6, s16, 0x1000, v3
	s_delay_alu instid0(VALU_DEP_1)
	v_add_co_ci_u32_e64 v7, s16, 0, v4, s16
	global_load_b32 v35, v[6:7], off
.LBB57_34:
	s_or_b32 exec_lo, exec_lo, s17
	v_add_nc_u32_e32 v6, 0x440, v2
	s_delay_alu instid0(VALU_DEP_1) | instskip(NEXT) | instid1(VALU_DEP_1)
	v_cmp_gt_i32_e64 s16, s42, v6
	s_and_b32 s17, s31, s16
	s_delay_alu instid0(SALU_CYCLE_1)
	s_and_saveexec_b32 s18, s17
	s_cbranch_execz .LBB57_36
; %bb.35:
	v_add_co_u32 v6, s17, 0x1000, v3
	s_delay_alu instid0(VALU_DEP_1)
	v_add_co_ci_u32_e64 v7, s17, 0, v4, s17
	global_load_b32 v34, v[6:7], off offset:256
.LBB57_36:
	s_or_b32 exec_lo, exec_lo, s18
	v_add_nc_u32_e32 v6, 0x480, v2
	v_dual_mov_b32 v36, 0xff800000 :: v_dual_mov_b32 v37, 0xff800000
	s_delay_alu instid0(VALU_DEP_2) | instskip(NEXT) | instid1(VALU_DEP_1)
	v_cmp_gt_i32_e64 s17, s42, v6
	s_and_b32 s18, s31, s17
	s_delay_alu instid0(SALU_CYCLE_1)
	s_and_saveexec_b32 s19, s18
	s_cbranch_execz .LBB57_38
; %bb.37:
	v_add_co_u32 v6, s18, 0x1000, v3
	s_delay_alu instid0(VALU_DEP_1)
	v_add_co_ci_u32_e64 v7, s18, 0, v4, s18
	global_load_b32 v37, v[6:7], off offset:512
.LBB57_38:
	s_or_b32 exec_lo, exec_lo, s19
	v_add_nc_u32_e32 v6, 0x4c0, v2
	s_delay_alu instid0(VALU_DEP_1) | instskip(NEXT) | instid1(VALU_DEP_1)
	v_cmp_gt_i32_e64 s18, s42, v6
	s_and_b32 s19, s31, s18
	s_delay_alu instid0(SALU_CYCLE_1)
	s_and_saveexec_b32 s20, s19
	s_cbranch_execz .LBB57_40
; %bb.39:
	v_add_co_u32 v6, s19, 0x1000, v3
	s_delay_alu instid0(VALU_DEP_1)
	v_add_co_ci_u32_e64 v7, s19, 0, v4, s19
	global_load_b32 v36, v[6:7], off offset:768
.LBB57_40:
	s_or_b32 exec_lo, exec_lo, s20
	v_add_nc_u32_e32 v6, 0x500, v2
	v_dual_mov_b32 v38, 0xff800000 :: v_dual_mov_b32 v39, 0xff800000
	s_delay_alu instid0(VALU_DEP_2) | instskip(NEXT) | instid1(VALU_DEP_1)
	v_cmp_gt_i32_e64 s19, s42, v6
	s_and_b32 s20, s31, s19
	s_delay_alu instid0(SALU_CYCLE_1)
	s_and_saveexec_b32 s21, s20
	s_cbranch_execz .LBB57_42
; %bb.41:
	v_add_co_u32 v6, s20, 0x1000, v3
	s_delay_alu instid0(VALU_DEP_1)
	v_add_co_ci_u32_e64 v7, s20, 0, v4, s20
	global_load_b32 v39, v[6:7], off offset:1024
.LBB57_42:
	;; [unrolled: 29-line block ×6, first 2 shown]
	s_or_b32 exec_lo, exec_lo, s29
	v_add_nc_u32_e32 v6, 0x740, v2
	s_delay_alu instid0(VALU_DEP_1) | instskip(NEXT) | instid1(VALU_DEP_1)
	v_cmp_gt_i32_e64 s28, s42, v6
	s_and_b32 s29, s31, s28
	s_delay_alu instid0(SALU_CYCLE_1)
	s_and_saveexec_b32 s30, s29
	s_cbranch_execz .LBB57_60
; %bb.59:
	v_add_co_u32 v6, s29, 0x1000, v3
	s_delay_alu instid0(VALU_DEP_1)
	v_add_co_ci_u32_e64 v7, s29, 0, v4, s29
	global_load_b32 v7, v[6:7], off offset:3328
.LBB57_60:
	s_or_b32 exec_lo, exec_lo, s30
	v_add_nc_u32_e32 v6, 0x780, v2
	v_mov_b32_e32 v8, 0xff800000
	s_delay_alu instid0(VALU_DEP_2) | instskip(SKIP_1) | instid1(VALU_DEP_2)
	v_cmp_gt_i32_e64 s29, s42, v6
	v_mov_b32_e32 v6, 0xff800000
	s_and_b32 s30, s31, s29
	s_delay_alu instid0(SALU_CYCLE_1)
	s_and_saveexec_b32 s33, s30
	s_cbranch_execz .LBB57_62
; %bb.61:
	v_add_co_u32 v43, s30, 0x1000, v3
	s_delay_alu instid0(VALU_DEP_1)
	v_add_co_ci_u32_e64 v44, s30, 0, v4, s30
	global_load_b32 v8, v[43:44], off offset:3584
.LBB57_62:
	s_or_b32 exec_lo, exec_lo, s33
	v_add_nc_u32_e32 v2, 0x7c0, v2
	s_delay_alu instid0(VALU_DEP_1) | instskip(NEXT) | instid1(VALU_DEP_1)
	v_cmp_gt_i32_e64 s30, s42, v2
	s_and_b32 s31, s31, s30
	s_delay_alu instid0(SALU_CYCLE_1)
	s_and_saveexec_b32 s33, s31
	s_cbranch_execz .LBB57_64
; %bb.63:
	v_add_co_u32 v2, s31, 0x1000, v3
	s_delay_alu instid0(VALU_DEP_1)
	v_add_co_ci_u32_e64 v3, s31, 0, v4, s31
	global_load_b32 v6, v[2:3], off offset:3840
.LBB57_64:
	s_or_b32 exec_lo, exec_lo, s33
	s_waitcnt vmcnt(0)
	v_cmp_gt_f32_e64 s31, v16, v14
	v_mbcnt_lo_u32_b32 v4, -1, 0
	s_mov_b32 s33, exec_lo
	s_delay_alu instid0(VALU_DEP_2) | instskip(NEXT) | instid1(VALU_DEP_2)
	v_cndmask_b32_e64 v2, v14, v16, s31
	v_or_b32_e32 v3, 32, v4
	s_delay_alu instid0(VALU_DEP_2) | instskip(NEXT) | instid1(VALU_DEP_1)
	v_cmp_gt_f32_e64 s31, v2, v20
	v_cndmask_b32_e64 v2, v20, v2, s31
	s_delay_alu instid0(VALU_DEP_1) | instskip(NEXT) | instid1(VALU_DEP_1)
	v_cmp_gt_f32_e64 s31, v2, v18
	v_cndmask_b32_e64 v2, v18, v2, s31
	s_delay_alu instid0(VALU_DEP_1) | instskip(NEXT) | instid1(VALU_DEP_1)
	;; [unrolled: 3-line block ×27, first 2 shown]
	v_cmp_gt_f32_e64 s31, v2, v7
	v_cndmask_b32_e64 v2, v7, v2, s31
	v_cmp_gt_i32_e64 s31, 64, v3
	s_delay_alu instid0(VALU_DEP_1) | instskip(NEXT) | instid1(VALU_DEP_3)
	v_cndmask_b32_e64 v3, v4, v3, s31
	v_cmp_gt_f32_e64 s31, v2, v8
	s_delay_alu instid0(VALU_DEP_1) | instskip(NEXT) | instid1(VALU_DEP_3)
	v_cndmask_b32_e64 v13, v8, v2, s31
	v_lshlrev_b32_e32 v2, 2, v3
	v_xor_b32_e32 v3, 16, v4
	s_delay_alu instid0(VALU_DEP_3) | instskip(NEXT) | instid1(VALU_DEP_1)
	v_cmp_gt_f32_e64 s31, v13, v6
	v_cndmask_b32_e64 v13, v6, v13, s31
	s_delay_alu instid0(VALU_DEP_3) | instskip(SKIP_2) | instid1(VALU_DEP_1)
	v_cmp_gt_i32_e64 s31, 64, v3
	ds_bpermute_b32 v15, v2, v13
	v_cndmask_b32_e64 v3, v4, v3, s31
	v_lshlrev_b32_e32 v3, 2, v3
	s_waitcnt lgkmcnt(0)
	v_cmp_lt_f32_e64 s31, v13, v15
	s_delay_alu instid0(VALU_DEP_1) | instskip(SKIP_3) | instid1(VALU_DEP_1)
	v_cndmask_b32_e64 v15, v13, v15, s31
	v_xor_b32_e32 v13, 8, v4
	ds_bpermute_b32 v17, v3, v15
	v_cmp_gt_i32_e64 s31, 64, v13
	v_cndmask_b32_e64 v13, v4, v13, s31
	s_delay_alu instid0(VALU_DEP_1) | instskip(SKIP_2) | instid1(VALU_DEP_1)
	v_lshlrev_b32_e32 v13, 2, v13
	s_waitcnt lgkmcnt(0)
	v_cmp_lt_f32_e64 s31, v15, v17
	v_cndmask_b32_e64 v17, v15, v17, s31
	v_xor_b32_e32 v15, 4, v4
	ds_bpermute_b32 v19, v13, v17
	v_cmp_gt_i32_e64 s31, 64, v15
	s_delay_alu instid0(VALU_DEP_1) | instskip(NEXT) | instid1(VALU_DEP_1)
	v_cndmask_b32_e64 v15, v4, v15, s31
	v_lshlrev_b32_e32 v15, 2, v15
	s_waitcnt lgkmcnt(0)
	v_cmp_lt_f32_e64 s31, v17, v19
	s_delay_alu instid0(VALU_DEP_1) | instskip(SKIP_3) | instid1(VALU_DEP_1)
	v_cndmask_b32_e64 v19, v17, v19, s31
	v_xor_b32_e32 v17, 2, v4
	ds_bpermute_b32 v28, v15, v19
	v_cmp_gt_i32_e64 s31, 64, v17
	v_cndmask_b32_e64 v17, v4, v17, s31
	s_delay_alu instid0(VALU_DEP_1) | instskip(SKIP_2) | instid1(VALU_DEP_1)
	v_lshlrev_b32_e32 v17, 2, v17
	s_waitcnt lgkmcnt(0)
	v_cmp_lt_f32_e64 s31, v19, v28
	v_cndmask_b32_e64 v28, v19, v28, s31
	v_xor_b32_e32 v19, 1, v4
	ds_bpermute_b32 v43, v17, v28
	v_cmp_gt_i32_e64 s31, 64, v19
	s_delay_alu instid0(VALU_DEP_1) | instskip(NEXT) | instid1(VALU_DEP_1)
	v_cndmask_b32_e64 v4, v4, v19, s31
	v_lshlrev_b32_e32 v19, 2, v4
	s_waitcnt lgkmcnt(0)
	v_cmp_lt_f32_e64 s31, v28, v43
	s_delay_alu instid0(VALU_DEP_1) | instskip(SKIP_3) | instid1(VALU_DEP_1)
	v_cndmask_b32_e64 v4, v28, v43, s31
	ds_bpermute_b32 v28, v19, v4
	s_waitcnt lgkmcnt(0)
	v_cmp_lt_f32_e64 s31, v4, v28
	v_cndmask_b32_e64 v28, v4, v28, s31
	s_delay_alu instid0(VALU_DEP_1)
	v_sub_f32_e32 v14, v14, v28
	v_sub_f32_e32 v21, v21, v28
	;; [unrolled: 1-line block ×5, first 2 shown]
	v_dual_sub_f32 v20, v22, v28 :: v_dual_mul_f32 v43, 0x3fb8aa3b, v14
	v_sub_f32_e32 v22, v24, v28
	v_dual_sub_f32 v24, v26, v28 :: v_dual_mul_f32 v47, 0x3fb8aa3b, v21
	v_sub_f32_e32 v26, v29, v28
	v_sub_f32_e32 v29, v31, v28
	;; [unrolled: 1-line block ×6, first 2 shown]
	v_mul_f32_e32 v45, 0x3fb8aa3b, v18
	v_fma_f32 v68, 0x3fb8aa3b, v14, -v43
	v_sub_f32_e32 v39, v41, v28
	v_rndne_f32_e32 v77, v47
	v_mul_f32_e32 v44, 0x3fb8aa3b, v16
	v_rndne_f32_e32 v73, v45
	v_fma_f32 v76, 0x3fb8aa3b, v21, -v47
	s_delay_alu instid0(VALU_DEP_4)
	v_dual_fmac_f32 v68, 0x32a5705f, v14 :: v_dual_sub_f32 v47, v47, v77
	v_mul_f32_e32 v64, 0x3fb8aa3b, v39
	v_dual_mul_f32 v60, 0x3fb8aa3b, v35 :: v_dual_sub_f32 v27, v27, v28
	v_mul_f32_e32 v56, 0x3fb8aa3b, v31
	v_rndne_f32_e32 v71, v44
	v_sub_f32_e32 v41, v42, v28
	v_mul_f32_e32 v42, 0x3fb8aa3b, v4
	v_dual_sub_f32 v32, v32, v28 :: v_dual_mul_f32 v53, 0x3fb8aa3b, v27
	v_fma_f32 v72, 0x3fb8aa3b, v18, -v45
	v_sub_f32_e32 v45, v45, v73
	s_delay_alu instid0(VALU_DEP_4)
	v_fma_f32 v66, 0x3fb8aa3b, v4, -v42
	v_rndne_f32_e32 v67, v42
	v_rndne_f32_e32 v69, v43
	;; [unrolled: 1-line block ×3, first 2 shown]
	v_dual_sub_f32 v23, v23, v28 :: v_dual_mul_f32 v52, 0x3fb8aa3b, v26
	v_fmac_f32_e32 v66, 0x32a5705f, v4
	v_sub_f32_e32 v42, v42, v67
	v_mul_f32_e32 v62, 0x3fb8aa3b, v37
	v_dual_mul_f32 v58, 0x3fb8aa3b, v33 :: v_dual_sub_f32 v25, v25, v28
	v_mul_f32_e32 v54, 0x3fb8aa3b, v29
	v_sub_f32_e32 v30, v30, v28
	v_dual_sub_f32 v38, v38, v28 :: v_dual_sub_f32 v43, v43, v69
	s_delay_alu instid0(VALU_DEP_4) | instskip(NEXT) | instid1(VALU_DEP_3)
	v_dual_mul_f32 v51, 0x3fb8aa3b, v25 :: v_dual_sub_f32 v34, v34, v28
	v_mul_f32_e32 v55, 0x3fb8aa3b, v30
	v_fma_f32 v70, 0x3fb8aa3b, v16, -v44
	v_fma_f32 v88, 0x3fb8aa3b, v27, -v53
	v_sub_f32_e32 v53, v53, v89
	v_dual_mul_f32 v57, 0x3fb8aa3b, v32 :: v_dual_add_f32 v42, v42, v66
	v_dual_sub_f32 v40, v40, v28 :: v_dual_mul_f32 v63, 0x3fb8aa3b, v38
	v_mul_f32_e32 v49, 0x3fb8aa3b, v23
	v_rndne_f32_e32 v93, v55
	v_dual_add_f32 v43, v43, v68 :: v_dual_fmac_f32 v72, 0x32a5705f, v18
	v_fmac_f32_e32 v70, 0x32a5705f, v16
	v_sub_f32_e32 v44, v44, v71
	v_exp_f32_e32 v42, v42
	v_rndne_f32_e32 v81, v49
	v_mul_f32_e32 v46, 0x3fb8aa3b, v20
	v_fma_f32 v92, 0x3fb8aa3b, v30, -v55
	v_sub_f32_e32 v55, v55, v93
	v_dual_mul_f32 v65, 0x3fb8aa3b, v40 :: v_dual_add_f32 v44, v44, v70
	v_cvt_i32_f32_e32 v67, v67
	v_exp_f32_e32 v43, v43
	v_dual_sub_f32 v36, v36, v28 :: v_dual_mul_f32 v59, 0x3fb8aa3b, v34
	v_fma_f32 v80, 0x3fb8aa3b, v23, -v49
	v_rndne_f32_e32 v85, v51
	v_dual_mul_f32 v50, 0x3fb8aa3b, v24 :: v_dual_sub_f32 v49, v49, v81
	v_rndne_f32_e32 v75, v46
	v_cvt_i32_f32_e32 v69, v69
	v_exp_f32_e32 v44, v44
	v_ldexp_f32 v42, v42, v67
	v_cmp_ngt_f32_e64 s31, 0xc2ce8ed0, v4
	v_mul_f32_e32 v61, 0x3fb8aa3b, v36
	v_fma_f32 v74, 0x3fb8aa3b, v20, -v46
	v_sub_f32_e32 v46, v46, v75
	v_fma_f32 v84, 0x3fb8aa3b, v25, -v51
	v_fma_f32 v70, 0x3fb8aa3b, v32, -v57
	v_add_f32_e32 v45, v45, v72
	v_rndne_f32_e32 v72, v57
	v_sub_f32_e32 v51, v51, v85
	v_rndne_f32_e32 v83, v50
	v_cvt_i32_f32_e32 v71, v71
	v_ldexp_f32 v43, v43, v69
	v_cndmask_b32_e64 v42, 0, v42, s31
	v_cmp_ngt_f32_e64 s31, 0xc2ce8ed0, v14
	v_fma_f32 v82, 0x3fb8aa3b, v24, -v50
	v_dual_sub_f32 v50, v50, v83 :: v_dual_sub_f32 v57, v57, v72
	v_fmac_f32_e32 v70, 0x32a5705f, v32
	v_fmac_f32_e32 v74, 0x32a5705f, v20
	v_ldexp_f32 v44, v44, v71
	v_cndmask_b32_e64 v43, 0, v43, s31
	v_cmp_ngt_f32_e64 s31, 0xc2ce8ed0, v16
	v_add_f32_e32 v57, v57, v70
	v_fma_f32 v66, 0x3fb8aa3b, v31, -v56
	v_rndne_f32_e32 v68, v56
	v_add_f32_e32 v46, v46, v74
	v_exp_f32_e32 v45, v45
	v_cndmask_b32_e64 v44, 0, v44, s31
	v_cmp_nlt_f32_e64 s31, 0x42b17218, v4
	v_mul_f32_e32 v48, 0x3fb8aa3b, v22
	v_fmac_f32_e32 v66, 0x32a5705f, v31
	v_sub_f32_e32 v56, v56, v68
	v_rndne_f32_e32 v70, v63
	v_fmac_f32_e32 v88, 0x32a5705f, v27
	v_cvt_i32_f32_e32 v73, v73
	v_cndmask_b32_e64 v42, 0x7f800000, v42, s31
	v_cmp_nlt_f32_e64 s31, 0x42b17218, v14
	v_fma_f32 v78, 0x3fb8aa3b, v22, -v48
	v_exp_f32_e32 v46, v46
	v_ldexp_f32 v45, v45, v73
	v_sub_f32_e32 v12, v12, v28
	v_add_f32_e32 v56, v56, v66
	v_fma_f32 v66, 0x3fb8aa3b, v38, -v63
	v_dual_sub_f32 v63, v63, v70 :: v_dual_fmac_f32 v80, 0x32a5705f, v23
	v_dual_add_f32 v53, v53, v88 :: v_dual_fmac_f32 v76, 0x32a5705f, v21
	v_cndmask_b32_e64 v43, 0x7f800000, v43, s31
	v_cmp_ngt_f32_e64 s31, 0xc2ce8ed0, v18
	s_delay_alu instid0(VALU_DEP_4)
	v_add_f32_e32 v49, v49, v80
	v_rndne_f32_e32 v79, v48
	v_dual_fmac_f32 v78, 0x32a5705f, v22 :: v_dual_add_f32 v47, v47, v76
	v_cvt_i32_f32_e32 v75, v75
	v_cndmask_b32_e64 v45, 0, v45, s31
	v_cmp_nlt_f32_e64 s31, 0x42b17218, v16
	v_rndne_f32_e32 v80, v59
	v_fmac_f32_e32 v84, 0x32a5705f, v25
	v_sub_f32_e32 v48, v48, v79
	v_exp_f32_e32 v47, v47
	v_ldexp_f32 v46, v46, v75
	v_cndmask_b32_e64 v44, 0x7f800000, v44, s31
	v_add_f32_e32 v51, v51, v84
	v_cmp_ngt_f32_e64 s31, 0xc2ce8ed0, v20
	v_fmac_f32_e32 v92, 0x32a5705f, v30
	v_add_f32_e32 v48, v48, v78
	v_cvt_i32_f32_e32 v77, v77
	v_add_f32_e32 v42, v42, v43
	v_cndmask_b32_e64 v43, 0, v46, s31
	v_add_f32_e32 v55, v55, v92
	v_cmp_nlt_f32_e64 s31, 0x42b17218, v18
	v_exp_f32_e32 v48, v48
	v_ldexp_f32 v47, v47, v77
	v_fma_f32 v74, 0x3fb8aa3b, v33, -v58
	v_fma_f32 v78, 0x3fb8aa3b, v34, -v59
	v_cndmask_b32_e64 v45, 0x7f800000, v45, s31
	v_cmp_ngt_f32_e64 s31, 0xc2ce8ed0, v21
	v_cvt_i32_f32_e32 v79, v79
	v_add_f32_e32 v42, v42, v44
	v_dual_fmac_f32 v74, 0x32a5705f, v33 :: v_dual_sub_f32 v9, v9, v28
	s_delay_alu instid0(VALU_DEP_4)
	v_cndmask_b32_e64 v44, 0, v47, s31
	v_cmp_nlt_f32_e64 s31, 0x42b17218, v20
	v_dual_fmac_f32 v78, 0x32a5705f, v34 :: v_dual_sub_f32 v59, v59, v80
	v_fmac_f32_e32 v82, 0x32a5705f, v24
	v_exp_f32_e32 v49, v49
	v_ldexp_f32 v48, v48, v79
	v_cndmask_b32_e64 v43, 0x7f800000, v43, s31
	v_add_f32_e32 v59, v59, v78
	v_cmp_ngt_f32_e64 s31, 0xc2ce8ed0, v22
	v_dual_add_f32 v50, v50, v82 :: v_dual_sub_f32 v11, v11, v28
	v_cvt_i32_f32_e32 v81, v81
	v_add_f32_e32 v42, v42, v45
	s_delay_alu instid0(VALU_DEP_4)
	v_cndmask_b32_e64 v45, 0, v48, s31
	v_cmp_nlt_f32_e64 s31, 0x42b17218, v21
	v_exp_f32_e32 v50, v50
	v_ldexp_f32 v49, v49, v81
	v_fma_f32 v86, 0x3fb8aa3b, v26, -v52
	v_rndne_f32_e32 v87, v52
	v_cndmask_b32_e64 v44, 0x7f800000, v44, s31
	v_cmp_ngt_f32_e64 s31, 0xc2ce8ed0, v23
	v_cvt_i32_f32_e32 v83, v83
	v_add_f32_e32 v42, v42, v43
	v_sub_f32_e32 v52, v52, v87
	v_rndne_f32_e32 v88, v61
	v_cndmask_b32_e64 v43, 0, v49, s31
	v_cmp_nlt_f32_e64 s31, 0x42b17218, v22
	v_fmac_f32_e32 v86, 0x32a5705f, v26
	v_exp_f32_e32 v51, v51
	v_ldexp_f32 v50, v50, v83
	v_cvt_i32_f32_e32 v85, v85
	v_cndmask_b32_e64 v45, 0x7f800000, v45, s31
	v_cmp_ngt_f32_e64 s31, 0xc2ce8ed0, v24
	v_dual_add_f32 v52, v52, v86 :: v_dual_mul_f32 v49, 0x3fb8aa3b, v11
	v_add_f32_e32 v42, v42, v44
	v_fma_f32 v86, 0x3fb8aa3b, v36, -v61
	s_delay_alu instid0(VALU_DEP_4)
	v_cndmask_b32_e64 v44, 0, v50, s31
	v_cmp_nlt_f32_e64 s31, 0x42b17218, v23
	v_exp_f32_e32 v52, v52
	v_ldexp_f32 v51, v51, v85
	v_fma_f32 v90, 0x3fb8aa3b, v29, -v54
	v_rndne_f32_e32 v91, v54
	v_cndmask_b32_e64 v43, 0x7f800000, v43, s31
	v_cmp_ngt_f32_e64 s31, 0xc2ce8ed0, v25
	v_fma_f32 v82, 0x3fb8aa3b, v35, -v60
	v_rndne_f32_e32 v84, v60
	v_sub_f32_e32 v61, v61, v88
	v_cvt_i32_f32_e32 v87, v87
	v_add_f32_e32 v42, v42, v45
	v_cndmask_b32_e64 v45, 0, v51, s31
	v_cmp_nlt_f32_e64 s31, 0x42b17218, v24
	v_sub_f32_e32 v10, v10, v28
	v_fmac_f32_e32 v86, 0x32a5705f, v36
	v_dual_fmac_f32 v82, 0x32a5705f, v35 :: v_dual_sub_f32 v7, v7, v28
	v_dual_sub_f32 v60, v60, v84 :: v_dual_mul_f32 v51, 0x3fb8aa3b, v9
	s_delay_alu instid0(VALU_DEP_3)
	v_add_f32_e32 v61, v61, v86
	v_rndne_f32_e32 v86, v65
	v_fmac_f32_e32 v90, 0x32a5705f, v29
	v_exp_f32_e32 v53, v53
	v_ldexp_f32 v52, v52, v87
	v_cndmask_b32_e64 v44, 0x7f800000, v44, s31
	v_cmp_ngt_f32_e64 s31, 0xc2ce8ed0, v26
	v_sub_f32_e32 v8, v8, v28
	v_fmac_f32_e32 v66, 0x32a5705f, v38
	v_sub_f32_e32 v54, v54, v91
	v_add_f32_e32 v60, v60, v82
	v_fma_f32 v82, 0x3fb8aa3b, v40, -v65
	v_cvt_i32_f32_e32 v89, v89
	v_sub_f32_e32 v65, v65, v86
	v_add_f32_e32 v63, v63, v66
	v_add_f32_e32 v54, v54, v90
	;; [unrolled: 1-line block ×3, first 2 shown]
	v_cndmask_b32_e64 v43, 0, v52, s31
	v_cmp_nlt_f32_e64 s31, 0x42b17218, v25
	v_ldexp_f32 v53, v53, v89
	v_exp_f32_e32 v54, v54
	v_cvt_i32_f32_e32 v91, v91
	v_add_f32_e32 v42, v42, v44
	v_cndmask_b32_e64 v45, 0x7f800000, v45, s31
	v_cmp_ngt_f32_e64 s31, 0xc2ce8ed0, v27
	v_exp_f32_e32 v55, v55
	v_cvt_i32_f32_e32 v93, v93
	v_exp_f32_e32 v56, v56
	v_add_f32_e32 v42, v42, v45
	v_cndmask_b32_e64 v44, 0, v53, s31
	v_cmp_nlt_f32_e64 s31, 0x42b17218, v26
	v_ldexp_f32 v54, v54, v91
	v_rndne_f32_e32 v76, v58
	v_cvt_i32_f32_e32 v68, v68
	v_exp_f32_e32 v57, v57
	v_cndmask_b32_e64 v43, 0x7f800000, v43, s31
	v_cmp_ngt_f32_e64 s31, 0xc2ce8ed0, v29
	v_ldexp_f32 v55, v55, v93
	v_sub_f32_e32 v58, v58, v76
	v_ldexp_f32 v56, v56, v68
	v_add_f32_e32 v42, v42, v43
	v_cndmask_b32_e64 v45, 0, v54, s31
	v_cmp_nlt_f32_e64 s31, 0x42b17218, v27
	v_add_f32_e32 v58, v58, v74
	v_cvt_i32_f32_e32 v72, v72
	v_cvt_i32_f32_e32 v76, v76
	v_exp_f32_e32 v59, v59
	v_cndmask_b32_e64 v44, 0x7f800000, v44, s31
	v_cmp_ngt_f32_e64 s31, 0xc2ce8ed0, v30
	v_exp_f32_e32 v58, v58
	v_ldexp_f32 v57, v57, v72
	v_cvt_i32_f32_e32 v80, v80
	v_add_f32_e32 v42, v42, v44
	v_cndmask_b32_e64 v43, 0, v55, s31
	v_cmp_nlt_f32_e64 s31, 0x42b17218, v29
	v_exp_f32_e32 v60, v60
	v_ldexp_f32 v59, v59, v80
	v_fma_f32 v90, 0x3fb8aa3b, v37, -v62
	v_rndne_f32_e32 v92, v62
	v_cndmask_b32_e64 v45, 0x7f800000, v45, s31
	v_cmp_ngt_f32_e64 s31, 0xc2ce8ed0, v31
	v_ldexp_f32 v58, v58, v76
	v_cvt_i32_f32_e32 v84, v84
	v_fmac_f32_e32 v90, 0x32a5705f, v37
	v_add_f32_e32 v42, v42, v45
	v_cndmask_b32_e64 v44, 0, v56, s31
	v_cmp_nlt_f32_e64 s31, 0x42b17218, v30
	v_sub_f32_e32 v62, v62, v92
	v_exp_f32_e32 v61, v61
	v_ldexp_f32 v60, v60, v84
	v_cvt_i32_f32_e32 v88, v88
	v_cndmask_b32_e64 v43, 0x7f800000, v43, s31
	v_cmp_ngt_f32_e64 s31, 0xc2ce8ed0, v32
	v_add_f32_e32 v62, v62, v90
	v_cvt_i32_f32_e32 v92, v92
	v_fma_f32 v74, 0x3fb8aa3b, v39, -v64
	v_add_f32_e32 v42, v42, v43
	v_cndmask_b32_e64 v45, 0, v57, s31
	v_cmp_nlt_f32_e64 s31, 0x42b17218, v31
	v_exp_f32_e32 v62, v62
	v_ldexp_f32 v61, v61, v88
	v_rndne_f32_e32 v78, v64
	v_exp_f32_e32 v63, v63
	v_cndmask_b32_e64 v44, 0x7f800000, v44, s31
	v_cmp_ngt_f32_e64 s31, 0xc2ce8ed0, v33
	v_cvt_i32_f32_e32 v70, v70
	v_fmac_f32_e32 v74, 0x32a5705f, v39
	v_sub_f32_e32 v64, v64, v78
	v_add_f32_e32 v42, v42, v44
	v_cndmask_b32_e64 v43, 0, v58, s31
	v_cmp_nlt_f32_e64 s31, 0x42b17218, v32
	v_ldexp_f32 v62, v62, v92
	v_add_f32_e32 v64, v64, v74
	v_ldexp_f32 v63, v63, v70
	v_cvt_i32_f32_e32 v78, v78
	v_cndmask_b32_e64 v45, 0x7f800000, v45, s31
	v_cmp_ngt_f32_e64 s31, 0xc2ce8ed0, v34
	v_exp_f32_e32 v64, v64
	v_fmac_f32_e32 v82, 0x32a5705f, v40
	v_sub_f32_e32 v6, v6, v28
	v_add_f32_e32 v42, v42, v45
	v_cndmask_b32_e64 v44, 0, v59, s31
	v_cmp_nlt_f32_e64 s31, 0x42b17218, v33
	s_delay_alu instid0(VALU_DEP_1) | instskip(SKIP_1) | instid1(TRANS32_DEP_1)
	v_cndmask_b32_e64 v43, 0x7f800000, v43, s31
	v_cmp_ngt_f32_e64 s31, 0xc2ce8ed0, v35
	v_ldexp_f32 v46, v64, v78
	s_delay_alu instid0(VALU_DEP_3) | instskip(NEXT) | instid1(VALU_DEP_3)
	v_add_f32_e32 v42, v42, v43
	v_cndmask_b32_e64 v45, 0, v60, s31
	v_cmp_nlt_f32_e64 s31, 0x42b17218, v34
	s_delay_alu instid0(VALU_DEP_1) | instskip(SKIP_1) | instid1(VALU_DEP_2)
	v_cndmask_b32_e64 v44, 0x7f800000, v44, s31
	v_cmp_ngt_f32_e64 s31, 0xc2ce8ed0, v36
	v_add_f32_e32 v42, v42, v44
	s_delay_alu instid0(VALU_DEP_2) | instskip(SKIP_1) | instid1(VALU_DEP_1)
	v_cndmask_b32_e64 v43, 0, v61, s31
	v_cmp_nlt_f32_e64 s31, 0x42b17218, v35
	v_cndmask_b32_e64 v45, 0x7f800000, v45, s31
	v_cmp_ngt_f32_e64 s31, 0xc2ce8ed0, v37
	s_delay_alu instid0(VALU_DEP_2) | instskip(NEXT) | instid1(VALU_DEP_2)
	v_add_f32_e32 v42, v42, v45
	v_cndmask_b32_e64 v44, 0, v62, s31
	v_cmp_nlt_f32_e64 s31, 0x42b17218, v36
	s_delay_alu instid0(VALU_DEP_1) | instskip(SKIP_1) | instid1(VALU_DEP_2)
	v_cndmask_b32_e64 v43, 0x7f800000, v43, s31
	v_cmp_ngt_f32_e64 s31, 0xc2ce8ed0, v38
	v_add_f32_e32 v42, v42, v43
	s_delay_alu instid0(VALU_DEP_2) | instskip(SKIP_2) | instid1(VALU_DEP_2)
	v_cndmask_b32_e64 v45, 0, v63, s31
	v_cmp_nlt_f32_e64 s31, 0x42b17218, v37
	v_add_f32_e32 v43, v65, v82
	v_cndmask_b32_e64 v44, 0x7f800000, v44, s31
	v_cmp_nlt_f32_e64 s31, 0x42b17218, v38
	s_delay_alu instid0(VALU_DEP_3) | instskip(NEXT) | instid1(VALU_DEP_2)
	v_exp_f32_e32 v43, v43
	v_add_f32_e32 v42, v42, v44
	s_delay_alu instid0(VALU_DEP_2) | instskip(SKIP_2) | instid1(VALU_DEP_3)
	v_cndmask_b32_e64 v45, 0x7f800000, v45, s31
	v_mul_f32_e32 v44, 0x3fb8aa3b, v41
	v_cmp_ngt_f32_e64 s31, 0xc2ce8ed0, v39
	v_add_f32_e32 v42, v42, v45
	s_delay_alu instid0(VALU_DEP_3) | instskip(NEXT) | instid1(VALU_DEP_3)
	v_fma_f32 v47, 0x3fb8aa3b, v41, -v44
	v_cndmask_b32_e64 v46, 0, v46, s31
	v_cmp_nlt_f32_e64 s31, 0x42b17218, v39
	v_rndne_f32_e32 v48, v44
	s_delay_alu instid0(VALU_DEP_4) | instskip(NEXT) | instid1(VALU_DEP_3)
	v_fmac_f32_e32 v47, 0x32a5705f, v41
	v_cndmask_b32_e64 v45, 0x7f800000, v46, s31
	v_cvt_i32_f32_e32 v46, v86
	s_delay_alu instid0(VALU_DEP_4)
	v_sub_f32_e32 v44, v44, v48
	v_cmp_ngt_f32_e64 s31, 0xc2ce8ed0, v40
	v_cvt_i32_f32_e32 v48, v48
	v_add_f32_e32 v42, v42, v45
	v_ldexp_f32 v43, v43, v46
	v_fma_f32 v45, 0x3fb8aa3b, v11, -v49
	v_rndne_f32_e32 v46, v49
	v_add_f32_e32 v44, v44, v47
	s_delay_alu instid0(VALU_DEP_4) | instskip(NEXT) | instid1(VALU_DEP_4)
	v_cndmask_b32_e64 v43, 0, v43, s31
	v_fmac_f32_e32 v45, 0x32a5705f, v11
	s_delay_alu instid0(VALU_DEP_4) | instskip(SKIP_3) | instid1(VALU_DEP_3)
	v_sub_f32_e32 v47, v49, v46
	v_mul_f32_e32 v49, 0x3fb8aa3b, v12
	v_cmp_nlt_f32_e64 s31, 0x42b17218, v40
	v_exp_f32_e32 v44, v44
	v_add_f32_e32 v45, v47, v45
	s_delay_alu instid0(VALU_DEP_3) | instskip(NEXT) | instid1(VALU_DEP_3)
	v_fma_f32 v47, 0x3fb8aa3b, v12, -v49
	v_cndmask_b32_e64 v43, 0x7f800000, v43, s31
	v_rndne_f32_e32 v50, v49
	v_cmp_ngt_f32_e64 s31, 0xc2ce8ed0, v41
	v_exp_f32_e32 v45, v45
	s_delay_alu instid0(VALU_DEP_3) | instskip(NEXT) | instid1(VALU_DEP_3)
	v_dual_fmac_f32 v47, 0x32a5705f, v12 :: v_dual_add_f32 v42, v42, v43
	v_sub_f32_e32 v49, v49, v50
	s_delay_alu instid0(TRANS32_DEP_2) | instskip(SKIP_2) | instid1(VALU_DEP_4)
	v_ldexp_f32 v43, v44, v48
	v_cvt_i32_f32_e32 v44, v46
	v_rndne_f32_e32 v48, v51
	v_add_f32_e32 v46, v49, v47
	v_fma_f32 v47, 0x3fb8aa3b, v9, -v51
	v_cndmask_b32_e64 v43, 0, v43, s31
	v_cmp_nlt_f32_e64 s31, 0x42b17218, v41
	v_ldexp_f32 v44, v45, v44
	v_exp_f32_e32 v45, v46
	v_dual_fmac_f32 v47, 0x32a5705f, v9 :: v_dual_sub_f32 v46, v51, v48
	s_delay_alu instid0(VALU_DEP_3)
	v_cndmask_b32_e64 v43, 0x7f800000, v43, s31
	v_cmp_ngt_f32_e64 s31, 0xc2ce8ed0, v11
	v_cvt_i32_f32_e32 v49, v50
	v_mul_f32_e32 v50, 0x3fb8aa3b, v6
	v_add_f32_e32 v46, v46, v47
	v_add_f32_e32 v42, v42, v43
	v_cndmask_b32_e64 v44, 0, v44, s31
	v_cmp_nlt_f32_e64 s31, 0x42b17218, v11
	v_ldexp_f32 v43, v45, v49
	v_exp_f32_e32 v45, v46
	v_dual_mul_f32 v46, 0x3fb8aa3b, v10 :: v_dual_mul_f32 v47, 0x3fb8aa3b, v7
	s_delay_alu instid0(VALU_DEP_3) | instskip(SKIP_2) | instid1(VALU_DEP_3)
	v_cndmask_b32_e64 v44, 0x7f800000, v44, s31
	v_cmp_ngt_f32_e64 s31, 0xc2ce8ed0, v12
	v_rndne_f32_e32 v51, v50
	v_add_f32_e32 v42, v42, v44
	s_delay_alu instid0(VALU_DEP_3) | instskip(SKIP_3) | instid1(VALU_DEP_3)
	v_cndmask_b32_e64 v43, 0, v43, s31
	v_cvt_i32_f32_e32 v44, v48
	v_cmp_nlt_f32_e64 s31, 0x42b17218, v12
	v_mul_f32_e32 v48, 0x3fb8aa3b, v8
	v_ldexp_f32 v44, v45, v44
	s_delay_alu instid0(VALU_DEP_3) | instskip(SKIP_3) | instid1(VALU_DEP_4)
	v_cndmask_b32_e64 v43, 0x7f800000, v43, s31
	v_cmp_ngt_f32_e64 s31, 0xc2ce8ed0, v9
	v_rndne_f32_e32 v45, v46
	v_rndne_f32_e32 v49, v48
	v_add_f32_e32 v42, v42, v43
	v_fma_f32 v43, 0x3fb8aa3b, v10, -v46
	v_cndmask_b32_e64 v44, 0, v44, s31
	v_cmp_nlt_f32_e64 s31, 0x42b17218, v9
	v_sub_f32_e32 v46, v46, v45
	v_cvt_i32_f32_e32 v45, v45
	v_fmac_f32_e32 v43, 0x32a5705f, v10
	s_delay_alu instid0(VALU_DEP_4) | instskip(SKIP_1) | instid1(VALU_DEP_3)
	v_cndmask_b32_e64 v44, 0x7f800000, v44, s31
	v_cmp_ngt_f32_e64 s31, 0xc2ce8ed0, v10
	v_add_f32_e32 v43, v46, v43
	v_rndne_f32_e32 v46, v47
	s_delay_alu instid0(VALU_DEP_4) | instskip(SKIP_1) | instid1(VALU_DEP_4)
	v_add_f32_e32 v42, v42, v44
	v_fma_f32 v44, 0x3fb8aa3b, v7, -v47
	v_exp_f32_e32 v43, v43
	s_delay_alu instid0(VALU_DEP_3) | instskip(SKIP_1) | instid1(VALU_DEP_3)
	v_sub_f32_e32 v28, v47, v46
	v_fma_f32 v47, 0x3fb8aa3b, v8, -v48
	v_fmac_f32_e32 v44, 0x32a5705f, v7
	v_cvt_i32_f32_e32 v46, v46
	s_delay_alu instid0(VALU_DEP_3) | instskip(NEXT) | instid1(VALU_DEP_3)
	v_fmac_f32_e32 v47, 0x32a5705f, v8
	v_add_f32_e32 v28, v28, v44
	v_sub_f32_e32 v44, v48, v49
	s_delay_alu instid0(TRANS32_DEP_1)
	v_ldexp_f32 v43, v43, v45
	v_sub_f32_e32 v45, v50, v51
	v_fma_f32 v48, 0x3fb8aa3b, v6, -v50
	v_exp_f32_e32 v28, v28
	v_add_f32_e32 v44, v44, v47
	v_cndmask_b32_e64 v43, 0, v43, s31
	v_cmp_nlt_f32_e64 s31, 0x42b17218, v10
	v_fmac_f32_e32 v48, 0x32a5705f, v6
	s_delay_alu instid0(VALU_DEP_4) | instskip(NEXT) | instid1(VALU_DEP_2)
	v_exp_f32_e32 v44, v44
	v_cndmask_b32_e64 v43, 0x7f800000, v43, s31
	v_cmp_ngt_f32_e64 s31, 0xc2ce8ed0, v7
	s_delay_alu instid0(TRANS32_DEP_2) | instskip(SKIP_3) | instid1(VALU_DEP_4)
	v_ldexp_f32 v28, v28, v46
	v_add_f32_e32 v45, v45, v48
	v_cvt_i32_f32_e32 v46, v49
	v_add_f32_e32 v42, v42, v43
	v_cndmask_b32_e64 v28, 0, v28, s31
	v_cmp_nlt_f32_e64 s31, 0x42b17218, v7
	v_exp_f32_e32 v45, v45
	v_ldexp_f32 v43, v44, v46
	v_cvt_i32_f32_e32 v44, v51
	s_delay_alu instid0(VALU_DEP_3) | instskip(SKIP_1) | instid1(VALU_DEP_2)
	v_cndmask_b32_e64 v28, 0x7f800000, v28, s31
	v_cmp_ngt_f32_e64 s31, 0xc2ce8ed0, v8
	v_add_f32_e32 v28, v42, v28
	s_delay_alu instid0(VALU_DEP_2) | instskip(SKIP_1) | instid1(TRANS32_DEP_1)
	v_cndmask_b32_e64 v43, 0, v43, s31
	v_cmp_nlt_f32_e64 s31, 0x42b17218, v8
	v_ldexp_f32 v44, v45, v44
	s_delay_alu instid0(VALU_DEP_2) | instskip(SKIP_1) | instid1(VALU_DEP_2)
	v_cndmask_b32_e64 v42, 0x7f800000, v43, s31
	v_cmp_ngt_f32_e64 s31, 0xc2ce8ed0, v6
	v_add_f32_e32 v28, v28, v42
	s_delay_alu instid0(VALU_DEP_2) | instskip(SKIP_1) | instid1(VALU_DEP_1)
	v_cndmask_b32_e64 v43, 0, v44, s31
	v_cmp_nlt_f32_e64 s31, 0x42b17218, v6
	v_cndmask_b32_e64 v42, 0x7f800000, v43, s31
	s_delay_alu instid0(VALU_DEP_1)
	v_add_f32_e32 v28, v28, v42
	ds_bpermute_b32 v2, v2, v28
	s_waitcnt lgkmcnt(0)
	v_add_f32_e32 v2, v28, v2
	ds_bpermute_b32 v3, v3, v2
	s_waitcnt lgkmcnt(0)
	;; [unrolled: 3-line block ×5, first 2 shown]
	v_add_f32_e32 v2, v2, v3
	ds_bpermute_b32 v3, v19, v2
	v_cmpx_lt_i32_e32 0, v5
	s_cbranch_execz .LBB57_98
; %bb.65:
	s_and_b32 exec_lo, exec_lo, s0
	s_cbranch_execz .LBB57_98
; %bb.66:
	s_waitcnt lgkmcnt(0)
	v_add_f32_e32 v2, v2, v3
	s_delay_alu instid0(VALU_DEP_1) | instskip(NEXT) | instid1(VALU_DEP_1)
	v_cmp_gt_f32_e64 s0, 0x800000, v2
	v_cndmask_b32_e64 v3, 1.0, 0x4f800000, s0
	s_delay_alu instid0(VALU_DEP_1) | instskip(NEXT) | instid1(VALU_DEP_1)
	v_mul_f32_e32 v2, v2, v3
	v_log_f32_e32 v2, v2
	s_waitcnt_depctr 0xfff
	v_mul_f32_e32 v3, 0x3f317217, v2
	v_cmp_gt_f32_e64 s31, 0x7f800000, |v2|
	s_delay_alu instid0(VALU_DEP_2) | instskip(NEXT) | instid1(VALU_DEP_1)
	v_fma_f32 v5, 0x3f317217, v2, -v3
	v_fmamk_f32 v5, v2, 0x3377d1cf, v5
	s_delay_alu instid0(VALU_DEP_1) | instskip(NEXT) | instid1(VALU_DEP_1)
	v_add_f32_e32 v3, v3, v5
	v_cndmask_b32_e64 v2, v2, v3, s31
	v_cndmask_b32_e64 v3, 0, 0x41b17218, s0
	v_add_co_u32 v0, s0, s36, v0
	s_delay_alu instid0(VALU_DEP_1) | instskip(NEXT) | instid1(VALU_DEP_3)
	v_add_co_ci_u32_e64 v1, s0, s37, v1, s0
	v_sub_f32_e32 v2, v2, v3
	s_delay_alu instid0(VALU_DEP_1)
	v_sub_f32_e32 v3, v4, v2
	global_store_b32 v[0:1], v3, off
	s_and_b32 exec_lo, exec_lo, vcc_lo
	s_cbranch_execz .LBB57_98
; %bb.67:
	v_sub_f32_e32 v3, v14, v2
	global_store_b32 v[0:1], v3, off offset:256
	s_and_b32 exec_lo, exec_lo, s1
	s_cbranch_execz .LBB57_98
; %bb.68:
	v_sub_f32_e32 v3, v16, v2
	global_store_b32 v[0:1], v3, off offset:512
	s_and_b32 exec_lo, exec_lo, s2
	;; [unrolled: 5-line block ×15, first 2 shown]
	s_cbranch_execz .LBB57_98
; %bb.82:
	v_add_co_u32 v0, vcc_lo, 0x1000, v0
	v_sub_f32_e32 v3, v33, v2
	v_add_co_ci_u32_e32 v1, vcc_lo, 0, v1, vcc_lo
	global_store_b32 v[0:1], v3, off
	s_and_b32 exec_lo, exec_lo, s16
	s_cbranch_execz .LBB57_98
; %bb.83:
	v_sub_f32_e32 v3, v34, v2
	global_store_b32 v[0:1], v3, off offset:256
	s_and_b32 exec_lo, exec_lo, s17
	s_cbranch_execz .LBB57_98
; %bb.84:
	v_sub_f32_e32 v3, v35, v2
	global_store_b32 v[0:1], v3, off offset:512
	;; [unrolled: 5-line block ×15, first 2 shown]
.LBB57_98:
	s_nop 0
	s_sendmsg sendmsg(MSG_DEALLOC_VGPRS)
	s_endpgm
	.section	.rodata,"a",@progbits
	.p2align	6, 0x0
	.amdhsa_kernel _ZN12_GLOBAL__N_120softmax_warp_forwardIfffLi11ELb1ELb0ELi64EEEvPT0_PKT_iiiPKbib
		.amdhsa_group_segment_fixed_size 0
		.amdhsa_private_segment_fixed_size 0
		.amdhsa_kernarg_size 304
		.amdhsa_user_sgpr_count 15
		.amdhsa_user_sgpr_dispatch_ptr 0
		.amdhsa_user_sgpr_queue_ptr 0
		.amdhsa_user_sgpr_kernarg_segment_ptr 1
		.amdhsa_user_sgpr_dispatch_id 0
		.amdhsa_user_sgpr_private_segment_size 0
		.amdhsa_wavefront_size32 1
		.amdhsa_uses_dynamic_stack 0
		.amdhsa_enable_private_segment 0
		.amdhsa_system_sgpr_workgroup_id_x 1
		.amdhsa_system_sgpr_workgroup_id_y 0
		.amdhsa_system_sgpr_workgroup_id_z 0
		.amdhsa_system_sgpr_workgroup_info 0
		.amdhsa_system_vgpr_workitem_id 1
		.amdhsa_next_free_vgpr 94
		.amdhsa_next_free_sgpr 44
		.amdhsa_reserve_vcc 1
		.amdhsa_float_round_mode_32 0
		.amdhsa_float_round_mode_16_64 0
		.amdhsa_float_denorm_mode_32 3
		.amdhsa_float_denorm_mode_16_64 3
		.amdhsa_dx10_clamp 1
		.amdhsa_ieee_mode 1
		.amdhsa_fp16_overflow 0
		.amdhsa_workgroup_processor_mode 1
		.amdhsa_memory_ordered 1
		.amdhsa_forward_progress 0
		.amdhsa_shared_vgpr_count 0
		.amdhsa_exception_fp_ieee_invalid_op 0
		.amdhsa_exception_fp_denorm_src 0
		.amdhsa_exception_fp_ieee_div_zero 0
		.amdhsa_exception_fp_ieee_overflow 0
		.amdhsa_exception_fp_ieee_underflow 0
		.amdhsa_exception_fp_ieee_inexact 0
		.amdhsa_exception_int_div_zero 0
	.end_amdhsa_kernel
	.section	.text._ZN12_GLOBAL__N_120softmax_warp_forwardIfffLi11ELb1ELb0ELi64EEEvPT0_PKT_iiiPKbib,"axG",@progbits,_ZN12_GLOBAL__N_120softmax_warp_forwardIfffLi11ELb1ELb0ELi64EEEvPT0_PKT_iiiPKbib,comdat
.Lfunc_end57:
	.size	_ZN12_GLOBAL__N_120softmax_warp_forwardIfffLi11ELb1ELb0ELi64EEEvPT0_PKT_iiiPKbib, .Lfunc_end57-_ZN12_GLOBAL__N_120softmax_warp_forwardIfffLi11ELb1ELb0ELi64EEEvPT0_PKT_iiiPKbib
                                        ; -- End function
	.section	.AMDGPU.csdata,"",@progbits
; Kernel info:
; codeLenInByte = 7732
; NumSgprs: 46
; NumVgprs: 94
; ScratchSize: 0
; MemoryBound: 0
; FloatMode: 240
; IeeeMode: 1
; LDSByteSize: 0 bytes/workgroup (compile time only)
; SGPRBlocks: 5
; VGPRBlocks: 11
; NumSGPRsForWavesPerEU: 46
; NumVGPRsForWavesPerEU: 94
; Occupancy: 16
; WaveLimiterHint : 0
; COMPUTE_PGM_RSRC2:SCRATCH_EN: 0
; COMPUTE_PGM_RSRC2:USER_SGPR: 15
; COMPUTE_PGM_RSRC2:TRAP_HANDLER: 0
; COMPUTE_PGM_RSRC2:TGID_X_EN: 1
; COMPUTE_PGM_RSRC2:TGID_Y_EN: 0
; COMPUTE_PGM_RSRC2:TGID_Z_EN: 0
; COMPUTE_PGM_RSRC2:TIDIG_COMP_CNT: 1
	.section	.text._ZN12_GLOBAL__N_120softmax_warp_forwardIfffLi11ELb1ELb0ELi32EEEvPT0_PKT_iiiPKbib,"axG",@progbits,_ZN12_GLOBAL__N_120softmax_warp_forwardIfffLi11ELb1ELb0ELi32EEEvPT0_PKT_iiiPKbib,comdat
	.globl	_ZN12_GLOBAL__N_120softmax_warp_forwardIfffLi11ELb1ELb0ELi32EEEvPT0_PKT_iiiPKbib ; -- Begin function _ZN12_GLOBAL__N_120softmax_warp_forwardIfffLi11ELb1ELb0ELi32EEEvPT0_PKT_iiiPKbib
	.p2align	8
	.type	_ZN12_GLOBAL__N_120softmax_warp_forwardIfffLi11ELb1ELb0ELi32EEEvPT0_PKT_iiiPKbib,@function
_ZN12_GLOBAL__N_120softmax_warp_forwardIfffLi11ELb1ELb0ELi32EEEvPT0_PKT_iiiPKbib: ; @_ZN12_GLOBAL__N_120softmax_warp_forwardIfffLi11ELb1ELb0ELi32EEEvPT0_PKT_iiiPKbib
; %bb.0:
	s_clause 0x1
	s_load_b32 s2, s[0:1], 0x3c
	s_load_b256 s[68:75], s[0:1], 0x0
	v_bfe_u32 v1, v0, 10, 10
	v_mov_b32_e32 v17, 0xff800000
	v_mov_b32_e32 v73, 0xff800000
	s_waitcnt lgkmcnt(0)
	s_lshr_b32 s0, s2, 16
	s_delay_alu instid0(SALU_CYCLE_1) | instskip(SKIP_1) | instid1(VALU_DEP_1)
	v_mad_u64_u32 v[3:4], null, s15, s0, v[1:2]
	v_and_b32_e32 v2, 0x3ff, v0
	v_cmp_gt_i32_e64 s0, s74, v2
	s_delay_alu instid0(VALU_DEP_3) | instskip(SKIP_1) | instid1(VALU_DEP_1)
	v_mad_u64_u32 v[0:1], null, v3, s73, v[2:3]
	v_sub_nc_u32_e32 v5, s72, v3
	v_cmp_lt_i32_e64 s64, 0, v5
	s_delay_alu instid0(VALU_DEP_3) | instskip(NEXT) | instid1(VALU_DEP_2)
	v_ashrrev_i32_e32 v1, 31, v0
	s_and_b32 s2, s64, s0
	s_delay_alu instid0(VALU_DEP_1) | instskip(NEXT) | instid1(VALU_DEP_1)
	v_lshlrev_b64 v[0:1], 2, v[0:1]
	v_add_co_u32 v3, vcc_lo, s70, v0
	s_delay_alu instid0(VALU_DEP_2)
	v_add_co_ci_u32_e32 v4, vcc_lo, s71, v1, vcc_lo
	s_and_saveexec_b32 s1, s2
	s_cbranch_execz .LBB58_2
; %bb.1:
	global_load_b32 v73, v[3:4], off
.LBB58_2:
	s_or_b32 exec_lo, exec_lo, s1
	v_add_nc_u32_e32 v6, 32, v2
	s_delay_alu instid0(VALU_DEP_1) | instskip(SKIP_1) | instid1(SALU_CYCLE_1)
	v_cmp_gt_i32_e32 vcc_lo, s74, v6
	s_and_b32 s2, s64, vcc_lo
	s_and_saveexec_b32 s1, s2
	s_cbranch_execz .LBB58_4
; %bb.3:
	global_load_b32 v17, v[3:4], off offset:128
.LBB58_4:
	s_or_b32 exec_lo, exec_lo, s1
	v_dual_mov_b32 v21, 0xff800000 :: v_dual_add_nc_u32 v6, 64, v2
	v_mov_b32_e32 v22, 0xff800000
	s_delay_alu instid0(VALU_DEP_2) | instskip(NEXT) | instid1(VALU_DEP_1)
	v_cmp_gt_i32_e64 s1, s74, v6
	s_and_b32 s3, s64, s1
	s_delay_alu instid0(SALU_CYCLE_1)
	s_and_saveexec_b32 s2, s3
	s_cbranch_execz .LBB58_6
; %bb.5:
	global_load_b32 v21, v[3:4], off offset:256
.LBB58_6:
	s_or_b32 exec_lo, exec_lo, s2
	v_add_nc_u32_e32 v6, 0x60, v2
	s_delay_alu instid0(VALU_DEP_1) | instskip(NEXT) | instid1(VALU_DEP_1)
	v_cmp_gt_i32_e64 s2, s74, v6
	s_and_b32 s4, s64, s2
	s_delay_alu instid0(SALU_CYCLE_1)
	s_and_saveexec_b32 s3, s4
	s_cbranch_execz .LBB58_8
; %bb.7:
	global_load_b32 v22, v[3:4], off offset:384
.LBB58_8:
	s_or_b32 exec_lo, exec_lo, s3
	v_add_nc_u32_e32 v6, 0x80, v2
	v_mov_b32_e32 v29, 0xff800000
	v_mov_b32_e32 v25, 0xff800000
	s_delay_alu instid0(VALU_DEP_3) | instskip(NEXT) | instid1(VALU_DEP_1)
	v_cmp_gt_i32_e64 s3, s74, v6
	s_and_b32 s5, s64, s3
	s_delay_alu instid0(SALU_CYCLE_1)
	s_and_saveexec_b32 s4, s5
	s_cbranch_execz .LBB58_10
; %bb.9:
	global_load_b32 v25, v[3:4], off offset:512
.LBB58_10:
	s_or_b32 exec_lo, exec_lo, s4
	v_add_nc_u32_e32 v6, 0xa0, v2
	s_delay_alu instid0(VALU_DEP_1) | instskip(NEXT) | instid1(VALU_DEP_1)
	v_cmp_gt_i32_e64 s4, s74, v6
	s_and_b32 s6, s64, s4
	s_delay_alu instid0(SALU_CYCLE_1)
	s_and_saveexec_b32 s5, s6
	s_cbranch_execz .LBB58_12
; %bb.11:
	global_load_b32 v29, v[3:4], off offset:640
.LBB58_12:
	s_or_b32 exec_lo, exec_lo, s5
	v_add_nc_u32_e32 v6, 0xc0, v2
	v_mov_b32_e32 v33, 0xff800000
	v_mov_b32_e32 v31, 0xff800000
	s_delay_alu instid0(VALU_DEP_3) | instskip(NEXT) | instid1(VALU_DEP_1)
	v_cmp_gt_i32_e64 s5, s74, v6
	s_and_b32 s7, s64, s5
	s_delay_alu instid0(SALU_CYCLE_1)
	s_and_saveexec_b32 s6, s7
	s_cbranch_execz .LBB58_14
; %bb.13:
	global_load_b32 v31, v[3:4], off offset:768
.LBB58_14:
	s_or_b32 exec_lo, exec_lo, s6
	v_add_nc_u32_e32 v6, 0xe0, v2
	s_delay_alu instid0(VALU_DEP_1) | instskip(NEXT) | instid1(VALU_DEP_1)
	v_cmp_gt_i32_e64 s6, s74, v6
	s_and_b32 s8, s64, s6
	s_delay_alu instid0(SALU_CYCLE_1)
	s_and_saveexec_b32 s7, s8
	s_cbranch_execz .LBB58_16
; %bb.15:
	global_load_b32 v33, v[3:4], off offset:896
.LBB58_16:
	s_or_b32 exec_lo, exec_lo, s7
	v_add_nc_u32_e32 v6, 0x100, v2
	v_dual_mov_b32 v37, 0xff800000 :: v_dual_mov_b32 v36, 0xff800000
	s_delay_alu instid0(VALU_DEP_2) | instskip(NEXT) | instid1(VALU_DEP_1)
	v_cmp_gt_i32_e64 s7, s74, v6
	s_and_b32 s9, s64, s7
	s_delay_alu instid0(SALU_CYCLE_1)
	s_and_saveexec_b32 s8, s9
	s_cbranch_execz .LBB58_18
; %bb.17:
	global_load_b32 v36, v[3:4], off offset:1024
.LBB58_18:
	s_or_b32 exec_lo, exec_lo, s8
	v_add_nc_u32_e32 v6, 0x120, v2
	s_delay_alu instid0(VALU_DEP_1) | instskip(NEXT) | instid1(VALU_DEP_1)
	v_cmp_gt_i32_e64 s8, s74, v6
	s_and_b32 s10, s64, s8
	s_delay_alu instid0(SALU_CYCLE_1)
	s_and_saveexec_b32 s9, s10
	s_cbranch_execz .LBB58_20
; %bb.19:
	global_load_b32 v37, v[3:4], off offset:1152
.LBB58_20:
	s_or_b32 exec_lo, exec_lo, s9
	v_add_nc_u32_e32 v6, 0x140, v2
	v_dual_mov_b32 v45, 0xff800000 :: v_dual_mov_b32 v44, 0xff800000
	s_delay_alu instid0(VALU_DEP_2) | instskip(NEXT) | instid1(VALU_DEP_1)
	v_cmp_gt_i32_e64 s9, s74, v6
	s_and_b32 s11, s64, s9
	s_delay_alu instid0(SALU_CYCLE_1)
	s_and_saveexec_b32 s10, s11
	s_cbranch_execz .LBB58_22
; %bb.21:
	global_load_b32 v44, v[3:4], off offset:1280
.LBB58_22:
	s_or_b32 exec_lo, exec_lo, s10
	v_add_nc_u32_e32 v6, 0x160, v2
	s_delay_alu instid0(VALU_DEP_1) | instskip(NEXT) | instid1(VALU_DEP_1)
	v_cmp_gt_i32_e64 s10, s74, v6
	s_and_b32 s12, s64, s10
	s_delay_alu instid0(SALU_CYCLE_1)
	s_and_saveexec_b32 s11, s12
	s_cbranch_execz .LBB58_24
; %bb.23:
	global_load_b32 v45, v[3:4], off offset:1408
.LBB58_24:
	s_or_b32 exec_lo, exec_lo, s11
	v_add_nc_u32_e32 v6, 0x180, v2
	v_dual_mov_b32 v49, 0xff800000 :: v_dual_mov_b32 v48, 0xff800000
	s_delay_alu instid0(VALU_DEP_2) | instskip(NEXT) | instid1(VALU_DEP_1)
	v_cmp_gt_i32_e64 s11, s74, v6
	s_and_b32 s13, s64, s11
	s_delay_alu instid0(SALU_CYCLE_1)
	s_and_saveexec_b32 s12, s13
	s_cbranch_execz .LBB58_26
; %bb.25:
	global_load_b32 v48, v[3:4], off offset:1536
.LBB58_26:
	s_or_b32 exec_lo, exec_lo, s12
	v_add_nc_u32_e32 v6, 0x1a0, v2
	s_delay_alu instid0(VALU_DEP_1) | instskip(NEXT) | instid1(VALU_DEP_1)
	v_cmp_gt_i32_e64 s12, s74, v6
	s_and_b32 s14, s64, s12
	s_delay_alu instid0(SALU_CYCLE_1)
	s_and_saveexec_b32 s13, s14
	s_cbranch_execz .LBB58_28
; %bb.27:
	global_load_b32 v49, v[3:4], off offset:1664
.LBB58_28:
	s_or_b32 exec_lo, exec_lo, s13
	v_add_nc_u32_e32 v6, 0x1c0, v2
	v_mov_b32_e32 v53, 0xff800000
	v_mov_b32_e32 v51, 0xff800000
	s_delay_alu instid0(VALU_DEP_3) | instskip(NEXT) | instid1(VALU_DEP_1)
	v_cmp_gt_i32_e64 s13, s74, v6
	s_and_b32 s15, s64, s13
	s_delay_alu instid0(SALU_CYCLE_1)
	s_and_saveexec_b32 s14, s15
	s_cbranch_execz .LBB58_30
; %bb.29:
	global_load_b32 v51, v[3:4], off offset:1792
.LBB58_30:
	s_or_b32 exec_lo, exec_lo, s14
	v_add_nc_u32_e32 v6, 0x1e0, v2
	s_delay_alu instid0(VALU_DEP_1) | instskip(NEXT) | instid1(VALU_DEP_1)
	v_cmp_gt_i32_e64 s14, s74, v6
	s_and_b32 s16, s64, s14
	s_delay_alu instid0(SALU_CYCLE_1)
	s_and_saveexec_b32 s15, s16
	s_cbranch_execz .LBB58_32
; %bb.31:
	global_load_b32 v53, v[3:4], off offset:1920
.LBB58_32:
	s_or_b32 exec_lo, exec_lo, s15
	v_add_nc_u32_e32 v6, 0x200, v2
	v_mov_b32_e32 v57, 0xff800000
	v_mov_b32_e32 v55, 0xff800000
	s_delay_alu instid0(VALU_DEP_3) | instskip(NEXT) | instid1(VALU_DEP_1)
	v_cmp_gt_i32_e64 s15, s74, v6
	s_and_b32 s17, s64, s15
	s_delay_alu instid0(SALU_CYCLE_1)
	s_and_saveexec_b32 s16, s17
	s_cbranch_execz .LBB58_34
; %bb.33:
	global_load_b32 v55, v[3:4], off offset:2048
.LBB58_34:
	s_or_b32 exec_lo, exec_lo, s16
	v_add_nc_u32_e32 v6, 0x220, v2
	s_delay_alu instid0(VALU_DEP_1) | instskip(NEXT) | instid1(VALU_DEP_1)
	v_cmp_gt_i32_e64 s16, s74, v6
	s_and_b32 s18, s64, s16
	s_delay_alu instid0(SALU_CYCLE_1)
	s_and_saveexec_b32 s17, s18
	s_cbranch_execz .LBB58_36
; %bb.35:
	global_load_b32 v57, v[3:4], off offset:2176
.LBB58_36:
	s_or_b32 exec_lo, exec_lo, s17
	v_add_nc_u32_e32 v6, 0x240, v2
	v_dual_mov_b32 v59, 0xff800000 :: v_dual_mov_b32 v58, 0xff800000
	s_delay_alu instid0(VALU_DEP_2) | instskip(NEXT) | instid1(VALU_DEP_1)
	v_cmp_gt_i32_e64 s17, s74, v6
	s_and_b32 s19, s64, s17
	s_delay_alu instid0(SALU_CYCLE_1)
	s_and_saveexec_b32 s18, s19
	s_cbranch_execz .LBB58_38
; %bb.37:
	global_load_b32 v58, v[3:4], off offset:2304
.LBB58_38:
	s_or_b32 exec_lo, exec_lo, s18
	v_add_nc_u32_e32 v6, 0x260, v2
	s_delay_alu instid0(VALU_DEP_1) | instskip(NEXT) | instid1(VALU_DEP_1)
	v_cmp_gt_i32_e64 s18, s74, v6
	s_and_b32 s20, s64, s18
	s_delay_alu instid0(SALU_CYCLE_1)
	s_and_saveexec_b32 s19, s20
	s_cbranch_execz .LBB58_40
; %bb.39:
	global_load_b32 v59, v[3:4], off offset:2432
.LBB58_40:
	s_or_b32 exec_lo, exec_lo, s19
	v_add_nc_u32_e32 v6, 0x280, v2
	v_dual_mov_b32 v61, 0xff800000 :: v_dual_mov_b32 v60, 0xff800000
	s_delay_alu instid0(VALU_DEP_2) | instskip(NEXT) | instid1(VALU_DEP_1)
	;; [unrolled: 23-line block ×6, first 2 shown]
	v_cmp_gt_i32_e64 s27, s74, v6
	s_and_b32 s29, s64, s27
	s_delay_alu instid0(SALU_CYCLE_1)
	s_and_saveexec_b32 s28, s29
	s_cbranch_execz .LBB58_58
; %bb.57:
	global_load_b32 v70, v[3:4], off offset:3584
.LBB58_58:
	s_or_b32 exec_lo, exec_lo, s28
	v_add_nc_u32_e32 v6, 0x3a0, v2
	s_delay_alu instid0(VALU_DEP_1) | instskip(NEXT) | instid1(VALU_DEP_1)
	v_cmp_gt_i32_e64 s28, s74, v6
	s_and_b32 s30, s64, s28
	s_delay_alu instid0(SALU_CYCLE_1)
	s_and_saveexec_b32 s29, s30
	s_cbranch_execz .LBB58_60
; %bb.59:
	global_load_b32 v71, v[3:4], off offset:3712
.LBB58_60:
	s_or_b32 exec_lo, exec_lo, s29
	v_add_nc_u32_e32 v6, 0x3c0, v2
	v_mov_b32_e32 v64, 0xff800000
	v_mov_b32_e32 v72, 0xff800000
	s_delay_alu instid0(VALU_DEP_3) | instskip(NEXT) | instid1(VALU_DEP_1)
	v_cmp_gt_i32_e64 s29, s74, v6
	s_and_b32 s31, s64, s29
	s_delay_alu instid0(SALU_CYCLE_1)
	s_and_saveexec_b32 s30, s31
	s_cbranch_execz .LBB58_62
; %bb.61:
	global_load_b32 v72, v[3:4], off offset:3840
.LBB58_62:
	s_or_b32 exec_lo, exec_lo, s30
	v_add_nc_u32_e32 v6, 0x3e0, v2
	s_delay_alu instid0(VALU_DEP_1) | instskip(NEXT) | instid1(VALU_DEP_1)
	v_cmp_gt_i32_e64 s30, s74, v6
	s_and_b32 s33, s64, s30
	s_delay_alu instid0(SALU_CYCLE_1)
	s_and_saveexec_b32 s31, s33
	s_cbranch_execz .LBB58_64
; %bb.63:
	global_load_b32 v64, v[3:4], off offset:3968
.LBB58_64:
	s_or_b32 exec_lo, exec_lo, s31
	v_or_b32_e32 v6, 0x400, v2
	v_dual_mov_b32 v54, 0xff800000 :: v_dual_mov_b32 v65, 0xff800000
	s_delay_alu instid0(VALU_DEP_2) | instskip(NEXT) | instid1(VALU_DEP_1)
	v_cmp_gt_i32_e64 s31, s74, v6
	s_and_b32 s33, s64, s31
	s_delay_alu instid0(SALU_CYCLE_1)
	s_and_saveexec_b32 s34, s33
	s_cbranch_execz .LBB58_66
; %bb.65:
	v_add_co_u32 v6, s33, 0x1000, v3
	s_delay_alu instid0(VALU_DEP_1)
	v_add_co_ci_u32_e64 v7, s33, 0, v4, s33
	global_load_b32 v65, v[6:7], off
.LBB58_66:
	s_or_b32 exec_lo, exec_lo, s34
	v_add_nc_u32_e32 v6, 0x420, v2
	s_delay_alu instid0(VALU_DEP_1) | instskip(NEXT) | instid1(VALU_DEP_1)
	v_cmp_gt_i32_e64 s33, s74, v6
	s_and_b32 s34, s64, s33
	s_delay_alu instid0(SALU_CYCLE_1)
	s_and_saveexec_b32 s35, s34
	s_cbranch_execz .LBB58_68
; %bb.67:
	v_add_co_u32 v6, s34, 0x1000, v3
	s_delay_alu instid0(VALU_DEP_1)
	v_add_co_ci_u32_e64 v7, s34, 0, v4, s34
	global_load_b32 v54, v[6:7], off offset:128
.LBB58_68:
	s_or_b32 exec_lo, exec_lo, s35
	v_add_nc_u32_e32 v6, 0x440, v2
	v_mov_b32_e32 v50, 0xff800000
	v_mov_b32_e32 v56, 0xff800000
	s_delay_alu instid0(VALU_DEP_3) | instskip(NEXT) | instid1(VALU_DEP_1)
	v_cmp_gt_i32_e64 s34, s74, v6
	s_and_b32 s35, s64, s34
	s_delay_alu instid0(SALU_CYCLE_1)
	s_and_saveexec_b32 s36, s35
	s_cbranch_execz .LBB58_70
; %bb.69:
	v_add_co_u32 v6, s35, 0x1000, v3
	s_delay_alu instid0(VALU_DEP_1)
	v_add_co_ci_u32_e64 v7, s35, 0, v4, s35
	global_load_b32 v56, v[6:7], off offset:256
.LBB58_70:
	s_or_b32 exec_lo, exec_lo, s36
	v_add_nc_u32_e32 v6, 0x460, v2
	s_delay_alu instid0(VALU_DEP_1) | instskip(NEXT) | instid1(VALU_DEP_1)
	v_cmp_gt_i32_e64 s35, s74, v6
	s_and_b32 s36, s64, s35
	s_delay_alu instid0(SALU_CYCLE_1)
	s_and_saveexec_b32 s37, s36
	s_cbranch_execz .LBB58_72
; %bb.71:
	v_add_co_u32 v6, s36, 0x1000, v3
	s_delay_alu instid0(VALU_DEP_1)
	v_add_co_ci_u32_e64 v7, s36, 0, v4, s36
	global_load_b32 v50, v[6:7], off offset:384
.LBB58_72:
	s_or_b32 exec_lo, exec_lo, s37
	v_add_nc_u32_e32 v6, 0x480, v2
	v_mov_b32_e32 v46, 0xff800000
	v_mov_b32_e32 v52, 0xff800000
	s_delay_alu instid0(VALU_DEP_3) | instskip(NEXT) | instid1(VALU_DEP_1)
	v_cmp_gt_i32_e64 s36, s74, v6
	s_and_b32 s37, s64, s36
	s_delay_alu instid0(SALU_CYCLE_1)
	s_and_saveexec_b32 s38, s37
	s_cbranch_execz .LBB58_74
; %bb.73:
	v_add_co_u32 v6, s37, 0x1000, v3
	s_delay_alu instid0(VALU_DEP_1)
	v_add_co_ci_u32_e64 v7, s37, 0, v4, s37
	global_load_b32 v52, v[6:7], off offset:512
.LBB58_74:
	s_or_b32 exec_lo, exec_lo, s38
	v_add_nc_u32_e32 v6, 0x4a0, v2
	s_delay_alu instid0(VALU_DEP_1) | instskip(NEXT) | instid1(VALU_DEP_1)
	v_cmp_gt_i32_e64 s37, s74, v6
	s_and_b32 s38, s64, s37
	s_delay_alu instid0(SALU_CYCLE_1)
	s_and_saveexec_b32 s39, s38
	s_cbranch_execz .LBB58_76
; %bb.75:
	v_add_co_u32 v6, s38, 0x1000, v3
	s_delay_alu instid0(VALU_DEP_1)
	v_add_co_ci_u32_e64 v7, s38, 0, v4, s38
	global_load_b32 v46, v[6:7], off offset:640
.LBB58_76:
	s_or_b32 exec_lo, exec_lo, s39
	v_add_nc_u32_e32 v6, 0x4c0, v2
	v_dual_mov_b32 v42, 0xff800000 :: v_dual_mov_b32 v47, 0xff800000
	s_delay_alu instid0(VALU_DEP_2) | instskip(NEXT) | instid1(VALU_DEP_1)
	v_cmp_gt_i32_e64 s38, s74, v6
	s_and_b32 s39, s64, s38
	s_delay_alu instid0(SALU_CYCLE_1)
	s_and_saveexec_b32 s40, s39
	s_cbranch_execz .LBB58_78
; %bb.77:
	v_add_co_u32 v6, s39, 0x1000, v3
	s_delay_alu instid0(VALU_DEP_1)
	v_add_co_ci_u32_e64 v7, s39, 0, v4, s39
	global_load_b32 v47, v[6:7], off offset:768
.LBB58_78:
	s_or_b32 exec_lo, exec_lo, s40
	v_add_nc_u32_e32 v6, 0x4e0, v2
	s_delay_alu instid0(VALU_DEP_1) | instskip(NEXT) | instid1(VALU_DEP_1)
	v_cmp_gt_i32_e64 s39, s74, v6
	s_and_b32 s40, s64, s39
	s_delay_alu instid0(SALU_CYCLE_1)
	s_and_saveexec_b32 s41, s40
	s_cbranch_execz .LBB58_80
; %bb.79:
	v_add_co_u32 v6, s40, 0x1000, v3
	s_delay_alu instid0(VALU_DEP_1)
	v_add_co_ci_u32_e64 v7, s40, 0, v4, s40
	global_load_b32 v42, v[6:7], off offset:896
.LBB58_80:
	s_or_b32 exec_lo, exec_lo, s41
	v_add_nc_u32_e32 v6, 0x500, v2
	v_dual_mov_b32 v40, 0xff800000 :: v_dual_mov_b32 v43, 0xff800000
	s_delay_alu instid0(VALU_DEP_2) | instskip(NEXT) | instid1(VALU_DEP_1)
	;; [unrolled: 29-line block ×10, first 2 shown]
	v_cmp_gt_i32_e64 s56, s74, v6
	s_and_b32 s57, s64, s56
	s_delay_alu instid0(SALU_CYCLE_1)
	s_and_saveexec_b32 s58, s57
	s_cbranch_execz .LBB58_114
; %bb.113:
	v_add_co_u32 v6, s57, 0x1000, v3
	s_delay_alu instid0(VALU_DEP_1)
	v_add_co_ci_u32_e64 v7, s57, 0, v4, s57
	global_load_b32 v14, v[6:7], off offset:3072
.LBB58_114:
	s_or_b32 exec_lo, exec_lo, s58
	v_add_nc_u32_e32 v6, 0x720, v2
	s_delay_alu instid0(VALU_DEP_1) | instskip(NEXT) | instid1(VALU_DEP_1)
	v_cmp_gt_i32_e64 s57, s74, v6
	s_and_b32 s58, s64, s57
	s_delay_alu instid0(SALU_CYCLE_1)
	s_and_saveexec_b32 s59, s58
	s_cbranch_execz .LBB58_116
; %bb.115:
	v_add_co_u32 v6, s58, 0x1000, v3
	s_delay_alu instid0(VALU_DEP_1)
	v_add_co_ci_u32_e64 v7, s58, 0, v4, s58
	global_load_b32 v11, v[6:7], off offset:3200
.LBB58_116:
	s_or_b32 exec_lo, exec_lo, s59
	v_add_nc_u32_e32 v6, 0x740, v2
	v_mov_b32_e32 v10, 0xff800000
	v_mov_b32_e32 v12, 0xff800000
	s_delay_alu instid0(VALU_DEP_3) | instskip(NEXT) | instid1(VALU_DEP_1)
	v_cmp_gt_i32_e64 s58, s74, v6
	s_and_b32 s59, s64, s58
	s_delay_alu instid0(SALU_CYCLE_1)
	s_and_saveexec_b32 s60, s59
	s_cbranch_execz .LBB58_118
; %bb.117:
	v_add_co_u32 v6, s59, 0x1000, v3
	s_delay_alu instid0(VALU_DEP_1)
	v_add_co_ci_u32_e64 v7, s59, 0, v4, s59
	global_load_b32 v12, v[6:7], off offset:3328
.LBB58_118:
	s_or_b32 exec_lo, exec_lo, s60
	v_add_nc_u32_e32 v6, 0x760, v2
	s_delay_alu instid0(VALU_DEP_1) | instskip(NEXT) | instid1(VALU_DEP_1)
	v_cmp_gt_i32_e64 s59, s74, v6
	s_and_b32 s60, s64, s59
	s_delay_alu instid0(SALU_CYCLE_1)
	s_and_saveexec_b32 s61, s60
	s_cbranch_execz .LBB58_120
; %bb.119:
	v_add_co_u32 v6, s60, 0x1000, v3
	s_delay_alu instid0(VALU_DEP_1)
	v_add_co_ci_u32_e64 v7, s60, 0, v4, s60
	global_load_b32 v10, v[6:7], off offset:3456
.LBB58_120:
	s_or_b32 exec_lo, exec_lo, s61
	v_add_nc_u32_e32 v6, 0x780, v2
	v_mov_b32_e32 v7, 0xff800000
	v_mov_b32_e32 v9, 0xff800000
	s_delay_alu instid0(VALU_DEP_3) | instskip(NEXT) | instid1(VALU_DEP_1)
	v_cmp_gt_i32_e64 s60, s74, v6
	s_and_b32 s61, s64, s60
	s_delay_alu instid0(SALU_CYCLE_1)
	s_and_saveexec_b32 s62, s61
	s_cbranch_execz .LBB58_122
; %bb.121:
	v_add_co_u32 v8, s61, 0x1000, v3
	s_delay_alu instid0(VALU_DEP_1)
	v_add_co_ci_u32_e64 v9, s61, 0, v4, s61
	global_load_b32 v9, v[8:9], off offset:3584
.LBB58_122:
	s_or_b32 exec_lo, exec_lo, s62
	v_add_nc_u32_e32 v6, 0x7a0, v2
	s_delay_alu instid0(VALU_DEP_1) | instskip(NEXT) | instid1(VALU_DEP_1)
	v_cmp_gt_i32_e64 s61, s74, v6
	s_and_b32 s62, s64, s61
	s_delay_alu instid0(SALU_CYCLE_1)
	s_and_saveexec_b32 s63, s62
	s_cbranch_execz .LBB58_124
; %bb.123:
	v_add_co_u32 v6, s62, 0x1000, v3
	s_delay_alu instid0(VALU_DEP_1)
	v_add_co_ci_u32_e64 v7, s62, 0, v4, s62
	global_load_b32 v7, v[6:7], off offset:3712
.LBB58_124:
	s_or_b32 exec_lo, exec_lo, s63
	v_add_nc_u32_e32 v6, 0x7c0, v2
	v_mov_b32_e32 v8, 0xff800000
	s_delay_alu instid0(VALU_DEP_2) | instskip(SKIP_1) | instid1(VALU_DEP_2)
	v_cmp_gt_i32_e64 s62, s74, v6
	v_mov_b32_e32 v6, 0xff800000
	s_and_b32 s63, s64, s62
	s_delay_alu instid0(SALU_CYCLE_1)
	s_and_saveexec_b32 s65, s63
	s_cbranch_execz .LBB58_126
; %bb.125:
	v_add_co_u32 v15, s63, 0x1000, v3
	s_delay_alu instid0(VALU_DEP_1)
	v_add_co_ci_u32_e64 v16, s63, 0, v4, s63
	global_load_b32 v8, v[15:16], off offset:3840
.LBB58_126:
	s_or_b32 exec_lo, exec_lo, s65
	v_add_nc_u32_e32 v2, 0x7e0, v2
	s_delay_alu instid0(VALU_DEP_1) | instskip(NEXT) | instid1(VALU_DEP_1)
	v_cmp_gt_i32_e64 s63, s74, v2
	s_and_b32 s64, s64, s63
	s_delay_alu instid0(SALU_CYCLE_1)
	s_and_saveexec_b32 s65, s64
	s_cbranch_execz .LBB58_128
; %bb.127:
	v_add_co_u32 v2, s64, 0x1000, v3
	s_delay_alu instid0(VALU_DEP_1)
	v_add_co_ci_u32_e64 v3, s64, 0, v4, s64
	global_load_b32 v6, v[2:3], off offset:3968
.LBB58_128:
	s_or_b32 exec_lo, exec_lo, s65
	s_waitcnt vmcnt(0)
	v_cmp_gt_f32_e64 s64, v73, v17
	v_mbcnt_lo_u32_b32 v4, -1, 0
	s_mov_b32 s65, exec_lo
	s_delay_alu instid0(VALU_DEP_2) | instskip(NEXT) | instid1(VALU_DEP_1)
	v_cndmask_b32_e64 v2, v17, v73, s64
	v_cmp_gt_f32_e64 s64, v2, v21
	s_delay_alu instid0(VALU_DEP_1) | instskip(NEXT) | instid1(VALU_DEP_1)
	v_cndmask_b32_e64 v2, v21, v2, s64
	v_cmp_gt_f32_e64 s64, v2, v22
	s_delay_alu instid0(VALU_DEP_1) | instskip(NEXT) | instid1(VALU_DEP_1)
	;; [unrolled: 3-line block ×61, first 2 shown]
	v_cndmask_b32_e64 v2, v8, v2, s64
	v_cmp_gt_f32_e64 s64, v2, v6
	s_delay_alu instid0(VALU_DEP_1) | instskip(SKIP_1) | instid1(VALU_DEP_1)
	v_cndmask_b32_e64 v3, v6, v2, s64
	v_xor_b32_e32 v2, 16, v4
	v_cmp_gt_i32_e64 s64, 32, v2
	s_delay_alu instid0(VALU_DEP_1) | instskip(NEXT) | instid1(VALU_DEP_1)
	v_cndmask_b32_e64 v2, v4, v2, s64
	v_lshlrev_b32_e32 v2, 2, v2
	ds_bpermute_b32 v15, v2, v3
	s_waitcnt lgkmcnt(0)
	v_cmp_lt_f32_e64 s64, v3, v15
	s_delay_alu instid0(VALU_DEP_1) | instskip(SKIP_1) | instid1(VALU_DEP_1)
	v_cndmask_b32_e64 v15, v3, v15, s64
	v_xor_b32_e32 v3, 8, v4
	v_cmp_gt_i32_e64 s64, 32, v3
	s_delay_alu instid0(VALU_DEP_1) | instskip(NEXT) | instid1(VALU_DEP_1)
	v_cndmask_b32_e64 v3, v4, v3, s64
	v_lshlrev_b32_e32 v3, 2, v3
	ds_bpermute_b32 v16, v3, v15
	s_waitcnt lgkmcnt(0)
	v_cmp_lt_f32_e64 s64, v15, v16
	;; [unrolled: 10-line block ×5, first 2 shown]
	s_delay_alu instid0(VALU_DEP_1) | instskip(NEXT) | instid1(VALU_DEP_1)
	v_cndmask_b32_e64 v26, v26, v4, s64
	v_sub_f32_e32 v4, v73, v26
	v_sub_f32_e32 v17, v17, v26
	;; [unrolled: 1-line block ×5, first 2 shown]
	v_mul_f32_e32 v73, 0x3fb8aa3b, v4
	v_cmp_ngt_f32_e64 s64, 0xc2ce8ed0, v4
	v_sub_f32_e32 v44, v44, v26
	v_sub_f32_e32 v55, v55, v26
	;; [unrolled: 1-line block ×3, first 2 shown]
	v_fma_f32 v74, 0x3fb8aa3b, v4, -v73
	v_rndne_f32_e32 v75, v73
	v_sub_f32_e32 v58, v58, v26
	v_sub_f32_e32 v60, v60, v26
	;; [unrolled: 1-line block ×3, first 2 shown]
	s_delay_alu instid0(VALU_DEP_4)
	v_dual_fmac_f32 v74, 0x32a5705f, v4 :: v_dual_sub_f32 v73, v73, v75
	v_sub_f32_e32 v66, v66, v26
	v_sub_f32_e32 v13, v13, v26
	;; [unrolled: 1-line block ×4, first 2 shown]
	v_add_f32_e32 v73, v73, v74
	v_cvt_i32_f32_e32 v74, v75
	v_sub_f32_e32 v43, v43, v26
	v_sub_f32_e32 v70, v70, v26
	;; [unrolled: 1-line block ×3, first 2 shown]
	v_exp_f32_e32 v73, v73
	v_sub_f32_e32 v72, v72, v26
	v_sub_f32_e32 v35, v35, v26
	;; [unrolled: 1-line block ×9, first 2 shown]
	v_ldexp_f32 v73, v73, v74
	v_mul_f32_e32 v74, 0x3fb8aa3b, v17
	v_sub_f32_e32 v40, v40, v26
	v_sub_f32_e32 v38, v38, v26
	;; [unrolled: 1-line block ×3, first 2 shown]
	v_cndmask_b32_e64 v73, 0, v73, s64
	v_fma_f32 v75, 0x3fb8aa3b, v17, -v74
	v_rndne_f32_e32 v76, v74
	v_cmp_nlt_f32_e64 s64, 0x42b17218, v4
	v_sub_f32_e32 v30, v30, v26
	v_sub_f32_e32 v32, v32, v26
	;; [unrolled: 1-line block ×3, first 2 shown]
	v_dual_sub_f32 v74, v74, v76 :: v_dual_fmac_f32 v75, 0x32a5705f, v17
	v_cndmask_b32_e64 v73, 0x7f800000, v73, s64
	v_cmp_ngt_f32_e64 s64, 0xc2ce8ed0, v17
	v_sub_f32_e32 v24, v24, v26
	v_sub_f32_e32 v20, v20, v26
	v_add_f32_e32 v74, v74, v75
	v_cvt_i32_f32_e32 v75, v76
	v_sub_f32_e32 v14, v14, v26
	v_sub_f32_e32 v12, v12, v26
	;; [unrolled: 1-line block ×3, first 2 shown]
	v_exp_f32_e32 v74, v74
	v_sub_f32_e32 v8, v8, v26
	v_sub_f32_e32 v6, v6, v26
	;; [unrolled: 1-line block ×9, first 2 shown]
	v_ldexp_f32 v74, v74, v75
	v_sub_f32_e32 v53, v53, v26
	v_sub_f32_e32 v57, v57, v26
	;; [unrolled: 1-line block ×4, first 2 shown]
	v_cndmask_b32_e64 v74, 0, v74, s64
	v_cmp_nlt_f32_e64 s64, 0x42b17218, v17
	v_sub_f32_e32 v63, v63, v26
	v_sub_f32_e32 v67, v67, v26
	;; [unrolled: 1-line block ×4, first 2 shown]
	v_cndmask_b32_e64 v74, 0x7f800000, v74, s64
	v_cmp_ngt_f32_e64 s64, 0xc2ce8ed0, v21
	v_sub_f32_e32 v65, v65, v26
	v_sub_f32_e32 v47, v47, v26
	;; [unrolled: 1-line block ×3, first 2 shown]
	v_dual_add_f32 v73, v73, v74 :: v_dual_mul_f32 v74, 0x3fb8aa3b, v21
	v_sub_f32_e32 v27, v27, v26
	v_sub_f32_e32 v23, v23, v26
	;; [unrolled: 1-line block ×4, first 2 shown]
	v_fma_f32 v75, 0x3fb8aa3b, v21, -v74
	v_rndne_f32_e32 v76, v74
	v_sub_f32_e32 v9, v9, v26
	v_sub_f32_e32 v7, v7, v26
	v_mul_f32_e32 v26, 0x3fb8aa3b, v6
	s_delay_alu instid0(VALU_DEP_4) | instskip(NEXT) | instid1(VALU_DEP_1)
	v_dual_fmac_f32 v75, 0x32a5705f, v21 :: v_dual_sub_f32 v74, v74, v76
	v_add_f32_e32 v74, v74, v75
	v_cvt_i32_f32_e32 v75, v76
	s_delay_alu instid0(VALU_DEP_2) | instskip(SKIP_2) | instid1(VALU_DEP_1)
	v_exp_f32_e32 v74, v74
	s_waitcnt_depctr 0xfff
	v_ldexp_f32 v74, v74, v75
	v_cndmask_b32_e64 v74, 0, v74, s64
	v_cmp_nlt_f32_e64 s64, 0x42b17218, v21
	s_delay_alu instid0(VALU_DEP_1) | instskip(SKIP_1) | instid1(VALU_DEP_2)
	v_cndmask_b32_e64 v74, 0x7f800000, v74, s64
	v_cmp_ngt_f32_e64 s64, 0xc2ce8ed0, v22
	v_add_f32_e32 v73, v73, v74
	v_mul_f32_e32 v74, 0x3fb8aa3b, v22
	s_delay_alu instid0(VALU_DEP_1) | instskip(SKIP_1) | instid1(VALU_DEP_1)
	v_fma_f32 v75, 0x3fb8aa3b, v22, -v74
	v_rndne_f32_e32 v76, v74
	v_dual_fmac_f32 v75, 0x32a5705f, v22 :: v_dual_sub_f32 v74, v74, v76
	s_delay_alu instid0(VALU_DEP_1) | instskip(SKIP_1) | instid1(VALU_DEP_2)
	v_add_f32_e32 v74, v74, v75
	v_cvt_i32_f32_e32 v75, v76
	v_exp_f32_e32 v74, v74
	s_waitcnt_depctr 0xfff
	v_ldexp_f32 v74, v74, v75
	s_delay_alu instid0(VALU_DEP_1) | instskip(SKIP_1) | instid1(VALU_DEP_1)
	v_cndmask_b32_e64 v74, 0, v74, s64
	v_cmp_nlt_f32_e64 s64, 0x42b17218, v22
	v_cndmask_b32_e64 v74, 0x7f800000, v74, s64
	s_delay_alu instid0(VALU_DEP_1) | instskip(NEXT) | instid1(VALU_DEP_1)
	v_dual_add_f32 v73, v73, v74 :: v_dual_mul_f32 v74, 0x3fb8aa3b, v25
	v_fma_f32 v75, 0x3fb8aa3b, v25, -v74
	v_rndne_f32_e32 v76, v74
	s_delay_alu instid0(VALU_DEP_1) | instskip(SKIP_1) | instid1(VALU_DEP_2)
	v_dual_sub_f32 v74, v74, v76 :: v_dual_fmac_f32 v75, 0x32a5705f, v25
	v_cmp_ngt_f32_e64 s64, 0xc2ce8ed0, v25
	v_add_f32_e32 v74, v74, v75
	v_cvt_i32_f32_e32 v75, v76
	s_delay_alu instid0(VALU_DEP_2) | instskip(SKIP_2) | instid1(VALU_DEP_1)
	v_exp_f32_e32 v74, v74
	s_waitcnt_depctr 0xfff
	v_ldexp_f32 v74, v74, v75
	v_cndmask_b32_e64 v74, 0, v74, s64
	v_cmp_nlt_f32_e64 s64, 0x42b17218, v25
	s_delay_alu instid0(VALU_DEP_1) | instskip(SKIP_1) | instid1(VALU_DEP_2)
	v_cndmask_b32_e64 v74, 0x7f800000, v74, s64
	v_cmp_ngt_f32_e64 s64, 0xc2ce8ed0, v29
	v_dual_add_f32 v73, v73, v74 :: v_dual_mul_f32 v74, 0x3fb8aa3b, v29
	s_delay_alu instid0(VALU_DEP_1) | instskip(SKIP_1) | instid1(VALU_DEP_1)
	v_fma_f32 v75, 0x3fb8aa3b, v29, -v74
	v_rndne_f32_e32 v76, v74
	v_dual_fmac_f32 v75, 0x32a5705f, v29 :: v_dual_sub_f32 v74, v74, v76
	s_delay_alu instid0(VALU_DEP_1) | instskip(SKIP_1) | instid1(VALU_DEP_2)
	v_add_f32_e32 v74, v74, v75
	v_cvt_i32_f32_e32 v75, v76
	v_exp_f32_e32 v74, v74
	s_waitcnt_depctr 0xfff
	v_ldexp_f32 v74, v74, v75
	s_delay_alu instid0(VALU_DEP_1) | instskip(SKIP_1) | instid1(VALU_DEP_1)
	v_cndmask_b32_e64 v74, 0, v74, s64
	v_cmp_nlt_f32_e64 s64, 0x42b17218, v29
	v_cndmask_b32_e64 v74, 0x7f800000, v74, s64
	v_cmp_ngt_f32_e64 s64, 0xc2ce8ed0, v31
	s_delay_alu instid0(VALU_DEP_2) | instskip(NEXT) | instid1(VALU_DEP_1)
	v_dual_add_f32 v73, v73, v74 :: v_dual_mul_f32 v74, 0x3fb8aa3b, v31
	v_fma_f32 v75, 0x3fb8aa3b, v31, -v74
	v_rndne_f32_e32 v76, v74
	s_delay_alu instid0(VALU_DEP_1) | instskip(NEXT) | instid1(VALU_DEP_1)
	v_dual_fmac_f32 v75, 0x32a5705f, v31 :: v_dual_sub_f32 v74, v74, v76
	v_add_f32_e32 v74, v74, v75
	v_cvt_i32_f32_e32 v75, v76
	s_delay_alu instid0(VALU_DEP_2) | instskip(SKIP_2) | instid1(VALU_DEP_1)
	v_exp_f32_e32 v74, v74
	s_waitcnt_depctr 0xfff
	v_ldexp_f32 v74, v74, v75
	v_cndmask_b32_e64 v74, 0, v74, s64
	v_cmp_nlt_f32_e64 s64, 0x42b17218, v31
	s_delay_alu instid0(VALU_DEP_1) | instskip(SKIP_1) | instid1(VALU_DEP_2)
	v_cndmask_b32_e64 v74, 0x7f800000, v74, s64
	v_cmp_ngt_f32_e64 s64, 0xc2ce8ed0, v33
	v_dual_add_f32 v73, v73, v74 :: v_dual_mul_f32 v74, 0x3fb8aa3b, v33
	s_delay_alu instid0(VALU_DEP_1) | instskip(SKIP_1) | instid1(VALU_DEP_1)
	v_fma_f32 v75, 0x3fb8aa3b, v33, -v74
	v_rndne_f32_e32 v76, v74
	v_dual_fmac_f32 v75, 0x32a5705f, v33 :: v_dual_sub_f32 v74, v74, v76
	s_delay_alu instid0(VALU_DEP_1) | instskip(SKIP_1) | instid1(VALU_DEP_2)
	v_add_f32_e32 v74, v74, v75
	v_cvt_i32_f32_e32 v75, v76
	v_exp_f32_e32 v74, v74
	s_waitcnt_depctr 0xfff
	v_ldexp_f32 v74, v74, v75
	s_delay_alu instid0(VALU_DEP_1) | instskip(SKIP_1) | instid1(VALU_DEP_1)
	v_cndmask_b32_e64 v74, 0, v74, s64
	v_cmp_nlt_f32_e64 s64, 0x42b17218, v33
	v_cndmask_b32_e64 v74, 0x7f800000, v74, s64
	v_cmp_ngt_f32_e64 s64, 0xc2ce8ed0, v36
	s_delay_alu instid0(VALU_DEP_2) | instskip(NEXT) | instid1(VALU_DEP_1)
	v_dual_add_f32 v73, v73, v74 :: v_dual_mul_f32 v74, 0x3fb8aa3b, v36
	v_fma_f32 v75, 0x3fb8aa3b, v36, -v74
	v_rndne_f32_e32 v76, v74
	s_delay_alu instid0(VALU_DEP_2) | instskip(NEXT) | instid1(VALU_DEP_2)
	v_fmac_f32_e32 v75, 0x32a5705f, v36
	v_sub_f32_e32 v74, v74, v76
	s_delay_alu instid0(VALU_DEP_1) | instskip(SKIP_1) | instid1(VALU_DEP_2)
	v_add_f32_e32 v74, v74, v75
	v_cvt_i32_f32_e32 v75, v76
	v_exp_f32_e32 v74, v74
	s_waitcnt_depctr 0xfff
	v_ldexp_f32 v74, v74, v75
	s_delay_alu instid0(VALU_DEP_1) | instskip(SKIP_1) | instid1(VALU_DEP_1)
	v_cndmask_b32_e64 v74, 0, v74, s64
	v_cmp_nlt_f32_e64 s64, 0x42b17218, v36
	v_cndmask_b32_e64 v74, 0x7f800000, v74, s64
	v_cmp_ngt_f32_e64 s64, 0xc2ce8ed0, v37
	s_delay_alu instid0(VALU_DEP_2) | instskip(NEXT) | instid1(VALU_DEP_1)
	v_dual_add_f32 v73, v73, v74 :: v_dual_mul_f32 v74, 0x3fb8aa3b, v37
	v_fma_f32 v75, 0x3fb8aa3b, v37, -v74
	v_rndne_f32_e32 v76, v74
	s_delay_alu instid0(VALU_DEP_1) | instskip(NEXT) | instid1(VALU_DEP_1)
	v_dual_fmac_f32 v75, 0x32a5705f, v37 :: v_dual_sub_f32 v74, v74, v76
	v_add_f32_e32 v74, v74, v75
	v_cvt_i32_f32_e32 v75, v76
	s_delay_alu instid0(VALU_DEP_2) | instskip(SKIP_2) | instid1(VALU_DEP_1)
	v_exp_f32_e32 v74, v74
	s_waitcnt_depctr 0xfff
	v_ldexp_f32 v74, v74, v75
	v_cndmask_b32_e64 v74, 0, v74, s64
	v_cmp_nlt_f32_e64 s64, 0x42b17218, v37
	s_delay_alu instid0(VALU_DEP_1) | instskip(SKIP_1) | instid1(VALU_DEP_2)
	v_cndmask_b32_e64 v74, 0x7f800000, v74, s64
	v_cmp_ngt_f32_e64 s64, 0xc2ce8ed0, v44
	v_dual_add_f32 v73, v73, v74 :: v_dual_mul_f32 v74, 0x3fb8aa3b, v44
	s_delay_alu instid0(VALU_DEP_1) | instskip(SKIP_1) | instid1(VALU_DEP_2)
	v_fma_f32 v75, 0x3fb8aa3b, v44, -v74
	v_rndne_f32_e32 v76, v74
	v_fmac_f32_e32 v75, 0x32a5705f, v44
	s_delay_alu instid0(VALU_DEP_2) | instskip(NEXT) | instid1(VALU_DEP_1)
	v_sub_f32_e32 v74, v74, v76
	v_add_f32_e32 v74, v74, v75
	v_cvt_i32_f32_e32 v75, v76
	s_delay_alu instid0(VALU_DEP_2) | instskip(SKIP_2) | instid1(VALU_DEP_1)
	v_exp_f32_e32 v74, v74
	s_waitcnt_depctr 0xfff
	v_ldexp_f32 v74, v74, v75
	v_cndmask_b32_e64 v74, 0, v74, s64
	v_cmp_nlt_f32_e64 s64, 0x42b17218, v44
	s_delay_alu instid0(VALU_DEP_1) | instskip(SKIP_1) | instid1(VALU_DEP_2)
	v_cndmask_b32_e64 v74, 0x7f800000, v74, s64
	v_cmp_ngt_f32_e64 s64, 0xc2ce8ed0, v45
	v_dual_add_f32 v73, v73, v74 :: v_dual_mul_f32 v74, 0x3fb8aa3b, v45
	s_delay_alu instid0(VALU_DEP_1) | instskip(SKIP_1) | instid1(VALU_DEP_1)
	v_fma_f32 v75, 0x3fb8aa3b, v45, -v74
	v_rndne_f32_e32 v76, v74
	v_dual_fmac_f32 v75, 0x32a5705f, v45 :: v_dual_sub_f32 v74, v74, v76
	s_delay_alu instid0(VALU_DEP_1) | instskip(SKIP_1) | instid1(VALU_DEP_2)
	v_add_f32_e32 v74, v74, v75
	v_cvt_i32_f32_e32 v75, v76
	v_exp_f32_e32 v74, v74
	s_waitcnt_depctr 0xfff
	v_ldexp_f32 v74, v74, v75
	s_delay_alu instid0(VALU_DEP_1) | instskip(SKIP_1) | instid1(VALU_DEP_1)
	v_cndmask_b32_e64 v74, 0, v74, s64
	v_cmp_nlt_f32_e64 s64, 0x42b17218, v45
	v_cndmask_b32_e64 v74, 0x7f800000, v74, s64
	v_cmp_ngt_f32_e64 s64, 0xc2ce8ed0, v48
	s_delay_alu instid0(VALU_DEP_2) | instskip(NEXT) | instid1(VALU_DEP_1)
	v_dual_add_f32 v73, v73, v74 :: v_dual_mul_f32 v74, 0x3fb8aa3b, v48
	v_fma_f32 v75, 0x3fb8aa3b, v48, -v74
	v_rndne_f32_e32 v76, v74
	s_delay_alu instid0(VALU_DEP_2) | instskip(NEXT) | instid1(VALU_DEP_2)
	v_fmac_f32_e32 v75, 0x32a5705f, v48
	v_sub_f32_e32 v74, v74, v76
	s_delay_alu instid0(VALU_DEP_1) | instskip(SKIP_1) | instid1(VALU_DEP_2)
	v_add_f32_e32 v74, v74, v75
	v_cvt_i32_f32_e32 v75, v76
	v_exp_f32_e32 v74, v74
	s_waitcnt_depctr 0xfff
	v_ldexp_f32 v74, v74, v75
	s_delay_alu instid0(VALU_DEP_1) | instskip(SKIP_1) | instid1(VALU_DEP_1)
	v_cndmask_b32_e64 v74, 0, v74, s64
	v_cmp_nlt_f32_e64 s64, 0x42b17218, v48
	v_cndmask_b32_e64 v74, 0x7f800000, v74, s64
	s_delay_alu instid0(VALU_DEP_1) | instskip(NEXT) | instid1(VALU_DEP_1)
	v_dual_add_f32 v73, v73, v74 :: v_dual_mul_f32 v74, 0x3fb8aa3b, v49
	v_fma_f32 v75, 0x3fb8aa3b, v49, -v74
	v_rndne_f32_e32 v76, v74
	s_delay_alu instid0(VALU_DEP_1) | instskip(SKIP_1) | instid1(VALU_DEP_2)
	v_dual_sub_f32 v74, v74, v76 :: v_dual_fmac_f32 v75, 0x32a5705f, v49
	v_cmp_ngt_f32_e64 s64, 0xc2ce8ed0, v49
	v_add_f32_e32 v74, v74, v75
	v_cvt_i32_f32_e32 v75, v76
	s_delay_alu instid0(VALU_DEP_2) | instskip(SKIP_2) | instid1(VALU_DEP_1)
	v_exp_f32_e32 v74, v74
	s_waitcnt_depctr 0xfff
	v_ldexp_f32 v74, v74, v75
	v_cndmask_b32_e64 v74, 0, v74, s64
	v_cmp_nlt_f32_e64 s64, 0x42b17218, v49
	s_delay_alu instid0(VALU_DEP_1) | instskip(SKIP_1) | instid1(VALU_DEP_2)
	v_cndmask_b32_e64 v74, 0x7f800000, v74, s64
	v_cmp_ngt_f32_e64 s64, 0xc2ce8ed0, v51
	v_dual_add_f32 v73, v73, v74 :: v_dual_mul_f32 v74, 0x3fb8aa3b, v51
	s_delay_alu instid0(VALU_DEP_1) | instskip(SKIP_1) | instid1(VALU_DEP_1)
	v_fma_f32 v75, 0x3fb8aa3b, v51, -v74
	v_rndne_f32_e32 v76, v74
	v_dual_fmac_f32 v75, 0x32a5705f, v51 :: v_dual_sub_f32 v74, v74, v76
	s_delay_alu instid0(VALU_DEP_1) | instskip(SKIP_1) | instid1(VALU_DEP_2)
	v_add_f32_e32 v74, v74, v75
	v_cvt_i32_f32_e32 v75, v76
	v_exp_f32_e32 v74, v74
	s_waitcnt_depctr 0xfff
	v_ldexp_f32 v74, v74, v75
	s_delay_alu instid0(VALU_DEP_1) | instskip(SKIP_1) | instid1(VALU_DEP_1)
	v_cndmask_b32_e64 v74, 0, v74, s64
	v_cmp_nlt_f32_e64 s64, 0x42b17218, v51
	v_cndmask_b32_e64 v74, 0x7f800000, v74, s64
	v_cmp_ngt_f32_e64 s64, 0xc2ce8ed0, v53
	s_delay_alu instid0(VALU_DEP_2) | instskip(NEXT) | instid1(VALU_DEP_1)
	v_dual_add_f32 v73, v73, v74 :: v_dual_mul_f32 v74, 0x3fb8aa3b, v53
	v_fma_f32 v75, 0x3fb8aa3b, v53, -v74
	v_rndne_f32_e32 v76, v74
	s_delay_alu instid0(VALU_DEP_1) | instskip(NEXT) | instid1(VALU_DEP_1)
	v_dual_fmac_f32 v75, 0x32a5705f, v53 :: v_dual_sub_f32 v74, v74, v76
	v_add_f32_e32 v74, v74, v75
	v_cvt_i32_f32_e32 v75, v76
	s_delay_alu instid0(VALU_DEP_2) | instskip(SKIP_2) | instid1(VALU_DEP_1)
	v_exp_f32_e32 v74, v74
	s_waitcnt_depctr 0xfff
	v_ldexp_f32 v74, v74, v75
	v_cndmask_b32_e64 v74, 0, v74, s64
	v_cmp_nlt_f32_e64 s64, 0x42b17218, v53
	s_delay_alu instid0(VALU_DEP_1) | instskip(NEXT) | instid1(VALU_DEP_1)
	v_cndmask_b32_e64 v74, 0x7f800000, v74, s64
	v_dual_add_f32 v73, v73, v74 :: v_dual_mul_f32 v74, 0x3fb8aa3b, v55
	s_delay_alu instid0(VALU_DEP_1) | instskip(SKIP_1) | instid1(VALU_DEP_1)
	v_fma_f32 v75, 0x3fb8aa3b, v55, -v74
	v_rndne_f32_e32 v76, v74
	v_dual_sub_f32 v74, v74, v76 :: v_dual_fmac_f32 v75, 0x32a5705f, v55
	v_cmp_ngt_f32_e64 s64, 0xc2ce8ed0, v55
	s_delay_alu instid0(VALU_DEP_2) | instskip(SKIP_1) | instid1(VALU_DEP_2)
	v_add_f32_e32 v74, v74, v75
	v_cvt_i32_f32_e32 v75, v76
	v_exp_f32_e32 v74, v74
	s_waitcnt_depctr 0xfff
	v_ldexp_f32 v74, v74, v75
	s_delay_alu instid0(VALU_DEP_1) | instskip(SKIP_1) | instid1(VALU_DEP_1)
	v_cndmask_b32_e64 v74, 0, v74, s64
	v_cmp_nlt_f32_e64 s64, 0x42b17218, v55
	v_cndmask_b32_e64 v74, 0x7f800000, v74, s64
	v_cmp_ngt_f32_e64 s64, 0xc2ce8ed0, v57
	s_delay_alu instid0(VALU_DEP_2) | instskip(NEXT) | instid1(VALU_DEP_1)
	v_dual_add_f32 v73, v73, v74 :: v_dual_mul_f32 v74, 0x3fb8aa3b, v57
	v_fma_f32 v75, 0x3fb8aa3b, v57, -v74
	v_rndne_f32_e32 v76, v74
	s_delay_alu instid0(VALU_DEP_1) | instskip(NEXT) | instid1(VALU_DEP_1)
	v_dual_fmac_f32 v75, 0x32a5705f, v57 :: v_dual_sub_f32 v74, v74, v76
	v_add_f32_e32 v74, v74, v75
	v_cvt_i32_f32_e32 v75, v76
	s_delay_alu instid0(VALU_DEP_2) | instskip(SKIP_2) | instid1(VALU_DEP_1)
	v_exp_f32_e32 v74, v74
	s_waitcnt_depctr 0xfff
	v_ldexp_f32 v74, v74, v75
	v_cndmask_b32_e64 v74, 0, v74, s64
	v_cmp_nlt_f32_e64 s64, 0x42b17218, v57
	s_delay_alu instid0(VALU_DEP_1) | instskip(SKIP_1) | instid1(VALU_DEP_2)
	v_cndmask_b32_e64 v74, 0x7f800000, v74, s64
	v_cmp_ngt_f32_e64 s64, 0xc2ce8ed0, v58
	v_add_f32_e32 v73, v73, v74
	v_mul_f32_e32 v74, 0x3fb8aa3b, v58
	s_delay_alu instid0(VALU_DEP_1) | instskip(SKIP_1) | instid1(VALU_DEP_1)
	v_fma_f32 v75, 0x3fb8aa3b, v58, -v74
	v_rndne_f32_e32 v76, v74
	v_dual_fmac_f32 v75, 0x32a5705f, v58 :: v_dual_sub_f32 v74, v74, v76
	s_delay_alu instid0(VALU_DEP_1) | instskip(SKIP_1) | instid1(VALU_DEP_2)
	v_add_f32_e32 v74, v74, v75
	v_cvt_i32_f32_e32 v75, v76
	v_exp_f32_e32 v74, v74
	s_waitcnt_depctr 0xfff
	v_ldexp_f32 v74, v74, v75
	s_delay_alu instid0(VALU_DEP_1) | instskip(SKIP_1) | instid1(VALU_DEP_1)
	v_cndmask_b32_e64 v74, 0, v74, s64
	v_cmp_nlt_f32_e64 s64, 0x42b17218, v58
	v_cndmask_b32_e64 v74, 0x7f800000, v74, s64
	v_cmp_ngt_f32_e64 s64, 0xc2ce8ed0, v59
	s_delay_alu instid0(VALU_DEP_2) | instskip(NEXT) | instid1(VALU_DEP_1)
	v_dual_add_f32 v73, v73, v74 :: v_dual_mul_f32 v74, 0x3fb8aa3b, v59
	v_fma_f32 v75, 0x3fb8aa3b, v59, -v74
	v_rndne_f32_e32 v76, v74
	s_delay_alu instid0(VALU_DEP_1) | instskip(NEXT) | instid1(VALU_DEP_1)
	v_dual_fmac_f32 v75, 0x32a5705f, v59 :: v_dual_sub_f32 v74, v74, v76
	v_add_f32_e32 v74, v74, v75
	v_cvt_i32_f32_e32 v75, v76
	s_delay_alu instid0(VALU_DEP_2) | instskip(SKIP_2) | instid1(VALU_DEP_1)
	v_exp_f32_e32 v74, v74
	s_waitcnt_depctr 0xfff
	v_ldexp_f32 v74, v74, v75
	v_cndmask_b32_e64 v74, 0, v74, s64
	v_cmp_nlt_f32_e64 s64, 0x42b17218, v59
	s_delay_alu instid0(VALU_DEP_1) | instskip(SKIP_1) | instid1(VALU_DEP_2)
	v_cndmask_b32_e64 v74, 0x7f800000, v74, s64
	v_cmp_ngt_f32_e64 s64, 0xc2ce8ed0, v60
	v_dual_add_f32 v73, v73, v74 :: v_dual_mul_f32 v74, 0x3fb8aa3b, v60
	s_delay_alu instid0(VALU_DEP_1) | instskip(SKIP_1) | instid1(VALU_DEP_2)
	v_fma_f32 v75, 0x3fb8aa3b, v60, -v74
	v_rndne_f32_e32 v76, v74
	v_fmac_f32_e32 v75, 0x32a5705f, v60
	s_delay_alu instid0(VALU_DEP_2) | instskip(NEXT) | instid1(VALU_DEP_1)
	v_sub_f32_e32 v74, v74, v76
	v_add_f32_e32 v74, v74, v75
	v_cvt_i32_f32_e32 v75, v76
	s_delay_alu instid0(VALU_DEP_2) | instskip(SKIP_2) | instid1(VALU_DEP_1)
	v_exp_f32_e32 v74, v74
	s_waitcnt_depctr 0xfff
	v_ldexp_f32 v74, v74, v75
	v_cndmask_b32_e64 v74, 0, v74, s64
	v_cmp_nlt_f32_e64 s64, 0x42b17218, v60
	s_delay_alu instid0(VALU_DEP_1) | instskip(SKIP_1) | instid1(VALU_DEP_2)
	v_cndmask_b32_e64 v74, 0x7f800000, v74, s64
	v_cmp_ngt_f32_e64 s64, 0xc2ce8ed0, v61
	v_dual_add_f32 v73, v73, v74 :: v_dual_mul_f32 v74, 0x3fb8aa3b, v61
	s_delay_alu instid0(VALU_DEP_1) | instskip(SKIP_1) | instid1(VALU_DEP_1)
	v_fma_f32 v75, 0x3fb8aa3b, v61, -v74
	v_rndne_f32_e32 v76, v74
	v_dual_fmac_f32 v75, 0x32a5705f, v61 :: v_dual_sub_f32 v74, v74, v76
	s_delay_alu instid0(VALU_DEP_1) | instskip(SKIP_1) | instid1(VALU_DEP_2)
	v_add_f32_e32 v74, v74, v75
	v_cvt_i32_f32_e32 v75, v76
	v_exp_f32_e32 v74, v74
	s_waitcnt_depctr 0xfff
	v_ldexp_f32 v74, v74, v75
	s_delay_alu instid0(VALU_DEP_1) | instskip(SKIP_1) | instid1(VALU_DEP_1)
	v_cndmask_b32_e64 v74, 0, v74, s64
	v_cmp_nlt_f32_e64 s64, 0x42b17218, v61
	v_cndmask_b32_e64 v74, 0x7f800000, v74, s64
	v_cmp_ngt_f32_e64 s64, 0xc2ce8ed0, v62
	s_delay_alu instid0(VALU_DEP_2) | instskip(SKIP_1) | instid1(VALU_DEP_1)
	v_add_f32_e32 v73, v73, v74
	v_mul_f32_e32 v74, 0x3fb8aa3b, v62
	v_fma_f32 v75, 0x3fb8aa3b, v62, -v74
	v_rndne_f32_e32 v76, v74
	s_delay_alu instid0(VALU_DEP_1) | instskip(NEXT) | instid1(VALU_DEP_1)
	v_dual_fmac_f32 v75, 0x32a5705f, v62 :: v_dual_sub_f32 v74, v74, v76
	v_add_f32_e32 v74, v74, v75
	v_cvt_i32_f32_e32 v75, v76
	s_delay_alu instid0(VALU_DEP_2) | instskip(SKIP_2) | instid1(VALU_DEP_1)
	v_exp_f32_e32 v74, v74
	s_waitcnt_depctr 0xfff
	v_ldexp_f32 v74, v74, v75
	v_cndmask_b32_e64 v74, 0, v74, s64
	v_cmp_nlt_f32_e64 s64, 0x42b17218, v62
	s_delay_alu instid0(VALU_DEP_1) | instskip(SKIP_1) | instid1(VALU_DEP_2)
	v_cndmask_b32_e64 v74, 0x7f800000, v74, s64
	v_cmp_ngt_f32_e64 s64, 0xc2ce8ed0, v63
	v_dual_add_f32 v73, v73, v74 :: v_dual_mul_f32 v74, 0x3fb8aa3b, v63
	s_delay_alu instid0(VALU_DEP_1) | instskip(SKIP_1) | instid1(VALU_DEP_1)
	v_fma_f32 v75, 0x3fb8aa3b, v63, -v74
	v_rndne_f32_e32 v76, v74
	v_dual_fmac_f32 v75, 0x32a5705f, v63 :: v_dual_sub_f32 v74, v74, v76
	s_delay_alu instid0(VALU_DEP_1) | instskip(SKIP_1) | instid1(VALU_DEP_2)
	v_add_f32_e32 v74, v74, v75
	v_cvt_i32_f32_e32 v75, v76
	v_exp_f32_e32 v74, v74
	s_waitcnt_depctr 0xfff
	v_ldexp_f32 v74, v74, v75
	s_delay_alu instid0(VALU_DEP_1) | instskip(SKIP_1) | instid1(VALU_DEP_1)
	v_cndmask_b32_e64 v74, 0, v74, s64
	v_cmp_nlt_f32_e64 s64, 0x42b17218, v63
	v_cndmask_b32_e64 v74, 0x7f800000, v74, s64
	v_cmp_ngt_f32_e64 s64, 0xc2ce8ed0, v66
	s_delay_alu instid0(VALU_DEP_2) | instskip(SKIP_1) | instid1(VALU_DEP_1)
	v_add_f32_e32 v73, v73, v74
	v_mul_f32_e32 v74, 0x3fb8aa3b, v66
	v_fma_f32 v75, 0x3fb8aa3b, v66, -v74
	v_rndne_f32_e32 v76, v74
	s_delay_alu instid0(VALU_DEP_1) | instskip(NEXT) | instid1(VALU_DEP_1)
	v_dual_fmac_f32 v75, 0x32a5705f, v66 :: v_dual_sub_f32 v74, v74, v76
	v_add_f32_e32 v74, v74, v75
	v_cvt_i32_f32_e32 v75, v76
	s_delay_alu instid0(VALU_DEP_2) | instskip(SKIP_2) | instid1(VALU_DEP_1)
	v_exp_f32_e32 v74, v74
	s_waitcnt_depctr 0xfff
	v_ldexp_f32 v74, v74, v75
	v_cndmask_b32_e64 v74, 0, v74, s64
	v_cmp_nlt_f32_e64 s64, 0x42b17218, v66
	s_delay_alu instid0(VALU_DEP_1) | instskip(SKIP_1) | instid1(VALU_DEP_2)
	v_cndmask_b32_e64 v74, 0x7f800000, v74, s64
	v_cmp_ngt_f32_e64 s64, 0xc2ce8ed0, v67
	v_dual_add_f32 v73, v73, v74 :: v_dual_mul_f32 v74, 0x3fb8aa3b, v67
	s_delay_alu instid0(VALU_DEP_1) | instskip(SKIP_1) | instid1(VALU_DEP_1)
	v_fma_f32 v75, 0x3fb8aa3b, v67, -v74
	v_rndne_f32_e32 v76, v74
	v_dual_fmac_f32 v75, 0x32a5705f, v67 :: v_dual_sub_f32 v74, v74, v76
	s_delay_alu instid0(VALU_DEP_1) | instskip(SKIP_1) | instid1(VALU_DEP_2)
	v_add_f32_e32 v74, v74, v75
	v_cvt_i32_f32_e32 v75, v76
	v_exp_f32_e32 v74, v74
	s_waitcnt_depctr 0xfff
	v_ldexp_f32 v74, v74, v75
	s_delay_alu instid0(VALU_DEP_1) | instskip(SKIP_1) | instid1(VALU_DEP_1)
	v_cndmask_b32_e64 v74, 0, v74, s64
	v_cmp_nlt_f32_e64 s64, 0x42b17218, v67
	v_cndmask_b32_e64 v74, 0x7f800000, v74, s64
	v_cmp_ngt_f32_e64 s64, 0xc2ce8ed0, v68
	s_delay_alu instid0(VALU_DEP_2) | instskip(NEXT) | instid1(VALU_DEP_1)
	v_dual_add_f32 v73, v73, v74 :: v_dual_mul_f32 v74, 0x3fb8aa3b, v68
	v_fma_f32 v75, 0x3fb8aa3b, v68, -v74
	v_rndne_f32_e32 v76, v74
	s_delay_alu instid0(VALU_DEP_2) | instskip(NEXT) | instid1(VALU_DEP_2)
	v_fmac_f32_e32 v75, 0x32a5705f, v68
	v_sub_f32_e32 v74, v74, v76
	s_delay_alu instid0(VALU_DEP_1) | instskip(SKIP_1) | instid1(VALU_DEP_2)
	v_add_f32_e32 v74, v74, v75
	v_cvt_i32_f32_e32 v75, v76
	v_exp_f32_e32 v74, v74
	s_waitcnt_depctr 0xfff
	v_ldexp_f32 v74, v74, v75
	s_delay_alu instid0(VALU_DEP_1) | instskip(SKIP_1) | instid1(VALU_DEP_1)
	v_cndmask_b32_e64 v74, 0, v74, s64
	v_cmp_nlt_f32_e64 s64, 0x42b17218, v68
	v_cndmask_b32_e64 v74, 0x7f800000, v74, s64
	v_cmp_ngt_f32_e64 s64, 0xc2ce8ed0, v69
	s_delay_alu instid0(VALU_DEP_2) | instskip(NEXT) | instid1(VALU_DEP_1)
	v_dual_add_f32 v73, v73, v74 :: v_dual_mul_f32 v74, 0x3fb8aa3b, v69
	v_fma_f32 v75, 0x3fb8aa3b, v69, -v74
	v_rndne_f32_e32 v76, v74
	s_delay_alu instid0(VALU_DEP_1) | instskip(NEXT) | instid1(VALU_DEP_1)
	v_dual_fmac_f32 v75, 0x32a5705f, v69 :: v_dual_sub_f32 v74, v74, v76
	v_add_f32_e32 v74, v74, v75
	v_cvt_i32_f32_e32 v75, v76
	s_delay_alu instid0(VALU_DEP_2) | instskip(SKIP_2) | instid1(VALU_DEP_1)
	v_exp_f32_e32 v74, v74
	s_waitcnt_depctr 0xfff
	v_ldexp_f32 v74, v74, v75
	v_cndmask_b32_e64 v74, 0, v74, s64
	v_cmp_nlt_f32_e64 s64, 0x42b17218, v69
	s_delay_alu instid0(VALU_DEP_1) | instskip(SKIP_1) | instid1(VALU_DEP_2)
	v_cndmask_b32_e64 v74, 0x7f800000, v74, s64
	v_cmp_ngt_f32_e64 s64, 0xc2ce8ed0, v70
	v_add_f32_e32 v73, v73, v74
	v_mul_f32_e32 v74, 0x3fb8aa3b, v70
	s_delay_alu instid0(VALU_DEP_1) | instskip(SKIP_1) | instid1(VALU_DEP_1)
	v_fma_f32 v75, 0x3fb8aa3b, v70, -v74
	v_rndne_f32_e32 v76, v74
	v_dual_fmac_f32 v75, 0x32a5705f, v70 :: v_dual_sub_f32 v74, v74, v76
	s_delay_alu instid0(VALU_DEP_1) | instskip(SKIP_1) | instid1(VALU_DEP_2)
	v_add_f32_e32 v74, v74, v75
	v_cvt_i32_f32_e32 v75, v76
	v_exp_f32_e32 v74, v74
	s_waitcnt_depctr 0xfff
	v_ldexp_f32 v74, v74, v75
	s_delay_alu instid0(VALU_DEP_1) | instskip(SKIP_1) | instid1(VALU_DEP_1)
	v_cndmask_b32_e64 v74, 0, v74, s64
	v_cmp_nlt_f32_e64 s64, 0x42b17218, v70
	v_cndmask_b32_e64 v74, 0x7f800000, v74, s64
	v_cmp_ngt_f32_e64 s64, 0xc2ce8ed0, v71
	s_delay_alu instid0(VALU_DEP_2) | instskip(NEXT) | instid1(VALU_DEP_1)
	v_dual_add_f32 v73, v73, v74 :: v_dual_mul_f32 v74, 0x3fb8aa3b, v71
	v_fma_f32 v75, 0x3fb8aa3b, v71, -v74
	v_rndne_f32_e32 v76, v74
	s_delay_alu instid0(VALU_DEP_1) | instskip(NEXT) | instid1(VALU_DEP_1)
	v_dual_fmac_f32 v75, 0x32a5705f, v71 :: v_dual_sub_f32 v74, v74, v76
	v_add_f32_e32 v74, v74, v75
	v_cvt_i32_f32_e32 v75, v76
	s_delay_alu instid0(VALU_DEP_2) | instskip(SKIP_2) | instid1(VALU_DEP_1)
	v_exp_f32_e32 v74, v74
	s_waitcnt_depctr 0xfff
	v_ldexp_f32 v74, v74, v75
	v_cndmask_b32_e64 v74, 0, v74, s64
	v_cmp_nlt_f32_e64 s64, 0x42b17218, v71
	s_delay_alu instid0(VALU_DEP_1) | instskip(SKIP_1) | instid1(VALU_DEP_2)
	v_cndmask_b32_e64 v74, 0x7f800000, v74, s64
	v_cmp_ngt_f32_e64 s64, 0xc2ce8ed0, v72
	v_dual_add_f32 v73, v73, v74 :: v_dual_mul_f32 v74, 0x3fb8aa3b, v72
	s_delay_alu instid0(VALU_DEP_1) | instskip(SKIP_1) | instid1(VALU_DEP_2)
	v_fma_f32 v75, 0x3fb8aa3b, v72, -v74
	v_rndne_f32_e32 v76, v74
	v_fmac_f32_e32 v75, 0x32a5705f, v72
	s_delay_alu instid0(VALU_DEP_2) | instskip(NEXT) | instid1(VALU_DEP_1)
	v_sub_f32_e32 v74, v74, v76
	v_add_f32_e32 v74, v74, v75
	v_cvt_i32_f32_e32 v75, v76
	s_delay_alu instid0(VALU_DEP_2) | instskip(SKIP_2) | instid1(VALU_DEP_1)
	v_exp_f32_e32 v74, v74
	s_waitcnt_depctr 0xfff
	v_ldexp_f32 v74, v74, v75
	v_cndmask_b32_e64 v74, 0, v74, s64
	v_cmp_nlt_f32_e64 s64, 0x42b17218, v72
	s_delay_alu instid0(VALU_DEP_1) | instskip(SKIP_1) | instid1(VALU_DEP_2)
	v_cndmask_b32_e64 v74, 0x7f800000, v74, s64
	v_cmp_ngt_f32_e64 s64, 0xc2ce8ed0, v64
	v_dual_add_f32 v73, v73, v74 :: v_dual_mul_f32 v74, 0x3fb8aa3b, v64
	s_delay_alu instid0(VALU_DEP_1) | instskip(SKIP_1) | instid1(VALU_DEP_2)
	v_fma_f32 v75, 0x3fb8aa3b, v64, -v74
	v_rndne_f32_e32 v76, v74
	v_fmac_f32_e32 v75, 0x32a5705f, v64
	s_delay_alu instid0(VALU_DEP_2) | instskip(NEXT) | instid1(VALU_DEP_1)
	v_sub_f32_e32 v74, v74, v76
	v_add_f32_e32 v74, v74, v75
	v_cvt_i32_f32_e32 v75, v76
	s_delay_alu instid0(VALU_DEP_2) | instskip(SKIP_2) | instid1(VALU_DEP_1)
	v_exp_f32_e32 v74, v74
	s_waitcnt_depctr 0xfff
	v_ldexp_f32 v74, v74, v75
	v_cndmask_b32_e64 v74, 0, v74, s64
	v_cmp_nlt_f32_e64 s64, 0x42b17218, v64
	s_delay_alu instid0(VALU_DEP_1) | instskip(SKIP_1) | instid1(VALU_DEP_2)
	v_cndmask_b32_e64 v74, 0x7f800000, v74, s64
	v_cmp_ngt_f32_e64 s64, 0xc2ce8ed0, v65
	v_dual_add_f32 v73, v73, v74 :: v_dual_mul_f32 v74, 0x3fb8aa3b, v65
	s_delay_alu instid0(VALU_DEP_1) | instskip(SKIP_1) | instid1(VALU_DEP_1)
	v_fma_f32 v75, 0x3fb8aa3b, v65, -v74
	v_rndne_f32_e32 v76, v74
	v_dual_fmac_f32 v75, 0x32a5705f, v65 :: v_dual_sub_f32 v74, v74, v76
	s_delay_alu instid0(VALU_DEP_1) | instskip(SKIP_1) | instid1(VALU_DEP_2)
	v_add_f32_e32 v74, v74, v75
	v_cvt_i32_f32_e32 v75, v76
	v_exp_f32_e32 v74, v74
	s_waitcnt_depctr 0xfff
	v_ldexp_f32 v74, v74, v75
	s_delay_alu instid0(VALU_DEP_1) | instskip(SKIP_1) | instid1(VALU_DEP_1)
	v_cndmask_b32_e64 v74, 0, v74, s64
	v_cmp_nlt_f32_e64 s64, 0x42b17218, v65
	v_cndmask_b32_e64 v74, 0x7f800000, v74, s64
	v_cmp_ngt_f32_e64 s64, 0xc2ce8ed0, v54
	s_delay_alu instid0(VALU_DEP_2) | instskip(SKIP_1) | instid1(VALU_DEP_1)
	v_add_f32_e32 v73, v73, v74
	v_mul_f32_e32 v74, 0x3fb8aa3b, v54
	v_fma_f32 v75, 0x3fb8aa3b, v54, -v74
	v_rndne_f32_e32 v76, v74
	s_delay_alu instid0(VALU_DEP_1) | instskip(NEXT) | instid1(VALU_DEP_1)
	v_dual_fmac_f32 v75, 0x32a5705f, v54 :: v_dual_sub_f32 v74, v74, v76
	v_add_f32_e32 v74, v74, v75
	v_cvt_i32_f32_e32 v75, v76
	s_delay_alu instid0(VALU_DEP_2) | instskip(SKIP_2) | instid1(VALU_DEP_1)
	v_exp_f32_e32 v74, v74
	s_waitcnt_depctr 0xfff
	v_ldexp_f32 v74, v74, v75
	v_cndmask_b32_e64 v74, 0, v74, s64
	v_cmp_nlt_f32_e64 s64, 0x42b17218, v54
	s_delay_alu instid0(VALU_DEP_1) | instskip(SKIP_1) | instid1(VALU_DEP_2)
	v_cndmask_b32_e64 v74, 0x7f800000, v74, s64
	v_cmp_ngt_f32_e64 s64, 0xc2ce8ed0, v56
	v_dual_add_f32 v73, v73, v74 :: v_dual_mul_f32 v74, 0x3fb8aa3b, v56
	s_delay_alu instid0(VALU_DEP_1) | instskip(SKIP_1) | instid1(VALU_DEP_2)
	v_fma_f32 v75, 0x3fb8aa3b, v56, -v74
	v_rndne_f32_e32 v76, v74
	v_fmac_f32_e32 v75, 0x32a5705f, v56
	s_delay_alu instid0(VALU_DEP_2) | instskip(NEXT) | instid1(VALU_DEP_1)
	v_sub_f32_e32 v74, v74, v76
	v_add_f32_e32 v74, v74, v75
	v_cvt_i32_f32_e32 v75, v76
	s_delay_alu instid0(VALU_DEP_2) | instskip(SKIP_2) | instid1(VALU_DEP_1)
	v_exp_f32_e32 v74, v74
	s_waitcnt_depctr 0xfff
	v_ldexp_f32 v74, v74, v75
	v_cndmask_b32_e64 v74, 0, v74, s64
	v_cmp_nlt_f32_e64 s64, 0x42b17218, v56
	s_delay_alu instid0(VALU_DEP_1) | instskip(SKIP_1) | instid1(VALU_DEP_2)
	v_cndmask_b32_e64 v74, 0x7f800000, v74, s64
	v_cmp_ngt_f32_e64 s64, 0xc2ce8ed0, v50
	v_add_f32_e32 v73, v73, v74
	v_mul_f32_e32 v74, 0x3fb8aa3b, v50
	s_delay_alu instid0(VALU_DEP_1) | instskip(SKIP_1) | instid1(VALU_DEP_1)
	v_fma_f32 v75, 0x3fb8aa3b, v50, -v74
	v_rndne_f32_e32 v76, v74
	v_dual_fmac_f32 v75, 0x32a5705f, v50 :: v_dual_sub_f32 v74, v74, v76
	s_delay_alu instid0(VALU_DEP_1) | instskip(SKIP_1) | instid1(VALU_DEP_2)
	v_add_f32_e32 v74, v74, v75
	v_cvt_i32_f32_e32 v75, v76
	v_exp_f32_e32 v74, v74
	s_waitcnt_depctr 0xfff
	v_ldexp_f32 v74, v74, v75
	s_delay_alu instid0(VALU_DEP_1) | instskip(SKIP_1) | instid1(VALU_DEP_1)
	v_cndmask_b32_e64 v74, 0, v74, s64
	v_cmp_nlt_f32_e64 s64, 0x42b17218, v50
	v_cndmask_b32_e64 v74, 0x7f800000, v74, s64
	v_cmp_ngt_f32_e64 s64, 0xc2ce8ed0, v52
	s_delay_alu instid0(VALU_DEP_2) | instskip(NEXT) | instid1(VALU_DEP_1)
	v_dual_add_f32 v73, v73, v74 :: v_dual_mul_f32 v74, 0x3fb8aa3b, v52
	v_fma_f32 v75, 0x3fb8aa3b, v52, -v74
	v_rndne_f32_e32 v76, v74
	s_delay_alu instid0(VALU_DEP_2) | instskip(NEXT) | instid1(VALU_DEP_2)
	v_fmac_f32_e32 v75, 0x32a5705f, v52
	v_sub_f32_e32 v74, v74, v76
	s_delay_alu instid0(VALU_DEP_1) | instskip(SKIP_1) | instid1(VALU_DEP_2)
	v_add_f32_e32 v74, v74, v75
	v_cvt_i32_f32_e32 v75, v76
	v_exp_f32_e32 v74, v74
	s_waitcnt_depctr 0xfff
	v_ldexp_f32 v74, v74, v75
	s_delay_alu instid0(VALU_DEP_1) | instskip(SKIP_1) | instid1(VALU_DEP_1)
	v_cndmask_b32_e64 v74, 0, v74, s64
	v_cmp_nlt_f32_e64 s64, 0x42b17218, v52
	v_cndmask_b32_e64 v74, 0x7f800000, v74, s64
	v_cmp_ngt_f32_e64 s64, 0xc2ce8ed0, v46
	s_delay_alu instid0(VALU_DEP_2) | instskip(SKIP_1) | instid1(VALU_DEP_1)
	v_add_f32_e32 v73, v73, v74
	v_mul_f32_e32 v74, 0x3fb8aa3b, v46
	v_fma_f32 v75, 0x3fb8aa3b, v46, -v74
	v_rndne_f32_e32 v76, v74
	s_delay_alu instid0(VALU_DEP_1) | instskip(NEXT) | instid1(VALU_DEP_1)
	v_dual_fmac_f32 v75, 0x32a5705f, v46 :: v_dual_sub_f32 v74, v74, v76
	v_add_f32_e32 v74, v74, v75
	v_cvt_i32_f32_e32 v75, v76
	s_delay_alu instid0(VALU_DEP_2) | instskip(SKIP_2) | instid1(VALU_DEP_1)
	v_exp_f32_e32 v74, v74
	s_waitcnt_depctr 0xfff
	v_ldexp_f32 v74, v74, v75
	v_cndmask_b32_e64 v74, 0, v74, s64
	v_cmp_nlt_f32_e64 s64, 0x42b17218, v46
	s_delay_alu instid0(VALU_DEP_1) | instskip(SKIP_1) | instid1(VALU_DEP_2)
	v_cndmask_b32_e64 v74, 0x7f800000, v74, s64
	v_cmp_ngt_f32_e64 s64, 0xc2ce8ed0, v47
	v_dual_add_f32 v73, v73, v74 :: v_dual_mul_f32 v74, 0x3fb8aa3b, v47
	s_delay_alu instid0(VALU_DEP_1) | instskip(SKIP_1) | instid1(VALU_DEP_1)
	v_fma_f32 v75, 0x3fb8aa3b, v47, -v74
	v_rndne_f32_e32 v76, v74
	v_dual_fmac_f32 v75, 0x32a5705f, v47 :: v_dual_sub_f32 v74, v74, v76
	s_delay_alu instid0(VALU_DEP_1) | instskip(SKIP_1) | instid1(VALU_DEP_2)
	v_add_f32_e32 v74, v74, v75
	v_cvt_i32_f32_e32 v75, v76
	v_exp_f32_e32 v74, v74
	s_waitcnt_depctr 0xfff
	v_ldexp_f32 v74, v74, v75
	s_delay_alu instid0(VALU_DEP_1) | instskip(SKIP_1) | instid1(VALU_DEP_1)
	v_cndmask_b32_e64 v74, 0, v74, s64
	v_cmp_nlt_f32_e64 s64, 0x42b17218, v47
	v_cndmask_b32_e64 v74, 0x7f800000, v74, s64
	v_cmp_ngt_f32_e64 s64, 0xc2ce8ed0, v42
	s_delay_alu instid0(VALU_DEP_2) | instskip(SKIP_1) | instid1(VALU_DEP_1)
	v_add_f32_e32 v73, v73, v74
	v_mul_f32_e32 v74, 0x3fb8aa3b, v42
	v_fma_f32 v75, 0x3fb8aa3b, v42, -v74
	v_rndne_f32_e32 v76, v74
	s_delay_alu instid0(VALU_DEP_1) | instskip(NEXT) | instid1(VALU_DEP_1)
	v_dual_fmac_f32 v75, 0x32a5705f, v42 :: v_dual_sub_f32 v74, v74, v76
	v_add_f32_e32 v74, v74, v75
	v_cvt_i32_f32_e32 v75, v76
	s_delay_alu instid0(VALU_DEP_2) | instskip(SKIP_2) | instid1(VALU_DEP_1)
	v_exp_f32_e32 v74, v74
	s_waitcnt_depctr 0xfff
	v_ldexp_f32 v74, v74, v75
	v_cndmask_b32_e64 v74, 0, v74, s64
	v_cmp_nlt_f32_e64 s64, 0x42b17218, v42
	s_delay_alu instid0(VALU_DEP_1) | instskip(NEXT) | instid1(VALU_DEP_1)
	v_cndmask_b32_e64 v74, 0x7f800000, v74, s64
	v_dual_add_f32 v73, v73, v74 :: v_dual_mul_f32 v74, 0x3fb8aa3b, v43
	s_delay_alu instid0(VALU_DEP_1) | instskip(SKIP_1) | instid1(VALU_DEP_1)
	v_fma_f32 v75, 0x3fb8aa3b, v43, -v74
	v_rndne_f32_e32 v76, v74
	v_dual_sub_f32 v74, v74, v76 :: v_dual_fmac_f32 v75, 0x32a5705f, v43
	v_cmp_ngt_f32_e64 s64, 0xc2ce8ed0, v43
	s_delay_alu instid0(VALU_DEP_2) | instskip(SKIP_1) | instid1(VALU_DEP_2)
	v_add_f32_e32 v74, v74, v75
	v_cvt_i32_f32_e32 v75, v76
	v_exp_f32_e32 v74, v74
	s_waitcnt_depctr 0xfff
	v_ldexp_f32 v74, v74, v75
	s_delay_alu instid0(VALU_DEP_1) | instskip(SKIP_1) | instid1(VALU_DEP_1)
	v_cndmask_b32_e64 v74, 0, v74, s64
	v_cmp_nlt_f32_e64 s64, 0x42b17218, v43
	v_cndmask_b32_e64 v74, 0x7f800000, v74, s64
	v_cmp_ngt_f32_e64 s64, 0xc2ce8ed0, v40
	s_delay_alu instid0(VALU_DEP_2) | instskip(NEXT) | instid1(VALU_DEP_1)
	v_dual_add_f32 v73, v73, v74 :: v_dual_mul_f32 v74, 0x3fb8aa3b, v40
	v_fma_f32 v75, 0x3fb8aa3b, v40, -v74
	v_rndne_f32_e32 v76, v74
	s_delay_alu instid0(VALU_DEP_2) | instskip(NEXT) | instid1(VALU_DEP_2)
	v_fmac_f32_e32 v75, 0x32a5705f, v40
	v_sub_f32_e32 v74, v74, v76
	s_delay_alu instid0(VALU_DEP_1) | instskip(SKIP_1) | instid1(VALU_DEP_2)
	v_add_f32_e32 v74, v74, v75
	v_cvt_i32_f32_e32 v75, v76
	v_exp_f32_e32 v74, v74
	s_waitcnt_depctr 0xfff
	v_ldexp_f32 v74, v74, v75
	s_delay_alu instid0(VALU_DEP_1) | instskip(SKIP_1) | instid1(VALU_DEP_1)
	v_cndmask_b32_e64 v74, 0, v74, s64
	v_cmp_nlt_f32_e64 s64, 0x42b17218, v40
	v_cndmask_b32_e64 v74, 0x7f800000, v74, s64
	v_cmp_ngt_f32_e64 s64, 0xc2ce8ed0, v41
	s_delay_alu instid0(VALU_DEP_2) | instskip(NEXT) | instid1(VALU_DEP_1)
	v_dual_add_f32 v73, v73, v74 :: v_dual_mul_f32 v74, 0x3fb8aa3b, v41
	v_fma_f32 v75, 0x3fb8aa3b, v41, -v74
	v_rndne_f32_e32 v76, v74
	s_delay_alu instid0(VALU_DEP_1) | instskip(NEXT) | instid1(VALU_DEP_1)
	v_dual_fmac_f32 v75, 0x32a5705f, v41 :: v_dual_sub_f32 v74, v74, v76
	v_add_f32_e32 v74, v74, v75
	v_cvt_i32_f32_e32 v75, v76
	s_delay_alu instid0(VALU_DEP_2) | instskip(SKIP_2) | instid1(VALU_DEP_1)
	v_exp_f32_e32 v74, v74
	s_waitcnt_depctr 0xfff
	v_ldexp_f32 v74, v74, v75
	v_cndmask_b32_e64 v74, 0, v74, s64
	v_cmp_nlt_f32_e64 s64, 0x42b17218, v41
	s_delay_alu instid0(VALU_DEP_1) | instskip(SKIP_1) | instid1(VALU_DEP_2)
	v_cndmask_b32_e64 v74, 0x7f800000, v74, s64
	v_cmp_ngt_f32_e64 s64, 0xc2ce8ed0, v38
	v_add_f32_e32 v73, v73, v74
	v_mul_f32_e32 v74, 0x3fb8aa3b, v38
	s_delay_alu instid0(VALU_DEP_1) | instskip(SKIP_1) | instid1(VALU_DEP_1)
	v_fma_f32 v75, 0x3fb8aa3b, v38, -v74
	v_rndne_f32_e32 v76, v74
	v_dual_fmac_f32 v75, 0x32a5705f, v38 :: v_dual_sub_f32 v74, v74, v76
	s_delay_alu instid0(VALU_DEP_1) | instskip(SKIP_1) | instid1(VALU_DEP_2)
	v_add_f32_e32 v74, v74, v75
	v_cvt_i32_f32_e32 v75, v76
	v_exp_f32_e32 v74, v74
	s_waitcnt_depctr 0xfff
	v_ldexp_f32 v74, v74, v75
	s_delay_alu instid0(VALU_DEP_1) | instskip(SKIP_1) | instid1(VALU_DEP_1)
	v_cndmask_b32_e64 v74, 0, v74, s64
	v_cmp_nlt_f32_e64 s64, 0x42b17218, v38
	v_cndmask_b32_e64 v74, 0x7f800000, v74, s64
	s_delay_alu instid0(VALU_DEP_1) | instskip(NEXT) | instid1(VALU_DEP_1)
	v_dual_add_f32 v73, v73, v74 :: v_dual_mul_f32 v74, 0x3fb8aa3b, v39
	v_fma_f32 v75, 0x3fb8aa3b, v39, -v74
	v_rndne_f32_e32 v76, v74
	s_delay_alu instid0(VALU_DEP_1) | instskip(SKIP_1) | instid1(VALU_DEP_2)
	v_dual_sub_f32 v74, v74, v76 :: v_dual_fmac_f32 v75, 0x32a5705f, v39
	v_cmp_ngt_f32_e64 s64, 0xc2ce8ed0, v39
	v_add_f32_e32 v74, v74, v75
	v_cvt_i32_f32_e32 v75, v76
	s_delay_alu instid0(VALU_DEP_2) | instskip(SKIP_2) | instid1(VALU_DEP_1)
	v_exp_f32_e32 v74, v74
	s_waitcnt_depctr 0xfff
	v_ldexp_f32 v74, v74, v75
	v_cndmask_b32_e64 v74, 0, v74, s64
	v_cmp_nlt_f32_e64 s64, 0x42b17218, v39
	s_delay_alu instid0(VALU_DEP_1) | instskip(SKIP_1) | instid1(VALU_DEP_2)
	v_cndmask_b32_e64 v74, 0x7f800000, v74, s64
	v_cmp_ngt_f32_e64 s64, 0xc2ce8ed0, v34
	v_add_f32_e32 v73, v73, v74
	v_mul_f32_e32 v74, 0x3fb8aa3b, v34
	s_delay_alu instid0(VALU_DEP_1) | instskip(SKIP_1) | instid1(VALU_DEP_1)
	v_fma_f32 v75, 0x3fb8aa3b, v34, -v74
	v_rndne_f32_e32 v76, v74
	v_dual_fmac_f32 v75, 0x32a5705f, v34 :: v_dual_sub_f32 v74, v74, v76
	s_delay_alu instid0(VALU_DEP_1) | instskip(SKIP_1) | instid1(VALU_DEP_2)
	v_add_f32_e32 v74, v74, v75
	v_cvt_i32_f32_e32 v75, v76
	v_exp_f32_e32 v74, v74
	s_waitcnt_depctr 0xfff
	v_ldexp_f32 v74, v74, v75
	s_delay_alu instid0(VALU_DEP_1) | instskip(SKIP_1) | instid1(VALU_DEP_1)
	v_cndmask_b32_e64 v74, 0, v74, s64
	v_cmp_nlt_f32_e64 s64, 0x42b17218, v34
	v_cndmask_b32_e64 v74, 0x7f800000, v74, s64
	s_delay_alu instid0(VALU_DEP_1) | instskip(NEXT) | instid1(VALU_DEP_1)
	v_dual_add_f32 v73, v73, v74 :: v_dual_mul_f32 v74, 0x3fb8aa3b, v35
	v_fma_f32 v75, 0x3fb8aa3b, v35, -v74
	v_rndne_f32_e32 v76, v74
	s_delay_alu instid0(VALU_DEP_1) | instskip(SKIP_1) | instid1(VALU_DEP_2)
	v_dual_sub_f32 v74, v74, v76 :: v_dual_fmac_f32 v75, 0x32a5705f, v35
	v_cmp_ngt_f32_e64 s64, 0xc2ce8ed0, v35
	v_add_f32_e32 v74, v74, v75
	v_cvt_i32_f32_e32 v75, v76
	s_delay_alu instid0(VALU_DEP_2) | instskip(SKIP_2) | instid1(VALU_DEP_1)
	v_exp_f32_e32 v74, v74
	s_waitcnt_depctr 0xfff
	v_ldexp_f32 v74, v74, v75
	v_cndmask_b32_e64 v74, 0, v74, s64
	v_cmp_nlt_f32_e64 s64, 0x42b17218, v35
	s_delay_alu instid0(VALU_DEP_1) | instskip(SKIP_1) | instid1(VALU_DEP_2)
	v_cndmask_b32_e64 v74, 0x7f800000, v74, s64
	v_cmp_ngt_f32_e64 s64, 0xc2ce8ed0, v30
	v_add_f32_e32 v73, v73, v74
	v_mul_f32_e32 v74, 0x3fb8aa3b, v30
	s_delay_alu instid0(VALU_DEP_1) | instskip(SKIP_1) | instid1(VALU_DEP_1)
	v_fma_f32 v75, 0x3fb8aa3b, v30, -v74
	v_rndne_f32_e32 v76, v74
	v_dual_fmac_f32 v75, 0x32a5705f, v30 :: v_dual_sub_f32 v74, v74, v76
	s_delay_alu instid0(VALU_DEP_1) | instskip(SKIP_1) | instid1(VALU_DEP_2)
	v_add_f32_e32 v74, v74, v75
	v_cvt_i32_f32_e32 v75, v76
	v_exp_f32_e32 v74, v74
	s_waitcnt_depctr 0xfff
	v_ldexp_f32 v74, v74, v75
	s_delay_alu instid0(VALU_DEP_1) | instskip(SKIP_1) | instid1(VALU_DEP_1)
	v_cndmask_b32_e64 v74, 0, v74, s64
	v_cmp_nlt_f32_e64 s64, 0x42b17218, v30
	v_cndmask_b32_e64 v74, 0x7f800000, v74, s64
	v_cmp_ngt_f32_e64 s64, 0xc2ce8ed0, v32
	s_delay_alu instid0(VALU_DEP_2) | instskip(NEXT) | instid1(VALU_DEP_1)
	v_dual_add_f32 v73, v73, v74 :: v_dual_mul_f32 v74, 0x3fb8aa3b, v32
	v_fma_f32 v75, 0x3fb8aa3b, v32, -v74
	v_rndne_f32_e32 v76, v74
	s_delay_alu instid0(VALU_DEP_2) | instskip(NEXT) | instid1(VALU_DEP_2)
	v_fmac_f32_e32 v75, 0x32a5705f, v32
	v_sub_f32_e32 v74, v74, v76
	s_delay_alu instid0(VALU_DEP_1) | instskip(SKIP_1) | instid1(VALU_DEP_2)
	v_add_f32_e32 v74, v74, v75
	v_cvt_i32_f32_e32 v75, v76
	v_exp_f32_e32 v74, v74
	s_waitcnt_depctr 0xfff
	v_ldexp_f32 v74, v74, v75
	s_delay_alu instid0(VALU_DEP_1) | instskip(SKIP_1) | instid1(VALU_DEP_1)
	v_cndmask_b32_e64 v74, 0, v74, s64
	v_cmp_nlt_f32_e64 s64, 0x42b17218, v32
	v_cndmask_b32_e64 v74, 0x7f800000, v74, s64
	v_cmp_ngt_f32_e64 s64, 0xc2ce8ed0, v27
	s_delay_alu instid0(VALU_DEP_2) | instskip(NEXT) | instid1(VALU_DEP_1)
	v_dual_add_f32 v73, v73, v74 :: v_dual_mul_f32 v74, 0x3fb8aa3b, v27
	v_fma_f32 v75, 0x3fb8aa3b, v27, -v74
	v_rndne_f32_e32 v76, v74
	s_delay_alu instid0(VALU_DEP_1) | instskip(NEXT) | instid1(VALU_DEP_1)
	v_dual_fmac_f32 v75, 0x32a5705f, v27 :: v_dual_sub_f32 v74, v74, v76
	v_add_f32_e32 v74, v74, v75
	v_cvt_i32_f32_e32 v75, v76
	s_delay_alu instid0(VALU_DEP_2) | instskip(SKIP_2) | instid1(VALU_DEP_1)
	v_exp_f32_e32 v74, v74
	s_waitcnt_depctr 0xfff
	v_ldexp_f32 v74, v74, v75
	v_cndmask_b32_e64 v74, 0, v74, s64
	v_cmp_nlt_f32_e64 s64, 0x42b17218, v27
	s_delay_alu instid0(VALU_DEP_1) | instskip(SKIP_1) | instid1(VALU_DEP_2)
	v_cndmask_b32_e64 v74, 0x7f800000, v74, s64
	v_cmp_ngt_f32_e64 s64, 0xc2ce8ed0, v28
	v_dual_add_f32 v73, v73, v74 :: v_dual_mul_f32 v74, 0x3fb8aa3b, v28
	s_delay_alu instid0(VALU_DEP_1) | instskip(SKIP_1) | instid1(VALU_DEP_2)
	v_fma_f32 v75, 0x3fb8aa3b, v28, -v74
	v_rndne_f32_e32 v76, v74
	v_fmac_f32_e32 v75, 0x32a5705f, v28
	s_delay_alu instid0(VALU_DEP_2) | instskip(NEXT) | instid1(VALU_DEP_1)
	v_sub_f32_e32 v74, v74, v76
	v_add_f32_e32 v74, v74, v75
	v_cvt_i32_f32_e32 v75, v76
	s_delay_alu instid0(VALU_DEP_2) | instskip(SKIP_2) | instid1(VALU_DEP_1)
	v_exp_f32_e32 v74, v74
	s_waitcnt_depctr 0xfff
	v_ldexp_f32 v74, v74, v75
	v_cndmask_b32_e64 v74, 0, v74, s64
	v_cmp_nlt_f32_e64 s64, 0x42b17218, v28
	s_delay_alu instid0(VALU_DEP_1) | instskip(SKIP_1) | instid1(VALU_DEP_2)
	v_cndmask_b32_e64 v74, 0x7f800000, v74, s64
	v_cmp_ngt_f32_e64 s64, 0xc2ce8ed0, v23
	v_dual_add_f32 v73, v73, v74 :: v_dual_mul_f32 v74, 0x3fb8aa3b, v23
	s_delay_alu instid0(VALU_DEP_1) | instskip(SKIP_1) | instid1(VALU_DEP_1)
	v_fma_f32 v75, 0x3fb8aa3b, v23, -v74
	v_rndne_f32_e32 v76, v74
	v_dual_fmac_f32 v75, 0x32a5705f, v23 :: v_dual_sub_f32 v74, v74, v76
	s_delay_alu instid0(VALU_DEP_1) | instskip(SKIP_1) | instid1(VALU_DEP_2)
	v_add_f32_e32 v74, v74, v75
	v_cvt_i32_f32_e32 v75, v76
	v_exp_f32_e32 v74, v74
	s_waitcnt_depctr 0xfff
	v_ldexp_f32 v74, v74, v75
	s_delay_alu instid0(VALU_DEP_1) | instskip(SKIP_1) | instid1(VALU_DEP_1)
	v_cndmask_b32_e64 v74, 0, v74, s64
	v_cmp_nlt_f32_e64 s64, 0x42b17218, v23
	v_cndmask_b32_e64 v74, 0x7f800000, v74, s64
	v_cmp_ngt_f32_e64 s64, 0xc2ce8ed0, v24
	s_delay_alu instid0(VALU_DEP_2) | instskip(NEXT) | instid1(VALU_DEP_1)
	v_dual_add_f32 v73, v73, v74 :: v_dual_mul_f32 v74, 0x3fb8aa3b, v24
	v_fma_f32 v75, 0x3fb8aa3b, v24, -v74
	v_rndne_f32_e32 v76, v74
	s_delay_alu instid0(VALU_DEP_2) | instskip(NEXT) | instid1(VALU_DEP_2)
	v_fmac_f32_e32 v75, 0x32a5705f, v24
	v_sub_f32_e32 v74, v74, v76
	s_delay_alu instid0(VALU_DEP_1) | instskip(SKIP_1) | instid1(VALU_DEP_2)
	v_add_f32_e32 v74, v74, v75
	v_cvt_i32_f32_e32 v75, v76
	v_exp_f32_e32 v74, v74
	s_waitcnt_depctr 0xfff
	v_ldexp_f32 v74, v74, v75
	s_delay_alu instid0(VALU_DEP_1) | instskip(SKIP_1) | instid1(VALU_DEP_1)
	v_cndmask_b32_e64 v74, 0, v74, s64
	v_cmp_nlt_f32_e64 s64, 0x42b17218, v24
	v_cndmask_b32_e64 v74, 0x7f800000, v74, s64
	v_cmp_ngt_f32_e64 s64, 0xc2ce8ed0, v19
	s_delay_alu instid0(VALU_DEP_2) | instskip(NEXT) | instid1(VALU_DEP_1)
	v_dual_add_f32 v73, v73, v74 :: v_dual_mul_f32 v74, 0x3fb8aa3b, v19
	v_fma_f32 v75, 0x3fb8aa3b, v19, -v74
	v_rndne_f32_e32 v76, v74
	s_delay_alu instid0(VALU_DEP_1) | instskip(NEXT) | instid1(VALU_DEP_1)
	v_dual_fmac_f32 v75, 0x32a5705f, v19 :: v_dual_sub_f32 v74, v74, v76
	v_add_f32_e32 v74, v74, v75
	v_cvt_i32_f32_e32 v75, v76
	s_delay_alu instid0(VALU_DEP_2) | instskip(SKIP_2) | instid1(VALU_DEP_1)
	v_exp_f32_e32 v74, v74
	s_waitcnt_depctr 0xfff
	v_ldexp_f32 v74, v74, v75
	v_cndmask_b32_e64 v74, 0, v74, s64
	v_cmp_nlt_f32_e64 s64, 0x42b17218, v19
	s_delay_alu instid0(VALU_DEP_1) | instskip(SKIP_1) | instid1(VALU_DEP_2)
	v_cndmask_b32_e64 v74, 0x7f800000, v74, s64
	v_cmp_ngt_f32_e64 s64, 0xc2ce8ed0, v20
	v_dual_add_f32 v73, v73, v74 :: v_dual_mul_f32 v74, 0x3fb8aa3b, v20
	s_delay_alu instid0(VALU_DEP_1) | instskip(SKIP_1) | instid1(VALU_DEP_2)
	v_fma_f32 v75, 0x3fb8aa3b, v20, -v74
	v_rndne_f32_e32 v76, v74
	v_fmac_f32_e32 v75, 0x32a5705f, v20
	s_delay_alu instid0(VALU_DEP_2) | instskip(NEXT) | instid1(VALU_DEP_1)
	v_sub_f32_e32 v74, v74, v76
	v_add_f32_e32 v74, v74, v75
	v_cvt_i32_f32_e32 v75, v76
	s_delay_alu instid0(VALU_DEP_2) | instskip(SKIP_2) | instid1(VALU_DEP_1)
	v_exp_f32_e32 v74, v74
	s_waitcnt_depctr 0xfff
	v_ldexp_f32 v74, v74, v75
	v_cndmask_b32_e64 v74, 0, v74, s64
	v_cmp_nlt_f32_e64 s64, 0x42b17218, v20
	s_delay_alu instid0(VALU_DEP_1) | instskip(NEXT) | instid1(VALU_DEP_1)
	v_cndmask_b32_e64 v74, 0x7f800000, v74, s64
	v_dual_add_f32 v73, v73, v74 :: v_dual_mul_f32 v74, 0x3fb8aa3b, v13
	s_delay_alu instid0(VALU_DEP_1) | instskip(SKIP_1) | instid1(VALU_DEP_1)
	v_fma_f32 v75, 0x3fb8aa3b, v13, -v74
	v_rndne_f32_e32 v76, v74
	v_dual_sub_f32 v74, v74, v76 :: v_dual_fmac_f32 v75, 0x32a5705f, v13
	v_cmp_ngt_f32_e64 s64, 0xc2ce8ed0, v13
	s_delay_alu instid0(VALU_DEP_2) | instskip(SKIP_1) | instid1(VALU_DEP_2)
	v_add_f32_e32 v74, v74, v75
	v_cvt_i32_f32_e32 v75, v76
	v_exp_f32_e32 v74, v74
	s_waitcnt_depctr 0xfff
	v_ldexp_f32 v74, v74, v75
	s_delay_alu instid0(VALU_DEP_1) | instskip(SKIP_1) | instid1(VALU_DEP_1)
	v_cndmask_b32_e64 v74, 0, v74, s64
	v_cmp_nlt_f32_e64 s64, 0x42b17218, v13
	v_cndmask_b32_e64 v74, 0x7f800000, v74, s64
	v_cmp_ngt_f32_e64 s64, 0xc2ce8ed0, v14
	s_delay_alu instid0(VALU_DEP_2) | instskip(SKIP_1) | instid1(VALU_DEP_1)
	v_add_f32_e32 v73, v73, v74
	v_mul_f32_e32 v74, 0x3fb8aa3b, v14
	v_fma_f32 v75, 0x3fb8aa3b, v14, -v74
	v_rndne_f32_e32 v76, v74
	s_delay_alu instid0(VALU_DEP_1) | instskip(NEXT) | instid1(VALU_DEP_1)
	v_dual_fmac_f32 v75, 0x32a5705f, v14 :: v_dual_sub_f32 v74, v74, v76
	v_add_f32_e32 v74, v74, v75
	v_cvt_i32_f32_e32 v75, v76
	s_delay_alu instid0(VALU_DEP_2) | instskip(SKIP_2) | instid1(VALU_DEP_1)
	v_exp_f32_e32 v74, v74
	s_waitcnt_depctr 0xfff
	v_ldexp_f32 v74, v74, v75
	v_cndmask_b32_e64 v74, 0, v74, s64
	v_cmp_nlt_f32_e64 s64, 0x42b17218, v14
	s_delay_alu instid0(VALU_DEP_1) | instskip(SKIP_1) | instid1(VALU_DEP_2)
	v_cndmask_b32_e64 v74, 0x7f800000, v74, s64
	v_cmp_ngt_f32_e64 s64, 0xc2ce8ed0, v11
	v_dual_add_f32 v73, v73, v74 :: v_dual_mul_f32 v74, 0x3fb8aa3b, v11
	s_delay_alu instid0(VALU_DEP_1) | instskip(SKIP_1) | instid1(VALU_DEP_1)
	v_fma_f32 v75, 0x3fb8aa3b, v11, -v74
	v_rndne_f32_e32 v76, v74
	v_dual_fmac_f32 v75, 0x32a5705f, v11 :: v_dual_sub_f32 v74, v74, v76
	s_delay_alu instid0(VALU_DEP_1) | instskip(SKIP_1) | instid1(VALU_DEP_2)
	v_add_f32_e32 v74, v74, v75
	v_cvt_i32_f32_e32 v75, v76
	v_exp_f32_e32 v74, v74
	s_waitcnt_depctr 0xfff
	v_ldexp_f32 v74, v74, v75
	s_delay_alu instid0(VALU_DEP_1) | instskip(SKIP_1) | instid1(VALU_DEP_1)
	v_cndmask_b32_e64 v74, 0, v74, s64
	v_cmp_nlt_f32_e64 s64, 0x42b17218, v11
	v_cndmask_b32_e64 v74, 0x7f800000, v74, s64
	v_cmp_ngt_f32_e64 s64, 0xc2ce8ed0, v12
	s_delay_alu instid0(VALU_DEP_2) | instskip(NEXT) | instid1(VALU_DEP_1)
	v_dual_add_f32 v73, v73, v74 :: v_dual_mul_f32 v74, 0x3fb8aa3b, v12
	v_fma_f32 v75, 0x3fb8aa3b, v12, -v74
	v_rndne_f32_e32 v76, v74
	s_delay_alu instid0(VALU_DEP_2) | instskip(NEXT) | instid1(VALU_DEP_2)
	v_fmac_f32_e32 v75, 0x32a5705f, v12
	v_sub_f32_e32 v74, v74, v76
	s_delay_alu instid0(VALU_DEP_1) | instskip(SKIP_1) | instid1(VALU_DEP_2)
	v_add_f32_e32 v74, v74, v75
	v_cvt_i32_f32_e32 v75, v76
	v_exp_f32_e32 v74, v74
	s_waitcnt_depctr 0xfff
	v_ldexp_f32 v74, v74, v75
	s_delay_alu instid0(VALU_DEP_1) | instskip(SKIP_1) | instid1(VALU_DEP_1)
	v_cndmask_b32_e64 v74, 0, v74, s64
	v_cmp_nlt_f32_e64 s64, 0x42b17218, v12
	v_cndmask_b32_e64 v74, 0x7f800000, v74, s64
	v_cmp_ngt_f32_e64 s64, 0xc2ce8ed0, v10
	s_delay_alu instid0(VALU_DEP_2) | instskip(SKIP_1) | instid1(VALU_DEP_1)
	v_add_f32_e32 v73, v73, v74
	v_mul_f32_e32 v74, 0x3fb8aa3b, v10
	v_fma_f32 v75, 0x3fb8aa3b, v10, -v74
	v_rndne_f32_e32 v76, v74
	s_delay_alu instid0(VALU_DEP_1) | instskip(NEXT) | instid1(VALU_DEP_1)
	v_dual_fmac_f32 v75, 0x32a5705f, v10 :: v_dual_sub_f32 v74, v74, v76
	v_add_f32_e32 v74, v74, v75
	v_cvt_i32_f32_e32 v75, v76
	s_delay_alu instid0(VALU_DEP_2) | instskip(SKIP_2) | instid1(VALU_DEP_1)
	v_exp_f32_e32 v74, v74
	s_waitcnt_depctr 0xfff
	v_ldexp_f32 v74, v74, v75
	v_cndmask_b32_e64 v74, 0, v74, s64
	v_cmp_nlt_f32_e64 s64, 0x42b17218, v10
	s_delay_alu instid0(VALU_DEP_1) | instskip(SKIP_1) | instid1(VALU_DEP_2)
	v_cndmask_b32_e64 v74, 0x7f800000, v74, s64
	v_cmp_ngt_f32_e64 s64, 0xc2ce8ed0, v9
	v_dual_add_f32 v73, v73, v74 :: v_dual_mul_f32 v74, 0x3fb8aa3b, v9
	s_delay_alu instid0(VALU_DEP_1) | instskip(SKIP_1) | instid1(VALU_DEP_1)
	v_fma_f32 v75, 0x3fb8aa3b, v9, -v74
	v_rndne_f32_e32 v76, v74
	v_dual_fmac_f32 v75, 0x32a5705f, v9 :: v_dual_sub_f32 v74, v74, v76
	s_delay_alu instid0(VALU_DEP_1) | instskip(SKIP_1) | instid1(VALU_DEP_2)
	v_add_f32_e32 v74, v74, v75
	v_cvt_i32_f32_e32 v75, v76
	v_exp_f32_e32 v74, v74
	s_waitcnt_depctr 0xfff
	v_ldexp_f32 v74, v74, v75
	s_delay_alu instid0(VALU_DEP_1) | instskip(SKIP_1) | instid1(VALU_DEP_1)
	v_cndmask_b32_e64 v74, 0, v74, s64
	v_cmp_nlt_f32_e64 s64, 0x42b17218, v9
	v_cndmask_b32_e64 v74, 0x7f800000, v74, s64
	v_cmp_ngt_f32_e64 s64, 0xc2ce8ed0, v7
	s_delay_alu instid0(VALU_DEP_2) | instskip(NEXT) | instid1(VALU_DEP_1)
	v_dual_add_f32 v73, v73, v74 :: v_dual_mul_f32 v74, 0x3fb8aa3b, v7
	v_fma_f32 v75, 0x3fb8aa3b, v7, -v74
	v_rndne_f32_e32 v76, v74
	s_delay_alu instid0(VALU_DEP_1) | instskip(NEXT) | instid1(VALU_DEP_1)
	v_dual_fmac_f32 v75, 0x32a5705f, v7 :: v_dual_sub_f32 v74, v74, v76
	v_add_f32_e32 v74, v74, v75
	v_cvt_i32_f32_e32 v75, v76
	s_delay_alu instid0(VALU_DEP_2) | instskip(SKIP_2) | instid1(VALU_DEP_1)
	v_exp_f32_e32 v74, v74
	s_waitcnt_depctr 0xfff
	v_ldexp_f32 v74, v74, v75
	v_cndmask_b32_e64 v74, 0, v74, s64
	v_cmp_nlt_f32_e64 s64, 0x42b17218, v7
	s_delay_alu instid0(VALU_DEP_1) | instskip(SKIP_1) | instid1(VALU_DEP_2)
	v_cndmask_b32_e64 v74, 0x7f800000, v74, s64
	v_cmp_ngt_f32_e64 s64, 0xc2ce8ed0, v8
	v_dual_add_f32 v73, v73, v74 :: v_dual_mul_f32 v74, 0x3fb8aa3b, v8
	s_delay_alu instid0(VALU_DEP_1) | instskip(SKIP_1) | instid1(VALU_DEP_2)
	v_fma_f32 v75, 0x3fb8aa3b, v8, -v74
	v_rndne_f32_e32 v76, v74
	v_fmac_f32_e32 v75, 0x32a5705f, v8
	s_delay_alu instid0(VALU_DEP_2) | instskip(NEXT) | instid1(VALU_DEP_1)
	v_sub_f32_e32 v74, v74, v76
	v_add_f32_e32 v74, v74, v75
	v_cvt_i32_f32_e32 v75, v76
	s_delay_alu instid0(VALU_DEP_2) | instskip(SKIP_3) | instid1(VALU_DEP_2)
	v_exp_f32_e32 v74, v74
	s_waitcnt_depctr 0xfff
	v_ldexp_f32 v74, v74, v75
	v_rndne_f32_e32 v75, v26
	v_cndmask_b32_e64 v74, 0, v74, s64
	v_cmp_nlt_f32_e64 s64, 0x42b17218, v8
	s_delay_alu instid0(VALU_DEP_1) | instskip(SKIP_1) | instid1(VALU_DEP_2)
	v_cndmask_b32_e64 v74, 0x7f800000, v74, s64
	v_cmp_ngt_f32_e64 s64, 0xc2ce8ed0, v6
	v_add_f32_e32 v73, v73, v74
	v_fma_f32 v74, 0x3fb8aa3b, v6, -v26
	v_sub_f32_e32 v26, v26, v75
	s_delay_alu instid0(VALU_DEP_2) | instskip(NEXT) | instid1(VALU_DEP_1)
	v_fmac_f32_e32 v74, 0x32a5705f, v6
	v_add_f32_e32 v26, v26, v74
	v_cvt_i32_f32_e32 v74, v75
	s_delay_alu instid0(VALU_DEP_2) | instskip(SKIP_2) | instid1(VALU_DEP_1)
	v_exp_f32_e32 v26, v26
	s_waitcnt_depctr 0xfff
	v_ldexp_f32 v26, v26, v74
	v_cndmask_b32_e64 v26, 0, v26, s64
	v_cmp_nlt_f32_e64 s64, 0x42b17218, v6
	s_delay_alu instid0(VALU_DEP_1) | instskip(NEXT) | instid1(VALU_DEP_1)
	v_cndmask_b32_e64 v26, 0x7f800000, v26, s64
	v_add_f32_e32 v26, v73, v26
	ds_bpermute_b32 v2, v2, v26
	s_waitcnt lgkmcnt(0)
	v_add_f32_e32 v2, v26, v2
	ds_bpermute_b32 v3, v3, v2
	s_waitcnt lgkmcnt(0)
	;; [unrolled: 3-line block ×4, first 2 shown]
	v_add_f32_e32 v2, v2, v3
	ds_bpermute_b32 v3, v18, v2
	v_cmpx_lt_i32_e32 0, v5
	s_cbranch_execz .LBB58_194
; %bb.129:
	s_and_b32 exec_lo, exec_lo, s0
	s_cbranch_execz .LBB58_194
; %bb.130:
	s_waitcnt lgkmcnt(0)
	v_add_f32_e32 v2, v2, v3
	s_delay_alu instid0(VALU_DEP_1) | instskip(NEXT) | instid1(VALU_DEP_1)
	v_cmp_gt_f32_e64 s0, 0x800000, v2
	v_cndmask_b32_e64 v3, 1.0, 0x4f800000, s0
	s_delay_alu instid0(VALU_DEP_1) | instskip(NEXT) | instid1(VALU_DEP_1)
	v_mul_f32_e32 v2, v2, v3
	v_log_f32_e32 v2, v2
	s_waitcnt_depctr 0xfff
	v_mul_f32_e32 v3, 0x3f317217, v2
	v_cmp_gt_f32_e64 s64, 0x7f800000, |v2|
	s_delay_alu instid0(VALU_DEP_2) | instskip(NEXT) | instid1(VALU_DEP_1)
	v_fma_f32 v5, 0x3f317217, v2, -v3
	v_fmamk_f32 v5, v2, 0x3377d1cf, v5
	s_delay_alu instid0(VALU_DEP_1) | instskip(NEXT) | instid1(VALU_DEP_1)
	v_add_f32_e32 v3, v3, v5
	v_cndmask_b32_e64 v2, v2, v3, s64
	v_cndmask_b32_e64 v3, 0, 0x41b17218, s0
	v_add_co_u32 v0, s0, s68, v0
	s_delay_alu instid0(VALU_DEP_1) | instskip(NEXT) | instid1(VALU_DEP_3)
	v_add_co_ci_u32_e64 v1, s0, s69, v1, s0
	v_sub_f32_e32 v2, v2, v3
	s_delay_alu instid0(VALU_DEP_1)
	v_sub_f32_e32 v3, v4, v2
	global_store_b32 v[0:1], v3, off
	s_and_b32 exec_lo, exec_lo, vcc_lo
	s_cbranch_execz .LBB58_194
; %bb.131:
	v_sub_f32_e32 v3, v17, v2
	global_store_b32 v[0:1], v3, off offset:128
	s_and_b32 exec_lo, exec_lo, s1
	s_cbranch_execz .LBB58_194
; %bb.132:
	v_sub_f32_e32 v3, v21, v2
	global_store_b32 v[0:1], v3, off offset:256
	s_and_b32 exec_lo, exec_lo, s2
	;; [unrolled: 5-line block ×31, first 2 shown]
	s_cbranch_execz .LBB58_194
; %bb.162:
	v_add_co_u32 v0, vcc_lo, 0x1000, v0
	v_sub_f32_e32 v3, v65, v2
	v_add_co_ci_u32_e32 v1, vcc_lo, 0, v1, vcc_lo
	global_store_b32 v[0:1], v3, off
	s_and_b32 exec_lo, exec_lo, s33
	s_cbranch_execz .LBB58_194
; %bb.163:
	v_sub_f32_e32 v3, v54, v2
	global_store_b32 v[0:1], v3, off offset:128
	s_and_b32 exec_lo, exec_lo, s34
	s_cbranch_execz .LBB58_194
; %bb.164:
	v_sub_f32_e32 v3, v56, v2
	global_store_b32 v[0:1], v3, off offset:256
	;; [unrolled: 5-line block ×31, first 2 shown]
.LBB58_194:
	s_nop 0
	s_sendmsg sendmsg(MSG_DEALLOC_VGPRS)
	s_endpgm
	.section	.rodata,"a",@progbits
	.p2align	6, 0x0
	.amdhsa_kernel _ZN12_GLOBAL__N_120softmax_warp_forwardIfffLi11ELb1ELb0ELi32EEEvPT0_PKT_iiiPKbib
		.amdhsa_group_segment_fixed_size 0
		.amdhsa_private_segment_fixed_size 0
		.amdhsa_kernarg_size 304
		.amdhsa_user_sgpr_count 15
		.amdhsa_user_sgpr_dispatch_ptr 0
		.amdhsa_user_sgpr_queue_ptr 0
		.amdhsa_user_sgpr_kernarg_segment_ptr 1
		.amdhsa_user_sgpr_dispatch_id 0
		.amdhsa_user_sgpr_private_segment_size 0
		.amdhsa_wavefront_size32 1
		.amdhsa_uses_dynamic_stack 0
		.amdhsa_enable_private_segment 0
		.amdhsa_system_sgpr_workgroup_id_x 1
		.amdhsa_system_sgpr_workgroup_id_y 0
		.amdhsa_system_sgpr_workgroup_id_z 0
		.amdhsa_system_sgpr_workgroup_info 0
		.amdhsa_system_vgpr_workitem_id 1
		.amdhsa_next_free_vgpr 77
		.amdhsa_next_free_sgpr 76
		.amdhsa_reserve_vcc 1
		.amdhsa_float_round_mode_32 0
		.amdhsa_float_round_mode_16_64 0
		.amdhsa_float_denorm_mode_32 3
		.amdhsa_float_denorm_mode_16_64 3
		.amdhsa_dx10_clamp 1
		.amdhsa_ieee_mode 1
		.amdhsa_fp16_overflow 0
		.amdhsa_workgroup_processor_mode 1
		.amdhsa_memory_ordered 1
		.amdhsa_forward_progress 0
		.amdhsa_shared_vgpr_count 0
		.amdhsa_exception_fp_ieee_invalid_op 0
		.amdhsa_exception_fp_denorm_src 0
		.amdhsa_exception_fp_ieee_div_zero 0
		.amdhsa_exception_fp_ieee_overflow 0
		.amdhsa_exception_fp_ieee_underflow 0
		.amdhsa_exception_fp_ieee_inexact 0
		.amdhsa_exception_int_div_zero 0
	.end_amdhsa_kernel
	.section	.text._ZN12_GLOBAL__N_120softmax_warp_forwardIfffLi11ELb1ELb0ELi32EEEvPT0_PKT_iiiPKbib,"axG",@progbits,_ZN12_GLOBAL__N_120softmax_warp_forwardIfffLi11ELb1ELb0ELi32EEEvPT0_PKT_iiiPKbib,comdat
.Lfunc_end58:
	.size	_ZN12_GLOBAL__N_120softmax_warp_forwardIfffLi11ELb1ELb0ELi32EEEvPT0_PKT_iiiPKbib, .Lfunc_end58-_ZN12_GLOBAL__N_120softmax_warp_forwardIfffLi11ELb1ELb0ELi32EEEvPT0_PKT_iiiPKbib
                                        ; -- End function
	.section	.AMDGPU.csdata,"",@progbits
; Kernel info:
; codeLenInByte = 15528
; NumSgprs: 78
; NumVgprs: 77
; ScratchSize: 0
; MemoryBound: 0
; FloatMode: 240
; IeeeMode: 1
; LDSByteSize: 0 bytes/workgroup (compile time only)
; SGPRBlocks: 9
; VGPRBlocks: 9
; NumSGPRsForWavesPerEU: 78
; NumVGPRsForWavesPerEU: 77
; Occupancy: 16
; WaveLimiterHint : 0
; COMPUTE_PGM_RSRC2:SCRATCH_EN: 0
; COMPUTE_PGM_RSRC2:USER_SGPR: 15
; COMPUTE_PGM_RSRC2:TRAP_HANDLER: 0
; COMPUTE_PGM_RSRC2:TGID_X_EN: 1
; COMPUTE_PGM_RSRC2:TGID_Y_EN: 0
; COMPUTE_PGM_RSRC2:TGID_Z_EN: 0
; COMPUTE_PGM_RSRC2:TIDIG_COMP_CNT: 1
	.section	.text._ZN2at6native12_GLOBAL__N_122cunn_SoftMaxForwardRegIfffNS1_25LogSoftMaxForwardEpilogueElLi1EEEvPT1_PKT_T3_,"axG",@progbits,_ZN2at6native12_GLOBAL__N_122cunn_SoftMaxForwardRegIfffNS1_25LogSoftMaxForwardEpilogueElLi1EEEvPT1_PKT_T3_,comdat
	.globl	_ZN2at6native12_GLOBAL__N_122cunn_SoftMaxForwardRegIfffNS1_25LogSoftMaxForwardEpilogueElLi1EEEvPT1_PKT_T3_ ; -- Begin function _ZN2at6native12_GLOBAL__N_122cunn_SoftMaxForwardRegIfffNS1_25LogSoftMaxForwardEpilogueElLi1EEEvPT1_PKT_T3_
	.p2align	8
	.type	_ZN2at6native12_GLOBAL__N_122cunn_SoftMaxForwardRegIfffNS1_25LogSoftMaxForwardEpilogueElLi1EEEvPT1_PKT_T3_,@function
_ZN2at6native12_GLOBAL__N_122cunn_SoftMaxForwardRegIfffNS1_25LogSoftMaxForwardEpilogueElLi1EEEvPT1_PKT_T3_: ; @_ZN2at6native12_GLOBAL__N_122cunn_SoftMaxForwardRegIfffNS1_25LogSoftMaxForwardEpilogueElLi1EEEvPT1_PKT_T3_
; %bb.0:
	s_clause 0x1
	s_load_b64 s[2:3], s[0:1], 0x10
	s_load_b128 s[8:11], s[0:1], 0x0
	v_dual_mov_b32 v1, 0 :: v_dual_mov_b32 v4, 0xff7fffff
                                        ; implicit-def: $vgpr7
	s_waitcnt lgkmcnt(0)
	s_delay_alu instid0(VALU_DEP_1)
	v_cmp_gt_i64_e32 vcc_lo, s[2:3], v[0:1]
	v_lshlrev_b32_e32 v1, 2, v0
	s_mul_i32 s4, s15, s3
	s_mul_hi_u32 s5, s15, s2
	s_mul_i32 s6, s15, s2
	s_add_i32 s7, s5, s4
	s_and_saveexec_b32 s2, vcc_lo
	s_cbranch_execz .LBB59_2
; %bb.1:
	s_lshl_b64 s[4:5], s[6:7], 2
	s_delay_alu instid0(SALU_CYCLE_1) | instskip(SKIP_4) | instid1(VALU_DEP_1)
	s_add_u32 s4, s10, s4
	s_addc_u32 s5, s11, s5
	global_load_b32 v7, v1, s[4:5]
	s_waitcnt vmcnt(0)
	v_max_f32_e32 v2, v7, v7
	v_max_f32_e32 v4, 0xff7fffff, v2
.LBB59_2:
	s_or_b32 exec_lo, exec_lo, s2
	v_mbcnt_lo_u32_b32 v6, -1, 0
	s_barrier
	buffer_gl0_inv
	v_cmp_gt_u32_e64 s2, 16, v6
	s_delay_alu instid0(VALU_DEP_1) | instskip(SKIP_1) | instid1(VALU_DEP_2)
	v_cndmask_b32_e64 v2, 0, 1, s2
	v_cmp_gt_u32_e64 s2, 24, v6
	v_lshlrev_b32_e32 v2, 4, v2
	s_delay_alu instid0(VALU_DEP_2) | instskip(NEXT) | instid1(VALU_DEP_2)
	v_cndmask_b32_e64 v3, 0, 1, s2
	v_add_lshl_u32 v2, v2, v6, 2
	s_delay_alu instid0(VALU_DEP_2) | instskip(SKIP_4) | instid1(VALU_DEP_1)
	v_lshlrev_b32_e32 v3, 3, v3
	ds_bpermute_b32 v5, v2, v4
	v_add_lshl_u32 v3, v3, v6, 2
	s_waitcnt lgkmcnt(0)
	v_cmp_lt_f32_e64 s2, v4, v5
	v_cndmask_b32_e64 v5, v4, v5, s2
	v_cmp_gt_u32_e64 s2, 28, v6
	ds_bpermute_b32 v8, v3, v5
	v_cndmask_b32_e64 v4, 0, 1, s2
	s_delay_alu instid0(VALU_DEP_1) | instskip(NEXT) | instid1(VALU_DEP_1)
	v_lshlrev_b32_e32 v4, 2, v4
	v_add_lshl_u32 v4, v4, v6, 2
	s_waitcnt lgkmcnt(0)
	v_cmp_lt_f32_e64 s2, v5, v8
	s_delay_alu instid0(VALU_DEP_1) | instskip(SKIP_3) | instid1(VALU_DEP_1)
	v_cndmask_b32_e64 v8, v5, v8, s2
	v_cmp_gt_u32_e64 s2, 30, v6
	ds_bpermute_b32 v9, v4, v8
	v_cndmask_b32_e64 v5, 0, 1, s2
	v_lshlrev_b32_e32 v5, 1, v5
	s_delay_alu instid0(VALU_DEP_1) | instskip(SKIP_2) | instid1(VALU_DEP_1)
	v_add_lshl_u32 v5, v5, v6, 2
	s_waitcnt lgkmcnt(0)
	v_cmp_lt_f32_e64 s2, v8, v9
	v_cndmask_b32_e64 v8, v8, v9, s2
	v_cmp_ne_u32_e64 s2, 31, v6
	ds_bpermute_b32 v9, v5, v8
	v_add_co_ci_u32_e64 v6, s2, 0, v6, s2
	s_delay_alu instid0(VALU_DEP_1) | instskip(SKIP_2) | instid1(VALU_DEP_1)
	v_lshlrev_b32_e32 v6, 2, v6
	s_waitcnt lgkmcnt(0)
	v_cmp_lt_f32_e64 s2, v8, v9
	v_cndmask_b32_e64 v10, v8, v9, s2
	v_and_b32_e32 v9, 31, v0
	v_lshrrev_b32_e32 v8, 3, v0
	ds_bpermute_b32 v11, v6, v10
	v_cmp_eq_u32_e64 s2, 0, v9
	s_delay_alu instid0(VALU_DEP_1) | instskip(NEXT) | instid1(SALU_CYCLE_1)
	s_and_saveexec_b32 s3, s2
	s_xor_b32 s4, exec_lo, s3
	s_cbranch_execz .LBB59_4
; %bb.3:
	s_waitcnt lgkmcnt(0)
	v_cmp_lt_f32_e64 s3, v10, v11
	v_add_nc_u32_e32 v12, 0, v8
	s_delay_alu instid0(VALU_DEP_2)
	v_cndmask_b32_e64 v10, v10, v11, s3
	ds_store_b32 v12, v10
.LBB59_4:
	s_or_b32 exec_lo, exec_lo, s4
	s_waitcnt lgkmcnt(0)
	s_barrier
	buffer_gl0_inv
	s_load_b32 s0, s[0:1], 0x24
	v_mov_b32_e32 v10, 0xff7fffff
	v_lshl_add_u32 v9, v9, 2, 0
	s_waitcnt lgkmcnt(0)
	s_bfe_u32 s0, s0, 0xb0005
	s_delay_alu instid0(SALU_CYCLE_1) | instskip(NEXT) | instid1(VALU_DEP_1)
	v_cmp_gt_u32_e64 s0, s0, v0
	s_and_saveexec_b32 s1, s0
	s_cbranch_execnz .LBB59_17
; %bb.5:
	s_or_b32 exec_lo, exec_lo, s1
	v_cmp_gt_u32_e64 s1, 32, v0
	s_delay_alu instid0(VALU_DEP_1)
	s_and_saveexec_b32 s4, s1
	s_cbranch_execnz .LBB59_18
.LBB59_6:
	s_or_b32 exec_lo, exec_lo, s4
	v_cmp_eq_u32_e64 s3, 0, v0
	s_delay_alu instid0(VALU_DEP_1)
	s_and_saveexec_b32 s4, s3
	s_cbranch_execz .LBB59_8
.LBB59_7:
	v_mov_b32_e32 v0, 0
	s_waitcnt lgkmcnt(0)
	ds_store_b32 v0, v10
.LBB59_8:
	s_or_b32 exec_lo, exec_lo, s4
	s_waitcnt lgkmcnt(0)
	v_mov_b32_e32 v10, 0
	s_barrier
	buffer_gl0_inv
	ds_load_b32 v0, v10
	s_waitcnt lgkmcnt(0)
	s_barrier
	buffer_gl0_inv
	v_sub_f32_e32 v0, v7, v0
	s_delay_alu instid0(VALU_DEP_1) | instskip(SKIP_1) | instid1(VALU_DEP_2)
	v_mul_f32_e32 v7, 0x3fb8aa3b, v0
	v_cmp_ngt_f32_e64 s4, 0xc2ce8ed0, v0
	v_fma_f32 v11, 0x3fb8aa3b, v0, -v7
	v_rndne_f32_e32 v12, v7
	s_delay_alu instid0(VALU_DEP_2) | instskip(NEXT) | instid1(VALU_DEP_2)
	v_fmamk_f32 v11, v0, 0x32a5705f, v11
	v_sub_f32_e32 v7, v7, v12
	s_delay_alu instid0(VALU_DEP_1) | instskip(SKIP_1) | instid1(VALU_DEP_2)
	v_add_f32_e32 v7, v7, v11
	v_cvt_i32_f32_e32 v11, v12
	v_exp_f32_e32 v7, v7
	s_waitcnt_depctr 0xfff
	v_ldexp_f32 v7, v7, v11
	s_delay_alu instid0(VALU_DEP_1) | instskip(SKIP_1) | instid1(VALU_DEP_1)
	v_cndmask_b32_e64 v7, 0, v7, s4
	v_cmp_nlt_f32_e64 s4, 0x42b17218, v0
	v_cndmask_b32_e64 v7, 0x7f800000, v7, s4
	s_delay_alu instid0(VALU_DEP_1)
	v_cndmask_b32_e32 v7, 0, v7, vcc_lo
	ds_bpermute_b32 v11, v2, v7
	s_waitcnt lgkmcnt(0)
	v_add_f32_e32 v7, v7, v11
	ds_bpermute_b32 v11, v3, v7
	s_waitcnt lgkmcnt(0)
	v_add_f32_e32 v7, v7, v11
	;; [unrolled: 3-line block ×4, first 2 shown]
	ds_bpermute_b32 v11, v6, v7
	s_and_saveexec_b32 s4, s2
	s_cbranch_execz .LBB59_10
; %bb.9:
	s_waitcnt lgkmcnt(0)
	v_dual_add_f32 v7, v7, v11 :: v_dual_add_nc_u32 v8, 0, v8
	ds_store_b32 v8, v7
.LBB59_10:
	s_or_b32 exec_lo, exec_lo, s4
	s_waitcnt lgkmcnt(0)
	s_barrier
	buffer_gl0_inv
	s_and_saveexec_b32 s2, s0
	s_cbranch_execnz .LBB59_19
; %bb.11:
	s_or_b32 exec_lo, exec_lo, s2
	s_and_saveexec_b32 s0, s1
	s_cbranch_execnz .LBB59_20
.LBB59_12:
	s_or_b32 exec_lo, exec_lo, s0
	s_and_saveexec_b32 s0, s3
	s_cbranch_execz .LBB59_14
.LBB59_13:
	v_mov_b32_e32 v2, 0
	s_waitcnt lgkmcnt(0)
	ds_store_b32 v2, v10
.LBB59_14:
	s_or_b32 exec_lo, exec_lo, s0
	s_waitcnt lgkmcnt(0)
	s_barrier
	buffer_gl0_inv
	s_and_saveexec_b32 s0, vcc_lo
	s_cbranch_execz .LBB59_16
; %bb.15:
	v_mov_b32_e32 v2, 0
	ds_load_b32 v2, v2
	s_waitcnt lgkmcnt(0)
	v_cmp_gt_f32_e32 vcc_lo, 0x800000, v2
	v_cndmask_b32_e64 v3, 1.0, 0x4f800000, vcc_lo
	s_delay_alu instid0(VALU_DEP_1) | instskip(NEXT) | instid1(VALU_DEP_1)
	v_mul_f32_e32 v2, v2, v3
	v_log_f32_e32 v2, v2
	s_waitcnt_depctr 0xfff
	v_mul_f32_e32 v3, 0x3f317217, v2
	v_cmp_gt_f32_e64 s0, 0x7f800000, |v2|
	s_delay_alu instid0(VALU_DEP_2) | instskip(NEXT) | instid1(VALU_DEP_1)
	v_fma_f32 v4, 0x3f317217, v2, -v3
	v_fmamk_f32 v4, v2, 0x3377d1cf, v4
	s_delay_alu instid0(VALU_DEP_1) | instskip(NEXT) | instid1(VALU_DEP_1)
	v_add_f32_e32 v3, v3, v4
	v_cndmask_b32_e64 v2, v2, v3, s0
	v_cndmask_b32_e64 v3, 0, 0x41b17218, vcc_lo
	s_lshl_b64 s[0:1], s[6:7], 2
	s_delay_alu instid0(SALU_CYCLE_1) | instskip(SKIP_1) | instid1(VALU_DEP_1)
	s_add_u32 s0, s8, s0
	s_addc_u32 s1, s9, s1
	v_sub_f32_e32 v2, v2, v3
	s_delay_alu instid0(VALU_DEP_1)
	v_sub_f32_e32 v0, v0, v2
	global_store_b32 v1, v0, s[0:1]
.LBB59_16:
	s_nop 0
	s_sendmsg sendmsg(MSG_DEALLOC_VGPRS)
	s_endpgm
.LBB59_17:
	ds_load_b32 v10, v9
	s_or_b32 exec_lo, exec_lo, s1
	v_cmp_gt_u32_e64 s1, 32, v0
	s_delay_alu instid0(VALU_DEP_1)
	s_and_saveexec_b32 s4, s1
	s_cbranch_execz .LBB59_6
.LBB59_18:
	s_waitcnt lgkmcnt(0)
	ds_bpermute_b32 v11, v2, v10
	s_waitcnt lgkmcnt(0)
	v_cmp_lt_f32_e64 s3, v10, v11
	s_delay_alu instid0(VALU_DEP_1) | instskip(SKIP_3) | instid1(VALU_DEP_1)
	v_cndmask_b32_e64 v10, v10, v11, s3
	ds_bpermute_b32 v11, v3, v10
	s_waitcnt lgkmcnt(0)
	v_cmp_lt_f32_e64 s3, v10, v11
	v_cndmask_b32_e64 v10, v10, v11, s3
	ds_bpermute_b32 v11, v4, v10
	s_waitcnt lgkmcnt(0)
	v_cmp_lt_f32_e64 s3, v10, v11
	s_delay_alu instid0(VALU_DEP_1) | instskip(SKIP_3) | instid1(VALU_DEP_1)
	v_cndmask_b32_e64 v10, v10, v11, s3
	ds_bpermute_b32 v11, v5, v10
	s_waitcnt lgkmcnt(0)
	v_cmp_lt_f32_e64 s3, v10, v11
	v_cndmask_b32_e64 v10, v10, v11, s3
	ds_bpermute_b32 v11, v6, v10
	s_waitcnt lgkmcnt(0)
	v_cmp_lt_f32_e64 s3, v10, v11
	s_delay_alu instid0(VALU_DEP_1) | instskip(SKIP_2) | instid1(VALU_DEP_1)
	v_cndmask_b32_e64 v10, v10, v11, s3
	s_or_b32 exec_lo, exec_lo, s4
	v_cmp_eq_u32_e64 s3, 0, v0
	s_and_saveexec_b32 s4, s3
	s_cbranch_execnz .LBB59_7
	s_branch .LBB59_8
.LBB59_19:
	ds_load_b32 v10, v9
	s_or_b32 exec_lo, exec_lo, s2
	s_and_saveexec_b32 s0, s1
	s_cbranch_execz .LBB59_12
.LBB59_20:
	s_waitcnt lgkmcnt(0)
	ds_bpermute_b32 v2, v2, v10
	s_waitcnt lgkmcnt(0)
	v_add_f32_e32 v2, v10, v2
	ds_bpermute_b32 v3, v3, v2
	s_waitcnt lgkmcnt(0)
	v_add_f32_e32 v2, v2, v3
	;; [unrolled: 3-line block ×5, first 2 shown]
	s_or_b32 exec_lo, exec_lo, s0
	s_and_saveexec_b32 s0, s3
	s_cbranch_execnz .LBB59_13
	s_branch .LBB59_14
	.section	.rodata,"a",@progbits
	.p2align	6, 0x0
	.amdhsa_kernel _ZN2at6native12_GLOBAL__N_122cunn_SoftMaxForwardRegIfffNS1_25LogSoftMaxForwardEpilogueElLi1EEEvPT1_PKT_T3_
		.amdhsa_group_segment_fixed_size 0
		.amdhsa_private_segment_fixed_size 0
		.amdhsa_kernarg_size 280
		.amdhsa_user_sgpr_count 15
		.amdhsa_user_sgpr_dispatch_ptr 0
		.amdhsa_user_sgpr_queue_ptr 0
		.amdhsa_user_sgpr_kernarg_segment_ptr 1
		.amdhsa_user_sgpr_dispatch_id 0
		.amdhsa_user_sgpr_private_segment_size 0
		.amdhsa_wavefront_size32 1
		.amdhsa_uses_dynamic_stack 0
		.amdhsa_enable_private_segment 0
		.amdhsa_system_sgpr_workgroup_id_x 1
		.amdhsa_system_sgpr_workgroup_id_y 0
		.amdhsa_system_sgpr_workgroup_id_z 0
		.amdhsa_system_sgpr_workgroup_info 0
		.amdhsa_system_vgpr_workitem_id 0
		.amdhsa_next_free_vgpr 13
		.amdhsa_next_free_sgpr 16
		.amdhsa_reserve_vcc 1
		.amdhsa_float_round_mode_32 0
		.amdhsa_float_round_mode_16_64 0
		.amdhsa_float_denorm_mode_32 3
		.amdhsa_float_denorm_mode_16_64 3
		.amdhsa_dx10_clamp 1
		.amdhsa_ieee_mode 1
		.amdhsa_fp16_overflow 0
		.amdhsa_workgroup_processor_mode 1
		.amdhsa_memory_ordered 1
		.amdhsa_forward_progress 0
		.amdhsa_shared_vgpr_count 0
		.amdhsa_exception_fp_ieee_invalid_op 0
		.amdhsa_exception_fp_denorm_src 0
		.amdhsa_exception_fp_ieee_div_zero 0
		.amdhsa_exception_fp_ieee_overflow 0
		.amdhsa_exception_fp_ieee_underflow 0
		.amdhsa_exception_fp_ieee_inexact 0
		.amdhsa_exception_int_div_zero 0
	.end_amdhsa_kernel
	.section	.text._ZN2at6native12_GLOBAL__N_122cunn_SoftMaxForwardRegIfffNS1_25LogSoftMaxForwardEpilogueElLi1EEEvPT1_PKT_T3_,"axG",@progbits,_ZN2at6native12_GLOBAL__N_122cunn_SoftMaxForwardRegIfffNS1_25LogSoftMaxForwardEpilogueElLi1EEEvPT1_PKT_T3_,comdat
.Lfunc_end59:
	.size	_ZN2at6native12_GLOBAL__N_122cunn_SoftMaxForwardRegIfffNS1_25LogSoftMaxForwardEpilogueElLi1EEEvPT1_PKT_T3_, .Lfunc_end59-_ZN2at6native12_GLOBAL__N_122cunn_SoftMaxForwardRegIfffNS1_25LogSoftMaxForwardEpilogueElLi1EEEvPT1_PKT_T3_
                                        ; -- End function
	.section	.AMDGPU.csdata,"",@progbits
; Kernel info:
; codeLenInByte = 1504
; NumSgprs: 18
; NumVgprs: 13
; ScratchSize: 0
; MemoryBound: 0
; FloatMode: 240
; IeeeMode: 1
; LDSByteSize: 0 bytes/workgroup (compile time only)
; SGPRBlocks: 2
; VGPRBlocks: 1
; NumSGPRsForWavesPerEU: 18
; NumVGPRsForWavesPerEU: 13
; Occupancy: 16
; WaveLimiterHint : 0
; COMPUTE_PGM_RSRC2:SCRATCH_EN: 0
; COMPUTE_PGM_RSRC2:USER_SGPR: 15
; COMPUTE_PGM_RSRC2:TRAP_HANDLER: 0
; COMPUTE_PGM_RSRC2:TGID_X_EN: 1
; COMPUTE_PGM_RSRC2:TGID_Y_EN: 0
; COMPUTE_PGM_RSRC2:TGID_Z_EN: 0
; COMPUTE_PGM_RSRC2:TIDIG_COMP_CNT: 0
	.section	.text._ZN2at6native12_GLOBAL__N_122cunn_SoftMaxForwardRegIfffNS1_25LogSoftMaxForwardEpilogueElLi2EEEvPT1_PKT_T3_,"axG",@progbits,_ZN2at6native12_GLOBAL__N_122cunn_SoftMaxForwardRegIfffNS1_25LogSoftMaxForwardEpilogueElLi2EEEvPT1_PKT_T3_,comdat
	.globl	_ZN2at6native12_GLOBAL__N_122cunn_SoftMaxForwardRegIfffNS1_25LogSoftMaxForwardEpilogueElLi2EEEvPT1_PKT_T3_ ; -- Begin function _ZN2at6native12_GLOBAL__N_122cunn_SoftMaxForwardRegIfffNS1_25LogSoftMaxForwardEpilogueElLi2EEEvPT1_PKT_T3_
	.p2align	8
	.type	_ZN2at6native12_GLOBAL__N_122cunn_SoftMaxForwardRegIfffNS1_25LogSoftMaxForwardEpilogueElLi2EEEvPT1_PKT_T3_,@function
_ZN2at6native12_GLOBAL__N_122cunn_SoftMaxForwardRegIfffNS1_25LogSoftMaxForwardEpilogueElLi2EEEvPT1_PKT_T3_: ; @_ZN2at6native12_GLOBAL__N_122cunn_SoftMaxForwardRegIfffNS1_25LogSoftMaxForwardEpilogueElLi2EEEvPT1_PKT_T3_
; %bb.0:
	s_clause 0x2
	s_load_b64 s[2:3], s[0:1], 0x10
	s_load_b128 s[8:11], s[0:1], 0x0
	s_load_b32 s0, s[0:1], 0x24
	v_dual_mov_b32 v1, 0 :: v_dual_lshlrev_b32 v4, 2, v0
	v_mov_b32_e32 v7, 0xff7fffff
                                        ; implicit-def: $vgpr2_vgpr3
	s_waitcnt lgkmcnt(0)
	s_mul_i32 s1, s15, s3
	s_mul_hi_u32 s5, s15, s2
	s_mul_i32 s4, s15, s2
	s_add_i32 s5, s5, s1
	v_cmp_gt_i64_e32 vcc_lo, s[2:3], v[0:1]
	s_lshl_b64 s[6:7], s[4:5], 2
	s_delay_alu instid0(SALU_CYCLE_1)
	s_add_u32 s4, s10, s6
	s_addc_u32 s5, s11, s7
	s_and_saveexec_b32 s1, vcc_lo
	s_cbranch_execz .LBB60_2
; %bb.1:
	global_load_b32 v2, v4, s[4:5]
	s_waitcnt vmcnt(0)
	v_max_f32_e32 v3, v2, v2
	s_delay_alu instid0(VALU_DEP_1)
	v_max_f32_e32 v7, 0xff7fffff, v3
.LBB60_2:
	s_or_b32 exec_lo, exec_lo, s1
	s_and_b32 s10, 0xffff, s0
	s_delay_alu instid0(SALU_CYCLE_1) | instskip(NEXT) | instid1(VALU_DEP_1)
	v_dual_mov_b32 v6, v1 :: v_dual_add_nc_u32 v5, s10, v0
	v_cmp_gt_i64_e64 s0, s[2:3], v[5:6]
	v_lshlrev_b32_e32 v1, 2, v5
	s_delay_alu instid0(VALU_DEP_2)
	s_and_saveexec_b32 s1, s0
	s_cbranch_execz .LBB60_4
; %bb.3:
	global_load_b32 v3, v1, s[4:5]
	v_max_f32_e32 v6, v7, v7
	s_waitcnt vmcnt(0)
	v_max_f32_e32 v5, v3, v3
	s_delay_alu instid0(VALU_DEP_1)
	v_max_f32_e32 v7, v6, v5
.LBB60_4:
	s_or_b32 exec_lo, exec_lo, s1
	v_mbcnt_lo_u32_b32 v9, -1, 0
	s_barrier
	buffer_gl0_inv
	v_cmp_gt_u32_e64 s1, 16, v9
	s_delay_alu instid0(VALU_DEP_1) | instskip(SKIP_1) | instid1(VALU_DEP_2)
	v_cndmask_b32_e64 v5, 0, 1, s1
	v_cmp_gt_u32_e64 s1, 24, v9
	v_lshlrev_b32_e32 v5, 4, v5
	s_delay_alu instid0(VALU_DEP_2) | instskip(NEXT) | instid1(VALU_DEP_2)
	v_cndmask_b32_e64 v6, 0, 1, s1
	v_add_lshl_u32 v5, v5, v9, 2
	s_delay_alu instid0(VALU_DEP_2) | instskip(SKIP_4) | instid1(VALU_DEP_1)
	v_lshlrev_b32_e32 v6, 3, v6
	ds_bpermute_b32 v8, v5, v7
	v_add_lshl_u32 v6, v6, v9, 2
	s_waitcnt lgkmcnt(0)
	v_cmp_lt_f32_e64 s1, v7, v8
	v_cndmask_b32_e64 v8, v7, v8, s1
	v_cmp_gt_u32_e64 s1, 28, v9
	ds_bpermute_b32 v10, v6, v8
	v_cndmask_b32_e64 v7, 0, 1, s1
	s_delay_alu instid0(VALU_DEP_1) | instskip(NEXT) | instid1(VALU_DEP_1)
	v_lshlrev_b32_e32 v7, 2, v7
	v_add_lshl_u32 v7, v7, v9, 2
	s_waitcnt lgkmcnt(0)
	v_cmp_lt_f32_e64 s1, v8, v10
	s_delay_alu instid0(VALU_DEP_1) | instskip(SKIP_3) | instid1(VALU_DEP_1)
	v_cndmask_b32_e64 v10, v8, v10, s1
	v_cmp_gt_u32_e64 s1, 30, v9
	ds_bpermute_b32 v11, v7, v10
	v_cndmask_b32_e64 v8, 0, 1, s1
	v_lshlrev_b32_e32 v8, 1, v8
	s_delay_alu instid0(VALU_DEP_1) | instskip(SKIP_2) | instid1(VALU_DEP_1)
	v_add_lshl_u32 v8, v8, v9, 2
	s_waitcnt lgkmcnt(0)
	v_cmp_lt_f32_e64 s1, v10, v11
	v_cndmask_b32_e64 v10, v10, v11, s1
	v_cmp_ne_u32_e64 s1, 31, v9
	ds_bpermute_b32 v11, v8, v10
	v_add_co_ci_u32_e64 v9, s1, 0, v9, s1
	s_delay_alu instid0(VALU_DEP_1) | instskip(SKIP_2) | instid1(VALU_DEP_1)
	v_lshlrev_b32_e32 v9, 2, v9
	s_waitcnt lgkmcnt(0)
	v_cmp_lt_f32_e64 s1, v10, v11
	v_cndmask_b32_e64 v12, v10, v11, s1
	v_and_b32_e32 v11, 31, v0
	v_lshrrev_b32_e32 v10, 3, v0
	ds_bpermute_b32 v13, v9, v12
	v_cmp_eq_u32_e64 s1, 0, v11
	s_delay_alu instid0(VALU_DEP_1) | instskip(NEXT) | instid1(SALU_CYCLE_1)
	s_and_saveexec_b32 s2, s1
	s_xor_b32 s3, exec_lo, s2
	s_cbranch_execz .LBB60_6
; %bb.5:
	s_waitcnt lgkmcnt(0)
	v_cmp_lt_f32_e64 s2, v12, v13
	v_add_nc_u32_e32 v14, 0, v10
	s_delay_alu instid0(VALU_DEP_2)
	v_cndmask_b32_e64 v12, v12, v13, s2
	ds_store_b32 v14, v12
.LBB60_6:
	s_or_b32 exec_lo, exec_lo, s3
	s_lshr_b32 s2, s10, 5
	v_mov_b32_e32 v12, 0xff7fffff
	v_cmp_gt_u32_e64 s2, s2, v0
	v_lshl_add_u32 v11, v11, 2, 0
	s_waitcnt lgkmcnt(0)
	s_barrier
	buffer_gl0_inv
	s_and_saveexec_b32 s3, s2
	s_cbranch_execnz .LBB60_19
; %bb.7:
	s_or_b32 exec_lo, exec_lo, s3
	v_cmp_gt_u32_e64 s3, 32, v0
	s_delay_alu instid0(VALU_DEP_1)
	s_and_saveexec_b32 s5, s3
	s_cbranch_execnz .LBB60_20
.LBB60_8:
	s_or_b32 exec_lo, exec_lo, s5
	v_cmp_eq_u32_e64 s4, 0, v0
	s_delay_alu instid0(VALU_DEP_1)
	s_and_saveexec_b32 s5, s4
	s_cbranch_execz .LBB60_10
.LBB60_9:
	v_mov_b32_e32 v0, 0
	s_waitcnt lgkmcnt(0)
	ds_store_b32 v0, v12
.LBB60_10:
	s_or_b32 exec_lo, exec_lo, s5
	s_waitcnt lgkmcnt(0)
	v_mov_b32_e32 v12, 0
	s_barrier
	buffer_gl0_inv
	ds_load_b32 v13, v12
	s_waitcnt lgkmcnt(0)
	s_barrier
	buffer_gl0_inv
	v_sub_f32_e32 v0, v2, v13
	v_sub_f32_e32 v2, v3, v13
	s_delay_alu instid0(VALU_DEP_2) | instskip(SKIP_1) | instid1(VALU_DEP_2)
	v_mul_f32_e32 v14, 0x3fb8aa3b, v0
	v_cmp_ngt_f32_e64 s5, 0xc2ce8ed0, v0
	v_fma_f32 v3, 0x3fb8aa3b, v0, -v14
	v_rndne_f32_e32 v13, v14
	s_delay_alu instid0(VALU_DEP_2) | instskip(NEXT) | instid1(VALU_DEP_2)
	v_fmac_f32_e32 v3, 0x32a5705f, v0
	v_dual_mul_f32 v15, 0x3fb8aa3b, v2 :: v_dual_sub_f32 v14, v14, v13
	v_cvt_i32_f32_e32 v13, v13
	s_delay_alu instid0(VALU_DEP_2) | instskip(SKIP_1) | instid1(VALU_DEP_2)
	v_fma_f32 v16, 0x3fb8aa3b, v2, -v15
	v_rndne_f32_e32 v17, v15
	v_dual_add_f32 v3, v14, v3 :: v_dual_fmac_f32 v16, 0x32a5705f, v2
	s_delay_alu instid0(VALU_DEP_2) | instskip(NEXT) | instid1(VALU_DEP_2)
	v_sub_f32_e32 v14, v15, v17
	v_exp_f32_e32 v3, v3
	s_delay_alu instid0(VALU_DEP_1) | instskip(NEXT) | instid1(VALU_DEP_1)
	v_add_f32_e32 v14, v14, v16
	v_exp_f32_e32 v14, v14
	s_waitcnt_depctr 0xfff
	v_ldexp_f32 v3, v3, v13
	v_cvt_i32_f32_e32 v13, v17
	s_delay_alu instid0(VALU_DEP_2) | instskip(SKIP_1) | instid1(VALU_DEP_3)
	v_cndmask_b32_e64 v3, 0, v3, s5
	v_cmp_nlt_f32_e64 s5, 0x42b17218, v0
	v_ldexp_f32 v13, v14, v13
	s_delay_alu instid0(VALU_DEP_2) | instskip(SKIP_1) | instid1(VALU_DEP_2)
	v_cndmask_b32_e64 v3, 0x7f800000, v3, s5
	v_cmp_ngt_f32_e64 s5, 0xc2ce8ed0, v2
	v_cndmask_b32_e32 v3, 0, v3, vcc_lo
	s_delay_alu instid0(VALU_DEP_2) | instskip(SKIP_1) | instid1(VALU_DEP_1)
	v_cndmask_b32_e64 v13, 0, v13, s5
	v_cmp_nlt_f32_e64 s5, 0x42b17218, v2
	v_cndmask_b32_e64 v13, 0x7f800000, v13, s5
	s_delay_alu instid0(VALU_DEP_1) | instskip(NEXT) | instid1(VALU_DEP_1)
	v_add_f32_e32 v13, v3, v13
	v_cndmask_b32_e64 v3, v3, v13, s0
	ds_bpermute_b32 v13, v5, v3
	s_waitcnt lgkmcnt(0)
	v_add_f32_e32 v3, v3, v13
	ds_bpermute_b32 v13, v6, v3
	s_waitcnt lgkmcnt(0)
	v_add_f32_e32 v3, v3, v13
	ds_bpermute_b32 v13, v7, v3
	s_waitcnt lgkmcnt(0)
	v_add_f32_e32 v3, v3, v13
	ds_bpermute_b32 v13, v8, v3
	s_waitcnt lgkmcnt(0)
	v_add_f32_e32 v3, v3, v13
	ds_bpermute_b32 v13, v9, v3
	s_and_saveexec_b32 s5, s1
	s_cbranch_execz .LBB60_12
; %bb.11:
	s_waitcnt lgkmcnt(0)
	v_dual_add_f32 v3, v3, v13 :: v_dual_add_nc_u32 v10, 0, v10
	ds_store_b32 v10, v3
.LBB60_12:
	s_or_b32 exec_lo, exec_lo, s5
	s_waitcnt lgkmcnt(0)
	s_barrier
	buffer_gl0_inv
	s_and_saveexec_b32 s1, s2
	s_cbranch_execnz .LBB60_21
; %bb.13:
	s_or_b32 exec_lo, exec_lo, s1
	s_and_saveexec_b32 s1, s3
	s_cbranch_execnz .LBB60_22
.LBB60_14:
	s_or_b32 exec_lo, exec_lo, s1
	s_and_saveexec_b32 s1, s4
	s_cbranch_execz .LBB60_16
.LBB60_15:
	v_mov_b32_e32 v3, 0
	s_waitcnt lgkmcnt(0)
	ds_store_b32 v3, v12
.LBB60_16:
	s_or_b32 exec_lo, exec_lo, s1
	v_mov_b32_e32 v3, 0
	s_waitcnt lgkmcnt(0)
	s_barrier
	buffer_gl0_inv
	ds_load_b32 v3, v3
	s_waitcnt lgkmcnt(0)
	v_cmp_gt_f32_e64 s1, 0x800000, v3
	s_delay_alu instid0(VALU_DEP_1) | instskip(NEXT) | instid1(VALU_DEP_1)
	v_cndmask_b32_e64 v5, 1.0, 0x4f800000, s1
	v_mul_f32_e32 v3, v3, v5
	s_delay_alu instid0(VALU_DEP_1) | instskip(SKIP_3) | instid1(VALU_DEP_2)
	v_log_f32_e32 v3, v3
	s_waitcnt_depctr 0xfff
	v_mul_f32_e32 v5, 0x3f317217, v3
	v_cmp_gt_f32_e64 s2, 0x7f800000, |v3|
	v_fma_f32 v6, 0x3f317217, v3, -v5
	s_delay_alu instid0(VALU_DEP_1) | instskip(NEXT) | instid1(VALU_DEP_1)
	v_fmamk_f32 v6, v3, 0x3377d1cf, v6
	v_add_f32_e32 v5, v5, v6
	s_delay_alu instid0(VALU_DEP_1) | instskip(SKIP_3) | instid1(VALU_DEP_1)
	v_cndmask_b32_e64 v3, v3, v5, s2
	v_cndmask_b32_e64 v5, 0, 0x41b17218, s1
	s_add_u32 s2, s8, s6
	s_addc_u32 s3, s9, s7
	v_sub_f32_e32 v3, v3, v5
	s_and_saveexec_b32 s1, vcc_lo
	s_cbranch_execnz .LBB60_23
; %bb.17:
	s_or_b32 exec_lo, exec_lo, s1
	s_and_saveexec_b32 s1, s0
	s_cbranch_execnz .LBB60_24
.LBB60_18:
	s_nop 0
	s_sendmsg sendmsg(MSG_DEALLOC_VGPRS)
	s_endpgm
.LBB60_19:
	ds_load_b32 v12, v11
	s_or_b32 exec_lo, exec_lo, s3
	v_cmp_gt_u32_e64 s3, 32, v0
	s_delay_alu instid0(VALU_DEP_1)
	s_and_saveexec_b32 s5, s3
	s_cbranch_execz .LBB60_8
.LBB60_20:
	s_waitcnt lgkmcnt(0)
	ds_bpermute_b32 v13, v5, v12
	s_waitcnt lgkmcnt(0)
	v_cmp_lt_f32_e64 s4, v12, v13
	s_delay_alu instid0(VALU_DEP_1) | instskip(SKIP_3) | instid1(VALU_DEP_1)
	v_cndmask_b32_e64 v12, v12, v13, s4
	ds_bpermute_b32 v13, v6, v12
	s_waitcnt lgkmcnt(0)
	v_cmp_lt_f32_e64 s4, v12, v13
	v_cndmask_b32_e64 v12, v12, v13, s4
	ds_bpermute_b32 v13, v7, v12
	s_waitcnt lgkmcnt(0)
	v_cmp_lt_f32_e64 s4, v12, v13
	s_delay_alu instid0(VALU_DEP_1) | instskip(SKIP_3) | instid1(VALU_DEP_1)
	v_cndmask_b32_e64 v12, v12, v13, s4
	ds_bpermute_b32 v13, v8, v12
	s_waitcnt lgkmcnt(0)
	v_cmp_lt_f32_e64 s4, v12, v13
	v_cndmask_b32_e64 v12, v12, v13, s4
	ds_bpermute_b32 v13, v9, v12
	s_waitcnt lgkmcnt(0)
	v_cmp_lt_f32_e64 s4, v12, v13
	s_delay_alu instid0(VALU_DEP_1) | instskip(SKIP_2) | instid1(VALU_DEP_1)
	v_cndmask_b32_e64 v12, v12, v13, s4
	s_or_b32 exec_lo, exec_lo, s5
	v_cmp_eq_u32_e64 s4, 0, v0
	s_and_saveexec_b32 s5, s4
	s_cbranch_execnz .LBB60_9
	s_branch .LBB60_10
.LBB60_21:
	ds_load_b32 v12, v11
	s_or_b32 exec_lo, exec_lo, s1
	s_and_saveexec_b32 s1, s3
	s_cbranch_execz .LBB60_14
.LBB60_22:
	s_waitcnt lgkmcnt(0)
	ds_bpermute_b32 v3, v5, v12
	s_waitcnt lgkmcnt(0)
	v_add_f32_e32 v3, v12, v3
	ds_bpermute_b32 v5, v6, v3
	s_waitcnt lgkmcnt(0)
	v_add_f32_e32 v3, v3, v5
	;; [unrolled: 3-line block ×5, first 2 shown]
	s_or_b32 exec_lo, exec_lo, s1
	s_and_saveexec_b32 s1, s4
	s_cbranch_execnz .LBB60_15
	s_branch .LBB60_16
.LBB60_23:
	s_delay_alu instid0(VALU_DEP_1)
	v_sub_f32_e32 v0, v0, v3
	global_store_b32 v4, v0, s[2:3]
	s_or_b32 exec_lo, exec_lo, s1
	s_and_saveexec_b32 s1, s0
	s_cbranch_execz .LBB60_18
.LBB60_24:
	v_sub_f32_e32 v0, v2, v3
	global_store_b32 v1, v0, s[2:3]
	s_nop 0
	s_sendmsg sendmsg(MSG_DEALLOC_VGPRS)
	s_endpgm
	.section	.rodata,"a",@progbits
	.p2align	6, 0x0
	.amdhsa_kernel _ZN2at6native12_GLOBAL__N_122cunn_SoftMaxForwardRegIfffNS1_25LogSoftMaxForwardEpilogueElLi2EEEvPT1_PKT_T3_
		.amdhsa_group_segment_fixed_size 0
		.amdhsa_private_segment_fixed_size 0
		.amdhsa_kernarg_size 280
		.amdhsa_user_sgpr_count 15
		.amdhsa_user_sgpr_dispatch_ptr 0
		.amdhsa_user_sgpr_queue_ptr 0
		.amdhsa_user_sgpr_kernarg_segment_ptr 1
		.amdhsa_user_sgpr_dispatch_id 0
		.amdhsa_user_sgpr_private_segment_size 0
		.amdhsa_wavefront_size32 1
		.amdhsa_uses_dynamic_stack 0
		.amdhsa_enable_private_segment 0
		.amdhsa_system_sgpr_workgroup_id_x 1
		.amdhsa_system_sgpr_workgroup_id_y 0
		.amdhsa_system_sgpr_workgroup_id_z 0
		.amdhsa_system_sgpr_workgroup_info 0
		.amdhsa_system_vgpr_workitem_id 0
		.amdhsa_next_free_vgpr 18
		.amdhsa_next_free_sgpr 16
		.amdhsa_reserve_vcc 1
		.amdhsa_float_round_mode_32 0
		.amdhsa_float_round_mode_16_64 0
		.amdhsa_float_denorm_mode_32 3
		.amdhsa_float_denorm_mode_16_64 3
		.amdhsa_dx10_clamp 1
		.amdhsa_ieee_mode 1
		.amdhsa_fp16_overflow 0
		.amdhsa_workgroup_processor_mode 1
		.amdhsa_memory_ordered 1
		.amdhsa_forward_progress 0
		.amdhsa_shared_vgpr_count 0
		.amdhsa_exception_fp_ieee_invalid_op 0
		.amdhsa_exception_fp_denorm_src 0
		.amdhsa_exception_fp_ieee_div_zero 0
		.amdhsa_exception_fp_ieee_overflow 0
		.amdhsa_exception_fp_ieee_underflow 0
		.amdhsa_exception_fp_ieee_inexact 0
		.amdhsa_exception_int_div_zero 0
	.end_amdhsa_kernel
	.section	.text._ZN2at6native12_GLOBAL__N_122cunn_SoftMaxForwardRegIfffNS1_25LogSoftMaxForwardEpilogueElLi2EEEvPT1_PKT_T3_,"axG",@progbits,_ZN2at6native12_GLOBAL__N_122cunn_SoftMaxForwardRegIfffNS1_25LogSoftMaxForwardEpilogueElLi2EEEvPT1_PKT_T3_,comdat
.Lfunc_end60:
	.size	_ZN2at6native12_GLOBAL__N_122cunn_SoftMaxForwardRegIfffNS1_25LogSoftMaxForwardEpilogueElLi2EEEvPT1_PKT_T3_, .Lfunc_end60-_ZN2at6native12_GLOBAL__N_122cunn_SoftMaxForwardRegIfffNS1_25LogSoftMaxForwardEpilogueElLi2EEEvPT1_PKT_T3_
                                        ; -- End function
	.section	.AMDGPU.csdata,"",@progbits
; Kernel info:
; codeLenInByte = 1748
; NumSgprs: 18
; NumVgprs: 18
; ScratchSize: 0
; MemoryBound: 0
; FloatMode: 240
; IeeeMode: 1
; LDSByteSize: 0 bytes/workgroup (compile time only)
; SGPRBlocks: 2
; VGPRBlocks: 2
; NumSGPRsForWavesPerEU: 18
; NumVGPRsForWavesPerEU: 18
; Occupancy: 16
; WaveLimiterHint : 0
; COMPUTE_PGM_RSRC2:SCRATCH_EN: 0
; COMPUTE_PGM_RSRC2:USER_SGPR: 15
; COMPUTE_PGM_RSRC2:TRAP_HANDLER: 0
; COMPUTE_PGM_RSRC2:TGID_X_EN: 1
; COMPUTE_PGM_RSRC2:TGID_Y_EN: 0
; COMPUTE_PGM_RSRC2:TGID_Z_EN: 0
; COMPUTE_PGM_RSRC2:TIDIG_COMP_CNT: 0
	.section	.text._ZN2at6native12_GLOBAL__N_122cunn_SoftMaxForwardRegIfffNS1_25LogSoftMaxForwardEpilogueElLi3EEEvPT1_PKT_T3_,"axG",@progbits,_ZN2at6native12_GLOBAL__N_122cunn_SoftMaxForwardRegIfffNS1_25LogSoftMaxForwardEpilogueElLi3EEEvPT1_PKT_T3_,comdat
	.globl	_ZN2at6native12_GLOBAL__N_122cunn_SoftMaxForwardRegIfffNS1_25LogSoftMaxForwardEpilogueElLi3EEEvPT1_PKT_T3_ ; -- Begin function _ZN2at6native12_GLOBAL__N_122cunn_SoftMaxForwardRegIfffNS1_25LogSoftMaxForwardEpilogueElLi3EEEvPT1_PKT_T3_
	.p2align	8
	.type	_ZN2at6native12_GLOBAL__N_122cunn_SoftMaxForwardRegIfffNS1_25LogSoftMaxForwardEpilogueElLi3EEEvPT1_PKT_T3_,@function
_ZN2at6native12_GLOBAL__N_122cunn_SoftMaxForwardRegIfffNS1_25LogSoftMaxForwardEpilogueElLi3EEEvPT1_PKT_T3_: ; @_ZN2at6native12_GLOBAL__N_122cunn_SoftMaxForwardRegIfffNS1_25LogSoftMaxForwardEpilogueElLi3EEEvPT1_PKT_T3_
; %bb.0:
	s_clause 0x2
	s_load_b64 s[2:3], s[0:1], 0x10
	s_load_b128 s[8:11], s[0:1], 0x0
	s_load_b32 s0, s[0:1], 0x24
	v_dual_mov_b32 v5, 0 :: v_dual_lshlrev_b32 v6, 2, v0
	v_mov_b32_e32 v9, 0xff7fffff
	s_delay_alu instid0(VALU_DEP_2)
	v_mov_b32_e32 v1, v5
	s_waitcnt lgkmcnt(0)
	s_mul_i32 s1, s15, s3
	s_mul_hi_u32 s5, s15, s2
	s_mul_i32 s4, s15, s2
	s_add_i32 s5, s5, s1
	v_cmp_gt_i64_e32 vcc_lo, s[2:3], v[0:1]
	s_lshl_b64 s[12:13], s[4:5], 2
                                        ; implicit-def: $vgpr1_vgpr2_vgpr3
	s_delay_alu instid0(SALU_CYCLE_1)
	s_add_u32 s4, s10, s12
	s_addc_u32 s5, s11, s13
	s_and_saveexec_b32 s1, vcc_lo
	s_cbranch_execz .LBB61_2
; %bb.1:
	global_load_b32 v1, v6, s[4:5]
	s_waitcnt vmcnt(0)
	v_max_f32_e32 v2, v1, v1
	s_delay_alu instid0(VALU_DEP_1)
	v_max_f32_e32 v9, 0xff7fffff, v2
.LBB61_2:
	s_or_b32 exec_lo, exec_lo, s1
	s_and_b32 s6, 0xffff, s0
	s_delay_alu instid0(SALU_CYCLE_1) | instskip(NEXT) | instid1(VALU_DEP_1)
	v_add_nc_u32_e32 v4, s6, v0
	v_cmp_gt_i64_e64 s0, s[2:3], v[4:5]
	v_lshlrev_b32_e32 v5, 2, v4
	s_delay_alu instid0(VALU_DEP_2)
	s_and_saveexec_b32 s1, s0
	s_cbranch_execz .LBB61_4
; %bb.3:
	global_load_b32 v2, v5, s[4:5]
	s_waitcnt vmcnt(0)
	v_dual_max_f32 v8, v9, v9 :: v_dual_max_f32 v7, v2, v2
	s_delay_alu instid0(VALU_DEP_1)
	v_max_f32_e32 v9, v8, v7
.LBB61_4:
	s_or_b32 exec_lo, exec_lo, s1
	v_dual_mov_b32 v8, 0 :: v_dual_add_nc_u32 v7, s6, v4
	s_delay_alu instid0(VALU_DEP_1) | instskip(NEXT) | instid1(VALU_DEP_2)
	v_lshlrev_b32_e32 v4, 2, v7
	v_cmp_gt_i64_e64 s1, s[2:3], v[7:8]
	s_delay_alu instid0(VALU_DEP_1)
	s_and_saveexec_b32 s2, s1
	s_cbranch_execz .LBB61_6
; %bb.5:
	global_load_b32 v3, v4, s[4:5]
	s_waitcnt vmcnt(0)
	v_dual_max_f32 v8, v9, v9 :: v_dual_max_f32 v7, v3, v3
	s_delay_alu instid0(VALU_DEP_1)
	v_max_f32_e32 v9, v8, v7
.LBB61_6:
	s_or_b32 exec_lo, exec_lo, s2
	v_mbcnt_lo_u32_b32 v11, -1, 0
	s_barrier
	buffer_gl0_inv
	v_cmp_gt_u32_e64 s2, 16, v11
	s_delay_alu instid0(VALU_DEP_1) | instskip(SKIP_1) | instid1(VALU_DEP_2)
	v_cndmask_b32_e64 v7, 0, 1, s2
	v_cmp_gt_u32_e64 s2, 24, v11
	v_lshlrev_b32_e32 v7, 4, v7
	s_delay_alu instid0(VALU_DEP_2) | instskip(NEXT) | instid1(VALU_DEP_2)
	v_cndmask_b32_e64 v8, 0, 1, s2
	v_add_lshl_u32 v7, v7, v11, 2
	s_delay_alu instid0(VALU_DEP_2) | instskip(SKIP_4) | instid1(VALU_DEP_1)
	v_lshlrev_b32_e32 v8, 3, v8
	ds_bpermute_b32 v10, v7, v9
	v_add_lshl_u32 v8, v8, v11, 2
	s_waitcnt lgkmcnt(0)
	v_cmp_lt_f32_e64 s2, v9, v10
	v_cndmask_b32_e64 v10, v9, v10, s2
	v_cmp_gt_u32_e64 s2, 28, v11
	ds_bpermute_b32 v12, v8, v10
	v_cndmask_b32_e64 v9, 0, 1, s2
	s_delay_alu instid0(VALU_DEP_1) | instskip(NEXT) | instid1(VALU_DEP_1)
	v_lshlrev_b32_e32 v9, 2, v9
	v_add_lshl_u32 v9, v9, v11, 2
	s_waitcnt lgkmcnt(0)
	v_cmp_lt_f32_e64 s2, v10, v12
	s_delay_alu instid0(VALU_DEP_1) | instskip(SKIP_3) | instid1(VALU_DEP_1)
	v_cndmask_b32_e64 v12, v10, v12, s2
	v_cmp_gt_u32_e64 s2, 30, v11
	ds_bpermute_b32 v13, v9, v12
	v_cndmask_b32_e64 v10, 0, 1, s2
	v_lshlrev_b32_e32 v10, 1, v10
	s_delay_alu instid0(VALU_DEP_1) | instskip(SKIP_2) | instid1(VALU_DEP_1)
	v_add_lshl_u32 v10, v10, v11, 2
	s_waitcnt lgkmcnt(0)
	v_cmp_lt_f32_e64 s2, v12, v13
	v_cndmask_b32_e64 v12, v12, v13, s2
	v_cmp_ne_u32_e64 s2, 31, v11
	ds_bpermute_b32 v13, v10, v12
	v_add_co_ci_u32_e64 v11, s2, 0, v11, s2
	s_delay_alu instid0(VALU_DEP_1) | instskip(SKIP_2) | instid1(VALU_DEP_1)
	v_lshlrev_b32_e32 v11, 2, v11
	s_waitcnt lgkmcnt(0)
	v_cmp_lt_f32_e64 s2, v12, v13
	v_cndmask_b32_e64 v14, v12, v13, s2
	v_and_b32_e32 v13, 31, v0
	v_lshrrev_b32_e32 v12, 3, v0
	ds_bpermute_b32 v15, v11, v14
	v_cmp_eq_u32_e64 s2, 0, v13
	s_delay_alu instid0(VALU_DEP_1) | instskip(NEXT) | instid1(SALU_CYCLE_1)
	s_and_saveexec_b32 s3, s2
	s_xor_b32 s4, exec_lo, s3
	s_cbranch_execz .LBB61_8
; %bb.7:
	s_waitcnt lgkmcnt(0)
	v_cmp_lt_f32_e64 s3, v14, v15
	v_add_nc_u32_e32 v16, 0, v12
	s_delay_alu instid0(VALU_DEP_2)
	v_cndmask_b32_e64 v14, v14, v15, s3
	ds_store_b32 v16, v14
.LBB61_8:
	s_or_b32 exec_lo, exec_lo, s4
	s_lshr_b32 s3, s6, 5
	v_mov_b32_e32 v14, 0xff7fffff
	v_cmp_gt_u32_e64 s3, s3, v0
	v_lshl_add_u32 v13, v13, 2, 0
	s_waitcnt lgkmcnt(0)
	s_barrier
	buffer_gl0_inv
	s_and_saveexec_b32 s4, s3
	s_cbranch_execnz .LBB61_22
; %bb.9:
	s_or_b32 exec_lo, exec_lo, s4
	v_cmp_gt_u32_e64 s4, 32, v0
	s_delay_alu instid0(VALU_DEP_1)
	s_and_saveexec_b32 s6, s4
	s_cbranch_execnz .LBB61_23
.LBB61_10:
	s_or_b32 exec_lo, exec_lo, s6
	v_cmp_eq_u32_e64 s5, 0, v0
	s_delay_alu instid0(VALU_DEP_1)
	s_and_saveexec_b32 s6, s5
	s_cbranch_execz .LBB61_12
.LBB61_11:
	v_mov_b32_e32 v0, 0
	s_waitcnt lgkmcnt(0)
	ds_store_b32 v0, v14
.LBB61_12:
	s_or_b32 exec_lo, exec_lo, s6
	s_waitcnt lgkmcnt(0)
	v_mov_b32_e32 v14, 0
	s_barrier
	buffer_gl0_inv
	ds_load_b32 v15, v14
	s_waitcnt lgkmcnt(0)
	s_barrier
	buffer_gl0_inv
	v_sub_f32_e32 v0, v1, v15
	v_sub_f32_e32 v1, v2, v15
	s_delay_alu instid0(VALU_DEP_1) | instskip(NEXT) | instid1(VALU_DEP_3)
	v_dual_sub_f32 v2, v3, v15 :: v_dual_mul_f32 v17, 0x3fb8aa3b, v1
	v_cmp_ngt_f32_e64 s6, 0xc2ce8ed0, v0
	s_delay_alu instid0(VALU_DEP_2) | instskip(SKIP_2) | instid1(VALU_DEP_3)
	v_fma_f32 v3, 0x3fb8aa3b, v1, -v17
	v_rndne_f32_e32 v15, v17
	v_mul_f32_e32 v16, 0x3fb8aa3b, v0
	v_fmac_f32_e32 v3, 0x32a5705f, v1
	s_delay_alu instid0(VALU_DEP_3) | instskip(NEXT) | instid1(VALU_DEP_3)
	v_sub_f32_e32 v17, v17, v15
	v_fma_f32 v18, 0x3fb8aa3b, v0, -v16
	v_rndne_f32_e32 v19, v16
	v_mul_f32_e32 v20, 0x3fb8aa3b, v2
	v_cvt_i32_f32_e32 v15, v15
	s_delay_alu instid0(VALU_DEP_4) | instskip(NEXT) | instid1(VALU_DEP_3)
	v_dual_add_f32 v3, v17, v3 :: v_dual_fmac_f32 v18, 0x32a5705f, v0
	v_fma_f32 v17, 0x3fb8aa3b, v2, -v20
	v_sub_f32_e32 v16, v16, v19
	s_delay_alu instid0(VALU_DEP_3) | instskip(SKIP_1) | instid1(VALU_DEP_3)
	v_exp_f32_e32 v3, v3
	v_cvt_i32_f32_e32 v19, v19
	v_fmac_f32_e32 v17, 0x32a5705f, v2
	s_delay_alu instid0(VALU_DEP_3) | instskip(NEXT) | instid1(VALU_DEP_1)
	v_add_f32_e32 v16, v16, v18
	v_exp_f32_e32 v16, v16
	s_waitcnt_depctr 0xfff
	v_ldexp_f32 v3, v3, v15
	v_ldexp_f32 v16, v16, v19
	s_delay_alu instid0(VALU_DEP_1) | instskip(SKIP_1) | instid1(VALU_DEP_1)
	v_cndmask_b32_e64 v15, 0, v16, s6
	v_cmp_ngt_f32_e64 s6, 0xc2ce8ed0, v1
	v_cndmask_b32_e64 v3, 0, v3, s6
	v_cmp_nlt_f32_e64 s6, 0x42b17218, v0
	s_delay_alu instid0(VALU_DEP_1) | instskip(SKIP_1) | instid1(VALU_DEP_2)
	v_cndmask_b32_e64 v15, 0x7f800000, v15, s6
	v_cmp_nlt_f32_e64 s6, 0x42b17218, v1
	v_cndmask_b32_e32 v15, 0, v15, vcc_lo
	s_delay_alu instid0(VALU_DEP_2) | instskip(SKIP_2) | instid1(VALU_DEP_3)
	v_cndmask_b32_e64 v3, 0x7f800000, v3, s6
	v_rndne_f32_e32 v18, v20
	v_cmp_ngt_f32_e64 s6, 0xc2ce8ed0, v2
	v_add_f32_e32 v3, v15, v3
	s_delay_alu instid0(VALU_DEP_1) | instskip(NEXT) | instid1(VALU_DEP_4)
	v_cndmask_b32_e64 v3, v15, v3, s0
	v_sub_f32_e32 v20, v20, v18
	s_delay_alu instid0(VALU_DEP_1) | instskip(NEXT) | instid1(VALU_DEP_1)
	v_add_f32_e32 v17, v20, v17
	v_exp_f32_e32 v16, v17
	v_cvt_i32_f32_e32 v17, v18
	s_waitcnt_depctr 0xfff
	v_ldexp_f32 v16, v16, v17
	s_delay_alu instid0(VALU_DEP_1) | instskip(SKIP_1) | instid1(VALU_DEP_1)
	v_cndmask_b32_e64 v16, 0, v16, s6
	v_cmp_nlt_f32_e64 s6, 0x42b17218, v2
	v_cndmask_b32_e64 v15, 0x7f800000, v16, s6
	s_delay_alu instid0(VALU_DEP_1) | instskip(NEXT) | instid1(VALU_DEP_1)
	v_add_f32_e32 v15, v3, v15
	v_cndmask_b32_e64 v3, v3, v15, s1
	ds_bpermute_b32 v15, v7, v3
	s_waitcnt lgkmcnt(0)
	v_add_f32_e32 v3, v3, v15
	ds_bpermute_b32 v15, v8, v3
	s_waitcnt lgkmcnt(0)
	v_add_f32_e32 v3, v3, v15
	;; [unrolled: 3-line block ×4, first 2 shown]
	ds_bpermute_b32 v15, v11, v3
	s_and_saveexec_b32 s6, s2
	s_cbranch_execz .LBB61_14
; %bb.13:
	s_waitcnt lgkmcnt(0)
	v_dual_add_f32 v3, v3, v15 :: v_dual_add_nc_u32 v12, 0, v12
	ds_store_b32 v12, v3
.LBB61_14:
	s_or_b32 exec_lo, exec_lo, s6
	s_waitcnt lgkmcnt(0)
	s_barrier
	buffer_gl0_inv
	s_and_saveexec_b32 s2, s3
	s_cbranch_execnz .LBB61_24
; %bb.15:
	s_or_b32 exec_lo, exec_lo, s2
	s_and_saveexec_b32 s2, s4
	s_cbranch_execnz .LBB61_25
.LBB61_16:
	s_or_b32 exec_lo, exec_lo, s2
	s_and_saveexec_b32 s2, s5
	s_cbranch_execz .LBB61_18
.LBB61_17:
	v_mov_b32_e32 v3, 0
	s_waitcnt lgkmcnt(0)
	ds_store_b32 v3, v14
.LBB61_18:
	s_or_b32 exec_lo, exec_lo, s2
	v_mov_b32_e32 v3, 0
	s_waitcnt lgkmcnt(0)
	s_barrier
	buffer_gl0_inv
	ds_load_b32 v3, v3
	s_waitcnt lgkmcnt(0)
	v_cmp_gt_f32_e64 s2, 0x800000, v3
	s_delay_alu instid0(VALU_DEP_1) | instskip(NEXT) | instid1(VALU_DEP_1)
	v_cndmask_b32_e64 v7, 1.0, 0x4f800000, s2
	v_mul_f32_e32 v3, v3, v7
	s_delay_alu instid0(VALU_DEP_1) | instskip(SKIP_3) | instid1(VALU_DEP_2)
	v_log_f32_e32 v3, v3
	s_waitcnt_depctr 0xfff
	v_mul_f32_e32 v7, 0x3f317217, v3
	v_cmp_gt_f32_e64 s3, 0x7f800000, |v3|
	v_fma_f32 v8, 0x3f317217, v3, -v7
	s_delay_alu instid0(VALU_DEP_1) | instskip(NEXT) | instid1(VALU_DEP_1)
	v_fmamk_f32 v8, v3, 0x3377d1cf, v8
	v_add_f32_e32 v7, v7, v8
	s_delay_alu instid0(VALU_DEP_1) | instskip(SKIP_3) | instid1(VALU_DEP_1)
	v_cndmask_b32_e64 v3, v3, v7, s3
	v_cndmask_b32_e64 v7, 0, 0x41b17218, s2
	s_add_u32 s2, s8, s12
	s_addc_u32 s3, s9, s13
	v_sub_f32_e32 v3, v3, v7
	s_and_saveexec_b32 s4, vcc_lo
	s_cbranch_execnz .LBB61_26
; %bb.19:
	s_or_b32 exec_lo, exec_lo, s4
	s_and_saveexec_b32 s4, s0
	s_cbranch_execnz .LBB61_27
.LBB61_20:
	s_or_b32 exec_lo, exec_lo, s4
	s_and_saveexec_b32 s0, s1
	s_cbranch_execnz .LBB61_28
.LBB61_21:
	s_nop 0
	s_sendmsg sendmsg(MSG_DEALLOC_VGPRS)
	s_endpgm
.LBB61_22:
	ds_load_b32 v14, v13
	s_or_b32 exec_lo, exec_lo, s4
	v_cmp_gt_u32_e64 s4, 32, v0
	s_delay_alu instid0(VALU_DEP_1)
	s_and_saveexec_b32 s6, s4
	s_cbranch_execz .LBB61_10
.LBB61_23:
	s_waitcnt lgkmcnt(0)
	ds_bpermute_b32 v15, v7, v14
	s_waitcnt lgkmcnt(0)
	v_cmp_lt_f32_e64 s5, v14, v15
	s_delay_alu instid0(VALU_DEP_1) | instskip(SKIP_3) | instid1(VALU_DEP_1)
	v_cndmask_b32_e64 v14, v14, v15, s5
	ds_bpermute_b32 v15, v8, v14
	s_waitcnt lgkmcnt(0)
	v_cmp_lt_f32_e64 s5, v14, v15
	v_cndmask_b32_e64 v14, v14, v15, s5
	ds_bpermute_b32 v15, v9, v14
	s_waitcnt lgkmcnt(0)
	v_cmp_lt_f32_e64 s5, v14, v15
	s_delay_alu instid0(VALU_DEP_1) | instskip(SKIP_3) | instid1(VALU_DEP_1)
	v_cndmask_b32_e64 v14, v14, v15, s5
	ds_bpermute_b32 v15, v10, v14
	s_waitcnt lgkmcnt(0)
	v_cmp_lt_f32_e64 s5, v14, v15
	v_cndmask_b32_e64 v14, v14, v15, s5
	ds_bpermute_b32 v15, v11, v14
	s_waitcnt lgkmcnt(0)
	v_cmp_lt_f32_e64 s5, v14, v15
	s_delay_alu instid0(VALU_DEP_1) | instskip(SKIP_2) | instid1(VALU_DEP_1)
	v_cndmask_b32_e64 v14, v14, v15, s5
	s_or_b32 exec_lo, exec_lo, s6
	v_cmp_eq_u32_e64 s5, 0, v0
	s_and_saveexec_b32 s6, s5
	s_cbranch_execnz .LBB61_11
	s_branch .LBB61_12
.LBB61_24:
	ds_load_b32 v14, v13
	s_or_b32 exec_lo, exec_lo, s2
	s_and_saveexec_b32 s2, s4
	s_cbranch_execz .LBB61_16
.LBB61_25:
	s_waitcnt lgkmcnt(0)
	ds_bpermute_b32 v3, v7, v14
	s_waitcnt lgkmcnt(0)
	v_add_f32_e32 v3, v14, v3
	ds_bpermute_b32 v7, v8, v3
	s_waitcnt lgkmcnt(0)
	v_add_f32_e32 v3, v3, v7
	;; [unrolled: 3-line block ×5, first 2 shown]
	s_or_b32 exec_lo, exec_lo, s2
	s_and_saveexec_b32 s2, s5
	s_cbranch_execnz .LBB61_17
	s_branch .LBB61_18
.LBB61_26:
	s_delay_alu instid0(VALU_DEP_1)
	v_sub_f32_e32 v0, v0, v3
	global_store_b32 v6, v0, s[2:3]
	s_or_b32 exec_lo, exec_lo, s4
	s_and_saveexec_b32 s4, s0
	s_cbranch_execz .LBB61_20
.LBB61_27:
	v_sub_f32_e32 v0, v1, v3
	global_store_b32 v5, v0, s[2:3]
	s_or_b32 exec_lo, exec_lo, s4
	s_and_saveexec_b32 s0, s1
	s_cbranch_execz .LBB61_21
.LBB61_28:
	v_sub_f32_e32 v0, v2, v3
	global_store_b32 v4, v0, s[2:3]
	s_nop 0
	s_sendmsg sendmsg(MSG_DEALLOC_VGPRS)
	s_endpgm
	.section	.rodata,"a",@progbits
	.p2align	6, 0x0
	.amdhsa_kernel _ZN2at6native12_GLOBAL__N_122cunn_SoftMaxForwardRegIfffNS1_25LogSoftMaxForwardEpilogueElLi3EEEvPT1_PKT_T3_
		.amdhsa_group_segment_fixed_size 0
		.amdhsa_private_segment_fixed_size 0
		.amdhsa_kernarg_size 280
		.amdhsa_user_sgpr_count 15
		.amdhsa_user_sgpr_dispatch_ptr 0
		.amdhsa_user_sgpr_queue_ptr 0
		.amdhsa_user_sgpr_kernarg_segment_ptr 1
		.amdhsa_user_sgpr_dispatch_id 0
		.amdhsa_user_sgpr_private_segment_size 0
		.amdhsa_wavefront_size32 1
		.amdhsa_uses_dynamic_stack 0
		.amdhsa_enable_private_segment 0
		.amdhsa_system_sgpr_workgroup_id_x 1
		.amdhsa_system_sgpr_workgroup_id_y 0
		.amdhsa_system_sgpr_workgroup_id_z 0
		.amdhsa_system_sgpr_workgroup_info 0
		.amdhsa_system_vgpr_workitem_id 0
		.amdhsa_next_free_vgpr 21
		.amdhsa_next_free_sgpr 16
		.amdhsa_reserve_vcc 1
		.amdhsa_float_round_mode_32 0
		.amdhsa_float_round_mode_16_64 0
		.amdhsa_float_denorm_mode_32 3
		.amdhsa_float_denorm_mode_16_64 3
		.amdhsa_dx10_clamp 1
		.amdhsa_ieee_mode 1
		.amdhsa_fp16_overflow 0
		.amdhsa_workgroup_processor_mode 1
		.amdhsa_memory_ordered 1
		.amdhsa_forward_progress 0
		.amdhsa_shared_vgpr_count 0
		.amdhsa_exception_fp_ieee_invalid_op 0
		.amdhsa_exception_fp_denorm_src 0
		.amdhsa_exception_fp_ieee_div_zero 0
		.amdhsa_exception_fp_ieee_overflow 0
		.amdhsa_exception_fp_ieee_underflow 0
		.amdhsa_exception_fp_ieee_inexact 0
		.amdhsa_exception_int_div_zero 0
	.end_amdhsa_kernel
	.section	.text._ZN2at6native12_GLOBAL__N_122cunn_SoftMaxForwardRegIfffNS1_25LogSoftMaxForwardEpilogueElLi3EEEvPT1_PKT_T3_,"axG",@progbits,_ZN2at6native12_GLOBAL__N_122cunn_SoftMaxForwardRegIfffNS1_25LogSoftMaxForwardEpilogueElLi3EEEvPT1_PKT_T3_,comdat
.Lfunc_end61:
	.size	_ZN2at6native12_GLOBAL__N_122cunn_SoftMaxForwardRegIfffNS1_25LogSoftMaxForwardEpilogueElLi3EEEvPT1_PKT_T3_, .Lfunc_end61-_ZN2at6native12_GLOBAL__N_122cunn_SoftMaxForwardRegIfffNS1_25LogSoftMaxForwardEpilogueElLi3EEEvPT1_PKT_T3_
                                        ; -- End function
	.section	.AMDGPU.csdata,"",@progbits
; Kernel info:
; codeLenInByte = 1992
; NumSgprs: 18
; NumVgprs: 21
; ScratchSize: 0
; MemoryBound: 0
; FloatMode: 240
; IeeeMode: 1
; LDSByteSize: 0 bytes/workgroup (compile time only)
; SGPRBlocks: 2
; VGPRBlocks: 2
; NumSGPRsForWavesPerEU: 18
; NumVGPRsForWavesPerEU: 21
; Occupancy: 16
; WaveLimiterHint : 0
; COMPUTE_PGM_RSRC2:SCRATCH_EN: 0
; COMPUTE_PGM_RSRC2:USER_SGPR: 15
; COMPUTE_PGM_RSRC2:TRAP_HANDLER: 0
; COMPUTE_PGM_RSRC2:TGID_X_EN: 1
; COMPUTE_PGM_RSRC2:TGID_Y_EN: 0
; COMPUTE_PGM_RSRC2:TGID_Z_EN: 0
; COMPUTE_PGM_RSRC2:TIDIG_COMP_CNT: 0
	.section	.text._ZN2at6native12_GLOBAL__N_122cunn_SoftMaxForwardRegIfffNS1_25LogSoftMaxForwardEpilogueElLi4EEEvPT1_PKT_T3_,"axG",@progbits,_ZN2at6native12_GLOBAL__N_122cunn_SoftMaxForwardRegIfffNS1_25LogSoftMaxForwardEpilogueElLi4EEEvPT1_PKT_T3_,comdat
	.globl	_ZN2at6native12_GLOBAL__N_122cunn_SoftMaxForwardRegIfffNS1_25LogSoftMaxForwardEpilogueElLi4EEEvPT1_PKT_T3_ ; -- Begin function _ZN2at6native12_GLOBAL__N_122cunn_SoftMaxForwardRegIfffNS1_25LogSoftMaxForwardEpilogueElLi4EEEvPT1_PKT_T3_
	.p2align	8
	.type	_ZN2at6native12_GLOBAL__N_122cunn_SoftMaxForwardRegIfffNS1_25LogSoftMaxForwardEpilogueElLi4EEEvPT1_PKT_T3_,@function
_ZN2at6native12_GLOBAL__N_122cunn_SoftMaxForwardRegIfffNS1_25LogSoftMaxForwardEpilogueElLi4EEEvPT1_PKT_T3_: ; @_ZN2at6native12_GLOBAL__N_122cunn_SoftMaxForwardRegIfffNS1_25LogSoftMaxForwardEpilogueElLi4EEEvPT1_PKT_T3_
; %bb.0:
	s_clause 0x2
	s_load_b64 s[2:3], s[0:1], 0x10
	s_load_b128 s[8:11], s[0:1], 0x0
	s_load_b32 s0, s[0:1], 0x24
	v_dual_mov_b32 v6, 0 :: v_dual_mov_b32 v11, 0xff7fffff
	v_lshlrev_b32_e32 v7, 2, v0
	s_delay_alu instid0(VALU_DEP_2)
	v_mov_b32_e32 v1, v6
	s_waitcnt lgkmcnt(0)
	s_mul_i32 s1, s15, s3
	s_mul_hi_u32 s5, s15, s2
	s_mul_i32 s4, s15, s2
	s_add_i32 s5, s5, s1
	v_cmp_gt_i64_e32 vcc_lo, s[2:3], v[0:1]
	s_lshl_b64 s[12:13], s[4:5], 2
                                        ; implicit-def: $vgpr1_vgpr2_vgpr3_vgpr4
	s_delay_alu instid0(SALU_CYCLE_1)
	s_add_u32 s4, s10, s12
	s_addc_u32 s5, s11, s13
	s_and_saveexec_b32 s1, vcc_lo
	s_cbranch_execz .LBB62_2
; %bb.1:
	global_load_b32 v1, v7, s[4:5]
	s_waitcnt vmcnt(0)
	v_max_f32_e32 v2, v1, v1
	s_delay_alu instid0(VALU_DEP_1)
	v_max_f32_e32 v11, 0xff7fffff, v2
.LBB62_2:
	s_or_b32 exec_lo, exec_lo, s1
	s_and_b32 s6, 0xffff, s0
	s_delay_alu instid0(SALU_CYCLE_1) | instskip(NEXT) | instid1(VALU_DEP_1)
	v_add_nc_u32_e32 v5, s6, v0
	v_cmp_gt_i64_e64 s0, s[2:3], v[5:6]
	v_lshlrev_b32_e32 v8, 2, v5
	s_delay_alu instid0(VALU_DEP_2)
	s_and_saveexec_b32 s1, s0
	s_cbranch_execz .LBB62_4
; %bb.3:
	global_load_b32 v2, v8, s[4:5]
	s_waitcnt vmcnt(0)
	v_dual_max_f32 v9, v11, v11 :: v_dual_max_f32 v6, v2, v2
	s_delay_alu instid0(VALU_DEP_1)
	v_max_f32_e32 v11, v9, v6
.LBB62_4:
	s_or_b32 exec_lo, exec_lo, s1
	v_dual_mov_b32 v6, 0 :: v_dual_add_nc_u32 v5, s6, v5
	s_delay_alu instid0(VALU_DEP_1) | instskip(NEXT) | instid1(VALU_DEP_2)
	v_lshlrev_b32_e32 v9, 2, v5
	v_cmp_gt_i64_e64 s1, s[2:3], v[5:6]
	s_delay_alu instid0(VALU_DEP_1)
	s_and_saveexec_b32 s7, s1
	s_cbranch_execz .LBB62_6
; %bb.5:
	global_load_b32 v3, v9, s[4:5]
	v_max_f32_e32 v11, v11, v11
	s_waitcnt vmcnt(0)
	v_max_f32_e32 v10, v3, v3
	s_delay_alu instid0(VALU_DEP_1)
	v_max_f32_e32 v11, v11, v10
.LBB62_6:
	s_or_b32 exec_lo, exec_lo, s7
	v_add_nc_u32_e32 v5, s6, v5
	s_delay_alu instid0(VALU_DEP_1) | instskip(SKIP_1) | instid1(VALU_DEP_2)
	v_cmp_gt_i64_e64 s2, s[2:3], v[5:6]
	v_lshlrev_b32_e32 v5, 2, v5
	s_and_saveexec_b32 s3, s2
	s_cbranch_execz .LBB62_8
; %bb.7:
	global_load_b32 v4, v5, s[4:5]
	v_max_f32_e32 v10, v11, v11
	s_waitcnt vmcnt(0)
	v_max_f32_e32 v6, v4, v4
	s_delay_alu instid0(VALU_DEP_1)
	v_max_f32_e32 v11, v10, v6
.LBB62_8:
	s_or_b32 exec_lo, exec_lo, s3
	v_mbcnt_lo_u32_b32 v13, -1, 0
	s_barrier
	buffer_gl0_inv
	v_cmp_gt_u32_e64 s3, 16, v13
	s_delay_alu instid0(VALU_DEP_1) | instskip(SKIP_1) | instid1(VALU_DEP_2)
	v_cndmask_b32_e64 v6, 0, 1, s3
	v_cmp_gt_u32_e64 s3, 24, v13
	v_lshlrev_b32_e32 v6, 4, v6
	s_delay_alu instid0(VALU_DEP_2) | instskip(NEXT) | instid1(VALU_DEP_2)
	v_cndmask_b32_e64 v10, 0, 1, s3
	v_add_lshl_u32 v6, v6, v13, 2
	s_delay_alu instid0(VALU_DEP_2) | instskip(SKIP_4) | instid1(VALU_DEP_1)
	v_lshlrev_b32_e32 v10, 3, v10
	ds_bpermute_b32 v12, v6, v11
	v_add_lshl_u32 v10, v10, v13, 2
	s_waitcnt lgkmcnt(0)
	v_cmp_lt_f32_e64 s3, v11, v12
	v_cndmask_b32_e64 v12, v11, v12, s3
	v_cmp_gt_u32_e64 s3, 28, v13
	ds_bpermute_b32 v14, v10, v12
	v_cndmask_b32_e64 v11, 0, 1, s3
	s_delay_alu instid0(VALU_DEP_1) | instskip(NEXT) | instid1(VALU_DEP_1)
	v_lshlrev_b32_e32 v11, 2, v11
	v_add_lshl_u32 v11, v11, v13, 2
	s_waitcnt lgkmcnt(0)
	v_cmp_lt_f32_e64 s3, v12, v14
	s_delay_alu instid0(VALU_DEP_1) | instskip(SKIP_3) | instid1(VALU_DEP_1)
	v_cndmask_b32_e64 v14, v12, v14, s3
	v_cmp_gt_u32_e64 s3, 30, v13
	ds_bpermute_b32 v15, v11, v14
	v_cndmask_b32_e64 v12, 0, 1, s3
	v_lshlrev_b32_e32 v12, 1, v12
	s_delay_alu instid0(VALU_DEP_1) | instskip(SKIP_2) | instid1(VALU_DEP_1)
	v_add_lshl_u32 v12, v12, v13, 2
	s_waitcnt lgkmcnt(0)
	v_cmp_lt_f32_e64 s3, v14, v15
	v_cndmask_b32_e64 v14, v14, v15, s3
	v_cmp_ne_u32_e64 s3, 31, v13
	ds_bpermute_b32 v15, v12, v14
	v_add_co_ci_u32_e64 v13, s3, 0, v13, s3
	s_delay_alu instid0(VALU_DEP_1) | instskip(SKIP_2) | instid1(VALU_DEP_1)
	v_lshlrev_b32_e32 v13, 2, v13
	s_waitcnt lgkmcnt(0)
	v_cmp_lt_f32_e64 s3, v14, v15
	v_cndmask_b32_e64 v16, v14, v15, s3
	v_and_b32_e32 v15, 31, v0
	v_lshrrev_b32_e32 v14, 3, v0
	ds_bpermute_b32 v17, v13, v16
	v_cmp_eq_u32_e64 s3, 0, v15
	s_delay_alu instid0(VALU_DEP_1) | instskip(NEXT) | instid1(SALU_CYCLE_1)
	s_and_saveexec_b32 s4, s3
	s_xor_b32 s5, exec_lo, s4
	s_cbranch_execz .LBB62_10
; %bb.9:
	s_waitcnt lgkmcnt(0)
	v_cmp_lt_f32_e64 s4, v16, v17
	v_add_nc_u32_e32 v18, 0, v14
	s_delay_alu instid0(VALU_DEP_2)
	v_cndmask_b32_e64 v16, v16, v17, s4
	ds_store_b32 v18, v16
.LBB62_10:
	s_or_b32 exec_lo, exec_lo, s5
	s_lshr_b32 s4, s6, 5
	v_mov_b32_e32 v16, 0xff7fffff
	v_cmp_gt_u32_e64 s4, s4, v0
	v_lshl_add_u32 v15, v15, 2, 0
	s_waitcnt lgkmcnt(0)
	s_barrier
	buffer_gl0_inv
	s_and_saveexec_b32 s5, s4
	s_cbranch_execnz .LBB62_25
; %bb.11:
	s_or_b32 exec_lo, exec_lo, s5
	v_cmp_gt_u32_e64 s5, 32, v0
	s_delay_alu instid0(VALU_DEP_1)
	s_and_saveexec_b32 s7, s5
	s_cbranch_execnz .LBB62_26
.LBB62_12:
	s_or_b32 exec_lo, exec_lo, s7
	v_cmp_eq_u32_e64 s6, 0, v0
	s_delay_alu instid0(VALU_DEP_1)
	s_and_saveexec_b32 s7, s6
	s_cbranch_execz .LBB62_14
.LBB62_13:
	v_mov_b32_e32 v0, 0
	s_waitcnt lgkmcnt(0)
	ds_store_b32 v0, v16
.LBB62_14:
	s_or_b32 exec_lo, exec_lo, s7
	s_waitcnt lgkmcnt(0)
	v_mov_b32_e32 v16, 0
	s_barrier
	buffer_gl0_inv
	ds_load_b32 v17, v16
	s_waitcnt lgkmcnt(0)
	s_barrier
	buffer_gl0_inv
	v_sub_f32_e32 v0, v1, v17
	v_sub_f32_e32 v1, v2, v17
	;; [unrolled: 1-line block ×4, first 2 shown]
	s_delay_alu instid0(VALU_DEP_2) | instskip(NEXT) | instid1(VALU_DEP_1)
	v_dual_mul_f32 v19, 0x3fb8aa3b, v1 :: v_dual_mul_f32 v24, 0x3fb8aa3b, v2
	v_rndne_f32_e32 v23, v19
	v_fma_f32 v22, 0x3fb8aa3b, v1, -v19
	s_delay_alu instid0(VALU_DEP_3) | instskip(NEXT) | instid1(VALU_DEP_3)
	v_fma_f32 v17, 0x3fb8aa3b, v2, -v24
	v_dual_sub_f32 v19, v19, v23 :: v_dual_mul_f32 v18, 0x3fb8aa3b, v0
	s_delay_alu instid0(VALU_DEP_3) | instskip(SKIP_1) | instid1(VALU_DEP_4)
	v_fmac_f32_e32 v22, 0x32a5705f, v1
	v_cmp_ngt_f32_e64 s7, 0xc2ce8ed0, v0
	v_fmac_f32_e32 v17, 0x32a5705f, v2
	s_delay_alu instid0(VALU_DEP_4) | instskip(SKIP_1) | instid1(VALU_DEP_2)
	v_fma_f32 v20, 0x3fb8aa3b, v0, -v18
	v_rndne_f32_e32 v21, v18
	v_dual_add_f32 v19, v19, v22 :: v_dual_fmac_f32 v20, 0x32a5705f, v0
	s_delay_alu instid0(VALU_DEP_2) | instskip(SKIP_1) | instid1(VALU_DEP_3)
	v_sub_f32_e32 v18, v18, v21
	v_cvt_i32_f32_e32 v21, v21
	v_exp_f32_e32 v19, v19
	s_delay_alu instid0(VALU_DEP_2) | instskip(SKIP_1) | instid1(VALU_DEP_2)
	v_add_f32_e32 v4, v18, v20
	v_rndne_f32_e32 v18, v24
	v_exp_f32_e32 v4, v4
	s_delay_alu instid0(VALU_DEP_1) | instskip(SKIP_2) | instid1(VALU_DEP_3)
	v_sub_f32_e32 v22, v24, v18
	v_mul_f32_e32 v20, 0x3fb8aa3b, v3
	v_cvt_i32_f32_e32 v18, v18
	v_add_f32_e32 v17, v22, v17
	v_cvt_i32_f32_e32 v22, v23
	s_delay_alu instid0(VALU_DEP_4) | instskip(SKIP_1) | instid1(TRANS32_DEP_1)
	v_fma_f32 v24, 0x3fb8aa3b, v3, -v20
	v_rndne_f32_e32 v25, v20
	v_ldexp_f32 v4, v4, v21
	v_exp_f32_e32 v17, v17
	v_ldexp_f32 v19, v19, v22
	s_delay_alu instid0(VALU_DEP_3) | instskip(NEXT) | instid1(VALU_DEP_3)
	v_sub_f32_e32 v20, v20, v25
	v_cndmask_b32_e64 v4, 0, v4, s7
	v_cmp_ngt_f32_e64 s7, 0xc2ce8ed0, v1
	s_delay_alu instid0(VALU_DEP_1) | instskip(SKIP_1) | instid1(TRANS32_DEP_1)
	v_cndmask_b32_e64 v19, 0, v19, s7
	v_cmp_nlt_f32_e64 s7, 0x42b17218, v0
	v_ldexp_f32 v17, v17, v18
	s_delay_alu instid0(VALU_DEP_2) | instskip(SKIP_1) | instid1(VALU_DEP_2)
	v_cndmask_b32_e64 v4, 0x7f800000, v4, s7
	v_cmp_nlt_f32_e64 s7, 0x42b17218, v1
	v_cndmask_b32_e32 v4, 0, v4, vcc_lo
	s_delay_alu instid0(VALU_DEP_2) | instskip(SKIP_1) | instid1(VALU_DEP_2)
	v_cndmask_b32_e64 v18, 0x7f800000, v19, s7
	v_cmp_ngt_f32_e64 s7, 0xc2ce8ed0, v2
	v_add_f32_e32 v18, v4, v18
	s_delay_alu instid0(VALU_DEP_2) | instskip(SKIP_1) | instid1(VALU_DEP_3)
	v_cndmask_b32_e64 v17, 0, v17, s7
	v_cmp_nlt_f32_e64 s7, 0x42b17218, v2
	v_cndmask_b32_e64 v4, v4, v18, s0
	s_delay_alu instid0(VALU_DEP_2) | instskip(SKIP_2) | instid1(VALU_DEP_3)
	v_cndmask_b32_e64 v17, 0x7f800000, v17, s7
	v_fmac_f32_e32 v24, 0x32a5705f, v3
	v_cmp_ngt_f32_e64 s7, 0xc2ce8ed0, v3
	v_add_f32_e32 v17, v4, v17
	s_delay_alu instid0(VALU_DEP_3) | instskip(NEXT) | instid1(VALU_DEP_2)
	v_add_f32_e32 v20, v20, v24
	v_cndmask_b32_e64 v4, v4, v17, s1
	s_delay_alu instid0(VALU_DEP_2) | instskip(SKIP_3) | instid1(VALU_DEP_1)
	v_exp_f32_e32 v19, v20
	v_cvt_i32_f32_e32 v20, v25
	s_waitcnt_depctr 0xfff
	v_ldexp_f32 v18, v19, v20
	v_cndmask_b32_e64 v18, 0, v18, s7
	v_cmp_nlt_f32_e64 s7, 0x42b17218, v3
	s_delay_alu instid0(VALU_DEP_1) | instskip(NEXT) | instid1(VALU_DEP_1)
	v_cndmask_b32_e64 v17, 0x7f800000, v18, s7
	v_add_f32_e32 v17, v4, v17
	s_delay_alu instid0(VALU_DEP_1)
	v_cndmask_b32_e64 v4, v4, v17, s2
	ds_bpermute_b32 v17, v6, v4
	s_waitcnt lgkmcnt(0)
	v_add_f32_e32 v4, v4, v17
	ds_bpermute_b32 v17, v10, v4
	s_waitcnt lgkmcnt(0)
	v_add_f32_e32 v4, v4, v17
	;; [unrolled: 3-line block ×4, first 2 shown]
	ds_bpermute_b32 v17, v13, v4
	s_and_saveexec_b32 s7, s3
	s_cbranch_execz .LBB62_16
; %bb.15:
	v_add_nc_u32_e32 v14, 0, v14
	s_waitcnt lgkmcnt(0)
	v_add_f32_e32 v4, v4, v17
	ds_store_b32 v14, v4
.LBB62_16:
	s_or_b32 exec_lo, exec_lo, s7
	s_waitcnt lgkmcnt(0)
	s_barrier
	buffer_gl0_inv
	s_and_saveexec_b32 s3, s4
	s_cbranch_execnz .LBB62_27
; %bb.17:
	s_or_b32 exec_lo, exec_lo, s3
	s_and_saveexec_b32 s3, s5
	s_cbranch_execnz .LBB62_28
.LBB62_18:
	s_or_b32 exec_lo, exec_lo, s3
	s_and_saveexec_b32 s3, s6
	s_cbranch_execz .LBB62_20
.LBB62_19:
	v_mov_b32_e32 v4, 0
	s_waitcnt lgkmcnt(0)
	ds_store_b32 v4, v16
.LBB62_20:
	s_or_b32 exec_lo, exec_lo, s3
	v_mov_b32_e32 v4, 0
	s_waitcnt lgkmcnt(0)
	s_barrier
	buffer_gl0_inv
	ds_load_b32 v4, v4
	s_waitcnt lgkmcnt(0)
	v_cmp_gt_f32_e64 s3, 0x800000, v4
	s_delay_alu instid0(VALU_DEP_1) | instskip(NEXT) | instid1(VALU_DEP_1)
	v_cndmask_b32_e64 v6, 1.0, 0x4f800000, s3
	v_mul_f32_e32 v4, v4, v6
	s_delay_alu instid0(VALU_DEP_1) | instskip(SKIP_3) | instid1(VALU_DEP_2)
	v_log_f32_e32 v4, v4
	s_waitcnt_depctr 0xfff
	v_mul_f32_e32 v6, 0x3f317217, v4
	v_cmp_gt_f32_e64 s4, 0x7f800000, |v4|
	v_fma_f32 v10, 0x3f317217, v4, -v6
	s_delay_alu instid0(VALU_DEP_1) | instskip(NEXT) | instid1(VALU_DEP_1)
	v_fmamk_f32 v10, v4, 0x3377d1cf, v10
	v_add_f32_e32 v6, v6, v10
	s_delay_alu instid0(VALU_DEP_1) | instskip(SKIP_3) | instid1(VALU_DEP_1)
	v_cndmask_b32_e64 v4, v4, v6, s4
	v_cndmask_b32_e64 v6, 0, 0x41b17218, s3
	s_add_u32 s4, s8, s12
	s_addc_u32 s5, s9, s13
	v_sub_f32_e32 v4, v4, v6
	s_and_saveexec_b32 s3, vcc_lo
	s_cbranch_execnz .LBB62_29
; %bb.21:
	s_or_b32 exec_lo, exec_lo, s3
	s_and_saveexec_b32 s3, s0
	s_cbranch_execnz .LBB62_30
.LBB62_22:
	s_or_b32 exec_lo, exec_lo, s3
	s_and_saveexec_b32 s0, s1
	s_cbranch_execnz .LBB62_31
.LBB62_23:
	s_or_b32 exec_lo, exec_lo, s0
	s_and_saveexec_b32 s0, s2
	s_cbranch_execnz .LBB62_32
.LBB62_24:
	s_nop 0
	s_sendmsg sendmsg(MSG_DEALLOC_VGPRS)
	s_endpgm
.LBB62_25:
	ds_load_b32 v16, v15
	s_or_b32 exec_lo, exec_lo, s5
	v_cmp_gt_u32_e64 s5, 32, v0
	s_delay_alu instid0(VALU_DEP_1)
	s_and_saveexec_b32 s7, s5
	s_cbranch_execz .LBB62_12
.LBB62_26:
	s_waitcnt lgkmcnt(0)
	ds_bpermute_b32 v17, v6, v16
	s_waitcnt lgkmcnt(0)
	v_cmp_lt_f32_e64 s6, v16, v17
	s_delay_alu instid0(VALU_DEP_1) | instskip(SKIP_3) | instid1(VALU_DEP_1)
	v_cndmask_b32_e64 v16, v16, v17, s6
	ds_bpermute_b32 v17, v10, v16
	s_waitcnt lgkmcnt(0)
	v_cmp_lt_f32_e64 s6, v16, v17
	v_cndmask_b32_e64 v16, v16, v17, s6
	ds_bpermute_b32 v17, v11, v16
	s_waitcnt lgkmcnt(0)
	v_cmp_lt_f32_e64 s6, v16, v17
	s_delay_alu instid0(VALU_DEP_1) | instskip(SKIP_3) | instid1(VALU_DEP_1)
	v_cndmask_b32_e64 v16, v16, v17, s6
	ds_bpermute_b32 v17, v12, v16
	s_waitcnt lgkmcnt(0)
	v_cmp_lt_f32_e64 s6, v16, v17
	v_cndmask_b32_e64 v16, v16, v17, s6
	ds_bpermute_b32 v17, v13, v16
	s_waitcnt lgkmcnt(0)
	v_cmp_lt_f32_e64 s6, v16, v17
	s_delay_alu instid0(VALU_DEP_1) | instskip(SKIP_2) | instid1(VALU_DEP_1)
	v_cndmask_b32_e64 v16, v16, v17, s6
	s_or_b32 exec_lo, exec_lo, s7
	v_cmp_eq_u32_e64 s6, 0, v0
	s_and_saveexec_b32 s7, s6
	s_cbranch_execnz .LBB62_13
	s_branch .LBB62_14
.LBB62_27:
	ds_load_b32 v16, v15
	s_or_b32 exec_lo, exec_lo, s3
	s_and_saveexec_b32 s3, s5
	s_cbranch_execz .LBB62_18
.LBB62_28:
	s_waitcnt lgkmcnt(0)
	ds_bpermute_b32 v4, v6, v16
	s_waitcnt lgkmcnt(0)
	v_add_f32_e32 v4, v16, v4
	ds_bpermute_b32 v6, v10, v4
	s_waitcnt lgkmcnt(0)
	v_add_f32_e32 v4, v4, v6
	;; [unrolled: 3-line block ×5, first 2 shown]
	s_or_b32 exec_lo, exec_lo, s3
	s_and_saveexec_b32 s3, s6
	s_cbranch_execnz .LBB62_19
	s_branch .LBB62_20
.LBB62_29:
	s_delay_alu instid0(VALU_DEP_1)
	v_sub_f32_e32 v0, v0, v4
	global_store_b32 v7, v0, s[4:5]
	s_or_b32 exec_lo, exec_lo, s3
	s_and_saveexec_b32 s3, s0
	s_cbranch_execz .LBB62_22
.LBB62_30:
	v_sub_f32_e32 v0, v1, v4
	global_store_b32 v8, v0, s[4:5]
	s_or_b32 exec_lo, exec_lo, s3
	s_and_saveexec_b32 s0, s1
	s_cbranch_execz .LBB62_23
.LBB62_31:
	v_sub_f32_e32 v0, v2, v4
	global_store_b32 v9, v0, s[4:5]
	s_or_b32 exec_lo, exec_lo, s0
	s_and_saveexec_b32 s0, s2
	s_cbranch_execz .LBB62_24
.LBB62_32:
	v_sub_f32_e32 v0, v3, v4
	global_store_b32 v5, v0, s[4:5]
	s_nop 0
	s_sendmsg sendmsg(MSG_DEALLOC_VGPRS)
	s_endpgm
	.section	.rodata,"a",@progbits
	.p2align	6, 0x0
	.amdhsa_kernel _ZN2at6native12_GLOBAL__N_122cunn_SoftMaxForwardRegIfffNS1_25LogSoftMaxForwardEpilogueElLi4EEEvPT1_PKT_T3_
		.amdhsa_group_segment_fixed_size 0
		.amdhsa_private_segment_fixed_size 0
		.amdhsa_kernarg_size 280
		.amdhsa_user_sgpr_count 15
		.amdhsa_user_sgpr_dispatch_ptr 0
		.amdhsa_user_sgpr_queue_ptr 0
		.amdhsa_user_sgpr_kernarg_segment_ptr 1
		.amdhsa_user_sgpr_dispatch_id 0
		.amdhsa_user_sgpr_private_segment_size 0
		.amdhsa_wavefront_size32 1
		.amdhsa_uses_dynamic_stack 0
		.amdhsa_enable_private_segment 0
		.amdhsa_system_sgpr_workgroup_id_x 1
		.amdhsa_system_sgpr_workgroup_id_y 0
		.amdhsa_system_sgpr_workgroup_id_z 0
		.amdhsa_system_sgpr_workgroup_info 0
		.amdhsa_system_vgpr_workitem_id 0
		.amdhsa_next_free_vgpr 26
		.amdhsa_next_free_sgpr 16
		.amdhsa_reserve_vcc 1
		.amdhsa_float_round_mode_32 0
		.amdhsa_float_round_mode_16_64 0
		.amdhsa_float_denorm_mode_32 3
		.amdhsa_float_denorm_mode_16_64 3
		.amdhsa_dx10_clamp 1
		.amdhsa_ieee_mode 1
		.amdhsa_fp16_overflow 0
		.amdhsa_workgroup_processor_mode 1
		.amdhsa_memory_ordered 1
		.amdhsa_forward_progress 0
		.amdhsa_shared_vgpr_count 0
		.amdhsa_exception_fp_ieee_invalid_op 0
		.amdhsa_exception_fp_denorm_src 0
		.amdhsa_exception_fp_ieee_div_zero 0
		.amdhsa_exception_fp_ieee_overflow 0
		.amdhsa_exception_fp_ieee_underflow 0
		.amdhsa_exception_fp_ieee_inexact 0
		.amdhsa_exception_int_div_zero 0
	.end_amdhsa_kernel
	.section	.text._ZN2at6native12_GLOBAL__N_122cunn_SoftMaxForwardRegIfffNS1_25LogSoftMaxForwardEpilogueElLi4EEEvPT1_PKT_T3_,"axG",@progbits,_ZN2at6native12_GLOBAL__N_122cunn_SoftMaxForwardRegIfffNS1_25LogSoftMaxForwardEpilogueElLi4EEEvPT1_PKT_T3_,comdat
.Lfunc_end62:
	.size	_ZN2at6native12_GLOBAL__N_122cunn_SoftMaxForwardRegIfffNS1_25LogSoftMaxForwardEpilogueElLi4EEEvPT1_PKT_T3_, .Lfunc_end62-_ZN2at6native12_GLOBAL__N_122cunn_SoftMaxForwardRegIfffNS1_25LogSoftMaxForwardEpilogueElLi4EEEvPT1_PKT_T3_
                                        ; -- End function
	.section	.AMDGPU.csdata,"",@progbits
; Kernel info:
; codeLenInByte = 2216
; NumSgprs: 18
; NumVgprs: 26
; ScratchSize: 0
; MemoryBound: 0
; FloatMode: 240
; IeeeMode: 1
; LDSByteSize: 0 bytes/workgroup (compile time only)
; SGPRBlocks: 2
; VGPRBlocks: 3
; NumSGPRsForWavesPerEU: 18
; NumVGPRsForWavesPerEU: 26
; Occupancy: 16
; WaveLimiterHint : 0
; COMPUTE_PGM_RSRC2:SCRATCH_EN: 0
; COMPUTE_PGM_RSRC2:USER_SGPR: 15
; COMPUTE_PGM_RSRC2:TRAP_HANDLER: 0
; COMPUTE_PGM_RSRC2:TGID_X_EN: 1
; COMPUTE_PGM_RSRC2:TGID_Y_EN: 0
; COMPUTE_PGM_RSRC2:TGID_Z_EN: 0
; COMPUTE_PGM_RSRC2:TIDIG_COMP_CNT: 0
	.section	.text._ZN2at6native12_GLOBAL__N_122cunn_SoftMaxForwardRegIfffNS1_25LogSoftMaxForwardEpilogueElLi5EEEvPT1_PKT_T3_,"axG",@progbits,_ZN2at6native12_GLOBAL__N_122cunn_SoftMaxForwardRegIfffNS1_25LogSoftMaxForwardEpilogueElLi5EEEvPT1_PKT_T3_,comdat
	.globl	_ZN2at6native12_GLOBAL__N_122cunn_SoftMaxForwardRegIfffNS1_25LogSoftMaxForwardEpilogueElLi5EEEvPT1_PKT_T3_ ; -- Begin function _ZN2at6native12_GLOBAL__N_122cunn_SoftMaxForwardRegIfffNS1_25LogSoftMaxForwardEpilogueElLi5EEEvPT1_PKT_T3_
	.p2align	8
	.type	_ZN2at6native12_GLOBAL__N_122cunn_SoftMaxForwardRegIfffNS1_25LogSoftMaxForwardEpilogueElLi5EEEvPT1_PKT_T3_,@function
_ZN2at6native12_GLOBAL__N_122cunn_SoftMaxForwardRegIfffNS1_25LogSoftMaxForwardEpilogueElLi5EEEvPT1_PKT_T3_: ; @_ZN2at6native12_GLOBAL__N_122cunn_SoftMaxForwardRegIfffNS1_25LogSoftMaxForwardEpilogueElLi5EEEvPT1_PKT_T3_
; %bb.0:
	s_clause 0x2
	s_load_b64 s[4:5], s[0:1], 0x10
	s_load_b128 s[16:19], s[0:1], 0x0
	s_load_b32 s0, s[0:1], 0x24
	v_dual_mov_b32 v7, 0 :: v_dual_lshlrev_b32 v8, 2, v0
	v_mov_b32_e32 v13, 0xff7fffff
	s_delay_alu instid0(VALU_DEP_2)
	v_mov_b32_e32 v1, v7
	s_waitcnt lgkmcnt(0)
	s_mul_i32 s1, s15, s5
	s_mul_hi_u32 s3, s15, s4
	s_mul_i32 s2, s15, s4
	s_add_i32 s3, s3, s1
	v_cmp_gt_i64_e32 vcc_lo, s[4:5], v[0:1]
	s_lshl_b64 s[10:11], s[2:3], 2
                                        ; implicit-def: $vgpr1_vgpr2_vgpr3_vgpr4_vgpr5
	s_delay_alu instid0(SALU_CYCLE_1)
	s_add_u32 s6, s18, s10
	s_addc_u32 s7, s19, s11
	s_and_saveexec_b32 s1, vcc_lo
	s_cbranch_execz .LBB63_2
; %bb.1:
	global_load_b32 v1, v8, s[6:7]
	s_waitcnt vmcnt(0)
	v_max_f32_e32 v2, v1, v1
	s_delay_alu instid0(VALU_DEP_1)
	v_max_f32_e32 v13, 0xff7fffff, v2
.LBB63_2:
	s_or_b32 exec_lo, exec_lo, s1
	s_and_b32 s8, 0xffff, s0
	s_delay_alu instid0(SALU_CYCLE_1) | instskip(NEXT) | instid1(VALU_DEP_1)
	v_add_nc_u32_e32 v6, s8, v0
	v_cmp_gt_i64_e64 s0, s[4:5], v[6:7]
	v_lshlrev_b32_e32 v9, 2, v6
	s_delay_alu instid0(VALU_DEP_2)
	s_and_saveexec_b32 s1, s0
	s_cbranch_execz .LBB63_4
; %bb.3:
	global_load_b32 v2, v9, s[6:7]
	s_waitcnt vmcnt(0)
	v_dual_max_f32 v10, v13, v13 :: v_dual_max_f32 v7, v2, v2
	s_delay_alu instid0(VALU_DEP_1)
	v_max_f32_e32 v13, v10, v7
.LBB63_4:
	s_or_b32 exec_lo, exec_lo, s1
	v_dual_mov_b32 v7, 0 :: v_dual_add_nc_u32 v6, s8, v6
	s_delay_alu instid0(VALU_DEP_1) | instskip(NEXT) | instid1(VALU_DEP_2)
	v_lshlrev_b32_e32 v10, 2, v6
	v_cmp_gt_i64_e64 s1, s[4:5], v[6:7]
	s_delay_alu instid0(VALU_DEP_1)
	s_and_saveexec_b32 s2, s1
	s_cbranch_execz .LBB63_6
; %bb.5:
	global_load_b32 v3, v10, s[6:7]
	s_waitcnt vmcnt(0)
	v_dual_max_f32 v12, v13, v13 :: v_dual_max_f32 v11, v3, v3
	s_delay_alu instid0(VALU_DEP_1)
	v_max_f32_e32 v13, v12, v11
.LBB63_6:
	s_or_b32 exec_lo, exec_lo, s2
	v_add_nc_u32_e32 v6, s8, v6
	s_delay_alu instid0(VALU_DEP_1) | instskip(SKIP_1) | instid1(VALU_DEP_2)
	v_cmp_gt_i64_e64 s2, s[4:5], v[6:7]
	v_lshlrev_b32_e32 v7, 2, v6
	s_and_saveexec_b32 s3, s2
	s_cbranch_execz .LBB63_8
; %bb.7:
	global_load_b32 v4, v7, s[6:7]
	s_waitcnt vmcnt(0)
	v_dual_max_f32 v12, v13, v13 :: v_dual_max_f32 v11, v4, v4
	s_delay_alu instid0(VALU_DEP_1)
	v_max_f32_e32 v13, v12, v11
.LBB63_8:
	s_or_b32 exec_lo, exec_lo, s3
	v_dual_mov_b32 v12, 0 :: v_dual_add_nc_u32 v11, s8, v6
	s_delay_alu instid0(VALU_DEP_1) | instskip(NEXT) | instid1(VALU_DEP_2)
	v_lshlrev_b32_e32 v6, 2, v11
	v_cmp_gt_i64_e64 s3, s[4:5], v[11:12]
	s_delay_alu instid0(VALU_DEP_1)
	s_and_saveexec_b32 s4, s3
	s_cbranch_execz .LBB63_10
; %bb.9:
	global_load_b32 v5, v6, s[6:7]
	v_max_f32_e32 v12, v13, v13
	s_waitcnt vmcnt(0)
	v_max_f32_e32 v11, v5, v5
	s_delay_alu instid0(VALU_DEP_1)
	v_max_f32_e32 v13, v12, v11
.LBB63_10:
	s_or_b32 exec_lo, exec_lo, s4
	v_mbcnt_lo_u32_b32 v15, -1, 0
	s_barrier
	buffer_gl0_inv
	v_cmp_gt_u32_e64 s4, 16, v15
	s_delay_alu instid0(VALU_DEP_1) | instskip(SKIP_1) | instid1(VALU_DEP_2)
	v_cndmask_b32_e64 v11, 0, 1, s4
	v_cmp_gt_u32_e64 s4, 24, v15
	v_lshlrev_b32_e32 v11, 4, v11
	s_delay_alu instid0(VALU_DEP_2) | instskip(NEXT) | instid1(VALU_DEP_2)
	v_cndmask_b32_e64 v12, 0, 1, s4
	v_add_lshl_u32 v11, v11, v15, 2
	s_delay_alu instid0(VALU_DEP_2) | instskip(SKIP_4) | instid1(VALU_DEP_1)
	v_lshlrev_b32_e32 v12, 3, v12
	ds_bpermute_b32 v14, v11, v13
	v_add_lshl_u32 v12, v12, v15, 2
	s_waitcnt lgkmcnt(0)
	v_cmp_lt_f32_e64 s4, v13, v14
	v_cndmask_b32_e64 v14, v13, v14, s4
	v_cmp_gt_u32_e64 s4, 28, v15
	ds_bpermute_b32 v16, v12, v14
	v_cndmask_b32_e64 v13, 0, 1, s4
	s_delay_alu instid0(VALU_DEP_1) | instskip(NEXT) | instid1(VALU_DEP_1)
	v_lshlrev_b32_e32 v13, 2, v13
	v_add_lshl_u32 v13, v13, v15, 2
	s_waitcnt lgkmcnt(0)
	v_cmp_lt_f32_e64 s4, v14, v16
	s_delay_alu instid0(VALU_DEP_1) | instskip(SKIP_3) | instid1(VALU_DEP_1)
	v_cndmask_b32_e64 v16, v14, v16, s4
	v_cmp_gt_u32_e64 s4, 30, v15
	ds_bpermute_b32 v17, v13, v16
	v_cndmask_b32_e64 v14, 0, 1, s4
	v_lshlrev_b32_e32 v14, 1, v14
	s_delay_alu instid0(VALU_DEP_1) | instskip(SKIP_2) | instid1(VALU_DEP_1)
	v_add_lshl_u32 v14, v14, v15, 2
	s_waitcnt lgkmcnt(0)
	v_cmp_lt_f32_e64 s4, v16, v17
	v_cndmask_b32_e64 v16, v16, v17, s4
	v_cmp_ne_u32_e64 s4, 31, v15
	ds_bpermute_b32 v17, v14, v16
	v_add_co_ci_u32_e64 v15, s4, 0, v15, s4
	s_delay_alu instid0(VALU_DEP_1) | instskip(SKIP_2) | instid1(VALU_DEP_1)
	v_lshlrev_b32_e32 v15, 2, v15
	s_waitcnt lgkmcnt(0)
	v_cmp_lt_f32_e64 s4, v16, v17
	v_cndmask_b32_e64 v18, v16, v17, s4
	v_and_b32_e32 v17, 31, v0
	v_lshrrev_b32_e32 v16, 3, v0
	ds_bpermute_b32 v19, v15, v18
	v_cmp_eq_u32_e64 s4, 0, v17
	s_delay_alu instid0(VALU_DEP_1) | instskip(NEXT) | instid1(SALU_CYCLE_1)
	s_and_saveexec_b32 s5, s4
	s_xor_b32 s6, exec_lo, s5
	s_cbranch_execz .LBB63_12
; %bb.11:
	s_waitcnt lgkmcnt(0)
	v_cmp_lt_f32_e64 s5, v18, v19
	v_add_nc_u32_e32 v20, 0, v16
	s_delay_alu instid0(VALU_DEP_2)
	v_cndmask_b32_e64 v18, v18, v19, s5
	ds_store_b32 v20, v18
.LBB63_12:
	s_or_b32 exec_lo, exec_lo, s6
	s_lshr_b32 s5, s8, 5
	v_mov_b32_e32 v18, 0xff7fffff
	v_cmp_gt_u32_e64 s5, s5, v0
	v_lshl_add_u32 v17, v17, 2, 0
	s_waitcnt lgkmcnt(0)
	s_barrier
	buffer_gl0_inv
	s_and_saveexec_b32 s6, s5
	s_cbranch_execnz .LBB63_28
; %bb.13:
	s_or_b32 exec_lo, exec_lo, s6
	v_cmp_gt_u32_e64 s6, 32, v0
	s_delay_alu instid0(VALU_DEP_1)
	s_and_saveexec_b32 s8, s6
	s_cbranch_execnz .LBB63_29
.LBB63_14:
	s_or_b32 exec_lo, exec_lo, s8
	v_cmp_eq_u32_e64 s7, 0, v0
	s_delay_alu instid0(VALU_DEP_1)
	s_and_saveexec_b32 s8, s7
	s_cbranch_execz .LBB63_16
.LBB63_15:
	v_mov_b32_e32 v0, 0
	s_waitcnt lgkmcnt(0)
	ds_store_b32 v0, v18
.LBB63_16:
	s_or_b32 exec_lo, exec_lo, s8
	s_waitcnt lgkmcnt(0)
	v_mov_b32_e32 v18, 0
	s_barrier
	buffer_gl0_inv
	ds_load_b32 v19, v18
	s_waitcnt lgkmcnt(0)
	s_barrier
	buffer_gl0_inv
	v_sub_f32_e32 v0, v1, v19
	v_sub_f32_e32 v1, v2, v19
	;; [unrolled: 1-line block ×4, first 2 shown]
	s_delay_alu instid0(VALU_DEP_3) | instskip(NEXT) | instid1(VALU_DEP_3)
	v_dual_sub_f32 v4, v5, v19 :: v_dual_mul_f32 v19, 0x3fb8aa3b, v1
	v_dual_mul_f32 v5, 0x3fb8aa3b, v0 :: v_dual_mul_f32 v20, 0x3fb8aa3b, v2
	v_cmp_ngt_f32_e64 s8, 0xc2ce8ed0, v0
	s_delay_alu instid0(VALU_DEP_3) | instskip(NEXT) | instid1(VALU_DEP_3)
	v_fma_f32 v25, 0x3fb8aa3b, v1, -v19
	v_fma_f32 v23, 0x3fb8aa3b, v0, -v5
	v_rndne_f32_e32 v24, v5
	v_rndne_f32_e32 v26, v19
	v_fma_f32 v27, 0x3fb8aa3b, v2, -v20
	v_rndne_f32_e32 v28, v20
	v_fmac_f32_e32 v23, 0x32a5705f, v0
	v_dual_mul_f32 v21, 0x3fb8aa3b, v3 :: v_dual_mul_f32 v22, 0x3fb8aa3b, v4
	s_delay_alu instid0(VALU_DEP_3) | instskip(SKIP_2) | instid1(VALU_DEP_4)
	v_dual_fmac_f32 v25, 0x32a5705f, v1 :: v_dual_sub_f32 v20, v20, v28
	v_fmac_f32_e32 v27, 0x32a5705f, v2
	v_sub_f32_e32 v5, v5, v24
	v_fma_f32 v30, 0x3fb8aa3b, v4, -v22
	v_sub_f32_e32 v19, v19, v26
	v_cvt_i32_f32_e32 v24, v24
	v_add_f32_e32 v20, v20, v27
	v_cvt_i32_f32_e32 v26, v26
	s_delay_alu instid0(VALU_DEP_4)
	v_dual_fmac_f32 v30, 0x32a5705f, v4 :: v_dual_add_f32 v19, v19, v25
	v_rndne_f32_e32 v25, v22
	v_add_f32_e32 v5, v5, v23
	v_exp_f32_e32 v20, v20
	v_cvt_i32_f32_e32 v28, v28
	v_fma_f32 v29, 0x3fb8aa3b, v3, -v21
	v_sub_f32_e32 v22, v22, v25
	v_exp_f32_e32 v5, v5
	v_rndne_f32_e32 v23, v21
	s_delay_alu instid0(VALU_DEP_2) | instskip(SKIP_1) | instid1(TRANS32_DEP_3)
	v_add_f32_e32 v22, v22, v30
	v_exp_f32_e32 v19, v19
	v_ldexp_f32 v20, v20, v28
	s_delay_alu instid0(VALU_DEP_3) | instskip(SKIP_1) | instid1(TRANS32_DEP_2)
	v_sub_f32_e32 v21, v21, v23
	v_cvt_i32_f32_e32 v23, v23
	v_ldexp_f32 v5, v5, v24
	s_waitcnt_depctr 0xfff
	v_ldexp_f32 v19, v19, v26
	v_cndmask_b32_e64 v5, 0, v5, s8
	v_cmp_ngt_f32_e64 s8, 0xc2ce8ed0, v1
	s_delay_alu instid0(VALU_DEP_1) | instskip(SKIP_1) | instid1(VALU_DEP_1)
	v_cndmask_b32_e64 v19, 0, v19, s8
	v_cmp_nlt_f32_e64 s8, 0x42b17218, v0
	v_cndmask_b32_e64 v5, 0x7f800000, v5, s8
	v_cmp_nlt_f32_e64 s8, 0x42b17218, v1
	s_delay_alu instid0(VALU_DEP_2) | instskip(NEXT) | instid1(VALU_DEP_2)
	v_cndmask_b32_e32 v5, 0, v5, vcc_lo
	v_cndmask_b32_e64 v19, 0x7f800000, v19, s8
	v_cmp_ngt_f32_e64 s8, 0xc2ce8ed0, v2
	s_delay_alu instid0(VALU_DEP_2) | instskip(NEXT) | instid1(VALU_DEP_2)
	v_add_f32_e32 v19, v5, v19
	v_cndmask_b32_e64 v20, 0, v20, s8
	v_cmp_nlt_f32_e64 s8, 0x42b17218, v2
	s_delay_alu instid0(VALU_DEP_3) | instskip(SKIP_1) | instid1(VALU_DEP_2)
	v_cndmask_b32_e64 v5, v5, v19, s0
	v_exp_f32_e32 v19, v22
	v_cndmask_b32_e64 v20, 0x7f800000, v20, s8
	v_cmp_ngt_f32_e64 s8, 0xc2ce8ed0, v3
	v_cvt_i32_f32_e32 v22, v25
	s_delay_alu instid0(VALU_DEP_3) | instskip(SKIP_4) | instid1(VALU_DEP_1)
	v_add_f32_e32 v20, v5, v20
	s_waitcnt_depctr 0xfff
	v_ldexp_f32 v19, v19, v22
	v_cndmask_b32_e64 v5, v5, v20, s1
	v_fmac_f32_e32 v29, 0x32a5705f, v3
	v_add_f32_e32 v21, v21, v29
	s_delay_alu instid0(VALU_DEP_1) | instskip(SKIP_2) | instid1(VALU_DEP_1)
	v_exp_f32_e32 v21, v21
	s_waitcnt_depctr 0xfff
	v_ldexp_f32 v21, v21, v23
	v_cndmask_b32_e64 v21, 0, v21, s8
	v_cmp_nlt_f32_e64 s8, 0x42b17218, v3
	s_delay_alu instid0(VALU_DEP_1) | instskip(SKIP_1) | instid1(VALU_DEP_2)
	v_cndmask_b32_e64 v21, 0x7f800000, v21, s8
	v_cmp_ngt_f32_e64 s8, 0xc2ce8ed0, v4
	v_add_f32_e32 v20, v5, v21
	s_delay_alu instid0(VALU_DEP_2) | instskip(SKIP_1) | instid1(VALU_DEP_3)
	v_cndmask_b32_e64 v19, 0, v19, s8
	v_cmp_nlt_f32_e64 s8, 0x42b17218, v4
	v_cndmask_b32_e64 v5, v5, v20, s2
	s_delay_alu instid0(VALU_DEP_2) | instskip(NEXT) | instid1(VALU_DEP_1)
	v_cndmask_b32_e64 v19, 0x7f800000, v19, s8
	v_add_f32_e32 v19, v5, v19
	s_delay_alu instid0(VALU_DEP_1)
	v_cndmask_b32_e64 v5, v5, v19, s3
	ds_bpermute_b32 v19, v11, v5
	s_waitcnt lgkmcnt(0)
	v_add_f32_e32 v5, v5, v19
	ds_bpermute_b32 v19, v12, v5
	s_waitcnt lgkmcnt(0)
	v_add_f32_e32 v5, v5, v19
	;; [unrolled: 3-line block ×4, first 2 shown]
	ds_bpermute_b32 v19, v15, v5
	s_and_saveexec_b32 s8, s4
	s_cbranch_execz .LBB63_18
; %bb.17:
	s_waitcnt lgkmcnt(0)
	v_dual_add_f32 v5, v5, v19 :: v_dual_add_nc_u32 v16, 0, v16
	ds_store_b32 v16, v5
.LBB63_18:
	s_or_b32 exec_lo, exec_lo, s8
	s_waitcnt lgkmcnt(0)
	s_barrier
	buffer_gl0_inv
	s_and_saveexec_b32 s4, s5
	s_cbranch_execnz .LBB63_30
; %bb.19:
	s_or_b32 exec_lo, exec_lo, s4
	s_and_saveexec_b32 s4, s6
	s_cbranch_execnz .LBB63_31
.LBB63_20:
	s_or_b32 exec_lo, exec_lo, s4
	s_and_saveexec_b32 s4, s7
	s_cbranch_execz .LBB63_22
.LBB63_21:
	v_mov_b32_e32 v5, 0
	s_waitcnt lgkmcnt(0)
	ds_store_b32 v5, v18
.LBB63_22:
	s_or_b32 exec_lo, exec_lo, s4
	v_mov_b32_e32 v5, 0
	s_waitcnt lgkmcnt(0)
	s_barrier
	buffer_gl0_inv
	ds_load_b32 v5, v5
	s_waitcnt lgkmcnt(0)
	v_cmp_gt_f32_e64 s4, 0x800000, v5
	s_delay_alu instid0(VALU_DEP_1) | instskip(NEXT) | instid1(VALU_DEP_1)
	v_cndmask_b32_e64 v11, 1.0, 0x4f800000, s4
	v_mul_f32_e32 v5, v5, v11
	s_delay_alu instid0(VALU_DEP_1) | instskip(SKIP_3) | instid1(VALU_DEP_2)
	v_log_f32_e32 v5, v5
	s_waitcnt_depctr 0xfff
	v_mul_f32_e32 v11, 0x3f317217, v5
	v_cmp_gt_f32_e64 s5, 0x7f800000, |v5|
	v_fma_f32 v12, 0x3f317217, v5, -v11
	s_delay_alu instid0(VALU_DEP_1) | instskip(NEXT) | instid1(VALU_DEP_1)
	v_fmamk_f32 v12, v5, 0x3377d1cf, v12
	v_add_f32_e32 v11, v11, v12
	s_delay_alu instid0(VALU_DEP_1) | instskip(SKIP_3) | instid1(VALU_DEP_1)
	v_cndmask_b32_e64 v5, v5, v11, s5
	v_cndmask_b32_e64 v11, 0, 0x41b17218, s4
	s_add_u32 s4, s16, s10
	s_addc_u32 s5, s17, s11
	v_sub_f32_e32 v5, v5, v11
	s_and_saveexec_b32 s6, vcc_lo
	s_cbranch_execnz .LBB63_32
; %bb.23:
	s_or_b32 exec_lo, exec_lo, s6
	s_and_saveexec_b32 s6, s0
	s_cbranch_execnz .LBB63_33
.LBB63_24:
	s_or_b32 exec_lo, exec_lo, s6
	s_and_saveexec_b32 s0, s1
	s_cbranch_execnz .LBB63_34
.LBB63_25:
	s_or_b32 exec_lo, exec_lo, s0
	s_and_saveexec_b32 s0, s2
	s_cbranch_execnz .LBB63_35
.LBB63_26:
	s_or_b32 exec_lo, exec_lo, s0
	s_and_saveexec_b32 s0, s3
	s_cbranch_execnz .LBB63_36
.LBB63_27:
	s_nop 0
	s_sendmsg sendmsg(MSG_DEALLOC_VGPRS)
	s_endpgm
.LBB63_28:
	ds_load_b32 v18, v17
	s_or_b32 exec_lo, exec_lo, s6
	v_cmp_gt_u32_e64 s6, 32, v0
	s_delay_alu instid0(VALU_DEP_1)
	s_and_saveexec_b32 s8, s6
	s_cbranch_execz .LBB63_14
.LBB63_29:
	s_waitcnt lgkmcnt(0)
	ds_bpermute_b32 v19, v11, v18
	s_waitcnt lgkmcnt(0)
	v_cmp_lt_f32_e64 s7, v18, v19
	s_delay_alu instid0(VALU_DEP_1) | instskip(SKIP_3) | instid1(VALU_DEP_1)
	v_cndmask_b32_e64 v18, v18, v19, s7
	ds_bpermute_b32 v19, v12, v18
	s_waitcnt lgkmcnt(0)
	v_cmp_lt_f32_e64 s7, v18, v19
	v_cndmask_b32_e64 v18, v18, v19, s7
	ds_bpermute_b32 v19, v13, v18
	s_waitcnt lgkmcnt(0)
	v_cmp_lt_f32_e64 s7, v18, v19
	s_delay_alu instid0(VALU_DEP_1) | instskip(SKIP_3) | instid1(VALU_DEP_1)
	v_cndmask_b32_e64 v18, v18, v19, s7
	ds_bpermute_b32 v19, v14, v18
	s_waitcnt lgkmcnt(0)
	v_cmp_lt_f32_e64 s7, v18, v19
	v_cndmask_b32_e64 v18, v18, v19, s7
	ds_bpermute_b32 v19, v15, v18
	s_waitcnt lgkmcnt(0)
	v_cmp_lt_f32_e64 s7, v18, v19
	s_delay_alu instid0(VALU_DEP_1) | instskip(SKIP_2) | instid1(VALU_DEP_1)
	v_cndmask_b32_e64 v18, v18, v19, s7
	s_or_b32 exec_lo, exec_lo, s8
	v_cmp_eq_u32_e64 s7, 0, v0
	s_and_saveexec_b32 s8, s7
	s_cbranch_execnz .LBB63_15
	s_branch .LBB63_16
.LBB63_30:
	ds_load_b32 v18, v17
	s_or_b32 exec_lo, exec_lo, s4
	s_and_saveexec_b32 s4, s6
	s_cbranch_execz .LBB63_20
.LBB63_31:
	s_waitcnt lgkmcnt(0)
	ds_bpermute_b32 v5, v11, v18
	s_waitcnt lgkmcnt(0)
	v_add_f32_e32 v5, v18, v5
	ds_bpermute_b32 v11, v12, v5
	s_waitcnt lgkmcnt(0)
	v_add_f32_e32 v5, v5, v11
	;; [unrolled: 3-line block ×5, first 2 shown]
	s_or_b32 exec_lo, exec_lo, s4
	s_and_saveexec_b32 s4, s7
	s_cbranch_execnz .LBB63_21
	s_branch .LBB63_22
.LBB63_32:
	s_delay_alu instid0(VALU_DEP_1)
	v_sub_f32_e32 v0, v0, v5
	global_store_b32 v8, v0, s[4:5]
	s_or_b32 exec_lo, exec_lo, s6
	s_and_saveexec_b32 s6, s0
	s_cbranch_execz .LBB63_24
.LBB63_33:
	v_sub_f32_e32 v0, v1, v5
	global_store_b32 v9, v0, s[4:5]
	s_or_b32 exec_lo, exec_lo, s6
	s_and_saveexec_b32 s0, s1
	s_cbranch_execz .LBB63_25
.LBB63_34:
	v_sub_f32_e32 v0, v2, v5
	global_store_b32 v10, v0, s[4:5]
	s_or_b32 exec_lo, exec_lo, s0
	s_and_saveexec_b32 s0, s2
	s_cbranch_execz .LBB63_26
.LBB63_35:
	v_sub_f32_e32 v0, v3, v5
	global_store_b32 v7, v0, s[4:5]
	s_or_b32 exec_lo, exec_lo, s0
	s_and_saveexec_b32 s0, s3
	s_cbranch_execz .LBB63_27
.LBB63_36:
	v_sub_f32_e32 v0, v4, v5
	global_store_b32 v6, v0, s[4:5]
	s_nop 0
	s_sendmsg sendmsg(MSG_DEALLOC_VGPRS)
	s_endpgm
	.section	.rodata,"a",@progbits
	.p2align	6, 0x0
	.amdhsa_kernel _ZN2at6native12_GLOBAL__N_122cunn_SoftMaxForwardRegIfffNS1_25LogSoftMaxForwardEpilogueElLi5EEEvPT1_PKT_T3_
		.amdhsa_group_segment_fixed_size 0
		.amdhsa_private_segment_fixed_size 0
		.amdhsa_kernarg_size 280
		.amdhsa_user_sgpr_count 15
		.amdhsa_user_sgpr_dispatch_ptr 0
		.amdhsa_user_sgpr_queue_ptr 0
		.amdhsa_user_sgpr_kernarg_segment_ptr 1
		.amdhsa_user_sgpr_dispatch_id 0
		.amdhsa_user_sgpr_private_segment_size 0
		.amdhsa_wavefront_size32 1
		.amdhsa_uses_dynamic_stack 0
		.amdhsa_enable_private_segment 0
		.amdhsa_system_sgpr_workgroup_id_x 1
		.amdhsa_system_sgpr_workgroup_id_y 0
		.amdhsa_system_sgpr_workgroup_id_z 0
		.amdhsa_system_sgpr_workgroup_info 0
		.amdhsa_system_vgpr_workitem_id 0
		.amdhsa_next_free_vgpr 31
		.amdhsa_next_free_sgpr 20
		.amdhsa_reserve_vcc 1
		.amdhsa_float_round_mode_32 0
		.amdhsa_float_round_mode_16_64 0
		.amdhsa_float_denorm_mode_32 3
		.amdhsa_float_denorm_mode_16_64 3
		.amdhsa_dx10_clamp 1
		.amdhsa_ieee_mode 1
		.amdhsa_fp16_overflow 0
		.amdhsa_workgroup_processor_mode 1
		.amdhsa_memory_ordered 1
		.amdhsa_forward_progress 0
		.amdhsa_shared_vgpr_count 0
		.amdhsa_exception_fp_ieee_invalid_op 0
		.amdhsa_exception_fp_denorm_src 0
		.amdhsa_exception_fp_ieee_div_zero 0
		.amdhsa_exception_fp_ieee_overflow 0
		.amdhsa_exception_fp_ieee_underflow 0
		.amdhsa_exception_fp_ieee_inexact 0
		.amdhsa_exception_int_div_zero 0
	.end_amdhsa_kernel
	.section	.text._ZN2at6native12_GLOBAL__N_122cunn_SoftMaxForwardRegIfffNS1_25LogSoftMaxForwardEpilogueElLi5EEEvPT1_PKT_T3_,"axG",@progbits,_ZN2at6native12_GLOBAL__N_122cunn_SoftMaxForwardRegIfffNS1_25LogSoftMaxForwardEpilogueElLi5EEEvPT1_PKT_T3_,comdat
.Lfunc_end63:
	.size	_ZN2at6native12_GLOBAL__N_122cunn_SoftMaxForwardRegIfffNS1_25LogSoftMaxForwardEpilogueElLi5EEEvPT1_PKT_T3_, .Lfunc_end63-_ZN2at6native12_GLOBAL__N_122cunn_SoftMaxForwardRegIfffNS1_25LogSoftMaxForwardEpilogueElLi5EEEvPT1_PKT_T3_
                                        ; -- End function
	.section	.AMDGPU.csdata,"",@progbits
; Kernel info:
; codeLenInByte = 2432
; NumSgprs: 22
; NumVgprs: 31
; ScratchSize: 0
; MemoryBound: 0
; FloatMode: 240
; IeeeMode: 1
; LDSByteSize: 0 bytes/workgroup (compile time only)
; SGPRBlocks: 2
; VGPRBlocks: 3
; NumSGPRsForWavesPerEU: 22
; NumVGPRsForWavesPerEU: 31
; Occupancy: 16
; WaveLimiterHint : 0
; COMPUTE_PGM_RSRC2:SCRATCH_EN: 0
; COMPUTE_PGM_RSRC2:USER_SGPR: 15
; COMPUTE_PGM_RSRC2:TRAP_HANDLER: 0
; COMPUTE_PGM_RSRC2:TGID_X_EN: 1
; COMPUTE_PGM_RSRC2:TGID_Y_EN: 0
; COMPUTE_PGM_RSRC2:TGID_Z_EN: 0
; COMPUTE_PGM_RSRC2:TIDIG_COMP_CNT: 0
	.section	.text._ZN2at6native12_GLOBAL__N_122cunn_SoftMaxForwardRegIfffNS1_25LogSoftMaxForwardEpilogueElLi6EEEvPT1_PKT_T3_,"axG",@progbits,_ZN2at6native12_GLOBAL__N_122cunn_SoftMaxForwardRegIfffNS1_25LogSoftMaxForwardEpilogueElLi6EEEvPT1_PKT_T3_,comdat
	.globl	_ZN2at6native12_GLOBAL__N_122cunn_SoftMaxForwardRegIfffNS1_25LogSoftMaxForwardEpilogueElLi6EEEvPT1_PKT_T3_ ; -- Begin function _ZN2at6native12_GLOBAL__N_122cunn_SoftMaxForwardRegIfffNS1_25LogSoftMaxForwardEpilogueElLi6EEEvPT1_PKT_T3_
	.p2align	8
	.type	_ZN2at6native12_GLOBAL__N_122cunn_SoftMaxForwardRegIfffNS1_25LogSoftMaxForwardEpilogueElLi6EEEvPT1_PKT_T3_,@function
_ZN2at6native12_GLOBAL__N_122cunn_SoftMaxForwardRegIfffNS1_25LogSoftMaxForwardEpilogueElLi6EEEvPT1_PKT_T3_: ; @_ZN2at6native12_GLOBAL__N_122cunn_SoftMaxForwardRegIfffNS1_25LogSoftMaxForwardEpilogueElLi6EEEvPT1_PKT_T3_
; %bb.0:
	s_clause 0x2
	s_load_b64 s[4:5], s[0:1], 0x10
	s_load_b128 s[16:19], s[0:1], 0x0
	s_load_b32 s0, s[0:1], 0x24
	v_dual_mov_b32 v8, 0 :: v_dual_mov_b32 v15, 0xff7fffff
	v_lshlrev_b32_e32 v9, 2, v0
	s_delay_alu instid0(VALU_DEP_2)
	v_mov_b32_e32 v1, v8
	s_waitcnt lgkmcnt(0)
	s_mul_i32 s1, s15, s5
	s_mul_hi_u32 s3, s15, s4
	s_mul_i32 s2, s15, s4
	s_add_i32 s3, s3, s1
	v_cmp_gt_i64_e32 vcc_lo, s[4:5], v[0:1]
	s_lshl_b64 s[10:11], s[2:3], 2
                                        ; implicit-def: $vgpr1_vgpr2_vgpr3_vgpr4_vgpr5_vgpr6
	s_delay_alu instid0(SALU_CYCLE_1)
	s_add_u32 s6, s18, s10
	s_addc_u32 s7, s19, s11
	s_and_saveexec_b32 s1, vcc_lo
	s_cbranch_execz .LBB64_2
; %bb.1:
	global_load_b32 v1, v9, s[6:7]
	s_waitcnt vmcnt(0)
	v_max_f32_e32 v2, v1, v1
	s_delay_alu instid0(VALU_DEP_1)
	v_max_f32_e32 v15, 0xff7fffff, v2
.LBB64_2:
	s_or_b32 exec_lo, exec_lo, s1
	s_and_b32 s8, 0xffff, s0
	s_delay_alu instid0(SALU_CYCLE_1) | instskip(NEXT) | instid1(VALU_DEP_1)
	v_add_nc_u32_e32 v7, s8, v0
	v_cmp_gt_i64_e64 s0, s[4:5], v[7:8]
	v_lshlrev_b32_e32 v10, 2, v7
	s_delay_alu instid0(VALU_DEP_2)
	s_and_saveexec_b32 s1, s0
	s_cbranch_execz .LBB64_4
; %bb.3:
	global_load_b32 v2, v10, s[6:7]
	s_waitcnt vmcnt(0)
	v_dual_max_f32 v11, v15, v15 :: v_dual_max_f32 v8, v2, v2
	s_delay_alu instid0(VALU_DEP_1)
	v_max_f32_e32 v15, v11, v8
.LBB64_4:
	s_or_b32 exec_lo, exec_lo, s1
	v_dual_mov_b32 v8, 0 :: v_dual_add_nc_u32 v7, s8, v7
	s_delay_alu instid0(VALU_DEP_1) | instskip(NEXT) | instid1(VALU_DEP_2)
	v_lshlrev_b32_e32 v11, 2, v7
	v_cmp_gt_i64_e64 s1, s[4:5], v[7:8]
	s_delay_alu instid0(VALU_DEP_1)
	s_and_saveexec_b32 s2, s1
	s_cbranch_execz .LBB64_6
; %bb.5:
	global_load_b32 v3, v11, s[6:7]
	v_max_f32_e32 v13, v15, v15
	s_waitcnt vmcnt(0)
	v_max_f32_e32 v12, v3, v3
	s_delay_alu instid0(VALU_DEP_1)
	v_max_f32_e32 v15, v13, v12
.LBB64_6:
	s_or_b32 exec_lo, exec_lo, s2
	v_add_nc_u32_e32 v7, s8, v7
	s_delay_alu instid0(VALU_DEP_1) | instskip(SKIP_1) | instid1(VALU_DEP_2)
	v_cmp_gt_i64_e64 s2, s[4:5], v[7:8]
	v_lshlrev_b32_e32 v12, 2, v7
	s_and_saveexec_b32 s3, s2
	s_cbranch_execz .LBB64_8
; %bb.7:
	global_load_b32 v4, v12, s[6:7]
	s_waitcnt vmcnt(0)
	v_dual_max_f32 v13, v15, v15 :: v_dual_max_f32 v8, v4, v4
	s_delay_alu instid0(VALU_DEP_1)
	v_max_f32_e32 v15, v13, v8
.LBB64_8:
	s_or_b32 exec_lo, exec_lo, s3
	v_dual_mov_b32 v8, 0 :: v_dual_add_nc_u32 v7, s8, v7
	s_delay_alu instid0(VALU_DEP_1) | instskip(NEXT) | instid1(VALU_DEP_2)
	v_lshlrev_b32_e32 v13, 2, v7
	v_cmp_gt_i64_e64 s3, s[4:5], v[7:8]
	s_delay_alu instid0(VALU_DEP_1)
	s_and_saveexec_b32 s9, s3
	s_cbranch_execz .LBB64_10
; %bb.9:
	global_load_b32 v5, v13, s[6:7]
	s_waitcnt vmcnt(0)
	v_dual_max_f32 v15, v15, v15 :: v_dual_max_f32 v14, v5, v5
	s_delay_alu instid0(VALU_DEP_1)
	v_max_f32_e32 v15, v15, v14
.LBB64_10:
	s_or_b32 exec_lo, exec_lo, s9
	v_add_nc_u32_e32 v7, s8, v7
	s_delay_alu instid0(VALU_DEP_1) | instskip(SKIP_1) | instid1(VALU_DEP_2)
	v_cmp_gt_i64_e64 s4, s[4:5], v[7:8]
	v_lshlrev_b32_e32 v7, 2, v7
	s_and_saveexec_b32 s5, s4
	s_cbranch_execz .LBB64_12
; %bb.11:
	global_load_b32 v6, v7, s[6:7]
	v_max_f32_e32 v14, v15, v15
	s_waitcnt vmcnt(0)
	v_max_f32_e32 v8, v6, v6
	s_delay_alu instid0(VALU_DEP_1)
	v_max_f32_e32 v15, v14, v8
.LBB64_12:
	s_or_b32 exec_lo, exec_lo, s5
	v_mbcnt_lo_u32_b32 v17, -1, 0
	s_barrier
	buffer_gl0_inv
	v_cmp_gt_u32_e64 s5, 16, v17
	s_delay_alu instid0(VALU_DEP_1) | instskip(SKIP_1) | instid1(VALU_DEP_2)
	v_cndmask_b32_e64 v8, 0, 1, s5
	v_cmp_gt_u32_e64 s5, 24, v17
	v_lshlrev_b32_e32 v8, 4, v8
	s_delay_alu instid0(VALU_DEP_2) | instskip(NEXT) | instid1(VALU_DEP_2)
	v_cndmask_b32_e64 v14, 0, 1, s5
	v_add_lshl_u32 v8, v8, v17, 2
	s_delay_alu instid0(VALU_DEP_2) | instskip(SKIP_4) | instid1(VALU_DEP_1)
	v_lshlrev_b32_e32 v14, 3, v14
	ds_bpermute_b32 v16, v8, v15
	v_add_lshl_u32 v14, v14, v17, 2
	s_waitcnt lgkmcnt(0)
	v_cmp_lt_f32_e64 s5, v15, v16
	v_cndmask_b32_e64 v16, v15, v16, s5
	v_cmp_gt_u32_e64 s5, 28, v17
	ds_bpermute_b32 v18, v14, v16
	v_cndmask_b32_e64 v15, 0, 1, s5
	s_delay_alu instid0(VALU_DEP_1) | instskip(NEXT) | instid1(VALU_DEP_1)
	v_lshlrev_b32_e32 v15, 2, v15
	v_add_lshl_u32 v15, v15, v17, 2
	s_waitcnt lgkmcnt(0)
	v_cmp_lt_f32_e64 s5, v16, v18
	s_delay_alu instid0(VALU_DEP_1) | instskip(SKIP_3) | instid1(VALU_DEP_1)
	v_cndmask_b32_e64 v18, v16, v18, s5
	v_cmp_gt_u32_e64 s5, 30, v17
	ds_bpermute_b32 v19, v15, v18
	v_cndmask_b32_e64 v16, 0, 1, s5
	v_lshlrev_b32_e32 v16, 1, v16
	s_delay_alu instid0(VALU_DEP_1) | instskip(SKIP_2) | instid1(VALU_DEP_1)
	v_add_lshl_u32 v16, v16, v17, 2
	s_waitcnt lgkmcnt(0)
	v_cmp_lt_f32_e64 s5, v18, v19
	v_cndmask_b32_e64 v18, v18, v19, s5
	v_cmp_ne_u32_e64 s5, 31, v17
	ds_bpermute_b32 v19, v16, v18
	v_add_co_ci_u32_e64 v17, s5, 0, v17, s5
	s_delay_alu instid0(VALU_DEP_1) | instskip(SKIP_2) | instid1(VALU_DEP_1)
	v_lshlrev_b32_e32 v17, 2, v17
	s_waitcnt lgkmcnt(0)
	v_cmp_lt_f32_e64 s5, v18, v19
	v_cndmask_b32_e64 v20, v18, v19, s5
	v_and_b32_e32 v19, 31, v0
	v_lshrrev_b32_e32 v18, 3, v0
	ds_bpermute_b32 v21, v17, v20
	v_cmp_eq_u32_e64 s5, 0, v19
	s_delay_alu instid0(VALU_DEP_1) | instskip(NEXT) | instid1(SALU_CYCLE_1)
	s_and_saveexec_b32 s6, s5
	s_xor_b32 s7, exec_lo, s6
	s_cbranch_execz .LBB64_14
; %bb.13:
	s_waitcnt lgkmcnt(0)
	v_cmp_lt_f32_e64 s6, v20, v21
	v_add_nc_u32_e32 v22, 0, v18
	s_delay_alu instid0(VALU_DEP_2)
	v_cndmask_b32_e64 v20, v20, v21, s6
	ds_store_b32 v22, v20
.LBB64_14:
	s_or_b32 exec_lo, exec_lo, s7
	s_lshr_b32 s6, s8, 5
	v_mov_b32_e32 v20, 0xff7fffff
	v_cmp_gt_u32_e64 s6, s6, v0
	v_lshl_add_u32 v19, v19, 2, 0
	s_waitcnt lgkmcnt(0)
	s_barrier
	buffer_gl0_inv
	s_and_saveexec_b32 s7, s6
	s_cbranch_execnz .LBB64_31
; %bb.15:
	s_or_b32 exec_lo, exec_lo, s7
	v_cmp_gt_u32_e64 s7, 32, v0
	s_delay_alu instid0(VALU_DEP_1)
	s_and_saveexec_b32 s9, s7
	s_cbranch_execnz .LBB64_32
.LBB64_16:
	s_or_b32 exec_lo, exec_lo, s9
	v_cmp_eq_u32_e64 s8, 0, v0
	s_delay_alu instid0(VALU_DEP_1)
	s_and_saveexec_b32 s9, s8
	s_cbranch_execz .LBB64_18
.LBB64_17:
	v_mov_b32_e32 v0, 0
	s_waitcnt lgkmcnt(0)
	ds_store_b32 v0, v20
.LBB64_18:
	s_or_b32 exec_lo, exec_lo, s9
	s_waitcnt lgkmcnt(0)
	v_mov_b32_e32 v20, 0
	s_barrier
	buffer_gl0_inv
	ds_load_b32 v21, v20
	s_waitcnt lgkmcnt(0)
	s_barrier
	buffer_gl0_inv
	v_sub_f32_e32 v0, v1, v21
	v_sub_f32_e32 v1, v2, v21
	;; [unrolled: 1-line block ×6, first 2 shown]
	s_delay_alu instid0(VALU_DEP_3) | instskip(SKIP_1) | instid1(VALU_DEP_2)
	v_dual_mul_f32 v23, 0x3fb8aa3b, v3 :: v_dual_mul_f32 v6, 0x3fb8aa3b, v0
	v_cmp_ngt_f32_e64 s9, 0xc2ce8ed0, v0
	v_fma_f32 v32, 0x3fb8aa3b, v3, -v23
	v_rndne_f32_e32 v33, v23
	s_delay_alu instid0(VALU_DEP_4) | instskip(SKIP_1) | instid1(VALU_DEP_3)
	v_fma_f32 v26, 0x3fb8aa3b, v0, -v6
	v_rndne_f32_e32 v27, v6
	v_dual_fmac_f32 v32, 0x32a5705f, v3 :: v_dual_sub_f32 v23, v23, v33
	s_delay_alu instid0(VALU_DEP_2) | instskip(SKIP_1) | instid1(VALU_DEP_3)
	v_sub_f32_e32 v6, v6, v27
	v_cvt_i32_f32_e32 v27, v27
	v_add_f32_e32 v23, v23, v32
	v_dual_mul_f32 v21, 0x3fb8aa3b, v1 :: v_dual_mul_f32 v24, 0x3fb8aa3b, v4
	s_delay_alu instid0(VALU_DEP_2) | instskip(NEXT) | instid1(VALU_DEP_1)
	v_exp_f32_e32 v23, v23
	v_fma_f32 v28, 0x3fb8aa3b, v1, -v21
	v_rndne_f32_e32 v29, v21
	v_fmac_f32_e32 v26, 0x32a5705f, v0
	v_fma_f32 v34, 0x3fb8aa3b, v4, -v24
	v_rndne_f32_e32 v35, v24
	v_fmac_f32_e32 v28, 0x32a5705f, v1
	s_delay_alu instid0(VALU_DEP_2) | instskip(NEXT) | instid1(VALU_DEP_1)
	v_dual_sub_f32 v21, v21, v29 :: v_dual_sub_f32 v24, v24, v35
	v_dual_add_f32 v21, v21, v28 :: v_dual_mul_f32 v22, 0x3fb8aa3b, v2
	v_mul_f32_e32 v25, 0x3fb8aa3b, v5
	v_cvt_i32_f32_e32 v28, v29
	s_delay_alu instid0(VALU_DEP_3) | instskip(NEXT) | instid1(VALU_DEP_3)
	v_exp_f32_e32 v21, v21
	v_fma_f32 v30, 0x3fb8aa3b, v2, -v22
	s_delay_alu instid0(VALU_DEP_3) | instskip(SKIP_1) | instid1(VALU_DEP_2)
	v_fma_f32 v36, 0x3fb8aa3b, v5, -v25
	v_rndne_f32_e32 v31, v22
	v_fmac_f32_e32 v36, 0x32a5705f, v5
	v_add_f32_e32 v6, v6, v26
	s_delay_alu instid0(VALU_DEP_3) | instskip(NEXT) | instid1(TRANS32_DEP_1)
	v_sub_f32_e32 v22, v22, v31
	v_ldexp_f32 v21, v21, v28
	v_cvt_i32_f32_e32 v29, v31
	v_rndne_f32_e32 v26, v25
	v_exp_f32_e32 v6, v6
	s_waitcnt_depctr 0xfff
	v_ldexp_f32 v6, v6, v27
	s_delay_alu instid0(VALU_DEP_1) | instskip(SKIP_1) | instid1(VALU_DEP_1)
	v_cndmask_b32_e64 v6, 0, v6, s9
	v_cmp_ngt_f32_e64 s9, 0xc2ce8ed0, v1
	v_cndmask_b32_e64 v21, 0, v21, s9
	v_cmp_nlt_f32_e64 s9, 0x42b17218, v0
	s_delay_alu instid0(VALU_DEP_1) | instskip(SKIP_1) | instid1(VALU_DEP_2)
	v_cndmask_b32_e64 v6, 0x7f800000, v6, s9
	v_cmp_nlt_f32_e64 s9, 0x42b17218, v1
	v_cndmask_b32_e32 v6, 0, v6, vcc_lo
	s_delay_alu instid0(VALU_DEP_2) | instskip(SKIP_2) | instid1(VALU_DEP_3)
	v_cndmask_b32_e64 v21, 0x7f800000, v21, s9
	v_fmac_f32_e32 v30, 0x32a5705f, v2
	v_cmp_ngt_f32_e64 s9, 0xc2ce8ed0, v2
	v_add_f32_e32 v21, v6, v21
	s_delay_alu instid0(VALU_DEP_3) | instskip(SKIP_1) | instid1(VALU_DEP_3)
	v_add_f32_e32 v22, v22, v30
	v_cvt_i32_f32_e32 v30, v33
	v_cndmask_b32_e64 v6, v6, v21, s0
	s_delay_alu instid0(VALU_DEP_3) | instskip(NEXT) | instid1(VALU_DEP_2)
	v_exp_f32_e32 v22, v22
	v_ldexp_f32 v23, v23, v30
	v_sub_f32_e32 v21, v25, v26
	v_cvt_i32_f32_e32 v25, v35
	s_delay_alu instid0(VALU_DEP_2) | instskip(SKIP_3) | instid1(VALU_DEP_1)
	v_add_f32_e32 v21, v21, v36
	s_waitcnt_depctr 0xfff
	v_ldexp_f32 v22, v22, v29
	v_exp_f32_e32 v21, v21
	v_cndmask_b32_e64 v22, 0, v22, s9
	v_cmp_nlt_f32_e64 s9, 0x42b17218, v2
	s_delay_alu instid0(VALU_DEP_1) | instskip(SKIP_1) | instid1(VALU_DEP_2)
	v_cndmask_b32_e64 v22, 0x7f800000, v22, s9
	v_cmp_ngt_f32_e64 s9, 0xc2ce8ed0, v3
	v_add_f32_e32 v22, v6, v22
	s_delay_alu instid0(VALU_DEP_2) | instskip(SKIP_1) | instid1(VALU_DEP_3)
	v_cndmask_b32_e64 v23, 0, v23, s9
	v_cmp_nlt_f32_e64 s9, 0x42b17218, v3
	v_cndmask_b32_e64 v6, v6, v22, s1
	s_delay_alu instid0(VALU_DEP_2) | instskip(SKIP_2) | instid1(VALU_DEP_2)
	v_cndmask_b32_e64 v23, 0x7f800000, v23, s9
	v_fmac_f32_e32 v34, 0x32a5705f, v4
	v_cmp_ngt_f32_e64 s9, 0xc2ce8ed0, v4
	v_dual_add_f32 v23, v6, v23 :: v_dual_add_f32 v24, v24, v34
	s_delay_alu instid0(VALU_DEP_1) | instskip(NEXT) | instid1(VALU_DEP_2)
	v_cndmask_b32_e64 v6, v6, v23, s2
	v_exp_f32_e32 v24, v24
	s_waitcnt_depctr 0xfff
	v_ldexp_f32 v24, v24, v25
	s_delay_alu instid0(VALU_DEP_1) | instskip(SKIP_2) | instid1(VALU_DEP_2)
	v_cndmask_b32_e64 v22, 0, v24, s9
	v_cvt_i32_f32_e32 v24, v26
	v_cmp_nlt_f32_e64 s9, 0x42b17218, v4
	v_ldexp_f32 v21, v21, v24
	s_delay_alu instid0(VALU_DEP_2) | instskip(SKIP_1) | instid1(VALU_DEP_2)
	v_cndmask_b32_e64 v22, 0x7f800000, v22, s9
	v_cmp_ngt_f32_e64 s9, 0xc2ce8ed0, v5
	v_add_f32_e32 v22, v6, v22
	s_delay_alu instid0(VALU_DEP_2) | instskip(SKIP_1) | instid1(VALU_DEP_3)
	v_cndmask_b32_e64 v21, 0, v21, s9
	v_cmp_nlt_f32_e64 s9, 0x42b17218, v5
	v_cndmask_b32_e64 v6, v6, v22, s3
	s_delay_alu instid0(VALU_DEP_2) | instskip(NEXT) | instid1(VALU_DEP_1)
	v_cndmask_b32_e64 v21, 0x7f800000, v21, s9
	v_add_f32_e32 v21, v6, v21
	s_delay_alu instid0(VALU_DEP_1)
	v_cndmask_b32_e64 v6, v6, v21, s4
	ds_bpermute_b32 v21, v8, v6
	s_waitcnt lgkmcnt(0)
	v_add_f32_e32 v6, v6, v21
	ds_bpermute_b32 v21, v14, v6
	s_waitcnt lgkmcnt(0)
	v_add_f32_e32 v6, v6, v21
	;; [unrolled: 3-line block ×4, first 2 shown]
	ds_bpermute_b32 v21, v17, v6
	s_and_saveexec_b32 s9, s5
	s_cbranch_execz .LBB64_20
; %bb.19:
	v_add_nc_u32_e32 v18, 0, v18
	s_waitcnt lgkmcnt(0)
	v_add_f32_e32 v6, v6, v21
	ds_store_b32 v18, v6
.LBB64_20:
	s_or_b32 exec_lo, exec_lo, s9
	s_waitcnt lgkmcnt(0)
	s_barrier
	buffer_gl0_inv
	s_and_saveexec_b32 s5, s6
	s_cbranch_execnz .LBB64_33
; %bb.21:
	s_or_b32 exec_lo, exec_lo, s5
	s_and_saveexec_b32 s5, s7
	s_cbranch_execnz .LBB64_34
.LBB64_22:
	s_or_b32 exec_lo, exec_lo, s5
	s_and_saveexec_b32 s5, s8
	s_cbranch_execz .LBB64_24
.LBB64_23:
	v_mov_b32_e32 v6, 0
	s_waitcnt lgkmcnt(0)
	ds_store_b32 v6, v20
.LBB64_24:
	s_or_b32 exec_lo, exec_lo, s5
	v_mov_b32_e32 v6, 0
	s_waitcnt lgkmcnt(0)
	s_barrier
	buffer_gl0_inv
	ds_load_b32 v6, v6
	s_waitcnt lgkmcnt(0)
	v_cmp_gt_f32_e64 s5, 0x800000, v6
	s_delay_alu instid0(VALU_DEP_1) | instskip(NEXT) | instid1(VALU_DEP_1)
	v_cndmask_b32_e64 v8, 1.0, 0x4f800000, s5
	v_mul_f32_e32 v6, v6, v8
	s_delay_alu instid0(VALU_DEP_1) | instskip(SKIP_3) | instid1(VALU_DEP_2)
	v_log_f32_e32 v6, v6
	s_waitcnt_depctr 0xfff
	v_mul_f32_e32 v8, 0x3f317217, v6
	v_cmp_gt_f32_e64 s6, 0x7f800000, |v6|
	v_fma_f32 v14, 0x3f317217, v6, -v8
	s_delay_alu instid0(VALU_DEP_1) | instskip(NEXT) | instid1(VALU_DEP_1)
	v_fmamk_f32 v14, v6, 0x3377d1cf, v14
	v_add_f32_e32 v8, v8, v14
	s_delay_alu instid0(VALU_DEP_1) | instskip(SKIP_3) | instid1(VALU_DEP_1)
	v_cndmask_b32_e64 v6, v6, v8, s6
	v_cndmask_b32_e64 v8, 0, 0x41b17218, s5
	s_add_u32 s6, s16, s10
	s_addc_u32 s7, s17, s11
	v_sub_f32_e32 v6, v6, v8
	s_and_saveexec_b32 s5, vcc_lo
	s_cbranch_execnz .LBB64_35
; %bb.25:
	s_or_b32 exec_lo, exec_lo, s5
	s_and_saveexec_b32 s5, s0
	s_cbranch_execnz .LBB64_36
.LBB64_26:
	s_or_b32 exec_lo, exec_lo, s5
	s_and_saveexec_b32 s0, s1
	s_cbranch_execnz .LBB64_37
.LBB64_27:
	s_or_b32 exec_lo, exec_lo, s0
	s_and_saveexec_b32 s0, s2
	s_cbranch_execnz .LBB64_38
.LBB64_28:
	s_or_b32 exec_lo, exec_lo, s0
	s_and_saveexec_b32 s0, s3
	s_cbranch_execnz .LBB64_39
.LBB64_29:
	s_or_b32 exec_lo, exec_lo, s0
	s_and_saveexec_b32 s0, s4
	s_cbranch_execnz .LBB64_40
.LBB64_30:
	s_nop 0
	s_sendmsg sendmsg(MSG_DEALLOC_VGPRS)
	s_endpgm
.LBB64_31:
	ds_load_b32 v20, v19
	s_or_b32 exec_lo, exec_lo, s7
	v_cmp_gt_u32_e64 s7, 32, v0
	s_delay_alu instid0(VALU_DEP_1)
	s_and_saveexec_b32 s9, s7
	s_cbranch_execz .LBB64_16
.LBB64_32:
	s_waitcnt lgkmcnt(0)
	ds_bpermute_b32 v21, v8, v20
	s_waitcnt lgkmcnt(0)
	v_cmp_lt_f32_e64 s8, v20, v21
	s_delay_alu instid0(VALU_DEP_1) | instskip(SKIP_3) | instid1(VALU_DEP_1)
	v_cndmask_b32_e64 v20, v20, v21, s8
	ds_bpermute_b32 v21, v14, v20
	s_waitcnt lgkmcnt(0)
	v_cmp_lt_f32_e64 s8, v20, v21
	v_cndmask_b32_e64 v20, v20, v21, s8
	ds_bpermute_b32 v21, v15, v20
	s_waitcnt lgkmcnt(0)
	v_cmp_lt_f32_e64 s8, v20, v21
	s_delay_alu instid0(VALU_DEP_1) | instskip(SKIP_3) | instid1(VALU_DEP_1)
	v_cndmask_b32_e64 v20, v20, v21, s8
	ds_bpermute_b32 v21, v16, v20
	s_waitcnt lgkmcnt(0)
	v_cmp_lt_f32_e64 s8, v20, v21
	v_cndmask_b32_e64 v20, v20, v21, s8
	ds_bpermute_b32 v21, v17, v20
	s_waitcnt lgkmcnt(0)
	v_cmp_lt_f32_e64 s8, v20, v21
	s_delay_alu instid0(VALU_DEP_1) | instskip(SKIP_2) | instid1(VALU_DEP_1)
	v_cndmask_b32_e64 v20, v20, v21, s8
	s_or_b32 exec_lo, exec_lo, s9
	v_cmp_eq_u32_e64 s8, 0, v0
	s_and_saveexec_b32 s9, s8
	s_cbranch_execnz .LBB64_17
	s_branch .LBB64_18
.LBB64_33:
	ds_load_b32 v20, v19
	s_or_b32 exec_lo, exec_lo, s5
	s_and_saveexec_b32 s5, s7
	s_cbranch_execz .LBB64_22
.LBB64_34:
	s_waitcnt lgkmcnt(0)
	ds_bpermute_b32 v6, v8, v20
	s_waitcnt lgkmcnt(0)
	v_add_f32_e32 v6, v20, v6
	ds_bpermute_b32 v8, v14, v6
	s_waitcnt lgkmcnt(0)
	v_add_f32_e32 v6, v6, v8
	;; [unrolled: 3-line block ×5, first 2 shown]
	s_or_b32 exec_lo, exec_lo, s5
	s_and_saveexec_b32 s5, s8
	s_cbranch_execnz .LBB64_23
	s_branch .LBB64_24
.LBB64_35:
	s_delay_alu instid0(VALU_DEP_1)
	v_sub_f32_e32 v0, v0, v6
	global_store_b32 v9, v0, s[6:7]
	s_or_b32 exec_lo, exec_lo, s5
	s_and_saveexec_b32 s5, s0
	s_cbranch_execz .LBB64_26
.LBB64_36:
	v_sub_f32_e32 v0, v1, v6
	global_store_b32 v10, v0, s[6:7]
	s_or_b32 exec_lo, exec_lo, s5
	s_and_saveexec_b32 s0, s1
	s_cbranch_execz .LBB64_27
.LBB64_37:
	v_sub_f32_e32 v0, v2, v6
	global_store_b32 v11, v0, s[6:7]
	s_or_b32 exec_lo, exec_lo, s0
	s_and_saveexec_b32 s0, s2
	s_cbranch_execz .LBB64_28
.LBB64_38:
	v_sub_f32_e32 v0, v3, v6
	global_store_b32 v12, v0, s[6:7]
	s_or_b32 exec_lo, exec_lo, s0
	s_and_saveexec_b32 s0, s3
	s_cbranch_execz .LBB64_29
.LBB64_39:
	v_sub_f32_e32 v0, v4, v6
	global_store_b32 v13, v0, s[6:7]
	s_or_b32 exec_lo, exec_lo, s0
	s_and_saveexec_b32 s0, s4
	s_cbranch_execz .LBB64_30
.LBB64_40:
	v_sub_f32_e32 v0, v5, v6
	global_store_b32 v7, v0, s[6:7]
	s_nop 0
	s_sendmsg sendmsg(MSG_DEALLOC_VGPRS)
	s_endpgm
	.section	.rodata,"a",@progbits
	.p2align	6, 0x0
	.amdhsa_kernel _ZN2at6native12_GLOBAL__N_122cunn_SoftMaxForwardRegIfffNS1_25LogSoftMaxForwardEpilogueElLi6EEEvPT1_PKT_T3_
		.amdhsa_group_segment_fixed_size 0
		.amdhsa_private_segment_fixed_size 0
		.amdhsa_kernarg_size 280
		.amdhsa_user_sgpr_count 15
		.amdhsa_user_sgpr_dispatch_ptr 0
		.amdhsa_user_sgpr_queue_ptr 0
		.amdhsa_user_sgpr_kernarg_segment_ptr 1
		.amdhsa_user_sgpr_dispatch_id 0
		.amdhsa_user_sgpr_private_segment_size 0
		.amdhsa_wavefront_size32 1
		.amdhsa_uses_dynamic_stack 0
		.amdhsa_enable_private_segment 0
		.amdhsa_system_sgpr_workgroup_id_x 1
		.amdhsa_system_sgpr_workgroup_id_y 0
		.amdhsa_system_sgpr_workgroup_id_z 0
		.amdhsa_system_sgpr_workgroup_info 0
		.amdhsa_system_vgpr_workitem_id 0
		.amdhsa_next_free_vgpr 37
		.amdhsa_next_free_sgpr 20
		.amdhsa_reserve_vcc 1
		.amdhsa_float_round_mode_32 0
		.amdhsa_float_round_mode_16_64 0
		.amdhsa_float_denorm_mode_32 3
		.amdhsa_float_denorm_mode_16_64 3
		.amdhsa_dx10_clamp 1
		.amdhsa_ieee_mode 1
		.amdhsa_fp16_overflow 0
		.amdhsa_workgroup_processor_mode 1
		.amdhsa_memory_ordered 1
		.amdhsa_forward_progress 0
		.amdhsa_shared_vgpr_count 0
		.amdhsa_exception_fp_ieee_invalid_op 0
		.amdhsa_exception_fp_denorm_src 0
		.amdhsa_exception_fp_ieee_div_zero 0
		.amdhsa_exception_fp_ieee_overflow 0
		.amdhsa_exception_fp_ieee_underflow 0
		.amdhsa_exception_fp_ieee_inexact 0
		.amdhsa_exception_int_div_zero 0
	.end_amdhsa_kernel
	.section	.text._ZN2at6native12_GLOBAL__N_122cunn_SoftMaxForwardRegIfffNS1_25LogSoftMaxForwardEpilogueElLi6EEEvPT1_PKT_T3_,"axG",@progbits,_ZN2at6native12_GLOBAL__N_122cunn_SoftMaxForwardRegIfffNS1_25LogSoftMaxForwardEpilogueElLi6EEEvPT1_PKT_T3_,comdat
.Lfunc_end64:
	.size	_ZN2at6native12_GLOBAL__N_122cunn_SoftMaxForwardRegIfffNS1_25LogSoftMaxForwardEpilogueElLi6EEEvPT1_PKT_T3_, .Lfunc_end64-_ZN2at6native12_GLOBAL__N_122cunn_SoftMaxForwardRegIfffNS1_25LogSoftMaxForwardEpilogueElLi6EEEvPT1_PKT_T3_
                                        ; -- End function
	.section	.AMDGPU.csdata,"",@progbits
; Kernel info:
; codeLenInByte = 2672
; NumSgprs: 22
; NumVgprs: 37
; ScratchSize: 0
; MemoryBound: 0
; FloatMode: 240
; IeeeMode: 1
; LDSByteSize: 0 bytes/workgroup (compile time only)
; SGPRBlocks: 2
; VGPRBlocks: 4
; NumSGPRsForWavesPerEU: 22
; NumVGPRsForWavesPerEU: 37
; Occupancy: 16
; WaveLimiterHint : 0
; COMPUTE_PGM_RSRC2:SCRATCH_EN: 0
; COMPUTE_PGM_RSRC2:USER_SGPR: 15
; COMPUTE_PGM_RSRC2:TRAP_HANDLER: 0
; COMPUTE_PGM_RSRC2:TGID_X_EN: 1
; COMPUTE_PGM_RSRC2:TGID_Y_EN: 0
; COMPUTE_PGM_RSRC2:TGID_Z_EN: 0
; COMPUTE_PGM_RSRC2:TIDIG_COMP_CNT: 0
	.section	.text._ZN2at6native12_GLOBAL__N_122cunn_SoftMaxForwardRegIfffNS1_25LogSoftMaxForwardEpilogueElLi7EEEvPT1_PKT_T3_,"axG",@progbits,_ZN2at6native12_GLOBAL__N_122cunn_SoftMaxForwardRegIfffNS1_25LogSoftMaxForwardEpilogueElLi7EEEvPT1_PKT_T3_,comdat
	.globl	_ZN2at6native12_GLOBAL__N_122cunn_SoftMaxForwardRegIfffNS1_25LogSoftMaxForwardEpilogueElLi7EEEvPT1_PKT_T3_ ; -- Begin function _ZN2at6native12_GLOBAL__N_122cunn_SoftMaxForwardRegIfffNS1_25LogSoftMaxForwardEpilogueElLi7EEEvPT1_PKT_T3_
	.p2align	8
	.type	_ZN2at6native12_GLOBAL__N_122cunn_SoftMaxForwardRegIfffNS1_25LogSoftMaxForwardEpilogueElLi7EEEvPT1_PKT_T3_,@function
_ZN2at6native12_GLOBAL__N_122cunn_SoftMaxForwardRegIfffNS1_25LogSoftMaxForwardEpilogueElLi7EEEvPT1_PKT_T3_: ; @_ZN2at6native12_GLOBAL__N_122cunn_SoftMaxForwardRegIfffNS1_25LogSoftMaxForwardEpilogueElLi7EEEvPT1_PKT_T3_
; %bb.0:
	s_clause 0x2
	s_load_b64 s[6:7], s[0:1], 0x10
	s_load_b128 s[16:19], s[0:1], 0x0
	s_load_b32 s0, s[0:1], 0x24
	v_dual_mov_b32 v9, 0 :: v_dual_lshlrev_b32 v10, 2, v0
	v_mov_b32_e32 v17, 0xff7fffff
	s_delay_alu instid0(VALU_DEP_2)
	v_mov_b32_e32 v1, v9
	s_waitcnt lgkmcnt(0)
	s_mul_i32 s1, s15, s7
	s_mul_hi_u32 s3, s15, s6
	s_mul_i32 s2, s15, s6
	s_add_i32 s3, s3, s1
	v_cmp_gt_i64_e32 vcc_lo, s[6:7], v[0:1]
	s_lshl_b64 s[12:13], s[2:3], 2
                                        ; implicit-def: $vgpr1_vgpr2_vgpr3_vgpr4_vgpr5_vgpr6_vgpr7
	s_delay_alu instid0(SALU_CYCLE_1)
	s_add_u32 s8, s18, s12
	s_addc_u32 s9, s19, s13
	s_and_saveexec_b32 s1, vcc_lo
	s_cbranch_execz .LBB65_2
; %bb.1:
	global_load_b32 v1, v10, s[8:9]
	s_waitcnt vmcnt(0)
	v_max_f32_e32 v2, v1, v1
	s_delay_alu instid0(VALU_DEP_1)
	v_max_f32_e32 v17, 0xff7fffff, v2
.LBB65_2:
	s_or_b32 exec_lo, exec_lo, s1
	s_and_b32 s10, 0xffff, s0
	s_delay_alu instid0(SALU_CYCLE_1) | instskip(NEXT) | instid1(VALU_DEP_1)
	v_add_nc_u32_e32 v8, s10, v0
	v_cmp_gt_i64_e64 s0, s[6:7], v[8:9]
	v_lshlrev_b32_e32 v11, 2, v8
	s_delay_alu instid0(VALU_DEP_2)
	s_and_saveexec_b32 s1, s0
	s_cbranch_execz .LBB65_4
; %bb.3:
	global_load_b32 v2, v11, s[8:9]
	s_waitcnt vmcnt(0)
	v_dual_max_f32 v12, v17, v17 :: v_dual_max_f32 v9, v2, v2
	s_delay_alu instid0(VALU_DEP_1)
	v_max_f32_e32 v17, v12, v9
.LBB65_4:
	s_or_b32 exec_lo, exec_lo, s1
	v_dual_mov_b32 v9, 0 :: v_dual_add_nc_u32 v8, s10, v8
	s_delay_alu instid0(VALU_DEP_1) | instskip(NEXT) | instid1(VALU_DEP_2)
	v_lshlrev_b32_e32 v12, 2, v8
	v_cmp_gt_i64_e64 s1, s[6:7], v[8:9]
	s_delay_alu instid0(VALU_DEP_1)
	s_and_saveexec_b32 s2, s1
	s_cbranch_execz .LBB65_6
; %bb.5:
	global_load_b32 v3, v12, s[8:9]
	s_waitcnt vmcnt(0)
	v_dual_max_f32 v14, v17, v17 :: v_dual_max_f32 v13, v3, v3
	s_delay_alu instid0(VALU_DEP_1)
	v_max_f32_e32 v17, v14, v13
.LBB65_6:
	s_or_b32 exec_lo, exec_lo, s2
	v_add_nc_u32_e32 v8, s10, v8
	s_delay_alu instid0(VALU_DEP_1) | instskip(SKIP_1) | instid1(VALU_DEP_2)
	v_cmp_gt_i64_e64 s2, s[6:7], v[8:9]
	v_lshlrev_b32_e32 v13, 2, v8
	s_and_saveexec_b32 s3, s2
	s_cbranch_execz .LBB65_8
; %bb.7:
	global_load_b32 v4, v13, s[8:9]
	s_waitcnt vmcnt(0)
	v_dual_max_f32 v14, v17, v17 :: v_dual_max_f32 v9, v4, v4
	s_delay_alu instid0(VALU_DEP_1)
	v_max_f32_e32 v17, v14, v9
.LBB65_8:
	s_or_b32 exec_lo, exec_lo, s3
	v_dual_mov_b32 v9, 0 :: v_dual_add_nc_u32 v8, s10, v8
	s_delay_alu instid0(VALU_DEP_1) | instskip(NEXT) | instid1(VALU_DEP_2)
	v_lshlrev_b32_e32 v14, 2, v8
	v_cmp_gt_i64_e64 s3, s[6:7], v[8:9]
	s_delay_alu instid0(VALU_DEP_1)
	s_and_saveexec_b32 s4, s3
	s_cbranch_execz .LBB65_10
; %bb.9:
	global_load_b32 v5, v14, s[8:9]
	v_max_f32_e32 v16, v17, v17
	s_waitcnt vmcnt(0)
	v_max_f32_e32 v15, v5, v5
	s_delay_alu instid0(VALU_DEP_1)
	v_max_f32_e32 v17, v16, v15
.LBB65_10:
	s_or_b32 exec_lo, exec_lo, s4
	v_add_nc_u32_e32 v8, s10, v8
	s_delay_alu instid0(VALU_DEP_1) | instskip(SKIP_1) | instid1(VALU_DEP_2)
	v_cmp_gt_i64_e64 s4, s[6:7], v[8:9]
	v_lshlrev_b32_e32 v9, 2, v8
	s_and_saveexec_b32 s5, s4
	s_cbranch_execz .LBB65_12
; %bb.11:
	global_load_b32 v6, v9, s[8:9]
	s_waitcnt vmcnt(0)
	v_dual_max_f32 v16, v17, v17 :: v_dual_max_f32 v15, v6, v6
	s_delay_alu instid0(VALU_DEP_1)
	v_max_f32_e32 v17, v16, v15
.LBB65_12:
	s_or_b32 exec_lo, exec_lo, s5
	v_dual_mov_b32 v16, 0 :: v_dual_add_nc_u32 v15, s10, v8
	s_delay_alu instid0(VALU_DEP_1) | instskip(NEXT) | instid1(VALU_DEP_2)
	v_lshlrev_b32_e32 v8, 2, v15
	v_cmp_gt_i64_e64 s5, s[6:7], v[15:16]
	s_delay_alu instid0(VALU_DEP_1)
	s_and_saveexec_b32 s6, s5
	s_cbranch_execz .LBB65_14
; %bb.13:
	global_load_b32 v7, v8, s[8:9]
	s_waitcnt vmcnt(0)
	v_dual_max_f32 v16, v17, v17 :: v_dual_max_f32 v15, v7, v7
	s_delay_alu instid0(VALU_DEP_1)
	v_max_f32_e32 v17, v16, v15
.LBB65_14:
	s_or_b32 exec_lo, exec_lo, s6
	v_mbcnt_lo_u32_b32 v19, -1, 0
	s_barrier
	buffer_gl0_inv
	v_cmp_gt_u32_e64 s6, 16, v19
	s_delay_alu instid0(VALU_DEP_1) | instskip(SKIP_1) | instid1(VALU_DEP_2)
	v_cndmask_b32_e64 v15, 0, 1, s6
	v_cmp_gt_u32_e64 s6, 24, v19
	v_lshlrev_b32_e32 v15, 4, v15
	s_delay_alu instid0(VALU_DEP_2) | instskip(NEXT) | instid1(VALU_DEP_2)
	v_cndmask_b32_e64 v16, 0, 1, s6
	v_add_lshl_u32 v15, v15, v19, 2
	s_delay_alu instid0(VALU_DEP_2) | instskip(SKIP_4) | instid1(VALU_DEP_1)
	v_lshlrev_b32_e32 v16, 3, v16
	ds_bpermute_b32 v18, v15, v17
	v_add_lshl_u32 v16, v16, v19, 2
	s_waitcnt lgkmcnt(0)
	v_cmp_lt_f32_e64 s6, v17, v18
	v_cndmask_b32_e64 v18, v17, v18, s6
	v_cmp_gt_u32_e64 s6, 28, v19
	ds_bpermute_b32 v20, v16, v18
	v_cndmask_b32_e64 v17, 0, 1, s6
	s_delay_alu instid0(VALU_DEP_1) | instskip(NEXT) | instid1(VALU_DEP_1)
	v_lshlrev_b32_e32 v17, 2, v17
	v_add_lshl_u32 v17, v17, v19, 2
	s_waitcnt lgkmcnt(0)
	v_cmp_lt_f32_e64 s6, v18, v20
	s_delay_alu instid0(VALU_DEP_1) | instskip(SKIP_3) | instid1(VALU_DEP_1)
	v_cndmask_b32_e64 v20, v18, v20, s6
	v_cmp_gt_u32_e64 s6, 30, v19
	ds_bpermute_b32 v21, v17, v20
	v_cndmask_b32_e64 v18, 0, 1, s6
	v_lshlrev_b32_e32 v18, 1, v18
	s_delay_alu instid0(VALU_DEP_1) | instskip(SKIP_2) | instid1(VALU_DEP_1)
	v_add_lshl_u32 v18, v18, v19, 2
	s_waitcnt lgkmcnt(0)
	v_cmp_lt_f32_e64 s6, v20, v21
	v_cndmask_b32_e64 v20, v20, v21, s6
	v_cmp_ne_u32_e64 s6, 31, v19
	ds_bpermute_b32 v21, v18, v20
	v_add_co_ci_u32_e64 v19, s6, 0, v19, s6
	s_delay_alu instid0(VALU_DEP_1) | instskip(SKIP_2) | instid1(VALU_DEP_1)
	v_lshlrev_b32_e32 v19, 2, v19
	s_waitcnt lgkmcnt(0)
	v_cmp_lt_f32_e64 s6, v20, v21
	v_cndmask_b32_e64 v22, v20, v21, s6
	v_and_b32_e32 v21, 31, v0
	v_lshrrev_b32_e32 v20, 3, v0
	ds_bpermute_b32 v23, v19, v22
	v_cmp_eq_u32_e64 s6, 0, v21
	s_delay_alu instid0(VALU_DEP_1) | instskip(NEXT) | instid1(SALU_CYCLE_1)
	s_and_saveexec_b32 s7, s6
	s_xor_b32 s8, exec_lo, s7
	s_cbranch_execz .LBB65_16
; %bb.15:
	s_waitcnt lgkmcnt(0)
	v_cmp_lt_f32_e64 s7, v22, v23
	v_add_nc_u32_e32 v24, 0, v20
	s_delay_alu instid0(VALU_DEP_2)
	v_cndmask_b32_e64 v22, v22, v23, s7
	ds_store_b32 v24, v22
.LBB65_16:
	s_or_b32 exec_lo, exec_lo, s8
	s_lshr_b32 s7, s10, 5
	v_mov_b32_e32 v22, 0xff7fffff
	v_cmp_gt_u32_e64 s7, s7, v0
	v_lshl_add_u32 v21, v21, 2, 0
	s_waitcnt lgkmcnt(0)
	s_barrier
	buffer_gl0_inv
	s_and_saveexec_b32 s8, s7
	s_cbranch_execnz .LBB65_34
; %bb.17:
	s_or_b32 exec_lo, exec_lo, s8
	v_cmp_gt_u32_e64 s8, 32, v0
	s_delay_alu instid0(VALU_DEP_1)
	s_and_saveexec_b32 s10, s8
	s_cbranch_execnz .LBB65_35
.LBB65_18:
	s_or_b32 exec_lo, exec_lo, s10
	v_cmp_eq_u32_e64 s9, 0, v0
	s_delay_alu instid0(VALU_DEP_1)
	s_and_saveexec_b32 s10, s9
	s_cbranch_execz .LBB65_20
.LBB65_19:
	v_mov_b32_e32 v0, 0
	s_waitcnt lgkmcnt(0)
	ds_store_b32 v0, v22
.LBB65_20:
	s_or_b32 exec_lo, exec_lo, s10
	s_waitcnt lgkmcnt(0)
	v_mov_b32_e32 v22, 0
	s_barrier
	buffer_gl0_inv
	ds_load_b32 v23, v22
	s_waitcnt lgkmcnt(0)
	s_barrier
	buffer_gl0_inv
	v_sub_f32_e32 v0, v1, v23
	v_sub_f32_e32 v1, v2, v23
	;; [unrolled: 1-line block ×6, first 2 shown]
	v_dual_sub_f32 v6, v7, v23 :: v_dual_mul_f32 v23, 0x3fb8aa3b, v1
	v_dual_mul_f32 v7, 0x3fb8aa3b, v0 :: v_dual_mul_f32 v24, 0x3fb8aa3b, v2
	s_delay_alu instid0(VALU_DEP_3) | instskip(NEXT) | instid1(VALU_DEP_3)
	v_dual_mul_f32 v27, 0x3fb8aa3b, v5 :: v_dual_mul_f32 v26, 0x3fb8aa3b, v4
	v_rndne_f32_e32 v32, v23
	s_delay_alu instid0(VALU_DEP_3)
	v_fma_f32 v29, 0x3fb8aa3b, v0, -v7
	v_rndne_f32_e32 v30, v7
	v_fma_f32 v31, 0x3fb8aa3b, v1, -v23
	v_fma_f32 v37, 0x3fb8aa3b, v4, -v26
	v_rndne_f32_e32 v38, v26
	v_fmac_f32_e32 v29, 0x32a5705f, v0
	v_fma_f32 v33, 0x3fb8aa3b, v2, -v24
	v_rndne_f32_e32 v34, v24
	s_delay_alu instid0(VALU_DEP_4) | instskip(SKIP_2) | instid1(VALU_DEP_4)
	v_dual_sub_f32 v23, v23, v32 :: v_dual_sub_f32 v26, v26, v38
	v_fmac_f32_e32 v37, 0x32a5705f, v4
	v_dual_mul_f32 v25, 0x3fb8aa3b, v3 :: v_dual_mul_f32 v28, 0x3fb8aa3b, v6
	v_dual_fmac_f32 v31, 0x32a5705f, v1 :: v_dual_sub_f32 v24, v24, v34
	s_delay_alu instid0(VALU_DEP_3) | instskip(SKIP_1) | instid1(VALU_DEP_4)
	v_dual_fmac_f32 v33, 0x32a5705f, v2 :: v_dual_add_f32 v26, v26, v37
	v_sub_f32_e32 v7, v7, v30
	v_fma_f32 v41, 0x3fb8aa3b, v6, -v28
	v_rndne_f32_e32 v42, v28
	s_delay_alu instid0(VALU_DEP_4)
	v_add_f32_e32 v24, v24, v33
	v_cvt_i32_f32_e32 v30, v30
	v_add_f32_e32 v7, v7, v29
	v_fmac_f32_e32 v41, 0x32a5705f, v6
	v_add_f32_e32 v23, v23, v31
	v_cvt_i32_f32_e32 v29, v32
	v_cmp_ngt_f32_e64 s10, 0xc2ce8ed0, v0
	v_exp_f32_e32 v7, v7
	v_exp_f32_e32 v24, v24
	v_exp_f32_e32 v23, v23
	v_cvt_i32_f32_e32 v31, v34
	v_fma_f32 v35, 0x3fb8aa3b, v3, -v25
	v_rndne_f32_e32 v36, v25
	v_fma_f32 v39, 0x3fb8aa3b, v5, -v27
	v_rndne_f32_e32 v40, v27
	v_exp_f32_e32 v26, v26
	v_cvt_i32_f32_e32 v33, v38
	v_ldexp_f32 v7, v7, v30
	v_ldexp_f32 v24, v24, v31
	;; [unrolled: 1-line block ×3, first 2 shown]
	v_sub_f32_e32 v25, v25, v36
	v_cvt_i32_f32_e32 v32, v36
	v_cndmask_b32_e64 v7, 0, v7, s10
	v_cmp_ngt_f32_e64 s10, 0xc2ce8ed0, v1
	v_fmac_f32_e32 v39, 0x32a5705f, v5
	v_sub_f32_e32 v27, v27, v40
	v_ldexp_f32 v26, v26, v33
	s_delay_alu instid0(VALU_DEP_4) | instskip(SKIP_1) | instid1(VALU_DEP_1)
	v_cndmask_b32_e64 v23, 0, v23, s10
	v_cmp_nlt_f32_e64 s10, 0x42b17218, v0
	v_cndmask_b32_e64 v7, 0x7f800000, v7, s10
	v_cmp_nlt_f32_e64 s10, 0x42b17218, v1
	s_delay_alu instid0(VALU_DEP_2) | instskip(NEXT) | instid1(VALU_DEP_2)
	v_cndmask_b32_e32 v7, 0, v7, vcc_lo
	v_cndmask_b32_e64 v23, 0x7f800000, v23, s10
	v_cmp_ngt_f32_e64 s10, 0xc2ce8ed0, v2
	s_delay_alu instid0(VALU_DEP_2) | instskip(NEXT) | instid1(VALU_DEP_2)
	v_add_f32_e32 v23, v7, v23
	v_cndmask_b32_e64 v24, 0, v24, s10
	v_cmp_nlt_f32_e64 s10, 0x42b17218, v2
	s_delay_alu instid0(VALU_DEP_3) | instskip(SKIP_1) | instid1(VALU_DEP_3)
	v_cndmask_b32_e64 v7, v7, v23, s0
	v_add_f32_e32 v23, v27, v39
	v_cndmask_b32_e64 v24, 0x7f800000, v24, s10
	v_fmac_f32_e32 v35, 0x32a5705f, v3
	v_cmp_ngt_f32_e64 s10, 0xc2ce8ed0, v3
	v_cvt_i32_f32_e32 v27, v40
	v_exp_f32_e32 v23, v23
	s_delay_alu instid0(VALU_DEP_3) | instskip(NEXT) | instid1(VALU_DEP_1)
	v_dual_add_f32 v24, v7, v24 :: v_dual_add_f32 v25, v25, v35
	v_cndmask_b32_e64 v7, v7, v24, s1
	s_delay_alu instid0(VALU_DEP_2)
	v_exp_f32_e32 v25, v25
	v_sub_f32_e32 v24, v28, v42
	s_waitcnt_depctr 0xfff
	v_ldexp_f32 v23, v23, v27
	v_add_f32_e32 v24, v24, v41
	v_ldexp_f32 v25, v25, v32
	s_delay_alu instid0(VALU_DEP_2) | instskip(NEXT) | instid1(VALU_DEP_1)
	v_exp_f32_e32 v24, v24
	v_cndmask_b32_e64 v25, 0, v25, s10
	v_cmp_nlt_f32_e64 s10, 0x42b17218, v3
	s_delay_alu instid0(VALU_DEP_1) | instskip(SKIP_1) | instid1(VALU_DEP_2)
	v_cndmask_b32_e64 v25, 0x7f800000, v25, s10
	v_cmp_ngt_f32_e64 s10, 0xc2ce8ed0, v4
	v_add_f32_e32 v25, v7, v25
	s_delay_alu instid0(VALU_DEP_2) | instskip(SKIP_1) | instid1(VALU_DEP_3)
	v_cndmask_b32_e64 v26, 0, v26, s10
	v_cmp_nlt_f32_e64 s10, 0x42b17218, v4
	v_cndmask_b32_e64 v7, v7, v25, s2
	s_delay_alu instid0(VALU_DEP_2) | instskip(SKIP_1) | instid1(VALU_DEP_2)
	v_cndmask_b32_e64 v26, 0x7f800000, v26, s10
	v_cmp_ngt_f32_e64 s10, 0xc2ce8ed0, v5
	v_add_f32_e32 v25, v7, v26
	s_delay_alu instid0(VALU_DEP_2) | instskip(SKIP_2) | instid1(VALU_DEP_4)
	v_cndmask_b32_e64 v23, 0, v23, s10
	v_cvt_i32_f32_e32 v26, v42
	v_cmp_nlt_f32_e64 s10, 0x42b17218, v5
	v_cndmask_b32_e64 v7, v7, v25, s3
	s_delay_alu instid0(VALU_DEP_3) | instskip(NEXT) | instid1(VALU_DEP_3)
	v_ldexp_f32 v24, v24, v26
	v_cndmask_b32_e64 v23, 0x7f800000, v23, s10
	v_cmp_ngt_f32_e64 s10, 0xc2ce8ed0, v6
	s_delay_alu instid0(VALU_DEP_2) | instskip(NEXT) | instid1(VALU_DEP_2)
	v_add_f32_e32 v23, v7, v23
	v_cndmask_b32_e64 v24, 0, v24, s10
	v_cmp_nlt_f32_e64 s10, 0x42b17218, v6
	s_delay_alu instid0(VALU_DEP_3) | instskip(NEXT) | instid1(VALU_DEP_2)
	v_cndmask_b32_e64 v7, v7, v23, s4
	v_cndmask_b32_e64 v23, 0x7f800000, v24, s10
	s_delay_alu instid0(VALU_DEP_1) | instskip(NEXT) | instid1(VALU_DEP_1)
	v_add_f32_e32 v23, v7, v23
	v_cndmask_b32_e64 v7, v7, v23, s5
	ds_bpermute_b32 v23, v15, v7
	s_waitcnt lgkmcnt(0)
	v_add_f32_e32 v7, v7, v23
	ds_bpermute_b32 v23, v16, v7
	s_waitcnt lgkmcnt(0)
	v_add_f32_e32 v7, v7, v23
	ds_bpermute_b32 v23, v17, v7
	s_waitcnt lgkmcnt(0)
	v_add_f32_e32 v7, v7, v23
	ds_bpermute_b32 v23, v18, v7
	s_waitcnt lgkmcnt(0)
	v_add_f32_e32 v7, v7, v23
	ds_bpermute_b32 v23, v19, v7
	s_and_saveexec_b32 s10, s6
	s_cbranch_execz .LBB65_22
; %bb.21:
	s_waitcnt lgkmcnt(0)
	v_dual_add_f32 v7, v7, v23 :: v_dual_add_nc_u32 v20, 0, v20
	ds_store_b32 v20, v7
.LBB65_22:
	s_or_b32 exec_lo, exec_lo, s10
	s_waitcnt lgkmcnt(0)
	s_barrier
	buffer_gl0_inv
	s_and_saveexec_b32 s6, s7
	s_cbranch_execnz .LBB65_36
; %bb.23:
	s_or_b32 exec_lo, exec_lo, s6
	s_and_saveexec_b32 s6, s8
	s_cbranch_execnz .LBB65_37
.LBB65_24:
	s_or_b32 exec_lo, exec_lo, s6
	s_and_saveexec_b32 s6, s9
	s_cbranch_execz .LBB65_26
.LBB65_25:
	v_mov_b32_e32 v7, 0
	s_waitcnt lgkmcnt(0)
	ds_store_b32 v7, v22
.LBB65_26:
	s_or_b32 exec_lo, exec_lo, s6
	v_mov_b32_e32 v7, 0
	s_waitcnt lgkmcnt(0)
	s_barrier
	buffer_gl0_inv
	ds_load_b32 v7, v7
	s_waitcnt lgkmcnt(0)
	v_cmp_gt_f32_e64 s6, 0x800000, v7
	s_delay_alu instid0(VALU_DEP_1) | instskip(NEXT) | instid1(VALU_DEP_1)
	v_cndmask_b32_e64 v15, 1.0, 0x4f800000, s6
	v_mul_f32_e32 v7, v7, v15
	s_delay_alu instid0(VALU_DEP_1) | instskip(SKIP_3) | instid1(VALU_DEP_2)
	v_log_f32_e32 v7, v7
	s_waitcnt_depctr 0xfff
	v_mul_f32_e32 v15, 0x3f317217, v7
	v_cmp_gt_f32_e64 s7, 0x7f800000, |v7|
	v_fma_f32 v16, 0x3f317217, v7, -v15
	s_delay_alu instid0(VALU_DEP_1) | instskip(NEXT) | instid1(VALU_DEP_1)
	v_fmamk_f32 v16, v7, 0x3377d1cf, v16
	v_add_f32_e32 v15, v15, v16
	s_delay_alu instid0(VALU_DEP_1) | instskip(SKIP_3) | instid1(VALU_DEP_1)
	v_cndmask_b32_e64 v7, v7, v15, s7
	v_cndmask_b32_e64 v15, 0, 0x41b17218, s6
	s_add_u32 s6, s16, s12
	s_addc_u32 s7, s17, s13
	v_sub_f32_e32 v7, v7, v15
	s_and_saveexec_b32 s8, vcc_lo
	s_cbranch_execnz .LBB65_38
; %bb.27:
	s_or_b32 exec_lo, exec_lo, s8
	s_and_saveexec_b32 s8, s0
	s_cbranch_execnz .LBB65_39
.LBB65_28:
	s_or_b32 exec_lo, exec_lo, s8
	s_and_saveexec_b32 s0, s1
	s_cbranch_execnz .LBB65_40
.LBB65_29:
	s_or_b32 exec_lo, exec_lo, s0
	s_and_saveexec_b32 s0, s2
	s_cbranch_execnz .LBB65_41
.LBB65_30:
	s_or_b32 exec_lo, exec_lo, s0
	s_and_saveexec_b32 s0, s3
	s_cbranch_execnz .LBB65_42
.LBB65_31:
	s_or_b32 exec_lo, exec_lo, s0
	s_and_saveexec_b32 s0, s4
	s_cbranch_execnz .LBB65_43
.LBB65_32:
	s_or_b32 exec_lo, exec_lo, s0
	s_and_saveexec_b32 s0, s5
	s_cbranch_execnz .LBB65_44
.LBB65_33:
	s_nop 0
	s_sendmsg sendmsg(MSG_DEALLOC_VGPRS)
	s_endpgm
.LBB65_34:
	ds_load_b32 v22, v21
	s_or_b32 exec_lo, exec_lo, s8
	v_cmp_gt_u32_e64 s8, 32, v0
	s_delay_alu instid0(VALU_DEP_1)
	s_and_saveexec_b32 s10, s8
	s_cbranch_execz .LBB65_18
.LBB65_35:
	s_waitcnt lgkmcnt(0)
	ds_bpermute_b32 v23, v15, v22
	s_waitcnt lgkmcnt(0)
	v_cmp_lt_f32_e64 s9, v22, v23
	s_delay_alu instid0(VALU_DEP_1) | instskip(SKIP_3) | instid1(VALU_DEP_1)
	v_cndmask_b32_e64 v22, v22, v23, s9
	ds_bpermute_b32 v23, v16, v22
	s_waitcnt lgkmcnt(0)
	v_cmp_lt_f32_e64 s9, v22, v23
	v_cndmask_b32_e64 v22, v22, v23, s9
	ds_bpermute_b32 v23, v17, v22
	s_waitcnt lgkmcnt(0)
	v_cmp_lt_f32_e64 s9, v22, v23
	s_delay_alu instid0(VALU_DEP_1) | instskip(SKIP_3) | instid1(VALU_DEP_1)
	v_cndmask_b32_e64 v22, v22, v23, s9
	ds_bpermute_b32 v23, v18, v22
	s_waitcnt lgkmcnt(0)
	v_cmp_lt_f32_e64 s9, v22, v23
	v_cndmask_b32_e64 v22, v22, v23, s9
	ds_bpermute_b32 v23, v19, v22
	s_waitcnt lgkmcnt(0)
	v_cmp_lt_f32_e64 s9, v22, v23
	s_delay_alu instid0(VALU_DEP_1) | instskip(SKIP_2) | instid1(VALU_DEP_1)
	v_cndmask_b32_e64 v22, v22, v23, s9
	s_or_b32 exec_lo, exec_lo, s10
	v_cmp_eq_u32_e64 s9, 0, v0
	s_and_saveexec_b32 s10, s9
	s_cbranch_execnz .LBB65_19
	s_branch .LBB65_20
.LBB65_36:
	ds_load_b32 v22, v21
	s_or_b32 exec_lo, exec_lo, s6
	s_and_saveexec_b32 s6, s8
	s_cbranch_execz .LBB65_24
.LBB65_37:
	s_waitcnt lgkmcnt(0)
	ds_bpermute_b32 v7, v15, v22
	s_waitcnt lgkmcnt(0)
	v_add_f32_e32 v7, v22, v7
	ds_bpermute_b32 v15, v16, v7
	s_waitcnt lgkmcnt(0)
	v_add_f32_e32 v7, v7, v15
	;; [unrolled: 3-line block ×5, first 2 shown]
	s_or_b32 exec_lo, exec_lo, s6
	s_and_saveexec_b32 s6, s9
	s_cbranch_execnz .LBB65_25
	s_branch .LBB65_26
.LBB65_38:
	s_delay_alu instid0(VALU_DEP_1)
	v_sub_f32_e32 v0, v0, v7
	global_store_b32 v10, v0, s[6:7]
	s_or_b32 exec_lo, exec_lo, s8
	s_and_saveexec_b32 s8, s0
	s_cbranch_execz .LBB65_28
.LBB65_39:
	v_sub_f32_e32 v0, v1, v7
	global_store_b32 v11, v0, s[6:7]
	s_or_b32 exec_lo, exec_lo, s8
	s_and_saveexec_b32 s0, s1
	s_cbranch_execz .LBB65_29
.LBB65_40:
	v_sub_f32_e32 v0, v2, v7
	global_store_b32 v12, v0, s[6:7]
	s_or_b32 exec_lo, exec_lo, s0
	s_and_saveexec_b32 s0, s2
	s_cbranch_execz .LBB65_30
.LBB65_41:
	v_sub_f32_e32 v0, v3, v7
	global_store_b32 v13, v0, s[6:7]
	s_or_b32 exec_lo, exec_lo, s0
	s_and_saveexec_b32 s0, s3
	s_cbranch_execz .LBB65_31
.LBB65_42:
	v_sub_f32_e32 v0, v4, v7
	global_store_b32 v14, v0, s[6:7]
	s_or_b32 exec_lo, exec_lo, s0
	s_and_saveexec_b32 s0, s4
	s_cbranch_execz .LBB65_32
.LBB65_43:
	v_sub_f32_e32 v0, v5, v7
	global_store_b32 v9, v0, s[6:7]
	s_or_b32 exec_lo, exec_lo, s0
	s_and_saveexec_b32 s0, s5
	s_cbranch_execz .LBB65_33
.LBB65_44:
	v_sub_f32_e32 v0, v6, v7
	global_store_b32 v8, v0, s[6:7]
	s_nop 0
	s_sendmsg sendmsg(MSG_DEALLOC_VGPRS)
	s_endpgm
	.section	.rodata,"a",@progbits
	.p2align	6, 0x0
	.amdhsa_kernel _ZN2at6native12_GLOBAL__N_122cunn_SoftMaxForwardRegIfffNS1_25LogSoftMaxForwardEpilogueElLi7EEEvPT1_PKT_T3_
		.amdhsa_group_segment_fixed_size 0
		.amdhsa_private_segment_fixed_size 0
		.amdhsa_kernarg_size 280
		.amdhsa_user_sgpr_count 15
		.amdhsa_user_sgpr_dispatch_ptr 0
		.amdhsa_user_sgpr_queue_ptr 0
		.amdhsa_user_sgpr_kernarg_segment_ptr 1
		.amdhsa_user_sgpr_dispatch_id 0
		.amdhsa_user_sgpr_private_segment_size 0
		.amdhsa_wavefront_size32 1
		.amdhsa_uses_dynamic_stack 0
		.amdhsa_enable_private_segment 0
		.amdhsa_system_sgpr_workgroup_id_x 1
		.amdhsa_system_sgpr_workgroup_id_y 0
		.amdhsa_system_sgpr_workgroup_id_z 0
		.amdhsa_system_sgpr_workgroup_info 0
		.amdhsa_system_vgpr_workitem_id 0
		.amdhsa_next_free_vgpr 43
		.amdhsa_next_free_sgpr 20
		.amdhsa_reserve_vcc 1
		.amdhsa_float_round_mode_32 0
		.amdhsa_float_round_mode_16_64 0
		.amdhsa_float_denorm_mode_32 3
		.amdhsa_float_denorm_mode_16_64 3
		.amdhsa_dx10_clamp 1
		.amdhsa_ieee_mode 1
		.amdhsa_fp16_overflow 0
		.amdhsa_workgroup_processor_mode 1
		.amdhsa_memory_ordered 1
		.amdhsa_forward_progress 0
		.amdhsa_shared_vgpr_count 0
		.amdhsa_exception_fp_ieee_invalid_op 0
		.amdhsa_exception_fp_denorm_src 0
		.amdhsa_exception_fp_ieee_div_zero 0
		.amdhsa_exception_fp_ieee_overflow 0
		.amdhsa_exception_fp_ieee_underflow 0
		.amdhsa_exception_fp_ieee_inexact 0
		.amdhsa_exception_int_div_zero 0
	.end_amdhsa_kernel
	.section	.text._ZN2at6native12_GLOBAL__N_122cunn_SoftMaxForwardRegIfffNS1_25LogSoftMaxForwardEpilogueElLi7EEEvPT1_PKT_T3_,"axG",@progbits,_ZN2at6native12_GLOBAL__N_122cunn_SoftMaxForwardRegIfffNS1_25LogSoftMaxForwardEpilogueElLi7EEEvPT1_PKT_T3_,comdat
.Lfunc_end65:
	.size	_ZN2at6native12_GLOBAL__N_122cunn_SoftMaxForwardRegIfffNS1_25LogSoftMaxForwardEpilogueElLi7EEEvPT1_PKT_T3_, .Lfunc_end65-_ZN2at6native12_GLOBAL__N_122cunn_SoftMaxForwardRegIfffNS1_25LogSoftMaxForwardEpilogueElLi7EEEvPT1_PKT_T3_
                                        ; -- End function
	.section	.AMDGPU.csdata,"",@progbits
; Kernel info:
; codeLenInByte = 2868
; NumSgprs: 22
; NumVgprs: 43
; ScratchSize: 0
; MemoryBound: 0
; FloatMode: 240
; IeeeMode: 1
; LDSByteSize: 0 bytes/workgroup (compile time only)
; SGPRBlocks: 2
; VGPRBlocks: 5
; NumSGPRsForWavesPerEU: 22
; NumVGPRsForWavesPerEU: 43
; Occupancy: 16
; WaveLimiterHint : 0
; COMPUTE_PGM_RSRC2:SCRATCH_EN: 0
; COMPUTE_PGM_RSRC2:USER_SGPR: 15
; COMPUTE_PGM_RSRC2:TRAP_HANDLER: 0
; COMPUTE_PGM_RSRC2:TGID_X_EN: 1
; COMPUTE_PGM_RSRC2:TGID_Y_EN: 0
; COMPUTE_PGM_RSRC2:TGID_Z_EN: 0
; COMPUTE_PGM_RSRC2:TIDIG_COMP_CNT: 0
	.section	.text._ZN2at6native12_GLOBAL__N_122cunn_SoftMaxForwardRegIfffNS1_25LogSoftMaxForwardEpilogueElLi8EEEvPT1_PKT_T3_,"axG",@progbits,_ZN2at6native12_GLOBAL__N_122cunn_SoftMaxForwardRegIfffNS1_25LogSoftMaxForwardEpilogueElLi8EEEvPT1_PKT_T3_,comdat
	.globl	_ZN2at6native12_GLOBAL__N_122cunn_SoftMaxForwardRegIfffNS1_25LogSoftMaxForwardEpilogueElLi8EEEvPT1_PKT_T3_ ; -- Begin function _ZN2at6native12_GLOBAL__N_122cunn_SoftMaxForwardRegIfffNS1_25LogSoftMaxForwardEpilogueElLi8EEEvPT1_PKT_T3_
	.p2align	8
	.type	_ZN2at6native12_GLOBAL__N_122cunn_SoftMaxForwardRegIfffNS1_25LogSoftMaxForwardEpilogueElLi8EEEvPT1_PKT_T3_,@function
_ZN2at6native12_GLOBAL__N_122cunn_SoftMaxForwardRegIfffNS1_25LogSoftMaxForwardEpilogueElLi8EEEvPT1_PKT_T3_: ; @_ZN2at6native12_GLOBAL__N_122cunn_SoftMaxForwardRegIfffNS1_25LogSoftMaxForwardEpilogueElLi8EEEvPT1_PKT_T3_
; %bb.0:
	s_clause 0x2
	s_load_b64 s[6:7], s[0:1], 0x10
	s_load_b128 s[16:19], s[0:1], 0x0
	s_load_b32 s0, s[0:1], 0x24
	v_dual_mov_b32 v10, 0 :: v_dual_mov_b32 v19, 0xff7fffff
	v_lshlrev_b32_e32 v11, 2, v0
	s_delay_alu instid0(VALU_DEP_2)
	v_mov_b32_e32 v1, v10
	s_waitcnt lgkmcnt(0)
	s_mul_i32 s1, s15, s7
	s_mul_hi_u32 s3, s15, s6
	s_mul_i32 s2, s15, s6
	s_add_i32 s3, s3, s1
	v_cmp_gt_i64_e32 vcc_lo, s[6:7], v[0:1]
	s_lshl_b64 s[12:13], s[2:3], 2
                                        ; implicit-def: $vgpr1_vgpr2_vgpr3_vgpr4_vgpr5_vgpr6_vgpr7_vgpr8
	s_delay_alu instid0(SALU_CYCLE_1)
	s_add_u32 s8, s18, s12
	s_addc_u32 s9, s19, s13
	s_and_saveexec_b32 s1, vcc_lo
	s_cbranch_execz .LBB66_2
; %bb.1:
	global_load_b32 v1, v11, s[8:9]
	s_waitcnt vmcnt(0)
	v_max_f32_e32 v2, v1, v1
	s_delay_alu instid0(VALU_DEP_1)
	v_max_f32_e32 v19, 0xff7fffff, v2
.LBB66_2:
	s_or_b32 exec_lo, exec_lo, s1
	s_and_b32 s10, 0xffff, s0
	s_delay_alu instid0(SALU_CYCLE_1) | instskip(NEXT) | instid1(VALU_DEP_1)
	v_add_nc_u32_e32 v9, s10, v0
	v_cmp_gt_i64_e64 s0, s[6:7], v[9:10]
	v_lshlrev_b32_e32 v12, 2, v9
	s_delay_alu instid0(VALU_DEP_2)
	s_and_saveexec_b32 s1, s0
	s_cbranch_execz .LBB66_4
; %bb.3:
	global_load_b32 v2, v12, s[8:9]
	s_waitcnt vmcnt(0)
	v_dual_max_f32 v13, v19, v19 :: v_dual_max_f32 v10, v2, v2
	s_delay_alu instid0(VALU_DEP_1)
	v_max_f32_e32 v19, v13, v10
.LBB66_4:
	s_or_b32 exec_lo, exec_lo, s1
	v_dual_mov_b32 v10, 0 :: v_dual_add_nc_u32 v9, s10, v9
	s_delay_alu instid0(VALU_DEP_1) | instskip(NEXT) | instid1(VALU_DEP_2)
	v_lshlrev_b32_e32 v13, 2, v9
	v_cmp_gt_i64_e64 s1, s[6:7], v[9:10]
	s_delay_alu instid0(VALU_DEP_1)
	s_and_saveexec_b32 s2, s1
	s_cbranch_execz .LBB66_6
; %bb.5:
	global_load_b32 v3, v13, s[8:9]
	v_max_f32_e32 v15, v19, v19
	s_waitcnt vmcnt(0)
	v_max_f32_e32 v14, v3, v3
	s_delay_alu instid0(VALU_DEP_1)
	v_max_f32_e32 v19, v15, v14
.LBB66_6:
	s_or_b32 exec_lo, exec_lo, s2
	v_add_nc_u32_e32 v9, s10, v9
	s_delay_alu instid0(VALU_DEP_1) | instskip(SKIP_1) | instid1(VALU_DEP_2)
	v_cmp_gt_i64_e64 s2, s[6:7], v[9:10]
	v_lshlrev_b32_e32 v14, 2, v9
	s_and_saveexec_b32 s3, s2
	s_cbranch_execz .LBB66_8
; %bb.7:
	global_load_b32 v4, v14, s[8:9]
	s_waitcnt vmcnt(0)
	v_dual_max_f32 v15, v19, v19 :: v_dual_max_f32 v10, v4, v4
	s_delay_alu instid0(VALU_DEP_1)
	v_max_f32_e32 v19, v15, v10
.LBB66_8:
	s_or_b32 exec_lo, exec_lo, s3
	v_dual_mov_b32 v10, 0 :: v_dual_add_nc_u32 v9, s10, v9
	s_delay_alu instid0(VALU_DEP_1) | instskip(NEXT) | instid1(VALU_DEP_2)
	v_lshlrev_b32_e32 v15, 2, v9
	v_cmp_gt_i64_e64 s3, s[6:7], v[9:10]
	s_delay_alu instid0(VALU_DEP_1)
	s_and_saveexec_b32 s4, s3
	s_cbranch_execz .LBB66_10
; %bb.9:
	global_load_b32 v5, v15, s[8:9]
	s_waitcnt vmcnt(0)
	v_dual_max_f32 v17, v19, v19 :: v_dual_max_f32 v16, v5, v5
	s_delay_alu instid0(VALU_DEP_1)
	v_max_f32_e32 v19, v17, v16
.LBB66_10:
	s_or_b32 exec_lo, exec_lo, s4
	v_add_nc_u32_e32 v9, s10, v9
	s_delay_alu instid0(VALU_DEP_1) | instskip(SKIP_1) | instid1(VALU_DEP_2)
	v_cmp_gt_i64_e64 s4, s[6:7], v[9:10]
	v_lshlrev_b32_e32 v16, 2, v9
	s_and_saveexec_b32 s5, s4
	s_cbranch_execz .LBB66_12
; %bb.11:
	global_load_b32 v6, v16, s[8:9]
	s_waitcnt vmcnt(0)
	v_dual_max_f32 v17, v19, v19 :: v_dual_max_f32 v10, v6, v6
	s_delay_alu instid0(VALU_DEP_1)
	v_max_f32_e32 v19, v17, v10
.LBB66_12:
	s_or_b32 exec_lo, exec_lo, s5
	v_dual_mov_b32 v10, 0 :: v_dual_add_nc_u32 v9, s10, v9
	s_delay_alu instid0(VALU_DEP_1) | instskip(NEXT) | instid1(VALU_DEP_2)
	v_lshlrev_b32_e32 v17, 2, v9
	v_cmp_gt_i64_e64 s5, s[6:7], v[9:10]
	s_delay_alu instid0(VALU_DEP_1)
	s_and_saveexec_b32 s11, s5
	s_cbranch_execz .LBB66_14
; %bb.13:
	global_load_b32 v7, v17, s[8:9]
	v_max_f32_e32 v19, v19, v19
	s_waitcnt vmcnt(0)
	v_max_f32_e32 v18, v7, v7
	s_delay_alu instid0(VALU_DEP_1)
	v_max_f32_e32 v19, v19, v18
.LBB66_14:
	s_or_b32 exec_lo, exec_lo, s11
	v_add_nc_u32_e32 v9, s10, v9
	s_delay_alu instid0(VALU_DEP_1) | instskip(SKIP_1) | instid1(VALU_DEP_2)
	v_cmp_gt_i64_e64 s6, s[6:7], v[9:10]
	v_lshlrev_b32_e32 v9, 2, v9
	s_and_saveexec_b32 s7, s6
	s_cbranch_execz .LBB66_16
; %bb.15:
	global_load_b32 v8, v9, s[8:9]
	v_max_f32_e32 v18, v19, v19
	s_waitcnt vmcnt(0)
	v_max_f32_e32 v10, v8, v8
	s_delay_alu instid0(VALU_DEP_1)
	v_max_f32_e32 v19, v18, v10
.LBB66_16:
	s_or_b32 exec_lo, exec_lo, s7
	v_mbcnt_lo_u32_b32 v21, -1, 0
	s_barrier
	buffer_gl0_inv
	v_cmp_gt_u32_e64 s7, 16, v21
	s_delay_alu instid0(VALU_DEP_1) | instskip(SKIP_1) | instid1(VALU_DEP_2)
	v_cndmask_b32_e64 v10, 0, 1, s7
	v_cmp_gt_u32_e64 s7, 24, v21
	v_lshlrev_b32_e32 v10, 4, v10
	s_delay_alu instid0(VALU_DEP_2) | instskip(NEXT) | instid1(VALU_DEP_2)
	v_cndmask_b32_e64 v18, 0, 1, s7
	v_add_lshl_u32 v10, v10, v21, 2
	s_delay_alu instid0(VALU_DEP_2) | instskip(SKIP_4) | instid1(VALU_DEP_1)
	v_lshlrev_b32_e32 v18, 3, v18
	ds_bpermute_b32 v20, v10, v19
	v_add_lshl_u32 v18, v18, v21, 2
	s_waitcnt lgkmcnt(0)
	v_cmp_lt_f32_e64 s7, v19, v20
	v_cndmask_b32_e64 v20, v19, v20, s7
	v_cmp_gt_u32_e64 s7, 28, v21
	ds_bpermute_b32 v22, v18, v20
	v_cndmask_b32_e64 v19, 0, 1, s7
	s_delay_alu instid0(VALU_DEP_1) | instskip(NEXT) | instid1(VALU_DEP_1)
	v_lshlrev_b32_e32 v19, 2, v19
	v_add_lshl_u32 v19, v19, v21, 2
	s_waitcnt lgkmcnt(0)
	v_cmp_lt_f32_e64 s7, v20, v22
	s_delay_alu instid0(VALU_DEP_1) | instskip(SKIP_3) | instid1(VALU_DEP_1)
	v_cndmask_b32_e64 v22, v20, v22, s7
	v_cmp_gt_u32_e64 s7, 30, v21
	ds_bpermute_b32 v23, v19, v22
	v_cndmask_b32_e64 v20, 0, 1, s7
	v_lshlrev_b32_e32 v20, 1, v20
	s_delay_alu instid0(VALU_DEP_1) | instskip(SKIP_2) | instid1(VALU_DEP_1)
	v_add_lshl_u32 v20, v20, v21, 2
	s_waitcnt lgkmcnt(0)
	v_cmp_lt_f32_e64 s7, v22, v23
	v_cndmask_b32_e64 v22, v22, v23, s7
	v_cmp_ne_u32_e64 s7, 31, v21
	ds_bpermute_b32 v23, v20, v22
	v_add_co_ci_u32_e64 v21, s7, 0, v21, s7
	s_delay_alu instid0(VALU_DEP_1) | instskip(SKIP_2) | instid1(VALU_DEP_1)
	v_lshlrev_b32_e32 v21, 2, v21
	s_waitcnt lgkmcnt(0)
	v_cmp_lt_f32_e64 s7, v22, v23
	v_cndmask_b32_e64 v24, v22, v23, s7
	v_and_b32_e32 v23, 31, v0
	v_lshrrev_b32_e32 v22, 3, v0
	ds_bpermute_b32 v25, v21, v24
	v_cmp_eq_u32_e64 s7, 0, v23
	s_delay_alu instid0(VALU_DEP_1) | instskip(NEXT) | instid1(SALU_CYCLE_1)
	s_and_saveexec_b32 s8, s7
	s_xor_b32 s9, exec_lo, s8
	s_cbranch_execz .LBB66_18
; %bb.17:
	s_waitcnt lgkmcnt(0)
	v_cmp_lt_f32_e64 s8, v24, v25
	v_add_nc_u32_e32 v26, 0, v22
	s_delay_alu instid0(VALU_DEP_2)
	v_cndmask_b32_e64 v24, v24, v25, s8
	ds_store_b32 v26, v24
.LBB66_18:
	s_or_b32 exec_lo, exec_lo, s9
	s_lshr_b32 s8, s10, 5
	v_mov_b32_e32 v24, 0xff7fffff
	v_cmp_gt_u32_e64 s8, s8, v0
	v_lshl_add_u32 v23, v23, 2, 0
	s_waitcnt lgkmcnt(0)
	s_barrier
	buffer_gl0_inv
	s_and_saveexec_b32 s9, s8
	s_cbranch_execnz .LBB66_37
; %bb.19:
	s_or_b32 exec_lo, exec_lo, s9
	v_cmp_gt_u32_e64 s9, 32, v0
	s_delay_alu instid0(VALU_DEP_1)
	s_and_saveexec_b32 s11, s9
	s_cbranch_execnz .LBB66_38
.LBB66_20:
	s_or_b32 exec_lo, exec_lo, s11
	v_cmp_eq_u32_e64 s10, 0, v0
	s_delay_alu instid0(VALU_DEP_1)
	s_and_saveexec_b32 s11, s10
	s_cbranch_execz .LBB66_22
.LBB66_21:
	v_mov_b32_e32 v0, 0
	s_waitcnt lgkmcnt(0)
	ds_store_b32 v0, v24
.LBB66_22:
	s_or_b32 exec_lo, exec_lo, s11
	s_waitcnt lgkmcnt(0)
	v_mov_b32_e32 v24, 0
	s_barrier
	buffer_gl0_inv
	ds_load_b32 v25, v24
	s_waitcnt lgkmcnt(0)
	s_barrier
	buffer_gl0_inv
	v_sub_f32_e32 v0, v1, v25
	v_sub_f32_e32 v1, v2, v25
	v_sub_f32_e32 v2, v3, v25
	v_sub_f32_e32 v3, v4, v25
	s_delay_alu instid0(VALU_DEP_1) | instskip(SKIP_1) | instid1(VALU_DEP_2)
	v_mul_f32_e32 v27, 0x3fb8aa3b, v3
	v_cmp_ngt_f32_e64 s11, 0xc2ce8ed0, v0
	v_rndne_f32_e32 v39, v27
	v_sub_f32_e32 v4, v5, v25
	v_sub_f32_e32 v5, v6, v25
	;; [unrolled: 1-line block ×4, first 2 shown]
	v_dual_mul_f32 v25, 0x3fb8aa3b, v1 :: v_dual_mul_f32 v8, 0x3fb8aa3b, v0
	v_fma_f32 v38, 0x3fb8aa3b, v3, -v27
	v_dual_sub_f32 v27, v27, v39 :: v_dual_mul_f32 v28, 0x3fb8aa3b, v4
	s_delay_alu instid0(VALU_DEP_3)
	v_rndne_f32_e32 v35, v25
	v_fma_f32 v34, 0x3fb8aa3b, v1, -v25
	v_fma_f32 v32, 0x3fb8aa3b, v0, -v8
	v_rndne_f32_e32 v33, v8
	v_mul_f32_e32 v31, 0x3fb8aa3b, v7
	v_dual_sub_f32 v25, v25, v35 :: v_dual_mul_f32 v30, 0x3fb8aa3b, v6
	v_mul_f32_e32 v26, 0x3fb8aa3b, v2
	s_delay_alu instid0(VALU_DEP_4)
	v_sub_f32_e32 v8, v8, v33
	v_cvt_i32_f32_e32 v33, v33
	v_cvt_i32_f32_e32 v35, v35
	v_rndne_f32_e32 v45, v30
	v_fmac_f32_e32 v38, 0x32a5705f, v3
	v_fmac_f32_e32 v34, 0x32a5705f, v1
	v_fma_f32 v36, 0x3fb8aa3b, v2, -v26
	v_rndne_f32_e32 v37, v26
	v_fma_f32 v46, 0x3fb8aa3b, v7, -v31
	v_dual_add_f32 v27, v27, v38 :: v_dual_fmac_f32 v32, 0x32a5705f, v0
	v_add_f32_e32 v25, v25, v34
	v_mul_f32_e32 v29, 0x3fb8aa3b, v5
	s_delay_alu instid0(VALU_DEP_4) | instskip(NEXT) | instid1(VALU_DEP_4)
	v_fmac_f32_e32 v46, 0x32a5705f, v7
	v_exp_f32_e32 v27, v27
	v_add_f32_e32 v8, v8, v32
	v_exp_f32_e32 v25, v25
	v_fma_f32 v42, 0x3fb8aa3b, v5, -v29
	v_rndne_f32_e32 v43, v29
	v_cvt_i32_f32_e32 v32, v37
	v_exp_f32_e32 v8, v8
	v_cvt_i32_f32_e32 v34, v39
	s_delay_alu instid0(VALU_DEP_3) | instskip(SKIP_2) | instid1(TRANS32_DEP_2)
	v_dual_fmac_f32 v42, 0x32a5705f, v5 :: v_dual_sub_f32 v29, v29, v43
	v_sub_f32_e32 v26, v26, v37
	v_fma_f32 v40, 0x3fb8aa3b, v4, -v28
	v_ldexp_f32 v25, v25, v35
	v_ldexp_f32 v27, v27, v34
	v_rndne_f32_e32 v41, v28
	v_rndne_f32_e32 v47, v31
	s_delay_alu instid0(TRANS32_DEP_1)
	v_ldexp_f32 v8, v8, v33
	v_cvt_i32_f32_e32 v33, v43
	v_fma_f32 v44, 0x3fb8aa3b, v6, -v30
	v_sub_f32_e32 v28, v28, v41
	v_cvt_i32_f32_e32 v37, v41
	v_cndmask_b32_e64 v8, 0, v8, s11
	v_cmp_ngt_f32_e64 s11, 0xc2ce8ed0, v1
	s_delay_alu instid0(VALU_DEP_1) | instskip(SKIP_1) | instid1(VALU_DEP_1)
	v_cndmask_b32_e64 v25, 0, v25, s11
	v_cmp_nlt_f32_e64 s11, 0x42b17218, v0
	v_cndmask_b32_e64 v8, 0x7f800000, v8, s11
	v_cmp_nlt_f32_e64 s11, 0x42b17218, v1
	s_delay_alu instid0(VALU_DEP_2) | instskip(NEXT) | instid1(VALU_DEP_2)
	v_cndmask_b32_e32 v8, 0, v8, vcc_lo
	v_cndmask_b32_e64 v25, 0x7f800000, v25, s11
	v_fmac_f32_e32 v36, 0x32a5705f, v2
	v_cmp_ngt_f32_e64 s11, 0xc2ce8ed0, v2
	s_delay_alu instid0(VALU_DEP_3) | instskip(NEXT) | instid1(VALU_DEP_1)
	v_add_f32_e32 v25, v8, v25
	v_cndmask_b32_e64 v8, v8, v25, s0
	s_delay_alu instid0(VALU_DEP_4) | instskip(SKIP_1) | instid1(VALU_DEP_2)
	v_dual_add_f32 v25, v29, v42 :: v_dual_add_f32 v26, v26, v36
	v_sub_f32_e32 v29, v30, v45
	v_exp_f32_e32 v25, v25
	s_delay_alu instid0(VALU_DEP_2) | instskip(SKIP_3) | instid1(VALU_DEP_1)
	v_exp_f32_e32 v26, v26
	s_waitcnt_depctr 0xfff
	v_ldexp_f32 v25, v25, v33
	v_ldexp_f32 v26, v26, v32
	v_cndmask_b32_e64 v26, 0, v26, s11
	v_cmp_nlt_f32_e64 s11, 0x42b17218, v2
	s_delay_alu instid0(VALU_DEP_1) | instskip(SKIP_1) | instid1(VALU_DEP_2)
	v_cndmask_b32_e64 v26, 0x7f800000, v26, s11
	v_cmp_ngt_f32_e64 s11, 0xc2ce8ed0, v3
	v_add_f32_e32 v26, v8, v26
	s_delay_alu instid0(VALU_DEP_2) | instskip(SKIP_1) | instid1(VALU_DEP_3)
	v_cndmask_b32_e64 v27, 0, v27, s11
	v_cmp_nlt_f32_e64 s11, 0x42b17218, v3
	v_cndmask_b32_e64 v8, v8, v26, s1
	s_delay_alu instid0(VALU_DEP_2) | instskip(SKIP_2) | instid1(VALU_DEP_3)
	v_cndmask_b32_e64 v27, 0x7f800000, v27, s11
	v_fmac_f32_e32 v40, 0x32a5705f, v4
	v_cmp_ngt_f32_e64 s11, 0xc2ce8ed0, v4
	v_add_f32_e32 v27, v8, v27
	s_delay_alu instid0(VALU_DEP_1) | instskip(NEXT) | instid1(VALU_DEP_4)
	v_cndmask_b32_e64 v8, v8, v27, s2
	v_dual_sub_f32 v27, v31, v47 :: v_dual_add_f32 v28, v28, v40
	s_delay_alu instid0(VALU_DEP_1) | instskip(NEXT) | instid1(VALU_DEP_2)
	v_add_f32_e32 v27, v27, v46
	v_exp_f32_e32 v28, v28
	s_delay_alu instid0(VALU_DEP_1) | instskip(SKIP_2) | instid1(VALU_DEP_1)
	v_exp_f32_e32 v27, v27
	s_waitcnt_depctr 0xfff
	v_ldexp_f32 v28, v28, v37
	v_cndmask_b32_e64 v28, 0, v28, s11
	v_cmp_nlt_f32_e64 s11, 0x42b17218, v4
	s_delay_alu instid0(VALU_DEP_1) | instskip(SKIP_1) | instid1(VALU_DEP_2)
	v_cndmask_b32_e64 v28, 0x7f800000, v28, s11
	v_cmp_ngt_f32_e64 s11, 0xc2ce8ed0, v5
	v_add_f32_e32 v28, v8, v28
	s_delay_alu instid0(VALU_DEP_2) | instskip(SKIP_1) | instid1(VALU_DEP_3)
	v_cndmask_b32_e64 v25, 0, v25, s11
	v_cmp_nlt_f32_e64 s11, 0x42b17218, v5
	v_cndmask_b32_e64 v8, v8, v28, s3
	v_cvt_i32_f32_e32 v28, v47
	s_delay_alu instid0(VALU_DEP_3) | instskip(SKIP_2) | instid1(VALU_DEP_2)
	v_cndmask_b32_e64 v25, 0x7f800000, v25, s11
	v_fmac_f32_e32 v44, 0x32a5705f, v6
	v_cmp_ngt_f32_e64 s11, 0xc2ce8ed0, v6
	v_dual_add_f32 v25, v8, v25 :: v_dual_add_f32 v26, v29, v44
	v_cvt_i32_f32_e32 v29, v45
	s_delay_alu instid0(VALU_DEP_2) | instskip(NEXT) | instid1(VALU_DEP_3)
	v_cndmask_b32_e64 v8, v8, v25, s4
	v_exp_f32_e32 v26, v26
	v_ldexp_f32 v25, v27, v28
	s_waitcnt_depctr 0xfff
	v_ldexp_f32 v26, v26, v29
	s_delay_alu instid0(VALU_DEP_1) | instskip(SKIP_1) | instid1(VALU_DEP_1)
	v_cndmask_b32_e64 v26, 0, v26, s11
	v_cmp_nlt_f32_e64 s11, 0x42b17218, v6
	v_cndmask_b32_e64 v26, 0x7f800000, v26, s11
	v_cmp_ngt_f32_e64 s11, 0xc2ce8ed0, v7
	s_delay_alu instid0(VALU_DEP_2) | instskip(NEXT) | instid1(VALU_DEP_2)
	v_add_f32_e32 v26, v8, v26
	v_cndmask_b32_e64 v25, 0, v25, s11
	v_cmp_nlt_f32_e64 s11, 0x42b17218, v7
	s_delay_alu instid0(VALU_DEP_3) | instskip(NEXT) | instid1(VALU_DEP_2)
	v_cndmask_b32_e64 v8, v8, v26, s5
	v_cndmask_b32_e64 v25, 0x7f800000, v25, s11
	s_delay_alu instid0(VALU_DEP_1) | instskip(NEXT) | instid1(VALU_DEP_1)
	v_add_f32_e32 v25, v8, v25
	v_cndmask_b32_e64 v8, v8, v25, s6
	ds_bpermute_b32 v25, v10, v8
	s_waitcnt lgkmcnt(0)
	v_add_f32_e32 v8, v8, v25
	ds_bpermute_b32 v25, v18, v8
	s_waitcnt lgkmcnt(0)
	v_add_f32_e32 v8, v8, v25
	;; [unrolled: 3-line block ×4, first 2 shown]
	ds_bpermute_b32 v25, v21, v8
	s_and_saveexec_b32 s11, s7
	s_cbranch_execz .LBB66_24
; %bb.23:
	v_add_nc_u32_e32 v22, 0, v22
	s_waitcnt lgkmcnt(0)
	v_add_f32_e32 v8, v8, v25
	ds_store_b32 v22, v8
.LBB66_24:
	s_or_b32 exec_lo, exec_lo, s11
	s_waitcnt lgkmcnt(0)
	s_barrier
	buffer_gl0_inv
	s_and_saveexec_b32 s7, s8
	s_cbranch_execnz .LBB66_39
; %bb.25:
	s_or_b32 exec_lo, exec_lo, s7
	s_and_saveexec_b32 s7, s9
	s_cbranch_execnz .LBB66_40
.LBB66_26:
	s_or_b32 exec_lo, exec_lo, s7
	s_and_saveexec_b32 s7, s10
	s_cbranch_execz .LBB66_28
.LBB66_27:
	v_mov_b32_e32 v8, 0
	s_waitcnt lgkmcnt(0)
	ds_store_b32 v8, v24
.LBB66_28:
	s_or_b32 exec_lo, exec_lo, s7
	v_mov_b32_e32 v8, 0
	s_waitcnt lgkmcnt(0)
	s_barrier
	buffer_gl0_inv
	ds_load_b32 v8, v8
	s_waitcnt lgkmcnt(0)
	v_cmp_gt_f32_e64 s7, 0x800000, v8
	s_delay_alu instid0(VALU_DEP_1) | instskip(NEXT) | instid1(VALU_DEP_1)
	v_cndmask_b32_e64 v10, 1.0, 0x4f800000, s7
	v_mul_f32_e32 v8, v8, v10
	s_delay_alu instid0(VALU_DEP_1) | instskip(SKIP_3) | instid1(VALU_DEP_2)
	v_log_f32_e32 v8, v8
	s_waitcnt_depctr 0xfff
	v_mul_f32_e32 v10, 0x3f317217, v8
	v_cmp_gt_f32_e64 s8, 0x7f800000, |v8|
	v_fma_f32 v18, 0x3f317217, v8, -v10
	s_delay_alu instid0(VALU_DEP_1) | instskip(NEXT) | instid1(VALU_DEP_1)
	v_fmamk_f32 v18, v8, 0x3377d1cf, v18
	v_add_f32_e32 v10, v10, v18
	s_delay_alu instid0(VALU_DEP_1) | instskip(SKIP_3) | instid1(VALU_DEP_1)
	v_cndmask_b32_e64 v8, v8, v10, s8
	v_cndmask_b32_e64 v10, 0, 0x41b17218, s7
	s_add_u32 s8, s16, s12
	s_addc_u32 s9, s17, s13
	v_sub_f32_e32 v8, v8, v10
	s_and_saveexec_b32 s7, vcc_lo
	s_cbranch_execnz .LBB66_41
; %bb.29:
	s_or_b32 exec_lo, exec_lo, s7
	s_and_saveexec_b32 s7, s0
	s_cbranch_execnz .LBB66_42
.LBB66_30:
	s_or_b32 exec_lo, exec_lo, s7
	s_and_saveexec_b32 s0, s1
	s_cbranch_execnz .LBB66_43
.LBB66_31:
	s_or_b32 exec_lo, exec_lo, s0
	s_and_saveexec_b32 s0, s2
	s_cbranch_execnz .LBB66_44
.LBB66_32:
	s_or_b32 exec_lo, exec_lo, s0
	s_and_saveexec_b32 s0, s3
	s_cbranch_execnz .LBB66_45
.LBB66_33:
	s_or_b32 exec_lo, exec_lo, s0
	s_and_saveexec_b32 s0, s4
	s_cbranch_execnz .LBB66_46
.LBB66_34:
	s_or_b32 exec_lo, exec_lo, s0
	s_and_saveexec_b32 s0, s5
	s_cbranch_execnz .LBB66_47
.LBB66_35:
	s_or_b32 exec_lo, exec_lo, s0
	s_and_saveexec_b32 s0, s6
	s_cbranch_execnz .LBB66_48
.LBB66_36:
	s_nop 0
	s_sendmsg sendmsg(MSG_DEALLOC_VGPRS)
	s_endpgm
.LBB66_37:
	ds_load_b32 v24, v23
	s_or_b32 exec_lo, exec_lo, s9
	v_cmp_gt_u32_e64 s9, 32, v0
	s_delay_alu instid0(VALU_DEP_1)
	s_and_saveexec_b32 s11, s9
	s_cbranch_execz .LBB66_20
.LBB66_38:
	s_waitcnt lgkmcnt(0)
	ds_bpermute_b32 v25, v10, v24
	s_waitcnt lgkmcnt(0)
	v_cmp_lt_f32_e64 s10, v24, v25
	s_delay_alu instid0(VALU_DEP_1) | instskip(SKIP_3) | instid1(VALU_DEP_1)
	v_cndmask_b32_e64 v24, v24, v25, s10
	ds_bpermute_b32 v25, v18, v24
	s_waitcnt lgkmcnt(0)
	v_cmp_lt_f32_e64 s10, v24, v25
	v_cndmask_b32_e64 v24, v24, v25, s10
	ds_bpermute_b32 v25, v19, v24
	s_waitcnt lgkmcnt(0)
	v_cmp_lt_f32_e64 s10, v24, v25
	s_delay_alu instid0(VALU_DEP_1) | instskip(SKIP_3) | instid1(VALU_DEP_1)
	v_cndmask_b32_e64 v24, v24, v25, s10
	ds_bpermute_b32 v25, v20, v24
	s_waitcnt lgkmcnt(0)
	v_cmp_lt_f32_e64 s10, v24, v25
	v_cndmask_b32_e64 v24, v24, v25, s10
	ds_bpermute_b32 v25, v21, v24
	s_waitcnt lgkmcnt(0)
	v_cmp_lt_f32_e64 s10, v24, v25
	s_delay_alu instid0(VALU_DEP_1) | instskip(SKIP_2) | instid1(VALU_DEP_1)
	v_cndmask_b32_e64 v24, v24, v25, s10
	s_or_b32 exec_lo, exec_lo, s11
	v_cmp_eq_u32_e64 s10, 0, v0
	s_and_saveexec_b32 s11, s10
	s_cbranch_execnz .LBB66_21
	s_branch .LBB66_22
.LBB66_39:
	ds_load_b32 v24, v23
	s_or_b32 exec_lo, exec_lo, s7
	s_and_saveexec_b32 s7, s9
	s_cbranch_execz .LBB66_26
.LBB66_40:
	s_waitcnt lgkmcnt(0)
	ds_bpermute_b32 v8, v10, v24
	s_waitcnt lgkmcnt(0)
	v_add_f32_e32 v8, v24, v8
	ds_bpermute_b32 v10, v18, v8
	s_waitcnt lgkmcnt(0)
	v_add_f32_e32 v8, v8, v10
	;; [unrolled: 3-line block ×5, first 2 shown]
	s_or_b32 exec_lo, exec_lo, s7
	s_and_saveexec_b32 s7, s10
	s_cbranch_execnz .LBB66_27
	s_branch .LBB66_28
.LBB66_41:
	s_delay_alu instid0(VALU_DEP_1)
	v_sub_f32_e32 v0, v0, v8
	global_store_b32 v11, v0, s[8:9]
	s_or_b32 exec_lo, exec_lo, s7
	s_and_saveexec_b32 s7, s0
	s_cbranch_execz .LBB66_30
.LBB66_42:
	v_sub_f32_e32 v0, v1, v8
	global_store_b32 v12, v0, s[8:9]
	s_or_b32 exec_lo, exec_lo, s7
	s_and_saveexec_b32 s0, s1
	s_cbranch_execz .LBB66_31
.LBB66_43:
	v_sub_f32_e32 v0, v2, v8
	global_store_b32 v13, v0, s[8:9]
	s_or_b32 exec_lo, exec_lo, s0
	s_and_saveexec_b32 s0, s2
	s_cbranch_execz .LBB66_32
.LBB66_44:
	v_sub_f32_e32 v0, v3, v8
	global_store_b32 v14, v0, s[8:9]
	s_or_b32 exec_lo, exec_lo, s0
	s_and_saveexec_b32 s0, s3
	s_cbranch_execz .LBB66_33
.LBB66_45:
	v_sub_f32_e32 v0, v4, v8
	global_store_b32 v15, v0, s[8:9]
	s_or_b32 exec_lo, exec_lo, s0
	s_and_saveexec_b32 s0, s4
	s_cbranch_execz .LBB66_34
.LBB66_46:
	v_sub_f32_e32 v0, v5, v8
	global_store_b32 v16, v0, s[8:9]
	s_or_b32 exec_lo, exec_lo, s0
	s_and_saveexec_b32 s0, s5
	s_cbranch_execz .LBB66_35
.LBB66_47:
	v_sub_f32_e32 v0, v6, v8
	global_store_b32 v17, v0, s[8:9]
	s_or_b32 exec_lo, exec_lo, s0
	s_and_saveexec_b32 s0, s6
	s_cbranch_execz .LBB66_36
.LBB66_48:
	v_sub_f32_e32 v0, v7, v8
	global_store_b32 v9, v0, s[8:9]
	s_nop 0
	s_sendmsg sendmsg(MSG_DEALLOC_VGPRS)
	s_endpgm
	.section	.rodata,"a",@progbits
	.p2align	6, 0x0
	.amdhsa_kernel _ZN2at6native12_GLOBAL__N_122cunn_SoftMaxForwardRegIfffNS1_25LogSoftMaxForwardEpilogueElLi8EEEvPT1_PKT_T3_
		.amdhsa_group_segment_fixed_size 0
		.amdhsa_private_segment_fixed_size 0
		.amdhsa_kernarg_size 280
		.amdhsa_user_sgpr_count 15
		.amdhsa_user_sgpr_dispatch_ptr 0
		.amdhsa_user_sgpr_queue_ptr 0
		.amdhsa_user_sgpr_kernarg_segment_ptr 1
		.amdhsa_user_sgpr_dispatch_id 0
		.amdhsa_user_sgpr_private_segment_size 0
		.amdhsa_wavefront_size32 1
		.amdhsa_uses_dynamic_stack 0
		.amdhsa_enable_private_segment 0
		.amdhsa_system_sgpr_workgroup_id_x 1
		.amdhsa_system_sgpr_workgroup_id_y 0
		.amdhsa_system_sgpr_workgroup_id_z 0
		.amdhsa_system_sgpr_workgroup_info 0
		.amdhsa_system_vgpr_workitem_id 0
		.amdhsa_next_free_vgpr 48
		.amdhsa_next_free_sgpr 20
		.amdhsa_reserve_vcc 1
		.amdhsa_float_round_mode_32 0
		.amdhsa_float_round_mode_16_64 0
		.amdhsa_float_denorm_mode_32 3
		.amdhsa_float_denorm_mode_16_64 3
		.amdhsa_dx10_clamp 1
		.amdhsa_ieee_mode 1
		.amdhsa_fp16_overflow 0
		.amdhsa_workgroup_processor_mode 1
		.amdhsa_memory_ordered 1
		.amdhsa_forward_progress 0
		.amdhsa_shared_vgpr_count 0
		.amdhsa_exception_fp_ieee_invalid_op 0
		.amdhsa_exception_fp_denorm_src 0
		.amdhsa_exception_fp_ieee_div_zero 0
		.amdhsa_exception_fp_ieee_overflow 0
		.amdhsa_exception_fp_ieee_underflow 0
		.amdhsa_exception_fp_ieee_inexact 0
		.amdhsa_exception_int_div_zero 0
	.end_amdhsa_kernel
	.section	.text._ZN2at6native12_GLOBAL__N_122cunn_SoftMaxForwardRegIfffNS1_25LogSoftMaxForwardEpilogueElLi8EEEvPT1_PKT_T3_,"axG",@progbits,_ZN2at6native12_GLOBAL__N_122cunn_SoftMaxForwardRegIfffNS1_25LogSoftMaxForwardEpilogueElLi8EEEvPT1_PKT_T3_,comdat
.Lfunc_end66:
	.size	_ZN2at6native12_GLOBAL__N_122cunn_SoftMaxForwardRegIfffNS1_25LogSoftMaxForwardEpilogueElLi8EEEvPT1_PKT_T3_, .Lfunc_end66-_ZN2at6native12_GLOBAL__N_122cunn_SoftMaxForwardRegIfffNS1_25LogSoftMaxForwardEpilogueElLi8EEEvPT1_PKT_T3_
                                        ; -- End function
	.section	.AMDGPU.csdata,"",@progbits
; Kernel info:
; codeLenInByte = 3116
; NumSgprs: 22
; NumVgprs: 48
; ScratchSize: 0
; MemoryBound: 0
; FloatMode: 240
; IeeeMode: 1
; LDSByteSize: 0 bytes/workgroup (compile time only)
; SGPRBlocks: 2
; VGPRBlocks: 5
; NumSGPRsForWavesPerEU: 22
; NumVGPRsForWavesPerEU: 48
; Occupancy: 16
; WaveLimiterHint : 0
; COMPUTE_PGM_RSRC2:SCRATCH_EN: 0
; COMPUTE_PGM_RSRC2:USER_SGPR: 15
; COMPUTE_PGM_RSRC2:TRAP_HANDLER: 0
; COMPUTE_PGM_RSRC2:TGID_X_EN: 1
; COMPUTE_PGM_RSRC2:TGID_Y_EN: 0
; COMPUTE_PGM_RSRC2:TGID_Z_EN: 0
; COMPUTE_PGM_RSRC2:TIDIG_COMP_CNT: 0
	.section	.text._ZN2at6native12_GLOBAL__N_122cunn_SoftMaxForwardRegIfffNS1_25LogSoftMaxForwardEpilogueElLi9EEEvPT1_PKT_T3_,"axG",@progbits,_ZN2at6native12_GLOBAL__N_122cunn_SoftMaxForwardRegIfffNS1_25LogSoftMaxForwardEpilogueElLi9EEEvPT1_PKT_T3_,comdat
	.globl	_ZN2at6native12_GLOBAL__N_122cunn_SoftMaxForwardRegIfffNS1_25LogSoftMaxForwardEpilogueElLi9EEEvPT1_PKT_T3_ ; -- Begin function _ZN2at6native12_GLOBAL__N_122cunn_SoftMaxForwardRegIfffNS1_25LogSoftMaxForwardEpilogueElLi9EEEvPT1_PKT_T3_
	.p2align	8
	.type	_ZN2at6native12_GLOBAL__N_122cunn_SoftMaxForwardRegIfffNS1_25LogSoftMaxForwardEpilogueElLi9EEEvPT1_PKT_T3_,@function
_ZN2at6native12_GLOBAL__N_122cunn_SoftMaxForwardRegIfffNS1_25LogSoftMaxForwardEpilogueElLi9EEEvPT1_PKT_T3_: ; @_ZN2at6native12_GLOBAL__N_122cunn_SoftMaxForwardRegIfffNS1_25LogSoftMaxForwardEpilogueElLi9EEEvPT1_PKT_T3_
; %bb.0:
	s_clause 0x2
	s_load_b64 s[8:9], s[0:1], 0x10
	s_load_b128 s[16:19], s[0:1], 0x0
	s_load_b32 s0, s[0:1], 0x24
	v_dual_mov_b32 v11, 0 :: v_dual_lshlrev_b32 v12, 2, v0
	v_mov_b32_e32 v21, 0xff7fffff
	s_delay_alu instid0(VALU_DEP_2)
	v_mov_b32_e32 v1, v11
	s_waitcnt lgkmcnt(0)
	s_mul_i32 s1, s15, s9
	s_mul_hi_u32 s3, s15, s8
	s_mul_i32 s2, s15, s8
	s_add_i32 s3, s3, s1
	v_cmp_gt_i64_e32 vcc_lo, s[8:9], v[0:1]
	s_lshl_b64 s[14:15], s[2:3], 2
                                        ; implicit-def: $vgpr1_vgpr2_vgpr3_vgpr4_vgpr5_vgpr6_vgpr7_vgpr8_vgpr9
	s_delay_alu instid0(SALU_CYCLE_1)
	s_add_u32 s10, s18, s14
	s_addc_u32 s11, s19, s15
	s_and_saveexec_b32 s1, vcc_lo
	s_cbranch_execz .LBB67_2
; %bb.1:
	global_load_b32 v1, v12, s[10:11]
	s_waitcnt vmcnt(0)
	v_max_f32_e32 v2, v1, v1
	s_delay_alu instid0(VALU_DEP_1)
	v_max_f32_e32 v21, 0xff7fffff, v2
.LBB67_2:
	s_or_b32 exec_lo, exec_lo, s1
	s_and_b32 s12, 0xffff, s0
	s_delay_alu instid0(SALU_CYCLE_1) | instskip(NEXT) | instid1(VALU_DEP_1)
	v_add_nc_u32_e32 v10, s12, v0
	v_cmp_gt_i64_e64 s0, s[8:9], v[10:11]
	v_lshlrev_b32_e32 v13, 2, v10
	s_delay_alu instid0(VALU_DEP_2)
	s_and_saveexec_b32 s1, s0
	s_cbranch_execz .LBB67_4
; %bb.3:
	global_load_b32 v2, v13, s[10:11]
	s_waitcnt vmcnt(0)
	v_dual_max_f32 v14, v21, v21 :: v_dual_max_f32 v11, v2, v2
	s_delay_alu instid0(VALU_DEP_1)
	v_max_f32_e32 v21, v14, v11
.LBB67_4:
	s_or_b32 exec_lo, exec_lo, s1
	v_dual_mov_b32 v11, 0 :: v_dual_add_nc_u32 v10, s12, v10
	s_delay_alu instid0(VALU_DEP_1) | instskip(NEXT) | instid1(VALU_DEP_2)
	v_lshlrev_b32_e32 v14, 2, v10
	v_cmp_gt_i64_e64 s1, s[8:9], v[10:11]
	s_delay_alu instid0(VALU_DEP_1)
	s_and_saveexec_b32 s2, s1
	s_cbranch_execz .LBB67_6
; %bb.5:
	global_load_b32 v3, v14, s[10:11]
	s_waitcnt vmcnt(0)
	v_dual_max_f32 v16, v21, v21 :: v_dual_max_f32 v15, v3, v3
	s_delay_alu instid0(VALU_DEP_1)
	v_max_f32_e32 v21, v16, v15
.LBB67_6:
	s_or_b32 exec_lo, exec_lo, s2
	v_add_nc_u32_e32 v10, s12, v10
	s_delay_alu instid0(VALU_DEP_1) | instskip(SKIP_1) | instid1(VALU_DEP_2)
	v_cmp_gt_i64_e64 s2, s[8:9], v[10:11]
	v_lshlrev_b32_e32 v15, 2, v10
	s_and_saveexec_b32 s3, s2
	s_cbranch_execz .LBB67_8
; %bb.7:
	global_load_b32 v4, v15, s[10:11]
	s_waitcnt vmcnt(0)
	v_dual_max_f32 v16, v21, v21 :: v_dual_max_f32 v11, v4, v4
	s_delay_alu instid0(VALU_DEP_1)
	v_max_f32_e32 v21, v16, v11
.LBB67_8:
	s_or_b32 exec_lo, exec_lo, s3
	v_dual_mov_b32 v11, 0 :: v_dual_add_nc_u32 v10, s12, v10
	s_delay_alu instid0(VALU_DEP_1) | instskip(NEXT) | instid1(VALU_DEP_2)
	v_lshlrev_b32_e32 v16, 2, v10
	v_cmp_gt_i64_e64 s3, s[8:9], v[10:11]
	s_delay_alu instid0(VALU_DEP_1)
	s_and_saveexec_b32 s4, s3
	s_cbranch_execz .LBB67_10
; %bb.9:
	global_load_b32 v5, v16, s[10:11]
	v_max_f32_e32 v18, v21, v21
	s_waitcnt vmcnt(0)
	v_max_f32_e32 v17, v5, v5
	s_delay_alu instid0(VALU_DEP_1)
	v_max_f32_e32 v21, v18, v17
.LBB67_10:
	s_or_b32 exec_lo, exec_lo, s4
	v_add_nc_u32_e32 v10, s12, v10
	s_delay_alu instid0(VALU_DEP_1) | instskip(SKIP_1) | instid1(VALU_DEP_2)
	v_cmp_gt_i64_e64 s4, s[8:9], v[10:11]
	v_lshlrev_b32_e32 v17, 2, v10
	s_and_saveexec_b32 s5, s4
	s_cbranch_execz .LBB67_12
; %bb.11:
	global_load_b32 v6, v17, s[10:11]
	s_waitcnt vmcnt(0)
	v_dual_max_f32 v18, v21, v21 :: v_dual_max_f32 v11, v6, v6
	s_delay_alu instid0(VALU_DEP_1)
	v_max_f32_e32 v21, v18, v11
.LBB67_12:
	s_or_b32 exec_lo, exec_lo, s5
	v_dual_mov_b32 v11, 0 :: v_dual_add_nc_u32 v10, s12, v10
	s_delay_alu instid0(VALU_DEP_1) | instskip(NEXT) | instid1(VALU_DEP_2)
	v_lshlrev_b32_e32 v18, 2, v10
	v_cmp_gt_i64_e64 s5, s[8:9], v[10:11]
	s_delay_alu instid0(VALU_DEP_1)
	s_and_saveexec_b32 s6, s5
	s_cbranch_execz .LBB67_14
; %bb.13:
	global_load_b32 v7, v18, s[10:11]
	s_waitcnt vmcnt(0)
	v_dual_max_f32 v20, v21, v21 :: v_dual_max_f32 v19, v7, v7
	s_delay_alu instid0(VALU_DEP_1)
	v_max_f32_e32 v21, v20, v19
.LBB67_14:
	s_or_b32 exec_lo, exec_lo, s6
	v_add_nc_u32_e32 v10, s12, v10
	s_delay_alu instid0(VALU_DEP_1) | instskip(SKIP_1) | instid1(VALU_DEP_2)
	v_cmp_gt_i64_e64 s6, s[8:9], v[10:11]
	v_lshlrev_b32_e32 v11, 2, v10
	s_and_saveexec_b32 s7, s6
	s_cbranch_execz .LBB67_16
; %bb.15:
	global_load_b32 v8, v11, s[10:11]
	s_waitcnt vmcnt(0)
	v_dual_max_f32 v20, v21, v21 :: v_dual_max_f32 v19, v8, v8
	s_delay_alu instid0(VALU_DEP_1)
	v_max_f32_e32 v21, v20, v19
.LBB67_16:
	s_or_b32 exec_lo, exec_lo, s7
	v_dual_mov_b32 v20, 0 :: v_dual_add_nc_u32 v19, s12, v10
	s_delay_alu instid0(VALU_DEP_1) | instskip(NEXT) | instid1(VALU_DEP_2)
	v_lshlrev_b32_e32 v10, 2, v19
	v_cmp_gt_i64_e64 s7, s[8:9], v[19:20]
	s_delay_alu instid0(VALU_DEP_1)
	s_and_saveexec_b32 s8, s7
	s_cbranch_execz .LBB67_18
; %bb.17:
	global_load_b32 v9, v10, s[10:11]
	v_max_f32_e32 v20, v21, v21
	s_waitcnt vmcnt(0)
	v_max_f32_e32 v19, v9, v9
	s_delay_alu instid0(VALU_DEP_1)
	v_max_f32_e32 v21, v20, v19
.LBB67_18:
	s_or_b32 exec_lo, exec_lo, s8
	v_mbcnt_lo_u32_b32 v23, -1, 0
	s_barrier
	buffer_gl0_inv
	v_cmp_gt_u32_e64 s8, 16, v23
	s_delay_alu instid0(VALU_DEP_1) | instskip(SKIP_1) | instid1(VALU_DEP_2)
	v_cndmask_b32_e64 v19, 0, 1, s8
	v_cmp_gt_u32_e64 s8, 24, v23
	v_lshlrev_b32_e32 v19, 4, v19
	s_delay_alu instid0(VALU_DEP_2) | instskip(NEXT) | instid1(VALU_DEP_2)
	v_cndmask_b32_e64 v20, 0, 1, s8
	v_add_lshl_u32 v19, v19, v23, 2
	s_delay_alu instid0(VALU_DEP_2) | instskip(SKIP_4) | instid1(VALU_DEP_1)
	v_lshlrev_b32_e32 v20, 3, v20
	ds_bpermute_b32 v22, v19, v21
	v_add_lshl_u32 v20, v20, v23, 2
	s_waitcnt lgkmcnt(0)
	v_cmp_lt_f32_e64 s8, v21, v22
	v_cndmask_b32_e64 v22, v21, v22, s8
	v_cmp_gt_u32_e64 s8, 28, v23
	ds_bpermute_b32 v24, v20, v22
	v_cndmask_b32_e64 v21, 0, 1, s8
	s_delay_alu instid0(VALU_DEP_1) | instskip(NEXT) | instid1(VALU_DEP_1)
	v_lshlrev_b32_e32 v21, 2, v21
	v_add_lshl_u32 v21, v21, v23, 2
	s_waitcnt lgkmcnt(0)
	v_cmp_lt_f32_e64 s8, v22, v24
	s_delay_alu instid0(VALU_DEP_1) | instskip(SKIP_3) | instid1(VALU_DEP_1)
	v_cndmask_b32_e64 v24, v22, v24, s8
	v_cmp_gt_u32_e64 s8, 30, v23
	ds_bpermute_b32 v25, v21, v24
	v_cndmask_b32_e64 v22, 0, 1, s8
	v_lshlrev_b32_e32 v22, 1, v22
	s_delay_alu instid0(VALU_DEP_1) | instskip(SKIP_2) | instid1(VALU_DEP_1)
	v_add_lshl_u32 v22, v22, v23, 2
	s_waitcnt lgkmcnt(0)
	v_cmp_lt_f32_e64 s8, v24, v25
	v_cndmask_b32_e64 v24, v24, v25, s8
	v_cmp_ne_u32_e64 s8, 31, v23
	ds_bpermute_b32 v25, v22, v24
	v_add_co_ci_u32_e64 v23, s8, 0, v23, s8
	s_delay_alu instid0(VALU_DEP_1) | instskip(SKIP_2) | instid1(VALU_DEP_1)
	v_lshlrev_b32_e32 v23, 2, v23
	s_waitcnt lgkmcnt(0)
	v_cmp_lt_f32_e64 s8, v24, v25
	v_cndmask_b32_e64 v26, v24, v25, s8
	v_and_b32_e32 v25, 31, v0
	v_lshrrev_b32_e32 v24, 3, v0
	ds_bpermute_b32 v27, v23, v26
	v_cmp_eq_u32_e64 s8, 0, v25
	s_delay_alu instid0(VALU_DEP_1) | instskip(NEXT) | instid1(SALU_CYCLE_1)
	s_and_saveexec_b32 s9, s8
	s_xor_b32 s10, exec_lo, s9
	s_cbranch_execz .LBB67_20
; %bb.19:
	s_waitcnt lgkmcnt(0)
	v_cmp_lt_f32_e64 s9, v26, v27
	v_add_nc_u32_e32 v28, 0, v24
	s_delay_alu instid0(VALU_DEP_2)
	v_cndmask_b32_e64 v26, v26, v27, s9
	ds_store_b32 v28, v26
.LBB67_20:
	s_or_b32 exec_lo, exec_lo, s10
	s_lshr_b32 s9, s12, 5
	v_mov_b32_e32 v26, 0xff7fffff
	v_cmp_gt_u32_e64 s9, s9, v0
	v_lshl_add_u32 v25, v25, 2, 0
	s_waitcnt lgkmcnt(0)
	s_barrier
	buffer_gl0_inv
	s_and_saveexec_b32 s10, s9
	s_cbranch_execnz .LBB67_40
; %bb.21:
	s_or_b32 exec_lo, exec_lo, s10
	v_cmp_gt_u32_e64 s10, 32, v0
	s_delay_alu instid0(VALU_DEP_1)
	s_and_saveexec_b32 s12, s10
	s_cbranch_execnz .LBB67_41
.LBB67_22:
	s_or_b32 exec_lo, exec_lo, s12
	v_cmp_eq_u32_e64 s11, 0, v0
	s_delay_alu instid0(VALU_DEP_1)
	s_and_saveexec_b32 s12, s11
	s_cbranch_execz .LBB67_24
.LBB67_23:
	v_mov_b32_e32 v0, 0
	s_waitcnt lgkmcnt(0)
	ds_store_b32 v0, v26
.LBB67_24:
	s_or_b32 exec_lo, exec_lo, s12
	s_waitcnt lgkmcnt(0)
	v_mov_b32_e32 v26, 0
	s_barrier
	buffer_gl0_inv
	ds_load_b32 v27, v26
	s_waitcnt lgkmcnt(0)
	s_barrier
	buffer_gl0_inv
	v_sub_f32_e32 v0, v1, v27
	v_sub_f32_e32 v1, v2, v27
	;; [unrolled: 1-line block ×8, first 2 shown]
	v_dual_sub_f32 v8, v9, v27 :: v_dual_mul_f32 v27, 0x3fb8aa3b, v1
	s_delay_alu instid0(VALU_DEP_4) | instskip(SKIP_1) | instid1(VALU_DEP_3)
	v_dual_mul_f32 v31, 0x3fb8aa3b, v5 :: v_dual_mul_f32 v30, 0x3fb8aa3b, v4
	v_dual_mul_f32 v9, 0x3fb8aa3b, v0 :: v_dual_mul_f32 v28, 0x3fb8aa3b, v2
	v_rndne_f32_e32 v38, v27
	v_fma_f32 v37, 0x3fb8aa3b, v1, -v27
	s_delay_alu instid0(VALU_DEP_4)
	v_fma_f32 v43, 0x3fb8aa3b, v4, -v30
	v_rndne_f32_e32 v44, v30
	v_fma_f32 v35, 0x3fb8aa3b, v0, -v9
	v_rndne_f32_e32 v36, v9
	v_fmac_f32_e32 v37, 0x32a5705f, v1
	v_fma_f32 v39, 0x3fb8aa3b, v2, -v28
	v_rndne_f32_e32 v40, v28
	v_dual_sub_f32 v27, v27, v38 :: v_dual_sub_f32 v30, v30, v44
	v_fmac_f32_e32 v43, 0x32a5705f, v4
	v_fmac_f32_e32 v35, 0x32a5705f, v0
	v_dual_mul_f32 v32, 0x3fb8aa3b, v6 :: v_dual_mul_f32 v33, 0x3fb8aa3b, v7
	v_dual_sub_f32 v28, v28, v40 :: v_dual_fmac_f32 v39, 0x32a5705f, v2
	s_delay_alu instid0(VALU_DEP_4) | instskip(NEXT) | instid1(VALU_DEP_3)
	v_dual_add_f32 v30, v30, v43 :: v_dual_sub_f32 v9, v9, v36
	v_rndne_f32_e32 v48, v32
	s_delay_alu instid0(VALU_DEP_3) | instskip(SKIP_1) | instid1(VALU_DEP_4)
	v_dual_add_f32 v27, v27, v37 :: v_dual_add_f32 v28, v28, v39
	v_cvt_i32_f32_e32 v36, v36
	v_add_f32_e32 v9, v9, v35
	v_cvt_i32_f32_e32 v35, v38
	s_delay_alu instid0(VALU_DEP_4)
	v_exp_f32_e32 v27, v27
	v_cmp_ngt_f32_e64 s12, 0xc2ce8ed0, v0
	v_exp_f32_e32 v28, v28
	v_exp_f32_e32 v9, v9
	v_cvt_i32_f32_e32 v37, v40
	v_dual_mul_f32 v29, 0x3fb8aa3b, v3 :: v_dual_mul_f32 v34, 0x3fb8aa3b, v8
	v_fma_f32 v47, 0x3fb8aa3b, v6, -v32
	v_rndne_f32_e32 v50, v33
	v_fma_f32 v45, 0x3fb8aa3b, v5, -v31
	s_delay_alu instid0(TRANS32_DEP_3) | instskip(SKIP_1) | instid1(TRANS32_DEP_2)
	v_ldexp_f32 v27, v27, v35
	v_fma_f32 v41, 0x3fb8aa3b, v3, -v29
	v_ldexp_f32 v28, v28, v37
	s_delay_alu instid0(TRANS32_DEP_1)
	v_ldexp_f32 v9, v9, v36
	v_rndne_f32_e32 v42, v29
	v_fmac_f32_e32 v47, 0x32a5705f, v6
	v_fmac_f32_e32 v41, 0x32a5705f, v3
	v_rndne_f32_e32 v46, v31
	v_cndmask_b32_e64 v9, 0, v9, s12
	v_cmp_ngt_f32_e64 s12, 0xc2ce8ed0, v1
	v_cvt_i32_f32_e32 v38, v42
	v_fmac_f32_e32 v45, 0x32a5705f, v5
	v_sub_f32_e32 v31, v31, v46
	v_exp_f32_e32 v30, v30
	v_cndmask_b32_e64 v27, 0, v27, s12
	v_cmp_nlt_f32_e64 s12, 0x42b17218, v0
	v_cvt_i32_f32_e32 v39, v44
	v_fma_f32 v49, 0x3fb8aa3b, v7, -v33
	v_fma_f32 v51, 0x3fb8aa3b, v8, -v34
	s_delay_alu instid0(VALU_DEP_4) | instskip(SKIP_1) | instid1(VALU_DEP_4)
	v_cndmask_b32_e64 v9, 0x7f800000, v9, s12
	v_cmp_nlt_f32_e64 s12, 0x42b17218, v1
	v_fmac_f32_e32 v49, 0x32a5705f, v7
	s_delay_alu instid0(TRANS32_DEP_1) | instskip(SKIP_4) | instid1(VALU_DEP_2)
	v_ldexp_f32 v30, v30, v39
	v_fmac_f32_e32 v51, 0x32a5705f, v8
	v_cndmask_b32_e32 v9, 0, v9, vcc_lo
	v_cndmask_b32_e64 v27, 0x7f800000, v27, s12
	v_cmp_ngt_f32_e64 s12, 0xc2ce8ed0, v2
	v_add_f32_e32 v27, v9, v27
	s_delay_alu instid0(VALU_DEP_2) | instskip(SKIP_1) | instid1(VALU_DEP_3)
	v_cndmask_b32_e64 v28, 0, v28, s12
	v_cmp_nlt_f32_e64 s12, 0x42b17218, v2
	v_cndmask_b32_e64 v9, v9, v27, s0
	v_add_f32_e32 v27, v31, v45
	s_delay_alu instid0(VALU_DEP_3) | instskip(SKIP_2) | instid1(VALU_DEP_4)
	v_cndmask_b32_e64 v28, 0x7f800000, v28, s12
	v_cmp_ngt_f32_e64 s12, 0xc2ce8ed0, v3
	v_cvt_i32_f32_e32 v31, v46
	v_exp_f32_e32 v27, v27
	s_delay_alu instid0(VALU_DEP_3) | instskip(NEXT) | instid1(VALU_DEP_1)
	v_add_f32_e32 v28, v9, v28
	v_cndmask_b32_e64 v9, v9, v28, s1
	v_dual_sub_f32 v28, v32, v48 :: v_dual_sub_f32 v29, v29, v42
	s_waitcnt_depctr 0xfff
	v_ldexp_f32 v27, v27, v31
	v_cvt_i32_f32_e32 v31, v48
	v_dual_add_f32 v28, v28, v47 :: v_dual_add_f32 v29, v29, v41
	s_delay_alu instid0(VALU_DEP_1) | instskip(NEXT) | instid1(VALU_DEP_1)
	v_exp_f32_e32 v28, v28
	v_exp_f32_e32 v29, v29
	s_waitcnt_depctr 0xfff
	v_ldexp_f32 v28, v28, v31
	v_ldexp_f32 v29, v29, v38
	s_delay_alu instid0(VALU_DEP_1) | instskip(SKIP_1) | instid1(VALU_DEP_1)
	v_cndmask_b32_e64 v29, 0, v29, s12
	v_cmp_nlt_f32_e64 s12, 0x42b17218, v3
	v_cndmask_b32_e64 v29, 0x7f800000, v29, s12
	v_cmp_ngt_f32_e64 s12, 0xc2ce8ed0, v4
	s_delay_alu instid0(VALU_DEP_2) | instskip(NEXT) | instid1(VALU_DEP_2)
	v_add_f32_e32 v29, v9, v29
	v_cndmask_b32_e64 v30, 0, v30, s12
	v_cmp_nlt_f32_e64 s12, 0x42b17218, v4
	s_delay_alu instid0(VALU_DEP_3) | instskip(NEXT) | instid1(VALU_DEP_2)
	v_cndmask_b32_e64 v9, v9, v29, s2
	v_cndmask_b32_e64 v30, 0x7f800000, v30, s12
	v_cmp_ngt_f32_e64 s12, 0xc2ce8ed0, v5
	s_delay_alu instid0(VALU_DEP_2) | instskip(NEXT) | instid1(VALU_DEP_2)
	v_add_f32_e32 v29, v9, v30
	v_cndmask_b32_e64 v27, 0, v27, s12
	v_sub_f32_e32 v30, v33, v50
	v_cmp_nlt_f32_e64 s12, 0x42b17218, v5
	s_delay_alu instid0(VALU_DEP_4) | instskip(NEXT) | instid1(VALU_DEP_3)
	v_cndmask_b32_e64 v9, v9, v29, s3
	v_add_f32_e32 v29, v30, v49
	s_delay_alu instid0(VALU_DEP_3) | instskip(SKIP_2) | instid1(VALU_DEP_4)
	v_cndmask_b32_e64 v27, 0x7f800000, v27, s12
	v_rndne_f32_e32 v30, v34
	v_cmp_ngt_f32_e64 s12, 0xc2ce8ed0, v6
	v_exp_f32_e32 v29, v29
	s_delay_alu instid0(VALU_DEP_3) | instskip(NEXT) | instid1(VALU_DEP_3)
	v_add_f32_e32 v27, v9, v27
	v_sub_f32_e32 v31, v34, v30
	s_delay_alu instid0(VALU_DEP_3)
	v_cndmask_b32_e64 v28, 0, v28, s12
	v_cmp_nlt_f32_e64 s12, 0x42b17218, v6
	v_cvt_i32_f32_e32 v30, v30
	v_cndmask_b32_e64 v9, v9, v27, s4
	v_cvt_i32_f32_e32 v27, v50
	v_add_f32_e32 v31, v31, v51
	v_cndmask_b32_e64 v28, 0x7f800000, v28, s12
	v_cmp_ngt_f32_e64 s12, 0xc2ce8ed0, v7
	s_delay_alu instid0(VALU_DEP_4) | instskip(NEXT) | instid1(VALU_DEP_4)
	v_ldexp_f32 v27, v29, v27
	v_exp_f32_e32 v29, v31
	s_delay_alu instid0(VALU_DEP_3) | instskip(NEXT) | instid1(VALU_DEP_2)
	v_add_f32_e32 v28, v9, v28
	v_cndmask_b32_e64 v27, 0, v27, s12
	v_cmp_nlt_f32_e64 s12, 0x42b17218, v7
	s_delay_alu instid0(VALU_DEP_3) | instskip(NEXT) | instid1(VALU_DEP_2)
	v_cndmask_b32_e64 v9, v9, v28, s5
	v_cndmask_b32_e64 v27, 0x7f800000, v27, s12
	s_waitcnt_depctr 0xfff
	v_ldexp_f32 v28, v29, v30
	v_cmp_ngt_f32_e64 s12, 0xc2ce8ed0, v8
	v_add_f32_e32 v27, v9, v27
	s_delay_alu instid0(VALU_DEP_2) | instskip(SKIP_1) | instid1(VALU_DEP_3)
	v_cndmask_b32_e64 v28, 0, v28, s12
	v_cmp_nlt_f32_e64 s12, 0x42b17218, v8
	v_cndmask_b32_e64 v9, v9, v27, s6
	s_delay_alu instid0(VALU_DEP_2) | instskip(NEXT) | instid1(VALU_DEP_1)
	v_cndmask_b32_e64 v27, 0x7f800000, v28, s12
	v_add_f32_e32 v27, v9, v27
	s_delay_alu instid0(VALU_DEP_1)
	v_cndmask_b32_e64 v9, v9, v27, s7
	ds_bpermute_b32 v27, v19, v9
	s_waitcnt lgkmcnt(0)
	v_add_f32_e32 v9, v9, v27
	ds_bpermute_b32 v27, v20, v9
	s_waitcnt lgkmcnt(0)
	v_add_f32_e32 v9, v9, v27
	;; [unrolled: 3-line block ×4, first 2 shown]
	ds_bpermute_b32 v27, v23, v9
	s_and_saveexec_b32 s12, s8
	s_cbranch_execz .LBB67_26
; %bb.25:
	s_waitcnt lgkmcnt(0)
	v_dual_add_f32 v9, v9, v27 :: v_dual_add_nc_u32 v24, 0, v24
	ds_store_b32 v24, v9
.LBB67_26:
	s_or_b32 exec_lo, exec_lo, s12
	s_waitcnt lgkmcnt(0)
	s_barrier
	buffer_gl0_inv
	s_and_saveexec_b32 s8, s9
	s_cbranch_execnz .LBB67_42
; %bb.27:
	s_or_b32 exec_lo, exec_lo, s8
	s_and_saveexec_b32 s8, s10
	s_cbranch_execnz .LBB67_43
.LBB67_28:
	s_or_b32 exec_lo, exec_lo, s8
	s_and_saveexec_b32 s8, s11
	s_cbranch_execz .LBB67_30
.LBB67_29:
	v_mov_b32_e32 v9, 0
	s_waitcnt lgkmcnt(0)
	ds_store_b32 v9, v26
.LBB67_30:
	s_or_b32 exec_lo, exec_lo, s8
	v_mov_b32_e32 v9, 0
	s_waitcnt lgkmcnt(0)
	s_barrier
	buffer_gl0_inv
	ds_load_b32 v9, v9
	s_waitcnt lgkmcnt(0)
	v_cmp_gt_f32_e64 s8, 0x800000, v9
	s_delay_alu instid0(VALU_DEP_1) | instskip(NEXT) | instid1(VALU_DEP_1)
	v_cndmask_b32_e64 v19, 1.0, 0x4f800000, s8
	v_mul_f32_e32 v9, v9, v19
	s_delay_alu instid0(VALU_DEP_1) | instskip(SKIP_3) | instid1(VALU_DEP_2)
	v_log_f32_e32 v9, v9
	s_waitcnt_depctr 0xfff
	v_mul_f32_e32 v19, 0x3f317217, v9
	v_cmp_gt_f32_e64 s9, 0x7f800000, |v9|
	v_fma_f32 v20, 0x3f317217, v9, -v19
	s_delay_alu instid0(VALU_DEP_1) | instskip(NEXT) | instid1(VALU_DEP_1)
	v_fmamk_f32 v20, v9, 0x3377d1cf, v20
	v_add_f32_e32 v19, v19, v20
	s_delay_alu instid0(VALU_DEP_1) | instskip(SKIP_3) | instid1(VALU_DEP_1)
	v_cndmask_b32_e64 v9, v9, v19, s9
	v_cndmask_b32_e64 v19, 0, 0x41b17218, s8
	s_add_u32 s8, s16, s14
	s_addc_u32 s9, s17, s15
	v_sub_f32_e32 v9, v9, v19
	s_and_saveexec_b32 s10, vcc_lo
	s_cbranch_execnz .LBB67_44
; %bb.31:
	s_or_b32 exec_lo, exec_lo, s10
	s_and_saveexec_b32 s10, s0
	s_cbranch_execnz .LBB67_45
.LBB67_32:
	s_or_b32 exec_lo, exec_lo, s10
	s_and_saveexec_b32 s0, s1
	s_cbranch_execnz .LBB67_46
.LBB67_33:
	s_or_b32 exec_lo, exec_lo, s0
	s_and_saveexec_b32 s0, s2
	s_cbranch_execnz .LBB67_47
.LBB67_34:
	s_or_b32 exec_lo, exec_lo, s0
	s_and_saveexec_b32 s0, s3
	s_cbranch_execnz .LBB67_48
.LBB67_35:
	s_or_b32 exec_lo, exec_lo, s0
	s_and_saveexec_b32 s0, s4
	s_cbranch_execnz .LBB67_49
.LBB67_36:
	s_or_b32 exec_lo, exec_lo, s0
	s_and_saveexec_b32 s0, s5
	s_cbranch_execnz .LBB67_50
.LBB67_37:
	s_or_b32 exec_lo, exec_lo, s0
	s_and_saveexec_b32 s0, s6
	s_cbranch_execnz .LBB67_51
.LBB67_38:
	s_or_b32 exec_lo, exec_lo, s0
	s_and_saveexec_b32 s0, s7
	s_cbranch_execnz .LBB67_52
.LBB67_39:
	s_nop 0
	s_sendmsg sendmsg(MSG_DEALLOC_VGPRS)
	s_endpgm
.LBB67_40:
	ds_load_b32 v26, v25
	s_or_b32 exec_lo, exec_lo, s10
	v_cmp_gt_u32_e64 s10, 32, v0
	s_delay_alu instid0(VALU_DEP_1)
	s_and_saveexec_b32 s12, s10
	s_cbranch_execz .LBB67_22
.LBB67_41:
	s_waitcnt lgkmcnt(0)
	ds_bpermute_b32 v27, v19, v26
	s_waitcnt lgkmcnt(0)
	v_cmp_lt_f32_e64 s11, v26, v27
	s_delay_alu instid0(VALU_DEP_1) | instskip(SKIP_3) | instid1(VALU_DEP_1)
	v_cndmask_b32_e64 v26, v26, v27, s11
	ds_bpermute_b32 v27, v20, v26
	s_waitcnt lgkmcnt(0)
	v_cmp_lt_f32_e64 s11, v26, v27
	v_cndmask_b32_e64 v26, v26, v27, s11
	ds_bpermute_b32 v27, v21, v26
	s_waitcnt lgkmcnt(0)
	v_cmp_lt_f32_e64 s11, v26, v27
	s_delay_alu instid0(VALU_DEP_1) | instskip(SKIP_3) | instid1(VALU_DEP_1)
	v_cndmask_b32_e64 v26, v26, v27, s11
	ds_bpermute_b32 v27, v22, v26
	s_waitcnt lgkmcnt(0)
	v_cmp_lt_f32_e64 s11, v26, v27
	v_cndmask_b32_e64 v26, v26, v27, s11
	ds_bpermute_b32 v27, v23, v26
	s_waitcnt lgkmcnt(0)
	v_cmp_lt_f32_e64 s11, v26, v27
	s_delay_alu instid0(VALU_DEP_1) | instskip(SKIP_2) | instid1(VALU_DEP_1)
	v_cndmask_b32_e64 v26, v26, v27, s11
	s_or_b32 exec_lo, exec_lo, s12
	v_cmp_eq_u32_e64 s11, 0, v0
	s_and_saveexec_b32 s12, s11
	s_cbranch_execnz .LBB67_23
	s_branch .LBB67_24
.LBB67_42:
	ds_load_b32 v26, v25
	s_or_b32 exec_lo, exec_lo, s8
	s_and_saveexec_b32 s8, s10
	s_cbranch_execz .LBB67_28
.LBB67_43:
	s_waitcnt lgkmcnt(0)
	ds_bpermute_b32 v9, v19, v26
	s_waitcnt lgkmcnt(0)
	v_add_f32_e32 v9, v26, v9
	ds_bpermute_b32 v19, v20, v9
	s_waitcnt lgkmcnt(0)
	v_add_f32_e32 v9, v9, v19
	ds_bpermute_b32 v19, v21, v9
	s_waitcnt lgkmcnt(0)
	v_add_f32_e32 v9, v9, v19
	ds_bpermute_b32 v19, v22, v9
	s_waitcnt lgkmcnt(0)
	v_add_f32_e32 v9, v9, v19
	ds_bpermute_b32 v19, v23, v9
	s_waitcnt lgkmcnt(0)
	v_add_f32_e32 v26, v9, v19
	s_or_b32 exec_lo, exec_lo, s8
	s_and_saveexec_b32 s8, s11
	s_cbranch_execnz .LBB67_29
	s_branch .LBB67_30
.LBB67_44:
	s_delay_alu instid0(VALU_DEP_1)
	v_sub_f32_e32 v0, v0, v9
	global_store_b32 v12, v0, s[8:9]
	s_or_b32 exec_lo, exec_lo, s10
	s_and_saveexec_b32 s10, s0
	s_cbranch_execz .LBB67_32
.LBB67_45:
	v_sub_f32_e32 v0, v1, v9
	global_store_b32 v13, v0, s[8:9]
	s_or_b32 exec_lo, exec_lo, s10
	s_and_saveexec_b32 s0, s1
	s_cbranch_execz .LBB67_33
.LBB67_46:
	v_sub_f32_e32 v0, v2, v9
	global_store_b32 v14, v0, s[8:9]
	s_or_b32 exec_lo, exec_lo, s0
	s_and_saveexec_b32 s0, s2
	s_cbranch_execz .LBB67_34
.LBB67_47:
	v_sub_f32_e32 v0, v3, v9
	global_store_b32 v15, v0, s[8:9]
	s_or_b32 exec_lo, exec_lo, s0
	s_and_saveexec_b32 s0, s3
	s_cbranch_execz .LBB67_35
.LBB67_48:
	v_sub_f32_e32 v0, v4, v9
	global_store_b32 v16, v0, s[8:9]
	s_or_b32 exec_lo, exec_lo, s0
	s_and_saveexec_b32 s0, s4
	s_cbranch_execz .LBB67_36
.LBB67_49:
	v_sub_f32_e32 v0, v5, v9
	global_store_b32 v17, v0, s[8:9]
	s_or_b32 exec_lo, exec_lo, s0
	s_and_saveexec_b32 s0, s5
	s_cbranch_execz .LBB67_37
.LBB67_50:
	v_sub_f32_e32 v0, v6, v9
	global_store_b32 v18, v0, s[8:9]
	s_or_b32 exec_lo, exec_lo, s0
	s_and_saveexec_b32 s0, s6
	s_cbranch_execz .LBB67_38
.LBB67_51:
	v_sub_f32_e32 v0, v7, v9
	global_store_b32 v11, v0, s[8:9]
	s_or_b32 exec_lo, exec_lo, s0
	s_and_saveexec_b32 s0, s7
	s_cbranch_execz .LBB67_39
.LBB67_52:
	v_sub_f32_e32 v0, v8, v9
	global_store_b32 v10, v0, s[8:9]
	s_nop 0
	s_sendmsg sendmsg(MSG_DEALLOC_VGPRS)
	s_endpgm
	.section	.rodata,"a",@progbits
	.p2align	6, 0x0
	.amdhsa_kernel _ZN2at6native12_GLOBAL__N_122cunn_SoftMaxForwardRegIfffNS1_25LogSoftMaxForwardEpilogueElLi9EEEvPT1_PKT_T3_
		.amdhsa_group_segment_fixed_size 0
		.amdhsa_private_segment_fixed_size 0
		.amdhsa_kernarg_size 280
		.amdhsa_user_sgpr_count 15
		.amdhsa_user_sgpr_dispatch_ptr 0
		.amdhsa_user_sgpr_queue_ptr 0
		.amdhsa_user_sgpr_kernarg_segment_ptr 1
		.amdhsa_user_sgpr_dispatch_id 0
		.amdhsa_user_sgpr_private_segment_size 0
		.amdhsa_wavefront_size32 1
		.amdhsa_uses_dynamic_stack 0
		.amdhsa_enable_private_segment 0
		.amdhsa_system_sgpr_workgroup_id_x 1
		.amdhsa_system_sgpr_workgroup_id_y 0
		.amdhsa_system_sgpr_workgroup_id_z 0
		.amdhsa_system_sgpr_workgroup_info 0
		.amdhsa_system_vgpr_workitem_id 0
		.amdhsa_next_free_vgpr 52
		.amdhsa_next_free_sgpr 20
		.amdhsa_reserve_vcc 1
		.amdhsa_float_round_mode_32 0
		.amdhsa_float_round_mode_16_64 0
		.amdhsa_float_denorm_mode_32 3
		.amdhsa_float_denorm_mode_16_64 3
		.amdhsa_dx10_clamp 1
		.amdhsa_ieee_mode 1
		.amdhsa_fp16_overflow 0
		.amdhsa_workgroup_processor_mode 1
		.amdhsa_memory_ordered 1
		.amdhsa_forward_progress 0
		.amdhsa_shared_vgpr_count 0
		.amdhsa_exception_fp_ieee_invalid_op 0
		.amdhsa_exception_fp_denorm_src 0
		.amdhsa_exception_fp_ieee_div_zero 0
		.amdhsa_exception_fp_ieee_overflow 0
		.amdhsa_exception_fp_ieee_underflow 0
		.amdhsa_exception_fp_ieee_inexact 0
		.amdhsa_exception_int_div_zero 0
	.end_amdhsa_kernel
	.section	.text._ZN2at6native12_GLOBAL__N_122cunn_SoftMaxForwardRegIfffNS1_25LogSoftMaxForwardEpilogueElLi9EEEvPT1_PKT_T3_,"axG",@progbits,_ZN2at6native12_GLOBAL__N_122cunn_SoftMaxForwardRegIfffNS1_25LogSoftMaxForwardEpilogueElLi9EEEvPT1_PKT_T3_,comdat
.Lfunc_end67:
	.size	_ZN2at6native12_GLOBAL__N_122cunn_SoftMaxForwardRegIfffNS1_25LogSoftMaxForwardEpilogueElLi9EEEvPT1_PKT_T3_, .Lfunc_end67-_ZN2at6native12_GLOBAL__N_122cunn_SoftMaxForwardRegIfffNS1_25LogSoftMaxForwardEpilogueElLi9EEEvPT1_PKT_T3_
                                        ; -- End function
	.section	.AMDGPU.csdata,"",@progbits
; Kernel info:
; codeLenInByte = 3332
; NumSgprs: 22
; NumVgprs: 52
; ScratchSize: 0
; MemoryBound: 0
; FloatMode: 240
; IeeeMode: 1
; LDSByteSize: 0 bytes/workgroup (compile time only)
; SGPRBlocks: 2
; VGPRBlocks: 6
; NumSGPRsForWavesPerEU: 22
; NumVGPRsForWavesPerEU: 52
; Occupancy: 16
; WaveLimiterHint : 0
; COMPUTE_PGM_RSRC2:SCRATCH_EN: 0
; COMPUTE_PGM_RSRC2:USER_SGPR: 15
; COMPUTE_PGM_RSRC2:TRAP_HANDLER: 0
; COMPUTE_PGM_RSRC2:TGID_X_EN: 1
; COMPUTE_PGM_RSRC2:TGID_Y_EN: 0
; COMPUTE_PGM_RSRC2:TGID_Z_EN: 0
; COMPUTE_PGM_RSRC2:TIDIG_COMP_CNT: 0
	.section	.text._ZN2at6native12_GLOBAL__N_123cunn_SoftMaxForwardSmemILi4EfffNS1_25LogSoftMaxForwardEpilogueElEEvPT2_PKT0_T4_,"axG",@progbits,_ZN2at6native12_GLOBAL__N_123cunn_SoftMaxForwardSmemILi4EfffNS1_25LogSoftMaxForwardEpilogueElEEvPT2_PKT0_T4_,comdat
	.globl	_ZN2at6native12_GLOBAL__N_123cunn_SoftMaxForwardSmemILi4EfffNS1_25LogSoftMaxForwardEpilogueElEEvPT2_PKT0_T4_ ; -- Begin function _ZN2at6native12_GLOBAL__N_123cunn_SoftMaxForwardSmemILi4EfffNS1_25LogSoftMaxForwardEpilogueElEEvPT2_PKT0_T4_
	.p2align	8
	.type	_ZN2at6native12_GLOBAL__N_123cunn_SoftMaxForwardSmemILi4EfffNS1_25LogSoftMaxForwardEpilogueElEEvPT2_PKT0_T4_,@function
_ZN2at6native12_GLOBAL__N_123cunn_SoftMaxForwardSmemILi4EfffNS1_25LogSoftMaxForwardEpilogueElEEvPT2_PKT0_T4_: ; @_ZN2at6native12_GLOBAL__N_123cunn_SoftMaxForwardSmemILi4EfffNS1_25LogSoftMaxForwardEpilogueElEEvPT2_PKT0_T4_
; %bb.0:
	s_clause 0x1
	s_load_b64 s[6:7], s[0:1], 0x10
	s_load_b128 s[8:11], s[0:1], 0x0
	v_dual_mov_b32 v1, 0 :: v_dual_lshlrev_b32 v2, 2, v0
	v_lshlrev_b32_e32 v6, 4, v0
	s_mov_b32 s4, 0
	s_delay_alu instid0(VALU_DEP_2) | instskip(SKIP_1) | instid1(VALU_DEP_1)
	v_dual_mov_b32 v8, 0xff7fffff :: v_dual_mov_b32 v3, v1
	s_waitcnt lgkmcnt(0)
	v_cmp_gt_i64_e32 vcc_lo, s[6:7], v[2:3]
	s_mul_i32 s5, s7, s15
	s_mul_hi_u32 s14, s6, s15
	s_mul_i32 s12, s6, s15
	s_and_saveexec_b32 s15, vcc_lo
	s_cbranch_execz .LBB68_4
; %bb.1:
	s_load_b32 s2, s[0:1], 0x24
	s_add_i32 s13, s14, s5
	v_dual_mov_b32 v8, 0xff7fffff :: v_dual_add_nc_u32 v7, 0, v6
	v_dual_mov_b32 v5, v1 :: v_dual_mov_b32 v4, v0
	s_waitcnt lgkmcnt(0)
	s_and_b32 s16, s2, 0xffff
	s_lshl_b64 s[2:3], s[12:13], 2
	s_lshl_b32 s13, s16, 4
	s_add_u32 s2, s10, s2
	s_addc_u32 s3, s11, s3
	v_add_co_u32 v2, s2, s2, v6
	s_delay_alu instid0(VALU_DEP_1) | instskip(NEXT) | instid1(VALU_DEP_2)
	v_add_co_ci_u32_e64 v3, null, s3, 0, s2
	v_add_co_u32 v2, s2, v2, 8
	s_delay_alu instid0(VALU_DEP_1)
	v_add_co_ci_u32_e64 v3, s2, 0, v3, s2
	.p2align	6
.LBB68_2:                               ; =>This Inner Loop Header: Depth=1
	global_load_b128 v[9:12], v[2:3], off offset:-8
	v_add_co_u32 v4, s2, v4, s16
	s_delay_alu instid0(VALU_DEP_1) | instskip(SKIP_1) | instid1(VALU_DEP_1)
	v_add_co_ci_u32_e64 v5, s2, 0, v5, s2
	v_add_co_u32 v2, s2, v2, s13
	v_add_co_ci_u32_e64 v3, s2, 0, v3, s2
	s_delay_alu instid0(VALU_DEP_3) | instskip(NEXT) | instid1(VALU_DEP_1)
	v_lshlrev_b64 v[13:14], 2, v[4:5]
	v_cmp_le_i64_e64 s3, s[6:7], v[13:14]
	s_delay_alu instid0(VALU_DEP_1)
	s_or_b32 s4, s3, s4
	s_waitcnt vmcnt(0)
	v_max3_f32 v8, v8, v9, v10
	ds_store_b128 v7, v[9:12]
	v_add_nc_u32_e32 v7, s13, v7
	v_max3_f32 v8, v8, v11, v12
	s_and_not1_b32 exec_lo, exec_lo, s4
	s_cbranch_execnz .LBB68_2
; %bb.3:
	s_or_b32 exec_lo, exec_lo, s4
.LBB68_4:
	s_delay_alu instid0(SALU_CYCLE_1)
	s_or_b32 exec_lo, exec_lo, s15
	v_mbcnt_lo_u32_b32 v2, -1, 0
	v_lshrrev_b32_e32 v11, 3, v0
	s_lshl_b32 s3, s6, 2
	s_waitcnt lgkmcnt(0)
	s_add_i32 s11, s3, 0
	v_cmp_gt_u32_e64 s2, 16, v2
	s_barrier
	buffer_gl0_inv
	v_cndmask_b32_e64 v3, 0, 1, s2
	v_cmp_gt_u32_e64 s2, 24, v2
	s_delay_alu instid0(VALU_DEP_2) | instskip(NEXT) | instid1(VALU_DEP_2)
	v_lshlrev_b32_e32 v3, 4, v3
	v_cndmask_b32_e64 v5, 0, 1, s2
	s_delay_alu instid0(VALU_DEP_2) | instskip(NEXT) | instid1(VALU_DEP_2)
	v_add_lshl_u32 v4, v3, v2, 2
	v_lshlrev_b32_e32 v5, 3, v5
	ds_bpermute_b32 v3, v4, v8
	v_add_lshl_u32 v7, v5, v2, 2
	s_waitcnt lgkmcnt(0)
	v_cmp_lt_f32_e64 s2, v8, v3
	s_delay_alu instid0(VALU_DEP_1) | instskip(SKIP_3) | instid1(VALU_DEP_1)
	v_cndmask_b32_e64 v3, v8, v3, s2
	v_cmp_gt_u32_e64 s2, 28, v2
	ds_bpermute_b32 v5, v7, v3
	v_cndmask_b32_e64 v8, 0, 1, s2
	v_lshlrev_b32_e32 v8, 2, v8
	s_delay_alu instid0(VALU_DEP_1) | instskip(SKIP_2) | instid1(VALU_DEP_1)
	v_add_lshl_u32 v8, v8, v2, 2
	s_waitcnt lgkmcnt(0)
	v_cmp_lt_f32_e64 s2, v3, v5
	v_cndmask_b32_e64 v3, v3, v5, s2
	v_cmp_gt_u32_e64 s2, 30, v2
	ds_bpermute_b32 v5, v8, v3
	v_cndmask_b32_e64 v9, 0, 1, s2
	s_delay_alu instid0(VALU_DEP_1) | instskip(NEXT) | instid1(VALU_DEP_1)
	v_lshlrev_b32_e32 v9, 1, v9
	v_add_lshl_u32 v9, v9, v2, 2
	s_waitcnt lgkmcnt(0)
	v_cmp_lt_f32_e64 s2, v3, v5
	s_delay_alu instid0(VALU_DEP_1) | instskip(SKIP_3) | instid1(VALU_DEP_1)
	v_cndmask_b32_e64 v3, v3, v5, s2
	v_cmp_ne_u32_e64 s2, 31, v2
	ds_bpermute_b32 v5, v9, v3
	v_add_co_ci_u32_e64 v10, s2, 0, v2, s2
	v_lshlrev_b32_e32 v10, 2, v10
	s_waitcnt lgkmcnt(0)
	v_cmp_lt_f32_e64 s2, v3, v5
	s_delay_alu instid0(VALU_DEP_1) | instskip(SKIP_3) | instid1(VALU_DEP_1)
	v_cndmask_b32_e64 v2, v3, v5, s2
	v_and_b32_e32 v3, 31, v0
	ds_bpermute_b32 v5, v10, v2
	v_cmp_eq_u32_e64 s2, 0, v3
	s_and_saveexec_b32 s4, s2
	s_cbranch_execz .LBB68_6
; %bb.5:
	s_waitcnt lgkmcnt(0)
	v_cmp_lt_f32_e64 s3, v2, v5
	v_add_nc_u32_e32 v12, s11, v11
	s_delay_alu instid0(VALU_DEP_2)
	v_cndmask_b32_e64 v2, v2, v5, s3
	ds_store_b32 v12, v2
.LBB68_6:
	s_or_b32 exec_lo, exec_lo, s4
	s_waitcnt lgkmcnt(0)
	s_barrier
	buffer_gl0_inv
	s_load_b32 s4, s[0:1], 0x24
	v_mov_b32_e32 v2, 0xff7fffff
	v_lshl_add_u32 v12, v3, 2, s11
	s_waitcnt lgkmcnt(0)
	s_bfe_u32 s0, s4, 0xb0005
	s_delay_alu instid0(SALU_CYCLE_1) | instskip(NEXT) | instid1(VALU_DEP_1)
	v_cmp_gt_u32_e64 s0, s0, v0
	s_and_saveexec_b32 s1, s0
	s_cbranch_execnz .LBB68_24
; %bb.7:
	s_or_b32 exec_lo, exec_lo, s1
	v_cmp_gt_u32_e64 s1, 32, v0
	s_delay_alu instid0(VALU_DEP_1)
	s_and_saveexec_b32 s10, s1
	s_cbranch_execnz .LBB68_25
.LBB68_8:
	s_or_b32 exec_lo, exec_lo, s10
	v_cmp_eq_u32_e64 s3, 0, v0
	s_delay_alu instid0(VALU_DEP_1)
	s_and_saveexec_b32 s10, s3
	s_cbranch_execz .LBB68_10
.LBB68_9:
	v_mov_b32_e32 v3, s11
	s_waitcnt lgkmcnt(0)
	ds_store_b32 v3, v2
.LBB68_10:
	s_or_b32 exec_lo, exec_lo, s10
	s_waitcnt lgkmcnt(0)
	v_dual_mov_b32 v2, s11 :: v_dual_mov_b32 v13, 0
	s_barrier
	buffer_gl0_inv
	ds_load_b32 v5, v2
	s_and_b32 s10, s4, 0xffff
	s_and_saveexec_b32 s13, vcc_lo
	s_cbranch_execz .LBB68_14
; %bb.11:
	v_mov_b32_e32 v3, v1
	v_lshl_add_u32 v14, v0, 4, 0
	v_dual_mov_b32 v13, 0 :: v_dual_mov_b32 v2, v0
	s_mov_b32 s15, 0
	s_lshl_b32 s16, s10, 4
.LBB68_12:                              ; =>This Inner Loop Header: Depth=1
	ds_load_b128 v[15:18], v14
	v_add_co_u32 v2, s4, v2, s10
	s_delay_alu instid0(VALU_DEP_1) | instskip(SKIP_1) | instid1(VALU_DEP_2)
	v_add_co_ci_u32_e64 v3, s4, 0, v3, s4
	v_add_nc_u32_e32 v14, s16, v14
	v_lshlrev_b64 v[19:20], 2, v[2:3]
	s_waitcnt lgkmcnt(0)
	v_sub_f32_e32 v16, v16, v5
	s_delay_alu instid0(VALU_DEP_1) | instskip(NEXT) | instid1(VALU_DEP_1)
	v_dual_sub_f32 v15, v15, v5 :: v_dual_mul_f32 v22, 0x3fb8aa3b, v16
	v_mul_f32_e32 v21, 0x3fb8aa3b, v15
	v_cmp_ngt_f32_e64 s4, 0xc2ce8ed0, v15
	s_delay_alu instid0(VALU_DEP_3) | instskip(NEXT) | instid1(VALU_DEP_3)
	v_fma_f32 v27, 0x3fb8aa3b, v16, -v22
	v_fma_f32 v25, 0x3fb8aa3b, v15, -v21
	v_sub_f32_e32 v18, v18, v5
	v_rndne_f32_e32 v26, v21
	v_rndne_f32_e32 v28, v22
	s_delay_alu instid0(VALU_DEP_4) | instskip(NEXT) | instid1(VALU_DEP_4)
	v_fmac_f32_e32 v25, 0x32a5705f, v15
	v_dual_sub_f32 v17, v17, v5 :: v_dual_mul_f32 v24, 0x3fb8aa3b, v18
	s_delay_alu instid0(VALU_DEP_3) | instskip(SKIP_1) | instid1(VALU_DEP_3)
	v_sub_f32_e32 v22, v22, v28
	v_cvt_i32_f32_e32 v28, v28
	v_mul_f32_e32 v23, 0x3fb8aa3b, v17
	s_delay_alu instid0(VALU_DEP_4) | instskip(SKIP_4) | instid1(VALU_DEP_4)
	v_fma_f32 v31, 0x3fb8aa3b, v18, -v24
	v_rndne_f32_e32 v32, v24
	v_sub_f32_e32 v21, v21, v26
	v_cvt_i32_f32_e32 v26, v26
	v_fma_f32 v29, 0x3fb8aa3b, v17, -v23
	v_dual_fmac_f32 v31, 0x32a5705f, v18 :: v_dual_sub_f32 v24, v24, v32
	v_fmac_f32_e32 v27, 0x32a5705f, v16
	v_add_f32_e32 v21, v21, v25
	v_rndne_f32_e32 v30, v23
	v_cvt_i32_f32_e32 v32, v32
	v_dual_add_f32 v24, v24, v31 :: v_dual_fmac_f32 v29, 0x32a5705f, v17
	v_add_f32_e32 v22, v22, v27
	v_exp_f32_e32 v21, v21
	v_sub_f32_e32 v23, v23, v30
	v_cvt_i32_f32_e32 v30, v30
	v_exp_f32_e32 v24, v24
	v_exp_f32_e32 v22, v22
	s_delay_alu instid0(VALU_DEP_2) | instskip(NEXT) | instid1(TRANS32_DEP_3)
	v_add_f32_e32 v23, v23, v29
	v_ldexp_f32 v21, v21, v26
	s_delay_alu instid0(VALU_DEP_2) | instskip(NEXT) | instid1(TRANS32_DEP_3)
	v_exp_f32_e32 v23, v23
	v_ldexp_f32 v24, v24, v32
	s_waitcnt_depctr 0xfff
	v_ldexp_f32 v22, v22, v28
	v_cndmask_b32_e64 v21, 0, v21, s4
	v_cmp_ngt_f32_e64 s4, 0xc2ce8ed0, v16
	s_delay_alu instid0(VALU_DEP_1) | instskip(SKIP_2) | instid1(VALU_DEP_2)
	v_cndmask_b32_e64 v22, 0, v22, s4
	v_cmp_nlt_f32_e64 s4, 0x42b17218, v15
	v_ldexp_f32 v23, v23, v30
	v_cndmask_b32_e64 v15, 0x7f800000, v21, s4
	v_cmp_ngt_f32_e64 s4, 0xc2ce8ed0, v17
	s_delay_alu instid0(VALU_DEP_2) | instskip(NEXT) | instid1(VALU_DEP_2)
	v_add_f32_e32 v13, v13, v15
	v_cndmask_b32_e64 v21, 0, v23, s4
	v_cmp_nlt_f32_e64 s4, 0x42b17218, v16
	s_delay_alu instid0(VALU_DEP_1) | instskip(SKIP_1) | instid1(VALU_DEP_2)
	v_cndmask_b32_e64 v16, 0x7f800000, v22, s4
	v_cmp_ngt_f32_e64 s4, 0xc2ce8ed0, v18
	v_add_f32_e32 v13, v13, v16
	s_delay_alu instid0(VALU_DEP_2) | instskip(SKIP_1) | instid1(VALU_DEP_1)
	v_cndmask_b32_e64 v15, 0, v24, s4
	v_cmp_nlt_f32_e64 s4, 0x42b17218, v17
	v_cndmask_b32_e64 v17, 0x7f800000, v21, s4
	v_cmp_nlt_f32_e64 s4, 0x42b17218, v18
	s_delay_alu instid0(VALU_DEP_2) | instskip(NEXT) | instid1(VALU_DEP_2)
	v_add_f32_e32 v13, v13, v17
	v_cndmask_b32_e64 v15, 0x7f800000, v15, s4
	v_cmp_le_i64_e64 s4, s[6:7], v[19:20]
	s_delay_alu instid0(VALU_DEP_2) | instskip(NEXT) | instid1(VALU_DEP_2)
	v_add_f32_e32 v13, v13, v15
	s_or_b32 s15, s4, s15
	s_delay_alu instid0(SALU_CYCLE_1)
	s_and_not1_b32 exec_lo, exec_lo, s15
	s_cbranch_execnz .LBB68_12
; %bb.13:
	s_or_b32 exec_lo, exec_lo, s15
.LBB68_14:
	s_delay_alu instid0(SALU_CYCLE_1)
	s_or_b32 exec_lo, exec_lo, s13
	ds_bpermute_b32 v2, v4, v13
	s_waitcnt lgkmcnt(0)
	s_barrier
	buffer_gl0_inv
	v_add_f32_e32 v2, v13, v2
	ds_bpermute_b32 v3, v7, v2
	s_waitcnt lgkmcnt(0)
	v_add_f32_e32 v2, v2, v3
	ds_bpermute_b32 v3, v8, v2
	s_waitcnt lgkmcnt(0)
	;; [unrolled: 3-line block ×3, first 2 shown]
	v_add_f32_e32 v2, v2, v3
	ds_bpermute_b32 v3, v10, v2
	s_and_saveexec_b32 s4, s2
	s_cbranch_execz .LBB68_16
; %bb.15:
	v_add_nc_u32_e32 v11, s11, v11
	s_waitcnt lgkmcnt(0)
	v_add_f32_e32 v2, v2, v3
	ds_store_b32 v11, v2
.LBB68_16:
	s_or_b32 exec_lo, exec_lo, s4
	v_mov_b32_e32 v2, 0
	s_waitcnt lgkmcnt(0)
	s_barrier
	buffer_gl0_inv
	s_and_saveexec_b32 s2, s0
	s_cbranch_execnz .LBB68_26
; %bb.17:
	s_or_b32 exec_lo, exec_lo, s2
	s_and_saveexec_b32 s0, s1
	s_cbranch_execnz .LBB68_27
.LBB68_18:
	s_or_b32 exec_lo, exec_lo, s0
	s_and_saveexec_b32 s0, s3
	s_cbranch_execz .LBB68_20
.LBB68_19:
	v_mov_b32_e32 v3, s11
	s_waitcnt lgkmcnt(0)
	ds_store_b32 v3, v2
.LBB68_20:
	s_or_b32 exec_lo, exec_lo, s0
	s_waitcnt lgkmcnt(0)
	s_barrier
	buffer_gl0_inv
	s_and_saveexec_b32 s0, vcc_lo
	s_cbranch_execz .LBB68_23
; %bb.21:
	v_mov_b32_e32 v2, s11
	s_add_i32 s13, s14, s5
	s_lshl_b32 s1, s10, 4
	s_lshl_b64 s[2:3], s[12:13], 2
	s_delay_alu instid0(SALU_CYCLE_1)
	s_add_u32 s0, s8, s2
	ds_load_b32 v2, v2
	s_addc_u32 s2, s9, s3
	s_waitcnt lgkmcnt(0)
	v_cmp_gt_f32_e32 vcc_lo, 0x800000, v2
	v_cndmask_b32_e64 v3, 1.0, 0x4f800000, vcc_lo
	s_delay_alu instid0(VALU_DEP_1) | instskip(NEXT) | instid1(VALU_DEP_1)
	v_mul_f32_e32 v2, v2, v3
	v_log_f32_e32 v2, v2
	s_waitcnt_depctr 0xfff
	v_mul_f32_e32 v3, 0x3f317217, v2
	s_delay_alu instid0(VALU_DEP_1) | instskip(NEXT) | instid1(VALU_DEP_1)
	v_fma_f32 v4, 0x3f317217, v2, -v3
	v_dual_fmamk_f32 v7, v2, 0x3377d1cf, v4 :: v_dual_add_nc_u32 v4, 0, v6
	s_delay_alu instid0(VALU_DEP_1) | instskip(SKIP_2) | instid1(VALU_DEP_3)
	v_add_f32_e32 v3, v3, v7
	v_cndmask_b32_e64 v7, 0, 0x41b17218, vcc_lo
	v_cmp_gt_f32_e64 vcc_lo, 0x7f800000, |v2|
	v_cndmask_b32_e32 v2, v2, v3, vcc_lo
	v_add_co_u32 v3, s0, s0, v6
	s_delay_alu instid0(VALU_DEP_1) | instskip(NEXT) | instid1(VALU_DEP_3)
	v_add_co_ci_u32_e64 v8, null, s2, 0, s0
	v_sub_f32_e32 v6, v2, v7
	s_delay_alu instid0(VALU_DEP_3) | instskip(NEXT) | instid1(VALU_DEP_3)
	v_add_co_u32 v2, vcc_lo, v3, 8
	v_add_co_ci_u32_e32 v3, vcc_lo, 0, v8, vcc_lo
	s_mov_b32 s2, 0
	.p2align	6
.LBB68_22:                              ; =>This Inner Loop Header: Depth=1
	ds_load_b128 v[7:10], v4
	v_add_nc_u32_e32 v4, s1, v4
	v_add_co_u32 v0, vcc_lo, v0, s10
	v_add_co_ci_u32_e32 v1, vcc_lo, 0, v1, vcc_lo
	s_delay_alu instid0(VALU_DEP_1) | instskip(NEXT) | instid1(VALU_DEP_1)
	v_lshlrev_b64 v[11:12], 2, v[0:1]
	v_cmp_le_i64_e32 vcc_lo, s[6:7], v[11:12]
	s_waitcnt lgkmcnt(0)
	v_sub_f32_e32 v7, v7, v5
	v_sub_f32_e32 v8, v8, v5
	s_or_b32 s2, vcc_lo, s2
	s_delay_alu instid0(VALU_DEP_2) | instskip(NEXT) | instid1(VALU_DEP_2)
	v_sub_f32_e32 v7, v7, v6
	v_dual_sub_f32 v9, v9, v5 :: v_dual_sub_f32 v8, v8, v6
	s_delay_alu instid0(VALU_DEP_1) | instskip(NEXT) | instid1(VALU_DEP_1)
	v_dual_sub_f32 v10, v10, v5 :: v_dual_sub_f32 v9, v9, v6
	v_sub_f32_e32 v10, v10, v6
	global_store_b128 v[2:3], v[7:10], off offset:-8
	v_add_co_u32 v2, s0, v2, s1
	s_delay_alu instid0(VALU_DEP_1)
	v_add_co_ci_u32_e64 v3, s0, 0, v3, s0
	s_and_not1_b32 exec_lo, exec_lo, s2
	s_cbranch_execnz .LBB68_22
.LBB68_23:
	s_nop 0
	s_sendmsg sendmsg(MSG_DEALLOC_VGPRS)
	s_endpgm
.LBB68_24:
	ds_load_b32 v2, v12
	s_or_b32 exec_lo, exec_lo, s1
	v_cmp_gt_u32_e64 s1, 32, v0
	s_delay_alu instid0(VALU_DEP_1)
	s_and_saveexec_b32 s10, s1
	s_cbranch_execz .LBB68_8
.LBB68_25:
	s_waitcnt lgkmcnt(0)
	ds_bpermute_b32 v3, v4, v2
	s_waitcnt lgkmcnt(0)
	v_cmp_lt_f32_e64 s3, v2, v3
	s_delay_alu instid0(VALU_DEP_1) | instskip(SKIP_3) | instid1(VALU_DEP_1)
	v_cndmask_b32_e64 v2, v2, v3, s3
	ds_bpermute_b32 v3, v7, v2
	s_waitcnt lgkmcnt(0)
	v_cmp_lt_f32_e64 s3, v2, v3
	v_cndmask_b32_e64 v2, v2, v3, s3
	ds_bpermute_b32 v3, v8, v2
	s_waitcnt lgkmcnt(0)
	v_cmp_lt_f32_e64 s3, v2, v3
	s_delay_alu instid0(VALU_DEP_1) | instskip(SKIP_3) | instid1(VALU_DEP_1)
	v_cndmask_b32_e64 v2, v2, v3, s3
	ds_bpermute_b32 v3, v9, v2
	s_waitcnt lgkmcnt(0)
	v_cmp_lt_f32_e64 s3, v2, v3
	v_cndmask_b32_e64 v2, v2, v3, s3
	ds_bpermute_b32 v3, v10, v2
	s_waitcnt lgkmcnt(0)
	v_cmp_lt_f32_e64 s3, v2, v3
	s_delay_alu instid0(VALU_DEP_1) | instskip(SKIP_2) | instid1(VALU_DEP_1)
	v_cndmask_b32_e64 v2, v2, v3, s3
	s_or_b32 exec_lo, exec_lo, s10
	v_cmp_eq_u32_e64 s3, 0, v0
	s_and_saveexec_b32 s10, s3
	s_cbranch_execnz .LBB68_9
	s_branch .LBB68_10
.LBB68_26:
	ds_load_b32 v2, v12
	s_or_b32 exec_lo, exec_lo, s2
	s_and_saveexec_b32 s0, s1
	s_cbranch_execz .LBB68_18
.LBB68_27:
	s_waitcnt lgkmcnt(0)
	ds_bpermute_b32 v3, v4, v2
	s_waitcnt lgkmcnt(0)
	v_add_f32_e32 v2, v2, v3
	ds_bpermute_b32 v3, v7, v2
	s_waitcnt lgkmcnt(0)
	v_add_f32_e32 v2, v2, v3
	;; [unrolled: 3-line block ×5, first 2 shown]
	s_or_b32 exec_lo, exec_lo, s0
	s_and_saveexec_b32 s0, s3
	s_cbranch_execnz .LBB68_19
	s_branch .LBB68_20
	.section	.rodata,"a",@progbits
	.p2align	6, 0x0
	.amdhsa_kernel _ZN2at6native12_GLOBAL__N_123cunn_SoftMaxForwardSmemILi4EfffNS1_25LogSoftMaxForwardEpilogueElEEvPT2_PKT0_T4_
		.amdhsa_group_segment_fixed_size 0
		.amdhsa_private_segment_fixed_size 0
		.amdhsa_kernarg_size 280
		.amdhsa_user_sgpr_count 15
		.amdhsa_user_sgpr_dispatch_ptr 0
		.amdhsa_user_sgpr_queue_ptr 0
		.amdhsa_user_sgpr_kernarg_segment_ptr 1
		.amdhsa_user_sgpr_dispatch_id 0
		.amdhsa_user_sgpr_private_segment_size 0
		.amdhsa_wavefront_size32 1
		.amdhsa_uses_dynamic_stack 0
		.amdhsa_enable_private_segment 0
		.amdhsa_system_sgpr_workgroup_id_x 1
		.amdhsa_system_sgpr_workgroup_id_y 0
		.amdhsa_system_sgpr_workgroup_id_z 0
		.amdhsa_system_sgpr_workgroup_info 0
		.amdhsa_system_vgpr_workitem_id 0
		.amdhsa_next_free_vgpr 33
		.amdhsa_next_free_sgpr 17
		.amdhsa_reserve_vcc 1
		.amdhsa_float_round_mode_32 0
		.amdhsa_float_round_mode_16_64 0
		.amdhsa_float_denorm_mode_32 3
		.amdhsa_float_denorm_mode_16_64 3
		.amdhsa_dx10_clamp 1
		.amdhsa_ieee_mode 1
		.amdhsa_fp16_overflow 0
		.amdhsa_workgroup_processor_mode 1
		.amdhsa_memory_ordered 1
		.amdhsa_forward_progress 0
		.amdhsa_shared_vgpr_count 0
		.amdhsa_exception_fp_ieee_invalid_op 0
		.amdhsa_exception_fp_denorm_src 0
		.amdhsa_exception_fp_ieee_div_zero 0
		.amdhsa_exception_fp_ieee_overflow 0
		.amdhsa_exception_fp_ieee_underflow 0
		.amdhsa_exception_fp_ieee_inexact 0
		.amdhsa_exception_int_div_zero 0
	.end_amdhsa_kernel
	.section	.text._ZN2at6native12_GLOBAL__N_123cunn_SoftMaxForwardSmemILi4EfffNS1_25LogSoftMaxForwardEpilogueElEEvPT2_PKT0_T4_,"axG",@progbits,_ZN2at6native12_GLOBAL__N_123cunn_SoftMaxForwardSmemILi4EfffNS1_25LogSoftMaxForwardEpilogueElEEvPT2_PKT0_T4_,comdat
.Lfunc_end68:
	.size	_ZN2at6native12_GLOBAL__N_123cunn_SoftMaxForwardSmemILi4EfffNS1_25LogSoftMaxForwardEpilogueElEEvPT2_PKT0_T4_, .Lfunc_end68-_ZN2at6native12_GLOBAL__N_123cunn_SoftMaxForwardSmemILi4EfffNS1_25LogSoftMaxForwardEpilogueElEEvPT2_PKT0_T4_
                                        ; -- End function
	.section	.AMDGPU.csdata,"",@progbits
; Kernel info:
; codeLenInByte = 2336
; NumSgprs: 19
; NumVgprs: 33
; ScratchSize: 0
; MemoryBound: 0
; FloatMode: 240
; IeeeMode: 1
; LDSByteSize: 0 bytes/workgroup (compile time only)
; SGPRBlocks: 2
; VGPRBlocks: 4
; NumSGPRsForWavesPerEU: 19
; NumVGPRsForWavesPerEU: 33
; Occupancy: 16
; WaveLimiterHint : 0
; COMPUTE_PGM_RSRC2:SCRATCH_EN: 0
; COMPUTE_PGM_RSRC2:USER_SGPR: 15
; COMPUTE_PGM_RSRC2:TRAP_HANDLER: 0
; COMPUTE_PGM_RSRC2:TGID_X_EN: 1
; COMPUTE_PGM_RSRC2:TGID_Y_EN: 0
; COMPUTE_PGM_RSRC2:TGID_Z_EN: 0
; COMPUTE_PGM_RSRC2:TIDIG_COMP_CNT: 0
	.section	.text._ZN2at6native12_GLOBAL__N_119cunn_SoftMaxForwardILi4EfffNS1_25LogSoftMaxForwardEpilogueEEEvPT2_PKT0_i,"axG",@progbits,_ZN2at6native12_GLOBAL__N_119cunn_SoftMaxForwardILi4EfffNS1_25LogSoftMaxForwardEpilogueEEEvPT2_PKT0_i,comdat
	.globl	_ZN2at6native12_GLOBAL__N_119cunn_SoftMaxForwardILi4EfffNS1_25LogSoftMaxForwardEpilogueEEEvPT2_PKT0_i ; -- Begin function _ZN2at6native12_GLOBAL__N_119cunn_SoftMaxForwardILi4EfffNS1_25LogSoftMaxForwardEpilogueEEEvPT2_PKT0_i
	.p2align	8
	.type	_ZN2at6native12_GLOBAL__N_119cunn_SoftMaxForwardILi4EfffNS1_25LogSoftMaxForwardEpilogueEEEvPT2_PKT0_i,@function
_ZN2at6native12_GLOBAL__N_119cunn_SoftMaxForwardILi4EfffNS1_25LogSoftMaxForwardEpilogueEEEvPT2_PKT0_i: ; @_ZN2at6native12_GLOBAL__N_119cunn_SoftMaxForwardILi4EfffNS1_25LogSoftMaxForwardEpilogueEEEvPT2_PKT0_i
; %bb.0:
	s_clause 0x1
	s_load_b32 s14, s[0:1], 0x10
	s_load_b128 s[8:11], s[0:1], 0x0
	s_waitcnt lgkmcnt(0)
	s_ashr_i32 s2, s14, 31
	s_mul_hi_u32 s3, s14, s15
	s_mul_i32 s2, s2, s15
	s_delay_alu instid0(SALU_CYCLE_1) | instskip(SKIP_1) | instid1(SALU_CYCLE_1)
	s_add_i32 s3, s3, s2
	s_mul_i32 s2, s14, s15
	s_lshl_b64 s[12:13], s[2:3], 2
	s_delay_alu instid0(SALU_CYCLE_1)
	s_add_u32 s6, s10, s12
	s_addc_u32 s7, s11, s13
	s_bfe_u32 s10, s6, 0x20002
	s_mov_b32 s11, 0
	s_cmp_lg_u32 s10, 0
	s_cselect_b32 s18, -1, 0
	s_delay_alu instid0(SALU_CYCLE_1)
	s_and_b32 vcc_lo, exec_lo, s18
	s_cbranch_vccz .LBB69_25
; %bb.1:
	s_lshl_b64 s[2:3], s[10:11], 2
	v_cmp_le_u32_e32 vcc_lo, s10, v0
	s_sub_u32 s16, s6, s2
	s_subb_u32 s17, s7, s3
	s_add_i32 s3, s10, s14
	v_mov_b32_e32 v4, 0xff7fffff
	v_cmp_gt_i32_e64 s2, s3, v0
	s_delay_alu instid0(VALU_DEP_1) | instskip(NEXT) | instid1(SALU_CYCLE_1)
	s_and_b32 s4, vcc_lo, s2
	s_and_saveexec_b32 s2, s4
	s_cbranch_execz .LBB69_3
; %bb.2:
	v_lshlrev_b32_e32 v1, 2, v0
	global_load_b32 v1, v1, s[16:17]
	s_waitcnt vmcnt(0)
	v_max_f32_e32 v1, v1, v1
	s_delay_alu instid0(VALU_DEP_1)
	v_max_f32_e32 v4, 0xff7fffff, v1
.LBB69_3:
	s_or_b32 exec_lo, exec_lo, s2
	s_load_b32 s2, s[0:1], 0x24
	s_add_u32 s4, s0, 24
	s_addc_u32 s5, s1, 0
	s_waitcnt lgkmcnt(0)
	s_and_b32 s2, s2, 0xffff
	s_delay_alu instid0(SALU_CYCLE_1) | instskip(SKIP_1) | instid1(SALU_CYCLE_1)
	v_sub_nc_u32_e64 v1, s3, s2 clamp
	s_lshl_b32 s2, s2, 2
	s_add_u32 s2, s16, s2
	s_addc_u32 s3, s17, 0
	s_delay_alu instid0(VALU_DEP_1)
	v_readfirstlane_b32 s11, v1
	s_branch .LBB69_5
.LBB69_4:
	v_mov_b32_e32 v4, 0xff7fffff
	s_add_u32 s4, s0, 24
	s_addc_u32 s5, s1, 0
	s_mov_b32 s11, s14
	s_mov_b64 s[2:3], s[6:7]
.LBB69_5:
	s_load_b32 s16, s[4:5], 0x0
	v_mov_b32_e32 v1, 0
	v_lshlrev_b32_e32 v3, 2, v0
	s_waitcnt lgkmcnt(0)
	s_cmp_lt_u32 s15, s16
	s_cselect_b32 s16, 12, 18
	s_delay_alu instid0(SALU_CYCLE_1) | instskip(SKIP_4) | instid1(VALU_DEP_1)
	s_add_u32 s4, s4, s16
	s_addc_u32 s5, s5, 0
	global_load_u16 v5, v1, s[4:5]
	s_waitcnt vmcnt(0)
	v_readfirstlane_b32 s4, v5
	s_lshl_b32 s4, s4, 2
	s_delay_alu instid0(SALU_CYCLE_1) | instskip(SKIP_1) | instid1(VALU_DEP_1)
	v_cvt_f32_u32_e32 v1, s4
	s_sub_i32 s16, 0, s4
	v_rcp_iflag_f32_e32 v1, v1
	s_waitcnt_depctr 0xfff
	v_mul_f32_e32 v1, 0x4f7ffffe, v1
	s_delay_alu instid0(VALU_DEP_1) | instskip(NEXT) | instid1(VALU_DEP_1)
	v_cvt_u32_f32_e32 v1, v1
	v_readfirstlane_b32 s5, v1
	s_delay_alu instid0(VALU_DEP_1) | instskip(NEXT) | instid1(SALU_CYCLE_1)
	s_mul_i32 s16, s16, s5
	s_mul_hi_u32 s16, s5, s16
	s_delay_alu instid0(SALU_CYCLE_1) | instskip(NEXT) | instid1(SALU_CYCLE_1)
	s_add_i32 s5, s5, s16
	s_mul_hi_u32 s5, s11, s5
	s_delay_alu instid0(SALU_CYCLE_1) | instskip(NEXT) | instid1(SALU_CYCLE_1)
	s_mul_i32 s5, s5, s4
	s_sub_i32 s5, s11, s5
	s_delay_alu instid0(SALU_CYCLE_1) | instskip(SKIP_2) | instid1(SALU_CYCLE_1)
	s_sub_i32 s16, s5, s4
	s_cmp_ge_u32 s5, s4
	s_cselect_b32 s5, s16, s5
	s_sub_i32 s16, s5, s4
	s_cmp_ge_u32 s5, s4
	s_cselect_b32 s4, s16, s5
	s_mov_b32 s16, 0
	s_sub_i32 s4, s11, s4
	s_mov_b32 s5, exec_lo
	v_cmpx_gt_i32_e64 s4, v3
	s_cbranch_execz .LBB69_9
; %bb.6:
	v_mov_b32_e32 v1, v0
	.p2align	6
.LBB69_7:                               ; =>This Inner Loop Header: Depth=1
	s_delay_alu instid0(VALU_DEP_1) | instskip(NEXT) | instid1(VALU_DEP_1)
	v_ashrrev_i32_e32 v2, 31, v1
	v_lshlrev_b64 v[6:7], 4, v[1:2]
	v_add_nc_u32_e32 v1, v1, v5
	s_delay_alu instid0(VALU_DEP_1) | instskip(NEXT) | instid1(VALU_DEP_3)
	v_lshlrev_b32_e32 v2, 2, v1
	v_add_co_u32 v6, vcc_lo, s2, v6
	s_delay_alu instid0(VALU_DEP_4) | instskip(NEXT) | instid1(VALU_DEP_3)
	v_add_co_ci_u32_e32 v7, vcc_lo, s3, v7, vcc_lo
	v_cmp_le_i32_e32 vcc_lo, s4, v2
	global_load_b128 v[6:9], v[6:7], off
	s_or_b32 s16, vcc_lo, s16
	s_waitcnt vmcnt(0)
	v_max3_f32 v4, v4, v6, v7
	s_delay_alu instid0(VALU_DEP_1)
	v_max3_f32 v4, v4, v8, v9
	s_and_not1_b32 exec_lo, exec_lo, s16
	s_cbranch_execnz .LBB69_7
; %bb.8:
	s_or_b32 exec_lo, exec_lo, s16
.LBB69_9:
	s_delay_alu instid0(SALU_CYCLE_1) | instskip(SKIP_2) | instid1(VALU_DEP_1)
	s_or_b32 exec_lo, exec_lo, s5
	v_add_nc_u32_e32 v1, s4, v0
	s_mov_b32 s4, exec_lo
	v_cmpx_gt_i32_e64 s11, v1
	s_cbranch_execz .LBB69_13
; %bb.10:
	s_mov_b32 s5, 0
.LBB69_11:                              ; =>This Inner Loop Header: Depth=1
	v_ashrrev_i32_e32 v2, 31, v1
	s_delay_alu instid0(VALU_DEP_2) | instskip(NEXT) | instid1(VALU_DEP_2)
	v_max_f32_e32 v4, v4, v4
	v_lshlrev_b64 v[6:7], 2, v[1:2]
	v_add_nc_u32_e32 v1, v1, v5
	s_delay_alu instid0(VALU_DEP_2) | instskip(NEXT) | instid1(VALU_DEP_3)
	v_add_co_u32 v6, vcc_lo, s2, v6
	v_add_co_ci_u32_e32 v7, vcc_lo, s3, v7, vcc_lo
	s_delay_alu instid0(VALU_DEP_3) | instskip(SKIP_4) | instid1(VALU_DEP_1)
	v_cmp_le_i32_e32 vcc_lo, s11, v1
	global_load_b32 v2, v[6:7], off
	s_or_b32 s5, vcc_lo, s5
	s_waitcnt vmcnt(0)
	v_max_f32_e32 v2, v2, v2
	v_max_f32_e32 v4, v4, v2
	s_and_not1_b32 exec_lo, exec_lo, s5
	s_cbranch_execnz .LBB69_11
; %bb.12:
	s_or_b32 exec_lo, exec_lo, s5
.LBB69_13:
	s_delay_alu instid0(SALU_CYCLE_1)
	s_or_b32 exec_lo, exec_lo, s4
	v_mbcnt_lo_u32_b32 v1, -1, 0
	v_lshrrev_b32_e32 v12, 3, v0
	s_barrier
	buffer_gl0_inv
	v_cmp_gt_u32_e32 vcc_lo, 16, v1
	v_cndmask_b32_e64 v2, 0, 1, vcc_lo
	v_cmp_gt_u32_e32 vcc_lo, 24, v1
	s_delay_alu instid0(VALU_DEP_2) | instskip(SKIP_1) | instid1(VALU_DEP_2)
	v_lshlrev_b32_e32 v2, 4, v2
	v_cndmask_b32_e64 v5, 0, 1, vcc_lo
	v_add_lshl_u32 v6, v2, v1, 2
	ds_bpermute_b32 v2, v6, v4
	s_waitcnt lgkmcnt(0)
	v_cmp_lt_f32_e32 vcc_lo, v4, v2
	v_dual_cndmask_b32 v2, v4, v2 :: v_dual_lshlrev_b32 v5, 3, v5
	s_delay_alu instid0(VALU_DEP_1)
	v_add_lshl_u32 v7, v5, v1, 2
	v_cmp_gt_u32_e32 vcc_lo, 28, v1
	ds_bpermute_b32 v4, v7, v2
	v_cndmask_b32_e64 v5, 0, 1, vcc_lo
	s_waitcnt lgkmcnt(0)
	v_cmp_lt_f32_e32 vcc_lo, v2, v4
	s_delay_alu instid0(VALU_DEP_2) | instskip(NEXT) | instid1(VALU_DEP_1)
	v_dual_cndmask_b32 v2, v2, v4 :: v_dual_lshlrev_b32 v5, 2, v5
	v_add_lshl_u32 v8, v5, v1, 2
	v_cmp_gt_u32_e32 vcc_lo, 30, v1
	ds_bpermute_b32 v4, v8, v2
	v_cndmask_b32_e64 v5, 0, 1, vcc_lo
	s_waitcnt lgkmcnt(0)
	v_cmp_lt_f32_e32 vcc_lo, v2, v4
	s_delay_alu instid0(VALU_DEP_2) | instskip(NEXT) | instid1(VALU_DEP_1)
	v_dual_cndmask_b32 v2, v2, v4 :: v_dual_lshlrev_b32 v5, 1, v5
	v_add_lshl_u32 v10, v5, v1, 2
	v_cmp_ne_u32_e32 vcc_lo, 31, v1
	ds_bpermute_b32 v4, v10, v2
	v_add_co_ci_u32_e32 v5, vcc_lo, 0, v1, vcc_lo
	s_delay_alu instid0(VALU_DEP_1)
	v_lshlrev_b32_e32 v11, 2, v5
	s_waitcnt lgkmcnt(0)
	v_cmp_lt_f32_e32 vcc_lo, v2, v4
	v_cndmask_b32_e32 v1, v2, v4, vcc_lo
	v_and_b32_e32 v2, 31, v0
	ds_bpermute_b32 v4, v11, v1
	v_cmp_eq_u32_e64 s2, 0, v2
	s_delay_alu instid0(VALU_DEP_1)
	s_and_saveexec_b32 s3, s2
	s_cbranch_execz .LBB69_15
; %bb.14:
	s_waitcnt lgkmcnt(0)
	v_cmp_lt_f32_e32 vcc_lo, v1, v4
	v_add_nc_u32_e32 v5, 0, v12
	v_cndmask_b32_e32 v1, v1, v4, vcc_lo
	ds_store_b32 v5, v1
.LBB69_15:
	s_or_b32 exec_lo, exec_lo, s3
	s_waitcnt lgkmcnt(0)
	s_barrier
	buffer_gl0_inv
	s_load_b32 s4, s[0:1], 0x24
	s_add_u32 s16, s0, 24
	s_addc_u32 s17, s1, 0
	v_mov_b32_e32 v1, 0xff7fffff
	v_lshl_add_u32 v13, v2, 2, 0
	s_waitcnt lgkmcnt(0)
	s_bfe_u32 s0, s4, 0xb0005
	s_delay_alu instid0(SALU_CYCLE_1) | instskip(NEXT) | instid1(VALU_DEP_1)
	v_cmp_gt_u32_e64 s0, s0, v0
	s_and_saveexec_b32 s1, s0
	s_cbranch_execnz .LBB69_23
; %bb.16:
	s_or_b32 exec_lo, exec_lo, s1
	v_cmp_gt_u32_e64 s1, 32, v0
	s_delay_alu instid0(VALU_DEP_1)
	s_and_saveexec_b32 s3, s1
	s_cbranch_execnz .LBB69_24
.LBB69_17:
	s_or_b32 exec_lo, exec_lo, s3
	v_cmp_eq_u32_e64 s3, 0, v0
	s_delay_alu instid0(VALU_DEP_1)
	s_and_saveexec_b32 s5, s3
	s_cbranch_execz .LBB69_19
.LBB69_18:
	v_mov_b32_e32 v2, 0
	s_waitcnt lgkmcnt(0)
	ds_store_b32 v2, v1
.LBB69_19:
	s_or_b32 exec_lo, exec_lo, s5
	v_mov_b32_e32 v14, 0
	s_waitcnt lgkmcnt(0)
	s_barrier
	buffer_gl0_inv
	v_cndmask_b32_e64 v9, 0, 1, s18
	ds_load_b32 v4, v14
	s_and_b32 s20, s4, 0xffff
	s_and_not1_b32 vcc_lo, exec_lo, s18
	s_mov_b32 s11, 0
	s_cbranch_vccnz .LBB69_26
; %bb.20:
	s_lshl_b64 s[4:5], s[10:11], 2
	v_cmp_le_u32_e32 vcc_lo, s10, v0
	s_sub_u32 s18, s6, s4
	s_subb_u32 s19, s7, s5
	s_add_i32 s5, s10, s14
	v_mov_b32_e32 v14, 0
	v_cmp_gt_i32_e64 s4, s5, v0
	s_delay_alu instid0(VALU_DEP_1) | instskip(NEXT) | instid1(SALU_CYCLE_1)
	s_and_b32 s11, vcc_lo, s4
	s_and_saveexec_b32 s4, s11
	s_cbranch_execz .LBB69_22
; %bb.21:
	global_load_b32 v1, v3, s[18:19]
	s_waitcnt vmcnt(0) lgkmcnt(0)
	v_sub_f32_e32 v1, v1, v4
	s_delay_alu instid0(VALU_DEP_1) | instskip(NEXT) | instid1(VALU_DEP_1)
	v_mul_f32_e32 v2, 0x3fb8aa3b, v1
	v_fma_f32 v5, 0x3fb8aa3b, v1, -v2
	v_rndne_f32_e32 v14, v2
	s_delay_alu instid0(VALU_DEP_1) | instskip(SKIP_1) | instid1(VALU_DEP_4)
	v_sub_f32_e32 v2, v2, v14
	v_cmp_ngt_f32_e32 vcc_lo, 0xc2ce8ed0, v1
	v_fmamk_f32 v5, v1, 0x32a5705f, v5
	s_delay_alu instid0(VALU_DEP_1) | instskip(SKIP_1) | instid1(VALU_DEP_2)
	v_add_f32_e32 v2, v2, v5
	v_cvt_i32_f32_e32 v5, v14
	v_exp_f32_e32 v2, v2
	s_waitcnt_depctr 0xfff
	v_ldexp_f32 v2, v2, v5
	s_delay_alu instid0(VALU_DEP_1) | instskip(SKIP_1) | instid1(VALU_DEP_2)
	v_cndmask_b32_e32 v2, 0, v2, vcc_lo
	v_cmp_nlt_f32_e32 vcc_lo, 0x42b17218, v1
	v_cndmask_b32_e32 v14, 0x7f800000, v2, vcc_lo
.LBB69_22:
	s_or_b32 exec_lo, exec_lo, s4
	v_sub_nc_u32_e64 v1, s5, s20 clamp
	s_lshl_b32 s4, s20, 2
	s_delay_alu instid0(SALU_CYCLE_1) | instskip(SKIP_1) | instid1(VALU_DEP_1)
	s_add_u32 s4, s18, s4
	s_addc_u32 s5, s19, 0
	v_readfirstlane_b32 s11, v1
	s_branch .LBB69_27
.LBB69_23:
	ds_load_b32 v1, v13
	s_or_b32 exec_lo, exec_lo, s1
	v_cmp_gt_u32_e64 s1, 32, v0
	s_delay_alu instid0(VALU_DEP_1)
	s_and_saveexec_b32 s3, s1
	s_cbranch_execz .LBB69_17
.LBB69_24:
	s_waitcnt lgkmcnt(0)
	ds_bpermute_b32 v2, v6, v1
	s_waitcnt lgkmcnt(0)
	v_cmp_lt_f32_e32 vcc_lo, v1, v2
	v_cndmask_b32_e32 v1, v1, v2, vcc_lo
	ds_bpermute_b32 v2, v7, v1
	s_waitcnt lgkmcnt(0)
	v_cmp_lt_f32_e32 vcc_lo, v1, v2
	v_cndmask_b32_e32 v1, v1, v2, vcc_lo
	;; [unrolled: 4-line block ×5, first 2 shown]
	s_or_b32 exec_lo, exec_lo, s3
	v_cmp_eq_u32_e64 s3, 0, v0
	s_delay_alu instid0(VALU_DEP_1)
	s_and_saveexec_b32 s5, s3
	s_cbranch_execnz .LBB69_18
	s_branch .LBB69_19
.LBB69_25:
                                        ; implicit-def: $sgpr2_sgpr3
                                        ; implicit-def: $sgpr11
                                        ; implicit-def: $vgpr4
                                        ; implicit-def: $sgpr4_sgpr5
	s_cbranch_execnz .LBB69_4
	s_branch .LBB69_5
.LBB69_26:
	s_mov_b64 s[4:5], s[6:7]
	s_mov_b32 s11, s14
.LBB69_27:
	s_load_b32 s18, s[16:17], 0x0
	v_mov_b32_e32 v1, 0
	s_mov_b32 s19, 0
	s_waitcnt lgkmcnt(0)
	s_cmp_lt_u32 s15, s18
	s_cselect_b32 s15, 12, 18
	s_delay_alu instid0(SALU_CYCLE_1) | instskip(SKIP_4) | instid1(VALU_DEP_1)
	s_add_u32 s16, s16, s15
	s_addc_u32 s17, s17, 0
	global_load_u16 v5, v1, s[16:17]
	s_waitcnt vmcnt(0)
	v_readfirstlane_b32 s15, v5
	s_lshl_b32 s15, s15, 2
	s_delay_alu instid0(SALU_CYCLE_1) | instskip(SKIP_1) | instid1(VALU_DEP_1)
	v_cvt_f32_u32_e32 v1, s15
	s_sub_i32 s17, 0, s15
	v_rcp_iflag_f32_e32 v1, v1
	s_waitcnt_depctr 0xfff
	v_mul_f32_e32 v1, 0x4f7ffffe, v1
	s_delay_alu instid0(VALU_DEP_1) | instskip(NEXT) | instid1(VALU_DEP_1)
	v_cvt_u32_f32_e32 v1, v1
	v_readfirstlane_b32 s16, v1
	s_delay_alu instid0(VALU_DEP_1) | instskip(NEXT) | instid1(SALU_CYCLE_1)
	s_mul_i32 s17, s17, s16
	s_mul_hi_u32 s17, s16, s17
	s_delay_alu instid0(SALU_CYCLE_1) | instskip(NEXT) | instid1(SALU_CYCLE_1)
	s_add_i32 s16, s16, s17
	s_mul_hi_u32 s17, s11, s16
	s_delay_alu instid0(SALU_CYCLE_1) | instskip(NEXT) | instid1(SALU_CYCLE_1)
	s_mul_i32 s17, s17, s15
	s_sub_i32 s17, s11, s17
	s_delay_alu instid0(SALU_CYCLE_1) | instskip(SKIP_2) | instid1(SALU_CYCLE_1)
	s_sub_i32 s18, s17, s15
	s_cmp_ge_u32 s17, s15
	s_cselect_b32 s17, s18, s17
	s_sub_i32 s18, s17, s15
	s_cmp_ge_u32 s17, s15
	s_cselect_b32 s17, s18, s17
	s_mov_b32 s18, exec_lo
	s_sub_i32 s17, s11, s17
	s_delay_alu instid0(SALU_CYCLE_1)
	v_cmpx_gt_i32_e64 s17, v3
	s_cbranch_execz .LBB69_31
; %bb.28:
	v_mov_b32_e32 v1, v0
.LBB69_29:                              ; =>This Inner Loop Header: Depth=1
	s_delay_alu instid0(VALU_DEP_1) | instskip(NEXT) | instid1(VALU_DEP_1)
	v_ashrrev_i32_e32 v2, 31, v1
	v_lshlrev_b64 v[15:16], 4, v[1:2]
	s_delay_alu instid0(VALU_DEP_1) | instskip(NEXT) | instid1(VALU_DEP_2)
	v_add_co_u32 v15, vcc_lo, s4, v15
	v_add_co_ci_u32_e32 v16, vcc_lo, s5, v16, vcc_lo
	global_load_b128 v[15:18], v[15:16], off
	s_waitcnt vmcnt(0)
	v_dual_sub_f32 v2, v15, v4 :: v_dual_add_nc_u32 v1, v1, v5
	v_sub_f32_e32 v15, v16, v4
	v_sub_f32_e32 v16, v17, v4
	s_delay_alu instid0(VALU_DEP_3) | instskip(NEXT) | instid1(VALU_DEP_3)
	v_dual_sub_f32 v17, v18, v4 :: v_dual_mul_f32 v18, 0x3fb8aa3b, v2
	v_mul_f32_e32 v19, 0x3fb8aa3b, v15
	v_cmp_ngt_f32_e32 vcc_lo, 0xc2ce8ed0, v2
	s_delay_alu instid0(VALU_DEP_3) | instskip(SKIP_1) | instid1(VALU_DEP_4)
	v_fma_f32 v22, 0x3fb8aa3b, v2, -v18
	v_rndne_f32_e32 v23, v18
	v_fma_f32 v24, 0x3fb8aa3b, v15, -v19
	v_rndne_f32_e32 v25, v19
	s_delay_alu instid0(VALU_DEP_4) | instskip(SKIP_1) | instid1(VALU_DEP_3)
	v_fmac_f32_e32 v22, 0x32a5705f, v2
	v_dual_mul_f32 v20, 0x3fb8aa3b, v16 :: v_dual_mul_f32 v21, 0x3fb8aa3b, v17
	v_dual_sub_f32 v18, v18, v23 :: v_dual_sub_f32 v19, v19, v25
	v_cvt_i32_f32_e32 v23, v23
	s_delay_alu instid0(VALU_DEP_3) | instskip(NEXT) | instid1(VALU_DEP_4)
	v_rndne_f32_e32 v27, v20
	v_fma_f32 v28, 0x3fb8aa3b, v17, -v21
	v_rndne_f32_e32 v29, v21
	v_fmac_f32_e32 v24, 0x32a5705f, v15
	v_fma_f32 v26, 0x3fb8aa3b, v16, -v20
	v_cvt_i32_f32_e32 v25, v25
	v_fmac_f32_e32 v28, 0x32a5705f, v17
	v_dual_sub_f32 v21, v21, v29 :: v_dual_add_f32 v18, v18, v22
	v_dual_sub_f32 v20, v20, v27 :: v_dual_add_f32 v19, v19, v24
	v_cvt_i32_f32_e32 v27, v27
	s_delay_alu instid0(VALU_DEP_3) | instskip(NEXT) | instid1(VALU_DEP_4)
	v_add_f32_e32 v21, v21, v28
	v_exp_f32_e32 v18, v18
	v_cvt_i32_f32_e32 v29, v29
	v_exp_f32_e32 v19, v19
	s_delay_alu instid0(VALU_DEP_2) | instskip(NEXT) | instid1(TRANS32_DEP_3)
	v_exp_f32_e32 v21, v21
	v_ldexp_f32 v18, v18, v23
	s_waitcnt_depctr 0xfff
	v_ldexp_f32 v19, v19, v25
	v_ldexp_f32 v21, v21, v29
	v_cndmask_b32_e32 v18, 0, v18, vcc_lo
	v_cmp_ngt_f32_e32 vcc_lo, 0xc2ce8ed0, v15
	s_delay_alu instid0(VALU_DEP_4) | instskip(NEXT) | instid1(VALU_DEP_1)
	v_dual_fmac_f32 v26, 0x32a5705f, v16 :: v_dual_cndmask_b32 v19, 0, v19
	v_add_f32_e32 v20, v20, v26
	v_cmp_nlt_f32_e32 vcc_lo, 0x42b17218, v2
	s_delay_alu instid0(VALU_DEP_2) | instskip(SKIP_2) | instid1(VALU_DEP_2)
	v_exp_f32_e32 v20, v20
	v_cndmask_b32_e32 v2, 0x7f800000, v18, vcc_lo
	v_cmp_ngt_f32_e32 vcc_lo, 0xc2ce8ed0, v16
	v_add_f32_e32 v2, v14, v2
	s_waitcnt_depctr 0xfff
	v_ldexp_f32 v20, v20, v27
	s_delay_alu instid0(VALU_DEP_1) | instskip(SKIP_3) | instid1(VALU_DEP_2)
	v_cndmask_b32_e32 v18, 0, v20, vcc_lo
	v_cmp_nlt_f32_e32 vcc_lo, 0x42b17218, v15
	v_cndmask_b32_e32 v15, 0x7f800000, v19, vcc_lo
	v_cmp_ngt_f32_e32 vcc_lo, 0xc2ce8ed0, v17
	v_add_f32_e32 v2, v2, v15
	v_cndmask_b32_e32 v14, 0, v21, vcc_lo
	v_cmp_nlt_f32_e32 vcc_lo, 0x42b17218, v16
	v_dual_cndmask_b32 v16, 0x7f800000, v18 :: v_dual_lshlrev_b32 v15, 2, v1
	v_cmp_nlt_f32_e32 vcc_lo, 0x42b17218, v17
	s_delay_alu instid0(VALU_DEP_2) | instskip(SKIP_1) | instid1(VALU_DEP_4)
	v_add_f32_e32 v2, v2, v16
	v_cndmask_b32_e32 v14, 0x7f800000, v14, vcc_lo
	v_cmp_le_i32_e32 vcc_lo, s17, v15
	s_delay_alu instid0(VALU_DEP_2) | instskip(SKIP_1) | instid1(SALU_CYCLE_1)
	v_add_f32_e32 v14, v2, v14
	s_or_b32 s19, vcc_lo, s19
	s_and_not1_b32 exec_lo, exec_lo, s19
	s_cbranch_execnz .LBB69_29
; %bb.30:
	s_or_b32 exec_lo, exec_lo, s19
.LBB69_31:
	s_delay_alu instid0(SALU_CYCLE_1) | instskip(SKIP_2) | instid1(VALU_DEP_1)
	s_or_b32 exec_lo, exec_lo, s18
	v_add_nc_u32_e32 v1, s17, v0
	s_mov_b32 s17, exec_lo
	v_cmpx_gt_i32_e64 s11, v1
	s_cbranch_execz .LBB69_35
; %bb.32:
	s_mov_b32 s18, 0
	s_set_inst_prefetch_distance 0x1
	.p2align	6
.LBB69_33:                              ; =>This Inner Loop Header: Depth=1
	v_ashrrev_i32_e32 v2, 31, v1
	s_delay_alu instid0(VALU_DEP_1) | instskip(NEXT) | instid1(VALU_DEP_1)
	v_lshlrev_b64 v[15:16], 2, v[1:2]
	v_add_co_u32 v15, vcc_lo, s4, v15
	s_delay_alu instid0(VALU_DEP_2) | instskip(SKIP_3) | instid1(VALU_DEP_1)
	v_add_co_ci_u32_e32 v16, vcc_lo, s5, v16, vcc_lo
	global_load_b32 v2, v[15:16], off
	s_waitcnt vmcnt(0)
	v_sub_f32_e32 v2, v2, v4
	v_mul_f32_e32 v15, 0x3fb8aa3b, v2
	s_delay_alu instid0(VALU_DEP_1) | instskip(SKIP_1) | instid1(VALU_DEP_1)
	v_fma_f32 v16, 0x3fb8aa3b, v2, -v15
	v_rndne_f32_e32 v17, v15
	v_sub_f32_e32 v15, v15, v17
	v_cmp_ngt_f32_e32 vcc_lo, 0xc2ce8ed0, v2
	s_delay_alu instid0(VALU_DEP_4) | instskip(NEXT) | instid1(VALU_DEP_1)
	v_fmac_f32_e32 v16, 0x32a5705f, v2
	v_add_f32_e32 v15, v15, v16
	v_cvt_i32_f32_e32 v16, v17
	s_delay_alu instid0(VALU_DEP_2) | instskip(SKIP_2) | instid1(VALU_DEP_1)
	v_exp_f32_e32 v15, v15
	s_waitcnt_depctr 0xfff
	v_ldexp_f32 v15, v15, v16
	v_cndmask_b32_e32 v15, 0, v15, vcc_lo
	v_cmp_nlt_f32_e32 vcc_lo, 0x42b17218, v2
	s_delay_alu instid0(VALU_DEP_2) | instskip(NEXT) | instid1(VALU_DEP_1)
	v_dual_cndmask_b32 v2, 0x7f800000, v15 :: v_dual_add_nc_u32 v1, v1, v5
	v_cmp_le_i32_e32 vcc_lo, s11, v1
	s_delay_alu instid0(VALU_DEP_2) | instskip(SKIP_1) | instid1(SALU_CYCLE_1)
	v_add_f32_e32 v14, v14, v2
	s_or_b32 s18, vcc_lo, s18
	s_and_not1_b32 exec_lo, exec_lo, s18
	s_cbranch_execnz .LBB69_33
; %bb.34:
	s_set_inst_prefetch_distance 0x2
	s_or_b32 exec_lo, exec_lo, s18
.LBB69_35:
	s_delay_alu instid0(SALU_CYCLE_1)
	s_or_b32 exec_lo, exec_lo, s17
	ds_bpermute_b32 v1, v6, v14
	s_waitcnt lgkmcnt(0)
	s_barrier
	buffer_gl0_inv
	v_add_f32_e32 v1, v14, v1
	ds_bpermute_b32 v2, v7, v1
	s_waitcnt lgkmcnt(0)
	v_add_f32_e32 v1, v1, v2
	ds_bpermute_b32 v2, v8, v1
	s_waitcnt lgkmcnt(0)
	;; [unrolled: 3-line block ×3, first 2 shown]
	v_add_f32_e32 v1, v1, v2
	ds_bpermute_b32 v2, v11, v1
	s_and_saveexec_b32 s4, s2
	s_cbranch_execz .LBB69_37
; %bb.36:
	s_waitcnt lgkmcnt(0)
	v_dual_add_f32 v1, v1, v2 :: v_dual_add_nc_u32 v12, 0, v12
	ds_store_b32 v12, v1
.LBB69_37:
	s_or_b32 exec_lo, exec_lo, s4
	v_mov_b32_e32 v1, 0
	s_waitcnt lgkmcnt(0)
	s_barrier
	buffer_gl0_inv
	s_and_saveexec_b32 s2, s0
	s_cbranch_execnz .LBB69_58
; %bb.38:
	s_or_b32 exec_lo, exec_lo, s2
	s_and_saveexec_b32 s0, s1
	s_cbranch_execnz .LBB69_59
.LBB69_39:
	s_or_b32 exec_lo, exec_lo, s0
	s_and_saveexec_b32 s0, s3
	s_cbranch_execz .LBB69_41
.LBB69_40:
	v_mov_b32_e32 v2, 0
	s_waitcnt lgkmcnt(0)
	ds_store_b32 v2, v1
.LBB69_41:
	s_or_b32 exec_lo, exec_lo, s0
	s_waitcnt lgkmcnt(0)
	v_mov_b32_e32 v1, 0
	s_barrier
	buffer_gl0_inv
	s_add_u32 s1, s8, s12
	ds_load_b32 v1, v1
	s_addc_u32 s5, s9, s13
	s_waitcnt lgkmcnt(0)
	v_cmp_gt_f32_e32 vcc_lo, 0x800000, v1
	v_cndmask_b32_e64 v2, 1.0, 0x4f800000, vcc_lo
	s_delay_alu instid0(VALU_DEP_1) | instskip(NEXT) | instid1(VALU_DEP_1)
	v_mul_f32_e32 v1, v1, v2
	v_log_f32_e32 v1, v1
	s_waitcnt_depctr 0xfff
	v_mul_f32_e32 v2, 0x3f317217, v1
	v_cmp_gt_f32_e64 s0, 0x7f800000, |v1|
	s_delay_alu instid0(VALU_DEP_2) | instskip(NEXT) | instid1(VALU_DEP_1)
	v_fma_f32 v6, 0x3f317217, v1, -v2
	v_fmamk_f32 v6, v1, 0x3377d1cf, v6
	s_delay_alu instid0(VALU_DEP_1) | instskip(NEXT) | instid1(VALU_DEP_1)
	v_add_f32_e32 v2, v2, v6
	v_cndmask_b32_e64 v1, v1, v2, s0
	v_cndmask_b32_e64 v2, 0, 0x41b17218, vcc_lo
	s_bfe_u32 s0, s1, 0x20002
	s_delay_alu instid0(SALU_CYCLE_1) | instskip(SKIP_1) | instid1(VALU_DEP_1)
	s_cmp_lg_u32 s10, s0
	s_mov_b32 s0, -1
	v_sub_f32_e32 v6, v1, v2
	s_cbranch_scc0 .LBB69_46
; %bb.42:
	s_mov_b32 s2, exec_lo
	v_cmpx_gt_i32_e64 s14, v0
	s_cbranch_execz .LBB69_45
; %bb.43:
	v_mov_b32_e32 v1, v0
	s_mov_b32 s3, 0
	.p2align	6
.LBB69_44:                              ; =>This Inner Loop Header: Depth=1
	s_delay_alu instid0(VALU_DEP_1) | instskip(NEXT) | instid1(VALU_DEP_1)
	v_ashrrev_i32_e32 v2, 31, v1
	v_lshlrev_b64 v[7:8], 2, v[1:2]
	s_delay_alu instid0(VALU_DEP_1) | instskip(NEXT) | instid1(VALU_DEP_2)
	v_add_co_u32 v10, vcc_lo, s6, v7
	v_add_co_ci_u32_e32 v11, vcc_lo, s7, v8, vcc_lo
	v_add_co_u32 v7, s0, s1, v7
	s_delay_alu instid0(VALU_DEP_1) | instskip(SKIP_3) | instid1(VALU_DEP_1)
	v_add_co_ci_u32_e64 v8, s0, s5, v8, s0
	global_load_b32 v2, v[10:11], off
	s_waitcnt vmcnt(0)
	v_dual_sub_f32 v2, v2, v4 :: v_dual_add_nc_u32 v1, s20, v1
	v_cmp_le_i32_e32 vcc_lo, s14, v1
	s_delay_alu instid0(VALU_DEP_2)
	v_sub_f32_e32 v2, v2, v6
	s_or_b32 s3, vcc_lo, s3
	global_store_b32 v[7:8], v2, off
	s_and_not1_b32 exec_lo, exec_lo, s3
	s_cbranch_execnz .LBB69_44
.LBB69_45:
	s_or_b32 exec_lo, exec_lo, s2
	s_mov_b32 s0, 0
.LBB69_46:
	s_delay_alu instid0(SALU_CYCLE_1)
	s_and_not1_b32 vcc_lo, exec_lo, s0
	s_cbranch_vccnz .LBB69_57
; %bb.47:
	v_cmp_ne_u32_e32 vcc_lo, 1, v9
	s_cbranch_vccnz .LBB69_51
; %bb.48:
	s_mov_b32 s11, 0
	v_cmp_le_u32_e32 vcc_lo, s10, v0
	s_lshl_b64 s[8:9], s[10:11], 2
	s_delay_alu instid0(SALU_CYCLE_1) | instskip(SKIP_4) | instid1(SALU_CYCLE_1)
	s_sub_u32 s2, s6, s8
	s_subb_u32 s3, s7, s9
	s_sub_u32 s4, s1, s8
	s_subb_u32 s5, s5, s9
	s_add_i32 s1, s10, s14
	v_cmp_gt_i32_e64 s0, s1, v0
	s_delay_alu instid0(VALU_DEP_1) | instskip(NEXT) | instid1(SALU_CYCLE_1)
	s_and_b32 s6, vcc_lo, s0
	s_and_saveexec_b32 s0, s6
	s_cbranch_execz .LBB69_50
; %bb.49:
	global_load_b32 v1, v3, s[2:3]
	s_waitcnt vmcnt(0)
	v_sub_f32_e32 v1, v1, v4
	s_delay_alu instid0(VALU_DEP_1)
	v_sub_f32_e32 v1, v1, v6
	global_store_b32 v3, v1, s[4:5]
.LBB69_50:
	s_or_b32 exec_lo, exec_lo, s0
	v_sub_nc_u32_e64 v1, s1, s20 clamp
	s_lshl_b32 s0, s20, 2
	s_delay_alu instid0(SALU_CYCLE_1) | instskip(SKIP_1) | instid1(VALU_DEP_1)
	s_add_u32 s6, s2, s0
	s_addc_u32 s7, s3, 0
	v_readfirstlane_b32 s14, v1
	s_add_u32 s1, s4, s0
	s_addc_u32 s5, s5, 0
.LBB69_51:
	s_delay_alu instid0(VALU_DEP_1) | instskip(SKIP_2) | instid1(SALU_CYCLE_1)
	s_mul_hi_u32 s0, s14, s16
	s_mov_b32 s3, exec_lo
	s_mul_i32 s0, s0, s15
	s_sub_i32 s0, s14, s0
	s_delay_alu instid0(SALU_CYCLE_1) | instskip(SKIP_2) | instid1(SALU_CYCLE_1)
	s_sub_i32 s2, s0, s15
	s_cmp_ge_u32 s0, s15
	s_cselect_b32 s0, s2, s0
	s_sub_i32 s2, s0, s15
	s_cmp_ge_u32 s0, s15
	s_cselect_b32 s0, s2, s0
	s_delay_alu instid0(SALU_CYCLE_1) | instskip(NEXT) | instid1(SALU_CYCLE_1)
	s_sub_i32 s2, s14, s0
	v_cmpx_gt_i32_e64 s2, v3
	s_cbranch_execz .LBB69_54
; %bb.52:
	v_mov_b32_e32 v1, v0
	s_mov_b32 s4, 0
	.p2align	6
.LBB69_53:                              ; =>This Inner Loop Header: Depth=1
	s_delay_alu instid0(VALU_DEP_1) | instskip(NEXT) | instid1(VALU_DEP_1)
	v_ashrrev_i32_e32 v2, 31, v1
	v_lshlrev_b64 v[2:3], 4, v[1:2]
	s_delay_alu instid0(VALU_DEP_1) | instskip(NEXT) | instid1(VALU_DEP_2)
	v_add_co_u32 v7, vcc_lo, s6, v2
	v_add_co_ci_u32_e32 v8, vcc_lo, s7, v3, vcc_lo
	v_add_co_u32 v2, s0, s1, v2
	s_delay_alu instid0(VALU_DEP_1) | instskip(SKIP_3) | instid1(VALU_DEP_1)
	v_add_co_ci_u32_e64 v3, s0, s5, v3, s0
	global_load_b128 v[7:10], v[7:8], off
	s_waitcnt vmcnt(0)
	v_dual_sub_f32 v8, v8, v4 :: v_dual_add_nc_u32 v1, v1, v5
	v_dual_sub_f32 v10, v10, v4 :: v_dual_lshlrev_b32 v11, 2, v1
	v_sub_f32_e32 v7, v7, v4
	s_delay_alu instid0(VALU_DEP_3) | instskip(NEXT) | instid1(VALU_DEP_3)
	v_dual_sub_f32 v9, v9, v4 :: v_dual_sub_f32 v8, v8, v6
	v_cmp_le_i32_e32 vcc_lo, s2, v11
	s_delay_alu instid0(VALU_DEP_4) | instskip(NEXT) | instid1(VALU_DEP_4)
	v_sub_f32_e32 v10, v10, v6
	v_sub_f32_e32 v7, v7, v6
	s_delay_alu instid0(VALU_DEP_4)
	v_sub_f32_e32 v9, v9, v6
	s_or_b32 s4, vcc_lo, s4
	global_store_b128 v[2:3], v[7:10], off
	s_and_not1_b32 exec_lo, exec_lo, s4
	s_cbranch_execnz .LBB69_53
.LBB69_54:
	s_or_b32 exec_lo, exec_lo, s3
	v_add_nc_u32_e32 v0, s2, v0
	s_mov_b32 s0, exec_lo
	s_delay_alu instid0(VALU_DEP_1)
	v_cmpx_gt_i32_e64 s14, v0
	s_cbranch_execz .LBB69_57
; %bb.55:
	s_mov_b32 s2, 0
	.p2align	6
.LBB69_56:                              ; =>This Inner Loop Header: Depth=1
	v_ashrrev_i32_e32 v1, 31, v0
	s_delay_alu instid0(VALU_DEP_1) | instskip(NEXT) | instid1(VALU_DEP_1)
	v_lshlrev_b64 v[1:2], 2, v[0:1]
	v_add_co_u32 v7, vcc_lo, s6, v1
	s_delay_alu instid0(VALU_DEP_2) | instskip(SKIP_1) | instid1(VALU_DEP_1)
	v_add_co_ci_u32_e32 v8, vcc_lo, s7, v2, vcc_lo
	v_add_co_u32 v1, s0, s1, v1
	v_add_co_ci_u32_e64 v2, s0, s5, v2, s0
	global_load_b32 v3, v[7:8], off
	s_waitcnt vmcnt(0)
	v_dual_sub_f32 v3, v3, v4 :: v_dual_add_nc_u32 v0, v0, v5
	s_delay_alu instid0(VALU_DEP_1) | instskip(NEXT) | instid1(VALU_DEP_2)
	v_cmp_le_i32_e32 vcc_lo, s14, v0
	v_sub_f32_e32 v3, v3, v6
	s_or_b32 s2, vcc_lo, s2
	global_store_b32 v[1:2], v3, off
	s_and_not1_b32 exec_lo, exec_lo, s2
	s_cbranch_execnz .LBB69_56
.LBB69_57:
	s_nop 0
	s_sendmsg sendmsg(MSG_DEALLOC_VGPRS)
	s_endpgm
.LBB69_58:
	ds_load_b32 v1, v13
	s_or_b32 exec_lo, exec_lo, s2
	s_and_saveexec_b32 s0, s1
	s_cbranch_execz .LBB69_39
.LBB69_59:
	s_waitcnt lgkmcnt(0)
	ds_bpermute_b32 v2, v6, v1
	s_waitcnt lgkmcnt(0)
	v_add_f32_e32 v1, v1, v2
	ds_bpermute_b32 v2, v7, v1
	s_waitcnt lgkmcnt(0)
	v_add_f32_e32 v1, v1, v2
	;; [unrolled: 3-line block ×5, first 2 shown]
	s_or_b32 exec_lo, exec_lo, s0
	s_and_saveexec_b32 s0, s3
	s_cbranch_execnz .LBB69_40
	s_branch .LBB69_41
	.section	.rodata,"a",@progbits
	.p2align	6, 0x0
	.amdhsa_kernel _ZN2at6native12_GLOBAL__N_119cunn_SoftMaxForwardILi4EfffNS1_25LogSoftMaxForwardEpilogueEEEvPT2_PKT0_i
		.amdhsa_group_segment_fixed_size 0
		.amdhsa_private_segment_fixed_size 0
		.amdhsa_kernarg_size 280
		.amdhsa_user_sgpr_count 15
		.amdhsa_user_sgpr_dispatch_ptr 0
		.amdhsa_user_sgpr_queue_ptr 0
		.amdhsa_user_sgpr_kernarg_segment_ptr 1
		.amdhsa_user_sgpr_dispatch_id 0
		.amdhsa_user_sgpr_private_segment_size 0
		.amdhsa_wavefront_size32 1
		.amdhsa_uses_dynamic_stack 0
		.amdhsa_enable_private_segment 0
		.amdhsa_system_sgpr_workgroup_id_x 1
		.amdhsa_system_sgpr_workgroup_id_y 0
		.amdhsa_system_sgpr_workgroup_id_z 0
		.amdhsa_system_sgpr_workgroup_info 0
		.amdhsa_system_vgpr_workitem_id 0
		.amdhsa_next_free_vgpr 30
		.amdhsa_next_free_sgpr 21
		.amdhsa_reserve_vcc 1
		.amdhsa_float_round_mode_32 0
		.amdhsa_float_round_mode_16_64 0
		.amdhsa_float_denorm_mode_32 3
		.amdhsa_float_denorm_mode_16_64 3
		.amdhsa_dx10_clamp 1
		.amdhsa_ieee_mode 1
		.amdhsa_fp16_overflow 0
		.amdhsa_workgroup_processor_mode 1
		.amdhsa_memory_ordered 1
		.amdhsa_forward_progress 0
		.amdhsa_shared_vgpr_count 0
		.amdhsa_exception_fp_ieee_invalid_op 0
		.amdhsa_exception_fp_denorm_src 0
		.amdhsa_exception_fp_ieee_div_zero 0
		.amdhsa_exception_fp_ieee_overflow 0
		.amdhsa_exception_fp_ieee_underflow 0
		.amdhsa_exception_fp_ieee_inexact 0
		.amdhsa_exception_int_div_zero 0
	.end_amdhsa_kernel
	.section	.text._ZN2at6native12_GLOBAL__N_119cunn_SoftMaxForwardILi4EfffNS1_25LogSoftMaxForwardEpilogueEEEvPT2_PKT0_i,"axG",@progbits,_ZN2at6native12_GLOBAL__N_119cunn_SoftMaxForwardILi4EfffNS1_25LogSoftMaxForwardEpilogueEEEvPT2_PKT0_i,comdat
.Lfunc_end69:
	.size	_ZN2at6native12_GLOBAL__N_119cunn_SoftMaxForwardILi4EfffNS1_25LogSoftMaxForwardEpilogueEEEvPT2_PKT0_i, .Lfunc_end69-_ZN2at6native12_GLOBAL__N_119cunn_SoftMaxForwardILi4EfffNS1_25LogSoftMaxForwardEpilogueEEEvPT2_PKT0_i
                                        ; -- End function
	.section	.AMDGPU.csdata,"",@progbits
; Kernel info:
; codeLenInByte = 3608
; NumSgprs: 23
; NumVgprs: 30
; ScratchSize: 0
; MemoryBound: 0
; FloatMode: 240
; IeeeMode: 1
; LDSByteSize: 0 bytes/workgroup (compile time only)
; SGPRBlocks: 2
; VGPRBlocks: 3
; NumSGPRsForWavesPerEU: 23
; NumVGPRsForWavesPerEU: 30
; Occupancy: 16
; WaveLimiterHint : 0
; COMPUTE_PGM_RSRC2:SCRATCH_EN: 0
; COMPUTE_PGM_RSRC2:USER_SGPR: 15
; COMPUTE_PGM_RSRC2:TRAP_HANDLER: 0
; COMPUTE_PGM_RSRC2:TGID_X_EN: 1
; COMPUTE_PGM_RSRC2:TGID_Y_EN: 0
; COMPUTE_PGM_RSRC2:TGID_Z_EN: 0
; COMPUTE_PGM_RSRC2:TIDIG_COMP_CNT: 0
	.section	.text._ZN12_GLOBAL__N_120softmax_warp_forwardIN3c104HalfES2_fLi0ELb1ELb0ELi64EEEvPT0_PKT_iiiPKbib,"axG",@progbits,_ZN12_GLOBAL__N_120softmax_warp_forwardIN3c104HalfES2_fLi0ELb1ELb0ELi64EEEvPT0_PKT_iiiPKbib,comdat
	.globl	_ZN12_GLOBAL__N_120softmax_warp_forwardIN3c104HalfES2_fLi0ELb1ELb0ELi64EEEvPT0_PKT_iiiPKbib ; -- Begin function _ZN12_GLOBAL__N_120softmax_warp_forwardIN3c104HalfES2_fLi0ELb1ELb0ELi64EEEvPT0_PKT_iiiPKbib
	.p2align	8
	.type	_ZN12_GLOBAL__N_120softmax_warp_forwardIN3c104HalfES2_fLi0ELb1ELb0ELi64EEEvPT0_PKT_iiiPKbib,@function
_ZN12_GLOBAL__N_120softmax_warp_forwardIN3c104HalfES2_fLi0ELb1ELb0ELi64EEEvPT0_PKT_iiiPKbib: ; @_ZN12_GLOBAL__N_120softmax_warp_forwardIN3c104HalfES2_fLi0ELb1ELb0ELi64EEEvPT0_PKT_iiiPKbib
; %bb.0:
	s_clause 0x1
	s_load_b32 s2, s[0:1], 0x3c
	s_load_b256 s[4:11], s[0:1], 0x0
	v_bfe_u32 v1, v0, 10, 10
	v_and_b32_e32 v2, 0x3ff, v0
	v_dual_mov_b32 v5, 0xff800000 :: v_dual_mov_b32 v6, 0xff800000
	s_waitcnt lgkmcnt(0)
	s_lshr_b32 s0, s2, 16
	s_delay_alu instid0(VALU_DEP_2) | instskip(SKIP_1) | instid1(SALU_CYCLE_1)
	v_cmp_gt_i32_e32 vcc_lo, s10, v2
	s_mul_i32 s15, s15, s0
	v_add_lshl_u32 v3, s15, v1, 1
	s_delay_alu instid0(VALU_DEP_1) | instskip(SKIP_1) | instid1(VALU_DEP_1)
	v_mad_u64_u32 v[0:1], null, v3, s9, v[2:3]
	v_sub_nc_u32_e32 v4, s8, v3
	v_cmp_lt_i32_e64 s0, 0, v4
	s_delay_alu instid0(VALU_DEP_3) | instskip(NEXT) | instid1(VALU_DEP_2)
	v_ashrrev_i32_e32 v1, 31, v0
	s_and_b32 s2, vcc_lo, s0
	s_delay_alu instid0(VALU_DEP_1) | instskip(NEXT) | instid1(VALU_DEP_1)
	v_lshlrev_b64 v[0:1], 1, v[0:1]
	v_add_co_u32 v2, s1, s6, v0
	s_delay_alu instid0(VALU_DEP_1)
	v_add_co_ci_u32_e64 v3, s1, s7, v1, s1
	s_and_saveexec_b32 s1, s2
	s_cbranch_execz .LBB70_2
; %bb.1:
	global_load_u16 v6, v[2:3], off
	s_waitcnt vmcnt(0)
	v_cvt_f32_f16_e32 v6, v6
.LBB70_2:
	s_or_b32 exec_lo, exec_lo, s1
	v_cmp_lt_i32_e64 s1, 1, v4
	s_delay_alu instid0(VALU_DEP_1) | instskip(NEXT) | instid1(SALU_CYCLE_1)
	s_and_b32 s1, vcc_lo, s1
	s_and_saveexec_b32 s2, s1
	s_cbranch_execz .LBB70_4
; %bb.3:
	s_mov_b32 s11, 0
	s_delay_alu instid0(SALU_CYCLE_1) | instskip(NEXT) | instid1(SALU_CYCLE_1)
	s_lshl_b64 s[6:7], s[10:11], 1
	v_add_co_u32 v2, s1, v2, s6
	s_delay_alu instid0(VALU_DEP_1)
	v_add_co_ci_u32_e64 v3, s1, s7, v3, s1
	global_load_u16 v2, v[2:3], off
	s_waitcnt vmcnt(0)
	v_cvt_f32_f16_e32 v5, v2
.LBB70_4:
	s_or_b32 exec_lo, exec_lo, s2
	s_and_saveexec_b32 s1, s0
	s_cbranch_execz .LBB70_10
; %bb.5:
	v_add_co_u32 v0, s0, s4, v0
	s_delay_alu instid0(VALU_DEP_1)
	v_add_co_ci_u32_e64 v1, s0, s5, v1, s0
	s_and_saveexec_b32 s2, vcc_lo
	s_cbranch_execz .LBB70_7
; %bb.6:
	v_sub_f32_e32 v2, v6, v6
	s_delay_alu instid0(VALU_DEP_1) | instskip(NEXT) | instid1(VALU_DEP_1)
	v_mul_f32_e32 v3, 0x3fb8aa3b, v2
	v_rndne_f32_e32 v6, v3
	v_fma_f32 v7, 0x3fb8aa3b, v2, -v3
	s_delay_alu instid0(VALU_DEP_2) | instskip(NEXT) | instid1(VALU_DEP_2)
	v_sub_f32_e32 v3, v3, v6
	v_fmamk_f32 v7, v2, 0x32a5705f, v7
	v_cvt_i32_f32_e32 v6, v6
	s_delay_alu instid0(VALU_DEP_2) | instskip(SKIP_1) | instid1(VALU_DEP_2)
	v_add_f32_e32 v3, v3, v7
	v_cmp_ngt_f32_e64 s0, 0xc2ce8ed0, v2
	v_exp_f32_e32 v3, v3
	s_waitcnt_depctr 0xfff
	v_ldexp_f32 v3, v3, v6
	s_delay_alu instid0(VALU_DEP_1) | instskip(SKIP_1) | instid1(VALU_DEP_1)
	v_cndmask_b32_e64 v3, 0, v3, s0
	v_cmp_nlt_f32_e64 s0, 0x42b17218, v2
	v_cndmask_b32_e64 v3, 0x7f800000, v3, s0
	s_delay_alu instid0(VALU_DEP_1) | instskip(NEXT) | instid1(VALU_DEP_1)
	v_cmp_gt_f32_e64 s0, 0x800000, v3
	v_cndmask_b32_e64 v6, 1.0, 0x4f800000, s0
	s_delay_alu instid0(VALU_DEP_1) | instskip(NEXT) | instid1(VALU_DEP_1)
	v_mul_f32_e32 v3, v3, v6
	v_log_f32_e32 v3, v3
	s_waitcnt_depctr 0xfff
	v_mul_f32_e32 v6, 0x3f317217, v3
	v_cmp_gt_f32_e64 s1, 0x7f800000, |v3|
	s_delay_alu instid0(VALU_DEP_2) | instskip(NEXT) | instid1(VALU_DEP_1)
	v_fma_f32 v7, 0x3f317217, v3, -v6
	v_fmamk_f32 v7, v3, 0x3377d1cf, v7
	s_delay_alu instid0(VALU_DEP_1) | instskip(NEXT) | instid1(VALU_DEP_1)
	v_add_f32_e32 v6, v6, v7
	v_cndmask_b32_e64 v3, v3, v6, s1
	v_cndmask_b32_e64 v6, 0, 0x41b17218, s0
	s_delay_alu instid0(VALU_DEP_1) | instskip(NEXT) | instid1(VALU_DEP_1)
	v_sub_f32_e32 v3, v3, v6
	v_sub_f32_e32 v2, v2, v3
	s_delay_alu instid0(VALU_DEP_1)
	v_cvt_f16_f32_e32 v2, v2
	global_store_b16 v[0:1], v2, off
.LBB70_7:
	s_or_b32 exec_lo, exec_lo, s2
	v_cmp_ne_u32_e64 s0, 1, v4
	s_delay_alu instid0(VALU_DEP_1)
	s_and_b32 exec_lo, exec_lo, s0
	s_cbranch_execz .LBB70_10
; %bb.8:
	s_and_b32 exec_lo, exec_lo, vcc_lo
	s_cbranch_execz .LBB70_10
; %bb.9:
	v_sub_f32_e32 v2, v5, v5
	s_mov_b32 s11, 0
	s_delay_alu instid0(SALU_CYCLE_1) | instskip(NEXT) | instid1(VALU_DEP_1)
	s_lshl_b64 s[0:1], s[10:11], 1
	v_mul_f32_e32 v3, 0x3fb8aa3b, v2
	s_delay_alu instid0(VALU_DEP_1) | instskip(SKIP_1) | instid1(VALU_DEP_2)
	v_rndne_f32_e32 v4, v3
	v_fma_f32 v5, 0x3fb8aa3b, v2, -v3
	v_sub_f32_e32 v3, v3, v4
	s_delay_alu instid0(VALU_DEP_2) | instskip(SKIP_2) | instid1(VALU_DEP_3)
	v_fmamk_f32 v5, v2, 0x32a5705f, v5
	v_cvt_i32_f32_e32 v4, v4
	v_cmp_ngt_f32_e32 vcc_lo, 0xc2ce8ed0, v2
	v_add_f32_e32 v3, v3, v5
	s_delay_alu instid0(VALU_DEP_1) | instskip(SKIP_2) | instid1(VALU_DEP_1)
	v_exp_f32_e32 v3, v3
	s_waitcnt_depctr 0xfff
	v_ldexp_f32 v3, v3, v4
	v_cndmask_b32_e32 v3, 0, v3, vcc_lo
	v_cmp_nlt_f32_e32 vcc_lo, 0x42b17218, v2
	s_delay_alu instid0(VALU_DEP_2) | instskip(NEXT) | instid1(VALU_DEP_1)
	v_cndmask_b32_e32 v3, 0x7f800000, v3, vcc_lo
	v_cmp_gt_f32_e32 vcc_lo, 0x800000, v3
	v_cndmask_b32_e64 v4, 1.0, 0x4f800000, vcc_lo
	s_delay_alu instid0(VALU_DEP_1) | instskip(NEXT) | instid1(VALU_DEP_1)
	v_mul_f32_e32 v3, v3, v4
	v_log_f32_e32 v3, v3
	s_waitcnt_depctr 0xfff
	v_mul_f32_e32 v4, 0x3f317217, v3
	s_delay_alu instid0(VALU_DEP_1) | instskip(NEXT) | instid1(VALU_DEP_1)
	v_fma_f32 v5, 0x3f317217, v3, -v4
	v_fmamk_f32 v5, v3, 0x3377d1cf, v5
	s_delay_alu instid0(VALU_DEP_1) | instskip(SKIP_2) | instid1(VALU_DEP_3)
	v_add_f32_e32 v4, v4, v5
	v_cndmask_b32_e64 v5, 0, 0x41b17218, vcc_lo
	v_cmp_gt_f32_e64 vcc_lo, 0x7f800000, |v3|
	v_cndmask_b32_e32 v3, v3, v4, vcc_lo
	v_add_co_u32 v0, vcc_lo, v0, s0
	v_add_co_ci_u32_e32 v1, vcc_lo, s1, v1, vcc_lo
	s_delay_alu instid0(VALU_DEP_3) | instskip(NEXT) | instid1(VALU_DEP_1)
	v_sub_f32_e32 v3, v3, v5
	v_sub_f32_e32 v2, v2, v3
	s_delay_alu instid0(VALU_DEP_1)
	v_cvt_f16_f32_e32 v2, v2
	global_store_b16 v[0:1], v2, off
.LBB70_10:
	s_nop 0
	s_sendmsg sendmsg(MSG_DEALLOC_VGPRS)
	s_endpgm
	.section	.rodata,"a",@progbits
	.p2align	6, 0x0
	.amdhsa_kernel _ZN12_GLOBAL__N_120softmax_warp_forwardIN3c104HalfES2_fLi0ELb1ELb0ELi64EEEvPT0_PKT_iiiPKbib
		.amdhsa_group_segment_fixed_size 0
		.amdhsa_private_segment_fixed_size 0
		.amdhsa_kernarg_size 304
		.amdhsa_user_sgpr_count 15
		.amdhsa_user_sgpr_dispatch_ptr 0
		.amdhsa_user_sgpr_queue_ptr 0
		.amdhsa_user_sgpr_kernarg_segment_ptr 1
		.amdhsa_user_sgpr_dispatch_id 0
		.amdhsa_user_sgpr_private_segment_size 0
		.amdhsa_wavefront_size32 1
		.amdhsa_uses_dynamic_stack 0
		.amdhsa_enable_private_segment 0
		.amdhsa_system_sgpr_workgroup_id_x 1
		.amdhsa_system_sgpr_workgroup_id_y 0
		.amdhsa_system_sgpr_workgroup_id_z 0
		.amdhsa_system_sgpr_workgroup_info 0
		.amdhsa_system_vgpr_workitem_id 1
		.amdhsa_next_free_vgpr 8
		.amdhsa_next_free_sgpr 16
		.amdhsa_reserve_vcc 1
		.amdhsa_float_round_mode_32 0
		.amdhsa_float_round_mode_16_64 0
		.amdhsa_float_denorm_mode_32 3
		.amdhsa_float_denorm_mode_16_64 3
		.amdhsa_dx10_clamp 1
		.amdhsa_ieee_mode 1
		.amdhsa_fp16_overflow 0
		.amdhsa_workgroup_processor_mode 1
		.amdhsa_memory_ordered 1
		.amdhsa_forward_progress 0
		.amdhsa_shared_vgpr_count 0
		.amdhsa_exception_fp_ieee_invalid_op 0
		.amdhsa_exception_fp_denorm_src 0
		.amdhsa_exception_fp_ieee_div_zero 0
		.amdhsa_exception_fp_ieee_overflow 0
		.amdhsa_exception_fp_ieee_underflow 0
		.amdhsa_exception_fp_ieee_inexact 0
		.amdhsa_exception_int_div_zero 0
	.end_amdhsa_kernel
	.section	.text._ZN12_GLOBAL__N_120softmax_warp_forwardIN3c104HalfES2_fLi0ELb1ELb0ELi64EEEvPT0_PKT_iiiPKbib,"axG",@progbits,_ZN12_GLOBAL__N_120softmax_warp_forwardIN3c104HalfES2_fLi0ELb1ELb0ELi64EEEvPT0_PKT_iiiPKbib,comdat
.Lfunc_end70:
	.size	_ZN12_GLOBAL__N_120softmax_warp_forwardIN3c104HalfES2_fLi0ELb1ELb0ELi64EEEvPT0_PKT_iiiPKbib, .Lfunc_end70-_ZN12_GLOBAL__N_120softmax_warp_forwardIN3c104HalfES2_fLi0ELb1ELb0ELi64EEEvPT0_PKT_iiiPKbib
                                        ; -- End function
	.section	.AMDGPU.csdata,"",@progbits
; Kernel info:
; codeLenInByte = 860
; NumSgprs: 18
; NumVgprs: 8
; ScratchSize: 0
; MemoryBound: 0
; FloatMode: 240
; IeeeMode: 1
; LDSByteSize: 0 bytes/workgroup (compile time only)
; SGPRBlocks: 2
; VGPRBlocks: 0
; NumSGPRsForWavesPerEU: 18
; NumVGPRsForWavesPerEU: 8
; Occupancy: 16
; WaveLimiterHint : 0
; COMPUTE_PGM_RSRC2:SCRATCH_EN: 0
; COMPUTE_PGM_RSRC2:USER_SGPR: 15
; COMPUTE_PGM_RSRC2:TRAP_HANDLER: 0
; COMPUTE_PGM_RSRC2:TGID_X_EN: 1
; COMPUTE_PGM_RSRC2:TGID_Y_EN: 0
; COMPUTE_PGM_RSRC2:TGID_Z_EN: 0
; COMPUTE_PGM_RSRC2:TIDIG_COMP_CNT: 1
	.section	.text._ZN12_GLOBAL__N_120softmax_warp_forwardIN3c104HalfES2_fLi0ELb1ELb0ELi32EEEvPT0_PKT_iiiPKbib,"axG",@progbits,_ZN12_GLOBAL__N_120softmax_warp_forwardIN3c104HalfES2_fLi0ELb1ELb0ELi32EEEvPT0_PKT_iiiPKbib,comdat
	.globl	_ZN12_GLOBAL__N_120softmax_warp_forwardIN3c104HalfES2_fLi0ELb1ELb0ELi32EEEvPT0_PKT_iiiPKbib ; -- Begin function _ZN12_GLOBAL__N_120softmax_warp_forwardIN3c104HalfES2_fLi0ELb1ELb0ELi32EEEvPT0_PKT_iiiPKbib
	.p2align	8
	.type	_ZN12_GLOBAL__N_120softmax_warp_forwardIN3c104HalfES2_fLi0ELb1ELb0ELi32EEEvPT0_PKT_iiiPKbib,@function
_ZN12_GLOBAL__N_120softmax_warp_forwardIN3c104HalfES2_fLi0ELb1ELb0ELi32EEEvPT0_PKT_iiiPKbib: ; @_ZN12_GLOBAL__N_120softmax_warp_forwardIN3c104HalfES2_fLi0ELb1ELb0ELi32EEEvPT0_PKT_iiiPKbib
; %bb.0:
	s_clause 0x1
	s_load_b32 s2, s[0:1], 0x3c
	s_load_b256 s[4:11], s[0:1], 0x0
	v_bfe_u32 v1, v0, 10, 10
	v_and_b32_e32 v2, 0x3ff, v0
	v_dual_mov_b32 v5, 0xff800000 :: v_dual_mov_b32 v6, 0xff800000
	s_waitcnt lgkmcnt(0)
	s_lshr_b32 s0, s2, 16
	s_delay_alu instid0(VALU_DEP_2) | instskip(SKIP_1) | instid1(SALU_CYCLE_1)
	v_cmp_gt_i32_e32 vcc_lo, s10, v2
	s_mul_i32 s15, s15, s0
	v_add_lshl_u32 v3, s15, v1, 1
	s_delay_alu instid0(VALU_DEP_1) | instskip(SKIP_1) | instid1(VALU_DEP_1)
	v_mad_u64_u32 v[0:1], null, v3, s9, v[2:3]
	v_sub_nc_u32_e32 v4, s8, v3
	v_cmp_lt_i32_e64 s0, 0, v4
	s_delay_alu instid0(VALU_DEP_3) | instskip(NEXT) | instid1(VALU_DEP_2)
	v_ashrrev_i32_e32 v1, 31, v0
	s_and_b32 s2, vcc_lo, s0
	s_delay_alu instid0(VALU_DEP_1) | instskip(NEXT) | instid1(VALU_DEP_1)
	v_lshlrev_b64 v[0:1], 1, v[0:1]
	v_add_co_u32 v2, s1, s6, v0
	s_delay_alu instid0(VALU_DEP_1)
	v_add_co_ci_u32_e64 v3, s1, s7, v1, s1
	s_and_saveexec_b32 s1, s2
	s_cbranch_execz .LBB71_2
; %bb.1:
	global_load_u16 v6, v[2:3], off
	s_waitcnt vmcnt(0)
	v_cvt_f32_f16_e32 v6, v6
.LBB71_2:
	s_or_b32 exec_lo, exec_lo, s1
	v_cmp_lt_i32_e64 s1, 1, v4
	s_delay_alu instid0(VALU_DEP_1) | instskip(NEXT) | instid1(SALU_CYCLE_1)
	s_and_b32 s1, vcc_lo, s1
	s_and_saveexec_b32 s2, s1
	s_cbranch_execz .LBB71_4
; %bb.3:
	s_mov_b32 s11, 0
	s_delay_alu instid0(SALU_CYCLE_1) | instskip(NEXT) | instid1(SALU_CYCLE_1)
	s_lshl_b64 s[6:7], s[10:11], 1
	v_add_co_u32 v2, s1, v2, s6
	s_delay_alu instid0(VALU_DEP_1)
	v_add_co_ci_u32_e64 v3, s1, s7, v3, s1
	global_load_u16 v2, v[2:3], off
	s_waitcnt vmcnt(0)
	v_cvt_f32_f16_e32 v5, v2
.LBB71_4:
	s_or_b32 exec_lo, exec_lo, s2
	s_and_saveexec_b32 s1, s0
	s_cbranch_execz .LBB71_10
; %bb.5:
	v_add_co_u32 v0, s0, s4, v0
	s_delay_alu instid0(VALU_DEP_1)
	v_add_co_ci_u32_e64 v1, s0, s5, v1, s0
	s_and_saveexec_b32 s2, vcc_lo
	s_cbranch_execz .LBB71_7
; %bb.6:
	v_sub_f32_e32 v2, v6, v6
	s_delay_alu instid0(VALU_DEP_1) | instskip(NEXT) | instid1(VALU_DEP_1)
	v_mul_f32_e32 v3, 0x3fb8aa3b, v2
	v_rndne_f32_e32 v6, v3
	v_fma_f32 v7, 0x3fb8aa3b, v2, -v3
	s_delay_alu instid0(VALU_DEP_2) | instskip(NEXT) | instid1(VALU_DEP_2)
	v_sub_f32_e32 v3, v3, v6
	v_fmamk_f32 v7, v2, 0x32a5705f, v7
	v_cvt_i32_f32_e32 v6, v6
	s_delay_alu instid0(VALU_DEP_2) | instskip(SKIP_1) | instid1(VALU_DEP_2)
	v_add_f32_e32 v3, v3, v7
	v_cmp_ngt_f32_e64 s0, 0xc2ce8ed0, v2
	v_exp_f32_e32 v3, v3
	s_waitcnt_depctr 0xfff
	v_ldexp_f32 v3, v3, v6
	s_delay_alu instid0(VALU_DEP_1) | instskip(SKIP_1) | instid1(VALU_DEP_1)
	v_cndmask_b32_e64 v3, 0, v3, s0
	v_cmp_nlt_f32_e64 s0, 0x42b17218, v2
	v_cndmask_b32_e64 v3, 0x7f800000, v3, s0
	s_delay_alu instid0(VALU_DEP_1) | instskip(NEXT) | instid1(VALU_DEP_1)
	v_cmp_gt_f32_e64 s0, 0x800000, v3
	v_cndmask_b32_e64 v6, 1.0, 0x4f800000, s0
	s_delay_alu instid0(VALU_DEP_1) | instskip(NEXT) | instid1(VALU_DEP_1)
	v_mul_f32_e32 v3, v3, v6
	v_log_f32_e32 v3, v3
	s_waitcnt_depctr 0xfff
	v_mul_f32_e32 v6, 0x3f317217, v3
	v_cmp_gt_f32_e64 s1, 0x7f800000, |v3|
	s_delay_alu instid0(VALU_DEP_2) | instskip(NEXT) | instid1(VALU_DEP_1)
	v_fma_f32 v7, 0x3f317217, v3, -v6
	v_fmamk_f32 v7, v3, 0x3377d1cf, v7
	s_delay_alu instid0(VALU_DEP_1) | instskip(NEXT) | instid1(VALU_DEP_1)
	v_add_f32_e32 v6, v6, v7
	v_cndmask_b32_e64 v3, v3, v6, s1
	v_cndmask_b32_e64 v6, 0, 0x41b17218, s0
	s_delay_alu instid0(VALU_DEP_1) | instskip(NEXT) | instid1(VALU_DEP_1)
	v_sub_f32_e32 v3, v3, v6
	v_sub_f32_e32 v2, v2, v3
	s_delay_alu instid0(VALU_DEP_1)
	v_cvt_f16_f32_e32 v2, v2
	global_store_b16 v[0:1], v2, off
.LBB71_7:
	s_or_b32 exec_lo, exec_lo, s2
	v_cmp_ne_u32_e64 s0, 1, v4
	s_delay_alu instid0(VALU_DEP_1)
	s_and_b32 exec_lo, exec_lo, s0
	s_cbranch_execz .LBB71_10
; %bb.8:
	s_and_b32 exec_lo, exec_lo, vcc_lo
	s_cbranch_execz .LBB71_10
; %bb.9:
	v_sub_f32_e32 v2, v5, v5
	s_mov_b32 s11, 0
	s_delay_alu instid0(SALU_CYCLE_1) | instskip(NEXT) | instid1(VALU_DEP_1)
	s_lshl_b64 s[0:1], s[10:11], 1
	v_mul_f32_e32 v3, 0x3fb8aa3b, v2
	s_delay_alu instid0(VALU_DEP_1) | instskip(SKIP_1) | instid1(VALU_DEP_2)
	v_rndne_f32_e32 v4, v3
	v_fma_f32 v5, 0x3fb8aa3b, v2, -v3
	v_sub_f32_e32 v3, v3, v4
	s_delay_alu instid0(VALU_DEP_2) | instskip(SKIP_2) | instid1(VALU_DEP_3)
	v_fmamk_f32 v5, v2, 0x32a5705f, v5
	v_cvt_i32_f32_e32 v4, v4
	v_cmp_ngt_f32_e32 vcc_lo, 0xc2ce8ed0, v2
	v_add_f32_e32 v3, v3, v5
	s_delay_alu instid0(VALU_DEP_1) | instskip(SKIP_2) | instid1(VALU_DEP_1)
	v_exp_f32_e32 v3, v3
	s_waitcnt_depctr 0xfff
	v_ldexp_f32 v3, v3, v4
	v_cndmask_b32_e32 v3, 0, v3, vcc_lo
	v_cmp_nlt_f32_e32 vcc_lo, 0x42b17218, v2
	s_delay_alu instid0(VALU_DEP_2) | instskip(NEXT) | instid1(VALU_DEP_1)
	v_cndmask_b32_e32 v3, 0x7f800000, v3, vcc_lo
	v_cmp_gt_f32_e32 vcc_lo, 0x800000, v3
	v_cndmask_b32_e64 v4, 1.0, 0x4f800000, vcc_lo
	s_delay_alu instid0(VALU_DEP_1) | instskip(NEXT) | instid1(VALU_DEP_1)
	v_mul_f32_e32 v3, v3, v4
	v_log_f32_e32 v3, v3
	s_waitcnt_depctr 0xfff
	v_mul_f32_e32 v4, 0x3f317217, v3
	s_delay_alu instid0(VALU_DEP_1) | instskip(NEXT) | instid1(VALU_DEP_1)
	v_fma_f32 v5, 0x3f317217, v3, -v4
	v_fmamk_f32 v5, v3, 0x3377d1cf, v5
	s_delay_alu instid0(VALU_DEP_1) | instskip(SKIP_2) | instid1(VALU_DEP_3)
	v_add_f32_e32 v4, v4, v5
	v_cndmask_b32_e64 v5, 0, 0x41b17218, vcc_lo
	v_cmp_gt_f32_e64 vcc_lo, 0x7f800000, |v3|
	v_cndmask_b32_e32 v3, v3, v4, vcc_lo
	v_add_co_u32 v0, vcc_lo, v0, s0
	v_add_co_ci_u32_e32 v1, vcc_lo, s1, v1, vcc_lo
	s_delay_alu instid0(VALU_DEP_3) | instskip(NEXT) | instid1(VALU_DEP_1)
	v_sub_f32_e32 v3, v3, v5
	v_sub_f32_e32 v2, v2, v3
	s_delay_alu instid0(VALU_DEP_1)
	v_cvt_f16_f32_e32 v2, v2
	global_store_b16 v[0:1], v2, off
.LBB71_10:
	s_nop 0
	s_sendmsg sendmsg(MSG_DEALLOC_VGPRS)
	s_endpgm
	.section	.rodata,"a",@progbits
	.p2align	6, 0x0
	.amdhsa_kernel _ZN12_GLOBAL__N_120softmax_warp_forwardIN3c104HalfES2_fLi0ELb1ELb0ELi32EEEvPT0_PKT_iiiPKbib
		.amdhsa_group_segment_fixed_size 0
		.amdhsa_private_segment_fixed_size 0
		.amdhsa_kernarg_size 304
		.amdhsa_user_sgpr_count 15
		.amdhsa_user_sgpr_dispatch_ptr 0
		.amdhsa_user_sgpr_queue_ptr 0
		.amdhsa_user_sgpr_kernarg_segment_ptr 1
		.amdhsa_user_sgpr_dispatch_id 0
		.amdhsa_user_sgpr_private_segment_size 0
		.amdhsa_wavefront_size32 1
		.amdhsa_uses_dynamic_stack 0
		.amdhsa_enable_private_segment 0
		.amdhsa_system_sgpr_workgroup_id_x 1
		.amdhsa_system_sgpr_workgroup_id_y 0
		.amdhsa_system_sgpr_workgroup_id_z 0
		.amdhsa_system_sgpr_workgroup_info 0
		.amdhsa_system_vgpr_workitem_id 1
		.amdhsa_next_free_vgpr 8
		.amdhsa_next_free_sgpr 16
		.amdhsa_reserve_vcc 1
		.amdhsa_float_round_mode_32 0
		.amdhsa_float_round_mode_16_64 0
		.amdhsa_float_denorm_mode_32 3
		.amdhsa_float_denorm_mode_16_64 3
		.amdhsa_dx10_clamp 1
		.amdhsa_ieee_mode 1
		.amdhsa_fp16_overflow 0
		.amdhsa_workgroup_processor_mode 1
		.amdhsa_memory_ordered 1
		.amdhsa_forward_progress 0
		.amdhsa_shared_vgpr_count 0
		.amdhsa_exception_fp_ieee_invalid_op 0
		.amdhsa_exception_fp_denorm_src 0
		.amdhsa_exception_fp_ieee_div_zero 0
		.amdhsa_exception_fp_ieee_overflow 0
		.amdhsa_exception_fp_ieee_underflow 0
		.amdhsa_exception_fp_ieee_inexact 0
		.amdhsa_exception_int_div_zero 0
	.end_amdhsa_kernel
	.section	.text._ZN12_GLOBAL__N_120softmax_warp_forwardIN3c104HalfES2_fLi0ELb1ELb0ELi32EEEvPT0_PKT_iiiPKbib,"axG",@progbits,_ZN12_GLOBAL__N_120softmax_warp_forwardIN3c104HalfES2_fLi0ELb1ELb0ELi32EEEvPT0_PKT_iiiPKbib,comdat
.Lfunc_end71:
	.size	_ZN12_GLOBAL__N_120softmax_warp_forwardIN3c104HalfES2_fLi0ELb1ELb0ELi32EEEvPT0_PKT_iiiPKbib, .Lfunc_end71-_ZN12_GLOBAL__N_120softmax_warp_forwardIN3c104HalfES2_fLi0ELb1ELb0ELi32EEEvPT0_PKT_iiiPKbib
                                        ; -- End function
	.section	.AMDGPU.csdata,"",@progbits
; Kernel info:
; codeLenInByte = 860
; NumSgprs: 18
; NumVgprs: 8
; ScratchSize: 0
; MemoryBound: 0
; FloatMode: 240
; IeeeMode: 1
; LDSByteSize: 0 bytes/workgroup (compile time only)
; SGPRBlocks: 2
; VGPRBlocks: 0
; NumSGPRsForWavesPerEU: 18
; NumVGPRsForWavesPerEU: 8
; Occupancy: 16
; WaveLimiterHint : 0
; COMPUTE_PGM_RSRC2:SCRATCH_EN: 0
; COMPUTE_PGM_RSRC2:USER_SGPR: 15
; COMPUTE_PGM_RSRC2:TRAP_HANDLER: 0
; COMPUTE_PGM_RSRC2:TGID_X_EN: 1
; COMPUTE_PGM_RSRC2:TGID_Y_EN: 0
; COMPUTE_PGM_RSRC2:TGID_Z_EN: 0
; COMPUTE_PGM_RSRC2:TIDIG_COMP_CNT: 1
	.section	.text._ZN12_GLOBAL__N_120softmax_warp_forwardIN3c104HalfES2_fLi1ELb1ELb0ELi64EEEvPT0_PKT_iiiPKbib,"axG",@progbits,_ZN12_GLOBAL__N_120softmax_warp_forwardIN3c104HalfES2_fLi1ELb1ELb0ELi64EEEvPT0_PKT_iiiPKbib,comdat
	.globl	_ZN12_GLOBAL__N_120softmax_warp_forwardIN3c104HalfES2_fLi1ELb1ELb0ELi64EEEvPT0_PKT_iiiPKbib ; -- Begin function _ZN12_GLOBAL__N_120softmax_warp_forwardIN3c104HalfES2_fLi1ELb1ELb0ELi64EEEvPT0_PKT_iiiPKbib
	.p2align	8
	.type	_ZN12_GLOBAL__N_120softmax_warp_forwardIN3c104HalfES2_fLi1ELb1ELb0ELi64EEEvPT0_PKT_iiiPKbib,@function
_ZN12_GLOBAL__N_120softmax_warp_forwardIN3c104HalfES2_fLi1ELb1ELb0ELi64EEEvPT0_PKT_iiiPKbib: ; @_ZN12_GLOBAL__N_120softmax_warp_forwardIN3c104HalfES2_fLi1ELb1ELb0ELi64EEEvPT0_PKT_iiiPKbib
; %bb.0:
	s_clause 0x1
	s_load_b32 s2, s[0:1], 0x3c
	s_load_b256 s[4:11], s[0:1], 0x0
	v_bfe_u32 v1, v0, 10, 10
	v_and_b32_e32 v2, 0x3ff, v0
	v_dual_mov_b32 v5, 0xff800000 :: v_dual_mov_b32 v6, 0xff800000
	s_waitcnt lgkmcnt(0)
	s_lshr_b32 s0, s2, 16
	s_delay_alu instid0(VALU_DEP_2) | instskip(SKIP_1) | instid1(SALU_CYCLE_1)
	v_cmp_gt_i32_e32 vcc_lo, s10, v2
	s_mul_i32 s15, s15, s0
	v_add_lshl_u32 v3, s15, v1, 1
	s_delay_alu instid0(VALU_DEP_1) | instskip(SKIP_1) | instid1(VALU_DEP_1)
	v_mad_u64_u32 v[0:1], null, v3, s9, v[2:3]
	v_sub_nc_u32_e32 v4, s8, v3
	v_cmp_lt_i32_e64 s0, 0, v4
	s_delay_alu instid0(VALU_DEP_3) | instskip(NEXT) | instid1(VALU_DEP_2)
	v_ashrrev_i32_e32 v1, 31, v0
	s_and_b32 s2, vcc_lo, s0
	s_delay_alu instid0(VALU_DEP_1) | instskip(NEXT) | instid1(VALU_DEP_1)
	v_lshlrev_b64 v[0:1], 1, v[0:1]
	v_add_co_u32 v2, s1, s6, v0
	s_delay_alu instid0(VALU_DEP_1)
	v_add_co_ci_u32_e64 v3, s1, s7, v1, s1
	s_and_saveexec_b32 s1, s2
	s_cbranch_execz .LBB72_2
; %bb.1:
	global_load_u16 v6, v[2:3], off
	s_waitcnt vmcnt(0)
	v_cvt_f32_f16_e32 v6, v6
.LBB72_2:
	s_or_b32 exec_lo, exec_lo, s1
	v_cmp_lt_i32_e64 s1, 1, v4
	s_delay_alu instid0(VALU_DEP_1) | instskip(NEXT) | instid1(SALU_CYCLE_1)
	s_and_b32 s1, vcc_lo, s1
	s_and_saveexec_b32 s2, s1
	s_cbranch_execz .LBB72_4
; %bb.3:
	s_mov_b32 s11, 0
	s_delay_alu instid0(SALU_CYCLE_1) | instskip(NEXT) | instid1(SALU_CYCLE_1)
	s_lshl_b64 s[6:7], s[10:11], 1
	v_add_co_u32 v2, s1, v2, s6
	s_delay_alu instid0(VALU_DEP_1)
	v_add_co_ci_u32_e64 v3, s1, s7, v3, s1
	global_load_u16 v2, v[2:3], off
	s_waitcnt vmcnt(0)
	v_cvt_f32_f16_e32 v5, v2
.LBB72_4:
	s_or_b32 exec_lo, exec_lo, s2
	v_mbcnt_lo_u32_b32 v2, -1, 0
	s_delay_alu instid0(VALU_DEP_1) | instskip(SKIP_1) | instid1(VALU_DEP_2)
	v_and_b32_e32 v3, 30, v2
	v_xor_b32_e32 v7, 1, v2
	v_add_nc_u32_e32 v3, 2, v3
	s_delay_alu instid0(VALU_DEP_1) | instskip(NEXT) | instid1(VALU_DEP_1)
	v_cmp_lt_i32_e64 s1, v7, v3
	v_cndmask_b32_e64 v2, v2, v7, s1
	s_delay_alu instid0(VALU_DEP_1) | instskip(SKIP_4) | instid1(VALU_DEP_1)
	v_lshlrev_b32_e32 v9, 2, v2
	ds_bpermute_b32 v2, v9, v6
	ds_bpermute_b32 v3, v9, v5
	s_waitcnt lgkmcnt(1)
	v_cmp_lt_f32_e64 s1, v6, v2
	v_cndmask_b32_e64 v2, v6, v2, s1
	s_waitcnt lgkmcnt(0)
	v_cmp_lt_f32_e64 s1, v5, v3
	s_delay_alu instid0(VALU_DEP_1) | instskip(NEXT) | instid1(VALU_DEP_1)
	v_cndmask_b32_e64 v7, v5, v3, s1
	v_dual_sub_f32 v3, v6, v2 :: v_dual_sub_f32 v2, v5, v7
	s_delay_alu instid0(VALU_DEP_1) | instskip(NEXT) | instid1(VALU_DEP_2)
	v_cmp_ngt_f32_e64 s1, 0xc2ce8ed0, v3
	v_mul_f32_e32 v6, 0x3fb8aa3b, v2
	s_delay_alu instid0(VALU_DEP_1) | instskip(SKIP_1) | instid1(VALU_DEP_2)
	v_fma_f32 v10, 0x3fb8aa3b, v2, -v6
	v_rndne_f32_e32 v11, v6
	v_fmac_f32_e32 v10, 0x32a5705f, v2
	s_delay_alu instid0(VALU_DEP_2) | instskip(NEXT) | instid1(VALU_DEP_1)
	v_sub_f32_e32 v6, v6, v11
	v_dual_mul_f32 v5, 0x3fb8aa3b, v3 :: v_dual_add_f32 v6, v6, v10
	s_delay_alu instid0(VALU_DEP_1) | instskip(SKIP_1) | instid1(VALU_DEP_3)
	v_fma_f32 v7, 0x3fb8aa3b, v3, -v5
	v_rndne_f32_e32 v8, v5
	v_exp_f32_e32 v6, v6
	s_delay_alu instid0(VALU_DEP_2) | instskip(NEXT) | instid1(VALU_DEP_2)
	v_fmac_f32_e32 v7, 0x32a5705f, v3
	v_sub_f32_e32 v5, v5, v8
	s_delay_alu instid0(VALU_DEP_1) | instskip(SKIP_2) | instid1(VALU_DEP_3)
	v_add_f32_e32 v5, v5, v7
	v_cvt_i32_f32_e32 v7, v8
	v_cvt_i32_f32_e32 v8, v11
	v_exp_f32_e32 v5, v5
	s_delay_alu instid0(TRANS32_DEP_2) | instid1(VALU_DEP_1)
	v_ldexp_f32 v6, v6, v8
	s_waitcnt_depctr 0xfff
	v_ldexp_f32 v5, v5, v7
	s_delay_alu instid0(VALU_DEP_1) | instskip(SKIP_1) | instid1(VALU_DEP_1)
	v_cndmask_b32_e64 v5, 0, v5, s1
	v_cmp_ngt_f32_e64 s1, 0xc2ce8ed0, v2
	v_cndmask_b32_e64 v6, 0, v6, s1
	v_cmp_nlt_f32_e64 s1, 0x42b17218, v3
	s_delay_alu instid0(VALU_DEP_1)
	v_cndmask_b32_e64 v7, 0x7f800000, v5, s1
	v_cmp_nlt_f32_e64 s1, 0x42b17218, v2
	ds_bpermute_b32 v8, v9, v7
	v_cndmask_b32_e64 v5, 0x7f800000, v6, s1
	ds_bpermute_b32 v6, v9, v5
	s_and_saveexec_b32 s1, s0
	s_cbranch_execz .LBB72_10
; %bb.5:
	v_add_co_u32 v0, s0, s4, v0
	s_delay_alu instid0(VALU_DEP_1)
	v_add_co_ci_u32_e64 v1, s0, s5, v1, s0
	s_and_saveexec_b32 s2, vcc_lo
	s_cbranch_execz .LBB72_7
; %bb.6:
	s_waitcnt lgkmcnt(1)
	v_add_f32_e32 v7, v7, v8
	s_delay_alu instid0(VALU_DEP_1) | instskip(NEXT) | instid1(VALU_DEP_1)
	v_cmp_gt_f32_e64 s0, 0x800000, v7
	v_cndmask_b32_e64 v8, 1.0, 0x4f800000, s0
	s_delay_alu instid0(VALU_DEP_1) | instskip(NEXT) | instid1(VALU_DEP_1)
	v_mul_f32_e32 v7, v7, v8
	v_log_f32_e32 v7, v7
	s_waitcnt_depctr 0xfff
	v_mul_f32_e32 v8, 0x3f317217, v7
	v_cmp_gt_f32_e64 s1, 0x7f800000, |v7|
	s_delay_alu instid0(VALU_DEP_2) | instskip(NEXT) | instid1(VALU_DEP_1)
	v_fma_f32 v9, 0x3f317217, v7, -v8
	v_fmamk_f32 v9, v7, 0x3377d1cf, v9
	s_delay_alu instid0(VALU_DEP_1) | instskip(NEXT) | instid1(VALU_DEP_1)
	v_add_f32_e32 v8, v8, v9
	v_cndmask_b32_e64 v7, v7, v8, s1
	v_cndmask_b32_e64 v8, 0, 0x41b17218, s0
	s_delay_alu instid0(VALU_DEP_1) | instskip(NEXT) | instid1(VALU_DEP_1)
	v_sub_f32_e32 v7, v7, v8
	v_sub_f32_e32 v3, v3, v7
	s_delay_alu instid0(VALU_DEP_1)
	v_cvt_f16_f32_e32 v3, v3
	global_store_b16 v[0:1], v3, off
.LBB72_7:
	s_or_b32 exec_lo, exec_lo, s2
	v_cmp_ne_u32_e64 s0, 1, v4
	s_delay_alu instid0(VALU_DEP_1)
	s_and_b32 exec_lo, exec_lo, s0
	s_cbranch_execz .LBB72_10
; %bb.8:
	s_and_b32 exec_lo, exec_lo, vcc_lo
	s_cbranch_execz .LBB72_10
; %bb.9:
	s_waitcnt lgkmcnt(0)
	v_add_f32_e32 v3, v5, v6
	s_mov_b32 s11, 0
	s_delay_alu instid0(SALU_CYCLE_1) | instskip(NEXT) | instid1(VALU_DEP_1)
	s_lshl_b64 s[0:1], s[10:11], 1
	v_cmp_gt_f32_e32 vcc_lo, 0x800000, v3
	v_cndmask_b32_e64 v4, 1.0, 0x4f800000, vcc_lo
	s_delay_alu instid0(VALU_DEP_1) | instskip(NEXT) | instid1(VALU_DEP_1)
	v_mul_f32_e32 v3, v3, v4
	v_log_f32_e32 v3, v3
	s_waitcnt_depctr 0xfff
	v_mul_f32_e32 v4, 0x3f317217, v3
	s_delay_alu instid0(VALU_DEP_1) | instskip(NEXT) | instid1(VALU_DEP_1)
	v_fma_f32 v5, 0x3f317217, v3, -v4
	v_fmamk_f32 v5, v3, 0x3377d1cf, v5
	s_delay_alu instid0(VALU_DEP_1) | instskip(SKIP_2) | instid1(VALU_DEP_3)
	v_add_f32_e32 v4, v4, v5
	v_cndmask_b32_e64 v5, 0, 0x41b17218, vcc_lo
	v_cmp_gt_f32_e64 vcc_lo, 0x7f800000, |v3|
	v_cndmask_b32_e32 v3, v3, v4, vcc_lo
	v_add_co_u32 v0, vcc_lo, v0, s0
	v_add_co_ci_u32_e32 v1, vcc_lo, s1, v1, vcc_lo
	s_delay_alu instid0(VALU_DEP_3) | instskip(NEXT) | instid1(VALU_DEP_1)
	v_sub_f32_e32 v3, v3, v5
	v_sub_f32_e32 v2, v2, v3
	s_delay_alu instid0(VALU_DEP_1)
	v_cvt_f16_f32_e32 v2, v2
	global_store_b16 v[0:1], v2, off
.LBB72_10:
	s_nop 0
	s_sendmsg sendmsg(MSG_DEALLOC_VGPRS)
	s_endpgm
	.section	.rodata,"a",@progbits
	.p2align	6, 0x0
	.amdhsa_kernel _ZN12_GLOBAL__N_120softmax_warp_forwardIN3c104HalfES2_fLi1ELb1ELb0ELi64EEEvPT0_PKT_iiiPKbib
		.amdhsa_group_segment_fixed_size 0
		.amdhsa_private_segment_fixed_size 0
		.amdhsa_kernarg_size 304
		.amdhsa_user_sgpr_count 15
		.amdhsa_user_sgpr_dispatch_ptr 0
		.amdhsa_user_sgpr_queue_ptr 0
		.amdhsa_user_sgpr_kernarg_segment_ptr 1
		.amdhsa_user_sgpr_dispatch_id 0
		.amdhsa_user_sgpr_private_segment_size 0
		.amdhsa_wavefront_size32 1
		.amdhsa_uses_dynamic_stack 0
		.amdhsa_enable_private_segment 0
		.amdhsa_system_sgpr_workgroup_id_x 1
		.amdhsa_system_sgpr_workgroup_id_y 0
		.amdhsa_system_sgpr_workgroup_id_z 0
		.amdhsa_system_sgpr_workgroup_info 0
		.amdhsa_system_vgpr_workitem_id 1
		.amdhsa_next_free_vgpr 12
		.amdhsa_next_free_sgpr 16
		.amdhsa_reserve_vcc 1
		.amdhsa_float_round_mode_32 0
		.amdhsa_float_round_mode_16_64 0
		.amdhsa_float_denorm_mode_32 3
		.amdhsa_float_denorm_mode_16_64 3
		.amdhsa_dx10_clamp 1
		.amdhsa_ieee_mode 1
		.amdhsa_fp16_overflow 0
		.amdhsa_workgroup_processor_mode 1
		.amdhsa_memory_ordered 1
		.amdhsa_forward_progress 0
		.amdhsa_shared_vgpr_count 0
		.amdhsa_exception_fp_ieee_invalid_op 0
		.amdhsa_exception_fp_denorm_src 0
		.amdhsa_exception_fp_ieee_div_zero 0
		.amdhsa_exception_fp_ieee_overflow 0
		.amdhsa_exception_fp_ieee_underflow 0
		.amdhsa_exception_fp_ieee_inexact 0
		.amdhsa_exception_int_div_zero 0
	.end_amdhsa_kernel
	.section	.text._ZN12_GLOBAL__N_120softmax_warp_forwardIN3c104HalfES2_fLi1ELb1ELb0ELi64EEEvPT0_PKT_iiiPKbib,"axG",@progbits,_ZN12_GLOBAL__N_120softmax_warp_forwardIN3c104HalfES2_fLi1ELb1ELb0ELi64EEEvPT0_PKT_iiiPKbib,comdat
.Lfunc_end72:
	.size	_ZN12_GLOBAL__N_120softmax_warp_forwardIN3c104HalfES2_fLi1ELb1ELb0ELi64EEEvPT0_PKT_iiiPKbib, .Lfunc_end72-_ZN12_GLOBAL__N_120softmax_warp_forwardIN3c104HalfES2_fLi1ELb1ELb0ELi64EEEvPT0_PKT_iiiPKbib
                                        ; -- End function
	.section	.AMDGPU.csdata,"",@progbits
; Kernel info:
; codeLenInByte = 1020
; NumSgprs: 18
; NumVgprs: 12
; ScratchSize: 0
; MemoryBound: 0
; FloatMode: 240
; IeeeMode: 1
; LDSByteSize: 0 bytes/workgroup (compile time only)
; SGPRBlocks: 2
; VGPRBlocks: 1
; NumSGPRsForWavesPerEU: 18
; NumVGPRsForWavesPerEU: 12
; Occupancy: 16
; WaveLimiterHint : 0
; COMPUTE_PGM_RSRC2:SCRATCH_EN: 0
; COMPUTE_PGM_RSRC2:USER_SGPR: 15
; COMPUTE_PGM_RSRC2:TRAP_HANDLER: 0
; COMPUTE_PGM_RSRC2:TGID_X_EN: 1
; COMPUTE_PGM_RSRC2:TGID_Y_EN: 0
; COMPUTE_PGM_RSRC2:TGID_Z_EN: 0
; COMPUTE_PGM_RSRC2:TIDIG_COMP_CNT: 1
	.section	.text._ZN12_GLOBAL__N_120softmax_warp_forwardIN3c104HalfES2_fLi1ELb1ELb0ELi32EEEvPT0_PKT_iiiPKbib,"axG",@progbits,_ZN12_GLOBAL__N_120softmax_warp_forwardIN3c104HalfES2_fLi1ELb1ELb0ELi32EEEvPT0_PKT_iiiPKbib,comdat
	.globl	_ZN12_GLOBAL__N_120softmax_warp_forwardIN3c104HalfES2_fLi1ELb1ELb0ELi32EEEvPT0_PKT_iiiPKbib ; -- Begin function _ZN12_GLOBAL__N_120softmax_warp_forwardIN3c104HalfES2_fLi1ELb1ELb0ELi32EEEvPT0_PKT_iiiPKbib
	.p2align	8
	.type	_ZN12_GLOBAL__N_120softmax_warp_forwardIN3c104HalfES2_fLi1ELb1ELb0ELi32EEEvPT0_PKT_iiiPKbib,@function
_ZN12_GLOBAL__N_120softmax_warp_forwardIN3c104HalfES2_fLi1ELb1ELb0ELi32EEEvPT0_PKT_iiiPKbib: ; @_ZN12_GLOBAL__N_120softmax_warp_forwardIN3c104HalfES2_fLi1ELb1ELb0ELi32EEEvPT0_PKT_iiiPKbib
; %bb.0:
	s_clause 0x1
	s_load_b32 s2, s[0:1], 0x3c
	s_load_b256 s[4:11], s[0:1], 0x0
	v_bfe_u32 v1, v0, 10, 10
	v_and_b32_e32 v2, 0x3ff, v0
	v_dual_mov_b32 v5, 0xff800000 :: v_dual_mov_b32 v6, 0xff800000
	s_waitcnt lgkmcnt(0)
	s_lshr_b32 s0, s2, 16
	s_delay_alu instid0(VALU_DEP_2) | instskip(SKIP_1) | instid1(SALU_CYCLE_1)
	v_cmp_gt_i32_e32 vcc_lo, s10, v2
	s_mul_i32 s15, s15, s0
	v_add_lshl_u32 v3, s15, v1, 1
	s_delay_alu instid0(VALU_DEP_1) | instskip(SKIP_1) | instid1(VALU_DEP_1)
	v_mad_u64_u32 v[0:1], null, v3, s9, v[2:3]
	v_sub_nc_u32_e32 v4, s8, v3
	v_cmp_lt_i32_e64 s0, 0, v4
	s_delay_alu instid0(VALU_DEP_3) | instskip(NEXT) | instid1(VALU_DEP_2)
	v_ashrrev_i32_e32 v1, 31, v0
	s_and_b32 s2, vcc_lo, s0
	s_delay_alu instid0(VALU_DEP_1) | instskip(NEXT) | instid1(VALU_DEP_1)
	v_lshlrev_b64 v[0:1], 1, v[0:1]
	v_add_co_u32 v2, s1, s6, v0
	s_delay_alu instid0(VALU_DEP_1)
	v_add_co_ci_u32_e64 v3, s1, s7, v1, s1
	s_and_saveexec_b32 s1, s2
	s_cbranch_execz .LBB73_2
; %bb.1:
	global_load_u16 v6, v[2:3], off
	s_waitcnt vmcnt(0)
	v_cvt_f32_f16_e32 v6, v6
.LBB73_2:
	s_or_b32 exec_lo, exec_lo, s1
	v_cmp_lt_i32_e64 s1, 1, v4
	s_delay_alu instid0(VALU_DEP_1) | instskip(NEXT) | instid1(SALU_CYCLE_1)
	s_and_b32 s1, vcc_lo, s1
	s_and_saveexec_b32 s2, s1
	s_cbranch_execz .LBB73_4
; %bb.3:
	s_mov_b32 s11, 0
	s_delay_alu instid0(SALU_CYCLE_1) | instskip(NEXT) | instid1(SALU_CYCLE_1)
	s_lshl_b64 s[6:7], s[10:11], 1
	v_add_co_u32 v2, s1, v2, s6
	s_delay_alu instid0(VALU_DEP_1)
	v_add_co_ci_u32_e64 v3, s1, s7, v3, s1
	global_load_u16 v2, v[2:3], off
	s_waitcnt vmcnt(0)
	v_cvt_f32_f16_e32 v5, v2
.LBB73_4:
	s_or_b32 exec_lo, exec_lo, s2
	v_mbcnt_lo_u32_b32 v2, -1, 0
	s_delay_alu instid0(VALU_DEP_1) | instskip(SKIP_1) | instid1(VALU_DEP_2)
	v_and_b32_e32 v3, 30, v2
	v_xor_b32_e32 v7, 1, v2
	v_add_nc_u32_e32 v3, 2, v3
	s_delay_alu instid0(VALU_DEP_1) | instskip(NEXT) | instid1(VALU_DEP_1)
	v_cmp_lt_i32_e64 s1, v7, v3
	v_cndmask_b32_e64 v2, v2, v7, s1
	s_delay_alu instid0(VALU_DEP_1) | instskip(SKIP_4) | instid1(VALU_DEP_1)
	v_lshlrev_b32_e32 v9, 2, v2
	ds_bpermute_b32 v2, v9, v6
	ds_bpermute_b32 v3, v9, v5
	s_waitcnt lgkmcnt(1)
	v_cmp_lt_f32_e64 s1, v6, v2
	v_cndmask_b32_e64 v2, v6, v2, s1
	s_waitcnt lgkmcnt(0)
	v_cmp_lt_f32_e64 s1, v5, v3
	s_delay_alu instid0(VALU_DEP_1) | instskip(NEXT) | instid1(VALU_DEP_1)
	v_cndmask_b32_e64 v7, v5, v3, s1
	v_dual_sub_f32 v3, v6, v2 :: v_dual_sub_f32 v2, v5, v7
	s_delay_alu instid0(VALU_DEP_1) | instskip(NEXT) | instid1(VALU_DEP_2)
	v_cmp_ngt_f32_e64 s1, 0xc2ce8ed0, v3
	v_mul_f32_e32 v6, 0x3fb8aa3b, v2
	s_delay_alu instid0(VALU_DEP_1) | instskip(SKIP_1) | instid1(VALU_DEP_2)
	v_fma_f32 v10, 0x3fb8aa3b, v2, -v6
	v_rndne_f32_e32 v11, v6
	v_fmac_f32_e32 v10, 0x32a5705f, v2
	s_delay_alu instid0(VALU_DEP_2) | instskip(NEXT) | instid1(VALU_DEP_1)
	v_sub_f32_e32 v6, v6, v11
	v_dual_mul_f32 v5, 0x3fb8aa3b, v3 :: v_dual_add_f32 v6, v6, v10
	s_delay_alu instid0(VALU_DEP_1) | instskip(SKIP_1) | instid1(VALU_DEP_3)
	v_fma_f32 v7, 0x3fb8aa3b, v3, -v5
	v_rndne_f32_e32 v8, v5
	v_exp_f32_e32 v6, v6
	s_delay_alu instid0(VALU_DEP_2) | instskip(NEXT) | instid1(VALU_DEP_2)
	v_fmac_f32_e32 v7, 0x32a5705f, v3
	v_sub_f32_e32 v5, v5, v8
	s_delay_alu instid0(VALU_DEP_1) | instskip(SKIP_2) | instid1(VALU_DEP_3)
	v_add_f32_e32 v5, v5, v7
	v_cvt_i32_f32_e32 v7, v8
	v_cvt_i32_f32_e32 v8, v11
	v_exp_f32_e32 v5, v5
	s_delay_alu instid0(TRANS32_DEP_2) | instid1(VALU_DEP_1)
	v_ldexp_f32 v6, v6, v8
	s_waitcnt_depctr 0xfff
	v_ldexp_f32 v5, v5, v7
	s_delay_alu instid0(VALU_DEP_1) | instskip(SKIP_1) | instid1(VALU_DEP_1)
	v_cndmask_b32_e64 v5, 0, v5, s1
	v_cmp_ngt_f32_e64 s1, 0xc2ce8ed0, v2
	v_cndmask_b32_e64 v6, 0, v6, s1
	v_cmp_nlt_f32_e64 s1, 0x42b17218, v3
	s_delay_alu instid0(VALU_DEP_1)
	v_cndmask_b32_e64 v7, 0x7f800000, v5, s1
	v_cmp_nlt_f32_e64 s1, 0x42b17218, v2
	ds_bpermute_b32 v8, v9, v7
	v_cndmask_b32_e64 v5, 0x7f800000, v6, s1
	ds_bpermute_b32 v6, v9, v5
	s_and_saveexec_b32 s1, s0
	s_cbranch_execz .LBB73_10
; %bb.5:
	v_add_co_u32 v0, s0, s4, v0
	s_delay_alu instid0(VALU_DEP_1)
	v_add_co_ci_u32_e64 v1, s0, s5, v1, s0
	s_and_saveexec_b32 s2, vcc_lo
	s_cbranch_execz .LBB73_7
; %bb.6:
	s_waitcnt lgkmcnt(1)
	v_add_f32_e32 v7, v7, v8
	s_delay_alu instid0(VALU_DEP_1) | instskip(NEXT) | instid1(VALU_DEP_1)
	v_cmp_gt_f32_e64 s0, 0x800000, v7
	v_cndmask_b32_e64 v8, 1.0, 0x4f800000, s0
	s_delay_alu instid0(VALU_DEP_1) | instskip(NEXT) | instid1(VALU_DEP_1)
	v_mul_f32_e32 v7, v7, v8
	v_log_f32_e32 v7, v7
	s_waitcnt_depctr 0xfff
	v_mul_f32_e32 v8, 0x3f317217, v7
	v_cmp_gt_f32_e64 s1, 0x7f800000, |v7|
	s_delay_alu instid0(VALU_DEP_2) | instskip(NEXT) | instid1(VALU_DEP_1)
	v_fma_f32 v9, 0x3f317217, v7, -v8
	v_fmamk_f32 v9, v7, 0x3377d1cf, v9
	s_delay_alu instid0(VALU_DEP_1) | instskip(NEXT) | instid1(VALU_DEP_1)
	v_add_f32_e32 v8, v8, v9
	v_cndmask_b32_e64 v7, v7, v8, s1
	v_cndmask_b32_e64 v8, 0, 0x41b17218, s0
	s_delay_alu instid0(VALU_DEP_1) | instskip(NEXT) | instid1(VALU_DEP_1)
	v_sub_f32_e32 v7, v7, v8
	v_sub_f32_e32 v3, v3, v7
	s_delay_alu instid0(VALU_DEP_1)
	v_cvt_f16_f32_e32 v3, v3
	global_store_b16 v[0:1], v3, off
.LBB73_7:
	s_or_b32 exec_lo, exec_lo, s2
	v_cmp_ne_u32_e64 s0, 1, v4
	s_delay_alu instid0(VALU_DEP_1)
	s_and_b32 exec_lo, exec_lo, s0
	s_cbranch_execz .LBB73_10
; %bb.8:
	s_and_b32 exec_lo, exec_lo, vcc_lo
	s_cbranch_execz .LBB73_10
; %bb.9:
	s_waitcnt lgkmcnt(0)
	v_add_f32_e32 v3, v5, v6
	s_mov_b32 s11, 0
	s_delay_alu instid0(SALU_CYCLE_1) | instskip(NEXT) | instid1(VALU_DEP_1)
	s_lshl_b64 s[0:1], s[10:11], 1
	v_cmp_gt_f32_e32 vcc_lo, 0x800000, v3
	v_cndmask_b32_e64 v4, 1.0, 0x4f800000, vcc_lo
	s_delay_alu instid0(VALU_DEP_1) | instskip(NEXT) | instid1(VALU_DEP_1)
	v_mul_f32_e32 v3, v3, v4
	v_log_f32_e32 v3, v3
	s_waitcnt_depctr 0xfff
	v_mul_f32_e32 v4, 0x3f317217, v3
	s_delay_alu instid0(VALU_DEP_1) | instskip(NEXT) | instid1(VALU_DEP_1)
	v_fma_f32 v5, 0x3f317217, v3, -v4
	v_fmamk_f32 v5, v3, 0x3377d1cf, v5
	s_delay_alu instid0(VALU_DEP_1) | instskip(SKIP_2) | instid1(VALU_DEP_3)
	v_add_f32_e32 v4, v4, v5
	v_cndmask_b32_e64 v5, 0, 0x41b17218, vcc_lo
	v_cmp_gt_f32_e64 vcc_lo, 0x7f800000, |v3|
	v_cndmask_b32_e32 v3, v3, v4, vcc_lo
	v_add_co_u32 v0, vcc_lo, v0, s0
	v_add_co_ci_u32_e32 v1, vcc_lo, s1, v1, vcc_lo
	s_delay_alu instid0(VALU_DEP_3) | instskip(NEXT) | instid1(VALU_DEP_1)
	v_sub_f32_e32 v3, v3, v5
	v_sub_f32_e32 v2, v2, v3
	s_delay_alu instid0(VALU_DEP_1)
	v_cvt_f16_f32_e32 v2, v2
	global_store_b16 v[0:1], v2, off
.LBB73_10:
	s_nop 0
	s_sendmsg sendmsg(MSG_DEALLOC_VGPRS)
	s_endpgm
	.section	.rodata,"a",@progbits
	.p2align	6, 0x0
	.amdhsa_kernel _ZN12_GLOBAL__N_120softmax_warp_forwardIN3c104HalfES2_fLi1ELb1ELb0ELi32EEEvPT0_PKT_iiiPKbib
		.amdhsa_group_segment_fixed_size 0
		.amdhsa_private_segment_fixed_size 0
		.amdhsa_kernarg_size 304
		.amdhsa_user_sgpr_count 15
		.amdhsa_user_sgpr_dispatch_ptr 0
		.amdhsa_user_sgpr_queue_ptr 0
		.amdhsa_user_sgpr_kernarg_segment_ptr 1
		.amdhsa_user_sgpr_dispatch_id 0
		.amdhsa_user_sgpr_private_segment_size 0
		.amdhsa_wavefront_size32 1
		.amdhsa_uses_dynamic_stack 0
		.amdhsa_enable_private_segment 0
		.amdhsa_system_sgpr_workgroup_id_x 1
		.amdhsa_system_sgpr_workgroup_id_y 0
		.amdhsa_system_sgpr_workgroup_id_z 0
		.amdhsa_system_sgpr_workgroup_info 0
		.amdhsa_system_vgpr_workitem_id 1
		.amdhsa_next_free_vgpr 12
		.amdhsa_next_free_sgpr 16
		.amdhsa_reserve_vcc 1
		.amdhsa_float_round_mode_32 0
		.amdhsa_float_round_mode_16_64 0
		.amdhsa_float_denorm_mode_32 3
		.amdhsa_float_denorm_mode_16_64 3
		.amdhsa_dx10_clamp 1
		.amdhsa_ieee_mode 1
		.amdhsa_fp16_overflow 0
		.amdhsa_workgroup_processor_mode 1
		.amdhsa_memory_ordered 1
		.amdhsa_forward_progress 0
		.amdhsa_shared_vgpr_count 0
		.amdhsa_exception_fp_ieee_invalid_op 0
		.amdhsa_exception_fp_denorm_src 0
		.amdhsa_exception_fp_ieee_div_zero 0
		.amdhsa_exception_fp_ieee_overflow 0
		.amdhsa_exception_fp_ieee_underflow 0
		.amdhsa_exception_fp_ieee_inexact 0
		.amdhsa_exception_int_div_zero 0
	.end_amdhsa_kernel
	.section	.text._ZN12_GLOBAL__N_120softmax_warp_forwardIN3c104HalfES2_fLi1ELb1ELb0ELi32EEEvPT0_PKT_iiiPKbib,"axG",@progbits,_ZN12_GLOBAL__N_120softmax_warp_forwardIN3c104HalfES2_fLi1ELb1ELb0ELi32EEEvPT0_PKT_iiiPKbib,comdat
.Lfunc_end73:
	.size	_ZN12_GLOBAL__N_120softmax_warp_forwardIN3c104HalfES2_fLi1ELb1ELb0ELi32EEEvPT0_PKT_iiiPKbib, .Lfunc_end73-_ZN12_GLOBAL__N_120softmax_warp_forwardIN3c104HalfES2_fLi1ELb1ELb0ELi32EEEvPT0_PKT_iiiPKbib
                                        ; -- End function
	.section	.AMDGPU.csdata,"",@progbits
; Kernel info:
; codeLenInByte = 1020
; NumSgprs: 18
; NumVgprs: 12
; ScratchSize: 0
; MemoryBound: 0
; FloatMode: 240
; IeeeMode: 1
; LDSByteSize: 0 bytes/workgroup (compile time only)
; SGPRBlocks: 2
; VGPRBlocks: 1
; NumSGPRsForWavesPerEU: 18
; NumVGPRsForWavesPerEU: 12
; Occupancy: 16
; WaveLimiterHint : 0
; COMPUTE_PGM_RSRC2:SCRATCH_EN: 0
; COMPUTE_PGM_RSRC2:USER_SGPR: 15
; COMPUTE_PGM_RSRC2:TRAP_HANDLER: 0
; COMPUTE_PGM_RSRC2:TGID_X_EN: 1
; COMPUTE_PGM_RSRC2:TGID_Y_EN: 0
; COMPUTE_PGM_RSRC2:TGID_Z_EN: 0
; COMPUTE_PGM_RSRC2:TIDIG_COMP_CNT: 1
	.section	.text._ZN12_GLOBAL__N_120softmax_warp_forwardIN3c104HalfES2_fLi2ELb1ELb0ELi64EEEvPT0_PKT_iiiPKbib,"axG",@progbits,_ZN12_GLOBAL__N_120softmax_warp_forwardIN3c104HalfES2_fLi2ELb1ELb0ELi64EEEvPT0_PKT_iiiPKbib,comdat
	.globl	_ZN12_GLOBAL__N_120softmax_warp_forwardIN3c104HalfES2_fLi2ELb1ELb0ELi64EEEvPT0_PKT_iiiPKbib ; -- Begin function _ZN12_GLOBAL__N_120softmax_warp_forwardIN3c104HalfES2_fLi2ELb1ELb0ELi64EEEvPT0_PKT_iiiPKbib
	.p2align	8
	.type	_ZN12_GLOBAL__N_120softmax_warp_forwardIN3c104HalfES2_fLi2ELb1ELb0ELi64EEEvPT0_PKT_iiiPKbib,@function
_ZN12_GLOBAL__N_120softmax_warp_forwardIN3c104HalfES2_fLi2ELb1ELb0ELi64EEEvPT0_PKT_iiiPKbib: ; @_ZN12_GLOBAL__N_120softmax_warp_forwardIN3c104HalfES2_fLi2ELb1ELb0ELi64EEEvPT0_PKT_iiiPKbib
; %bb.0:
	s_clause 0x1
	s_load_b32 s2, s[0:1], 0x3c
	s_load_b256 s[4:11], s[0:1], 0x0
	v_bfe_u32 v1, v0, 10, 10
	v_and_b32_e32 v2, 0x3ff, v0
	v_dual_mov_b32 v5, 0xff800000 :: v_dual_mov_b32 v6, 0xff800000
	s_waitcnt lgkmcnt(0)
	s_lshr_b32 s0, s2, 16
	s_delay_alu instid0(VALU_DEP_2) | instskip(SKIP_1) | instid1(SALU_CYCLE_1)
	v_cmp_gt_i32_e32 vcc_lo, s10, v2
	s_mul_i32 s15, s15, s0
	v_add_lshl_u32 v3, s15, v1, 1
	s_delay_alu instid0(VALU_DEP_1) | instskip(SKIP_1) | instid1(VALU_DEP_1)
	v_mad_u64_u32 v[0:1], null, v3, s9, v[2:3]
	v_sub_nc_u32_e32 v4, s8, v3
	v_cmp_lt_i32_e64 s0, 0, v4
	s_delay_alu instid0(VALU_DEP_3) | instskip(NEXT) | instid1(VALU_DEP_2)
	v_ashrrev_i32_e32 v1, 31, v0
	s_and_b32 s2, vcc_lo, s0
	s_delay_alu instid0(VALU_DEP_1) | instskip(NEXT) | instid1(VALU_DEP_1)
	v_lshlrev_b64 v[0:1], 1, v[0:1]
	v_add_co_u32 v2, s1, s6, v0
	s_delay_alu instid0(VALU_DEP_1)
	v_add_co_ci_u32_e64 v3, s1, s7, v1, s1
	s_and_saveexec_b32 s1, s2
	s_cbranch_execz .LBB74_2
; %bb.1:
	global_load_u16 v6, v[2:3], off
	s_waitcnt vmcnt(0)
	v_cvt_f32_f16_e32 v6, v6
.LBB74_2:
	s_or_b32 exec_lo, exec_lo, s1
	v_cmp_lt_i32_e64 s1, 1, v4
	s_delay_alu instid0(VALU_DEP_1) | instskip(NEXT) | instid1(SALU_CYCLE_1)
	s_and_b32 s1, vcc_lo, s1
	s_and_saveexec_b32 s2, s1
	s_cbranch_execz .LBB74_4
; %bb.3:
	s_mov_b32 s11, 0
	s_delay_alu instid0(SALU_CYCLE_1) | instskip(NEXT) | instid1(SALU_CYCLE_1)
	s_lshl_b64 s[6:7], s[10:11], 1
	v_add_co_u32 v2, s1, v2, s6
	s_delay_alu instid0(VALU_DEP_1)
	v_add_co_ci_u32_e64 v3, s1, s7, v3, s1
	global_load_u16 v2, v[2:3], off
	s_waitcnt vmcnt(0)
	v_cvt_f32_f16_e32 v5, v2
.LBB74_4:
	s_or_b32 exec_lo, exec_lo, s2
	v_mbcnt_lo_u32_b32 v2, -1, 0
	s_delay_alu instid0(VALU_DEP_1) | instskip(SKIP_2) | instid1(VALU_DEP_3)
	v_and_b32_e32 v3, 28, v2
	v_xor_b32_e32 v7, 2, v2
	v_xor_b32_e32 v10, 1, v2
	v_add_nc_u32_e32 v3, 4, v3
	s_delay_alu instid0(VALU_DEP_1) | instskip(NEXT) | instid1(VALU_DEP_1)
	v_cmp_lt_i32_e64 s1, v7, v3
	v_cndmask_b32_e64 v7, v2, v7, s1
	s_delay_alu instid0(VALU_DEP_4) | instskip(NEXT) | instid1(VALU_DEP_2)
	v_cmp_lt_i32_e64 s1, v10, v3
	v_lshlrev_b32_e32 v7, 2, v7
	s_delay_alu instid0(VALU_DEP_2)
	v_cndmask_b32_e64 v2, v2, v10, s1
	ds_bpermute_b32 v8, v7, v6
	ds_bpermute_b32 v9, v7, v5
	v_lshlrev_b32_e32 v10, 2, v2
	s_waitcnt lgkmcnt(1)
	v_cmp_lt_f32_e64 s1, v6, v8
	s_delay_alu instid0(VALU_DEP_1)
	v_cndmask_b32_e64 v2, v6, v8, s1
	s_waitcnt lgkmcnt(0)
	v_cmp_lt_f32_e64 s1, v5, v9
	ds_bpermute_b32 v8, v10, v2
	v_cndmask_b32_e64 v3, v5, v9, s1
	ds_bpermute_b32 v9, v10, v3
	s_waitcnt lgkmcnt(1)
	v_cmp_lt_f32_e64 s1, v2, v8
	s_delay_alu instid0(VALU_DEP_1) | instskip(SKIP_2) | instid1(VALU_DEP_1)
	v_cndmask_b32_e64 v2, v2, v8, s1
	s_waitcnt lgkmcnt(0)
	v_cmp_lt_f32_e64 s1, v3, v9
	v_cndmask_b32_e64 v8, v3, v9, s1
	s_delay_alu instid0(VALU_DEP_1) | instskip(NEXT) | instid1(VALU_DEP_1)
	v_dual_sub_f32 v3, v6, v2 :: v_dual_sub_f32 v2, v5, v8
	v_mul_f32_e32 v5, 0x3fb8aa3b, v3
	v_cmp_ngt_f32_e64 s1, 0xc2ce8ed0, v3
	s_delay_alu instid0(VALU_DEP_3) | instskip(NEXT) | instid1(VALU_DEP_3)
	v_mul_f32_e32 v6, 0x3fb8aa3b, v2
	v_fma_f32 v8, 0x3fb8aa3b, v3, -v5
	v_rndne_f32_e32 v9, v5
	s_delay_alu instid0(VALU_DEP_3) | instskip(SKIP_1) | instid1(VALU_DEP_3)
	v_fma_f32 v11, 0x3fb8aa3b, v2, -v6
	v_rndne_f32_e32 v12, v6
	v_dual_fmac_f32 v8, 0x32a5705f, v3 :: v_dual_sub_f32 v5, v5, v9
	s_delay_alu instid0(VALU_DEP_2) | instskip(NEXT) | instid1(VALU_DEP_2)
	v_dual_fmac_f32 v11, 0x32a5705f, v2 :: v_dual_sub_f32 v6, v6, v12
	v_add_f32_e32 v5, v5, v8
	v_cvt_i32_f32_e32 v8, v9
	v_cvt_i32_f32_e32 v9, v12
	s_delay_alu instid0(VALU_DEP_4) | instskip(NEXT) | instid1(VALU_DEP_4)
	v_add_f32_e32 v6, v6, v11
	v_exp_f32_e32 v5, v5
	s_delay_alu instid0(VALU_DEP_1) | instskip(SKIP_3) | instid1(VALU_DEP_2)
	v_exp_f32_e32 v6, v6
	s_waitcnt_depctr 0xfff
	v_ldexp_f32 v5, v5, v8
	v_ldexp_f32 v6, v6, v9
	v_cndmask_b32_e64 v5, 0, v5, s1
	v_cmp_ngt_f32_e64 s1, 0xc2ce8ed0, v2
	s_delay_alu instid0(VALU_DEP_1) | instskip(SKIP_1) | instid1(VALU_DEP_1)
	v_cndmask_b32_e64 v6, 0, v6, s1
	v_cmp_nlt_f32_e64 s1, 0x42b17218, v3
	v_cndmask_b32_e64 v5, 0x7f800000, v5, s1
	v_cmp_nlt_f32_e64 s1, 0x42b17218, v2
	ds_bpermute_b32 v8, v7, v5
	v_cndmask_b32_e64 v6, 0x7f800000, v6, s1
	ds_bpermute_b32 v9, v7, v6
	s_waitcnt lgkmcnt(1)
	v_add_f32_e32 v7, v5, v8
	ds_bpermute_b32 v8, v10, v7
	s_waitcnt lgkmcnt(1)
	v_add_f32_e32 v5, v6, v9
	ds_bpermute_b32 v6, v10, v5
	s_and_saveexec_b32 s1, s0
	s_cbranch_execz .LBB74_10
; %bb.5:
	v_add_co_u32 v0, s0, s4, v0
	s_delay_alu instid0(VALU_DEP_1)
	v_add_co_ci_u32_e64 v1, s0, s5, v1, s0
	s_and_saveexec_b32 s2, vcc_lo
	s_cbranch_execz .LBB74_7
; %bb.6:
	s_waitcnt lgkmcnt(1)
	v_add_f32_e32 v7, v7, v8
	s_delay_alu instid0(VALU_DEP_1) | instskip(NEXT) | instid1(VALU_DEP_1)
	v_cmp_gt_f32_e64 s0, 0x800000, v7
	v_cndmask_b32_e64 v8, 1.0, 0x4f800000, s0
	s_delay_alu instid0(VALU_DEP_1) | instskip(NEXT) | instid1(VALU_DEP_1)
	v_mul_f32_e32 v7, v7, v8
	v_log_f32_e32 v7, v7
	s_waitcnt_depctr 0xfff
	v_mul_f32_e32 v8, 0x3f317217, v7
	v_cmp_gt_f32_e64 s1, 0x7f800000, |v7|
	s_delay_alu instid0(VALU_DEP_2) | instskip(NEXT) | instid1(VALU_DEP_1)
	v_fma_f32 v9, 0x3f317217, v7, -v8
	v_fmamk_f32 v9, v7, 0x3377d1cf, v9
	s_delay_alu instid0(VALU_DEP_1) | instskip(NEXT) | instid1(VALU_DEP_1)
	v_add_f32_e32 v8, v8, v9
	v_cndmask_b32_e64 v7, v7, v8, s1
	v_cndmask_b32_e64 v8, 0, 0x41b17218, s0
	s_delay_alu instid0(VALU_DEP_1) | instskip(NEXT) | instid1(VALU_DEP_1)
	v_sub_f32_e32 v7, v7, v8
	v_sub_f32_e32 v3, v3, v7
	s_delay_alu instid0(VALU_DEP_1)
	v_cvt_f16_f32_e32 v3, v3
	global_store_b16 v[0:1], v3, off
.LBB74_7:
	s_or_b32 exec_lo, exec_lo, s2
	v_cmp_ne_u32_e64 s0, 1, v4
	s_delay_alu instid0(VALU_DEP_1)
	s_and_b32 exec_lo, exec_lo, s0
	s_cbranch_execz .LBB74_10
; %bb.8:
	s_and_b32 exec_lo, exec_lo, vcc_lo
	s_cbranch_execz .LBB74_10
; %bb.9:
	s_waitcnt lgkmcnt(0)
	v_add_f32_e32 v3, v5, v6
	s_mov_b32 s11, 0
	s_delay_alu instid0(SALU_CYCLE_1) | instskip(NEXT) | instid1(VALU_DEP_1)
	s_lshl_b64 s[0:1], s[10:11], 1
	v_cmp_gt_f32_e32 vcc_lo, 0x800000, v3
	v_cndmask_b32_e64 v4, 1.0, 0x4f800000, vcc_lo
	s_delay_alu instid0(VALU_DEP_1) | instskip(NEXT) | instid1(VALU_DEP_1)
	v_mul_f32_e32 v3, v3, v4
	v_log_f32_e32 v3, v3
	s_waitcnt_depctr 0xfff
	v_mul_f32_e32 v4, 0x3f317217, v3
	s_delay_alu instid0(VALU_DEP_1) | instskip(NEXT) | instid1(VALU_DEP_1)
	v_fma_f32 v5, 0x3f317217, v3, -v4
	v_fmamk_f32 v5, v3, 0x3377d1cf, v5
	s_delay_alu instid0(VALU_DEP_1) | instskip(SKIP_2) | instid1(VALU_DEP_3)
	v_add_f32_e32 v4, v4, v5
	v_cndmask_b32_e64 v5, 0, 0x41b17218, vcc_lo
	v_cmp_gt_f32_e64 vcc_lo, 0x7f800000, |v3|
	v_cndmask_b32_e32 v3, v3, v4, vcc_lo
	v_add_co_u32 v0, vcc_lo, v0, s0
	v_add_co_ci_u32_e32 v1, vcc_lo, s1, v1, vcc_lo
	s_delay_alu instid0(VALU_DEP_3) | instskip(NEXT) | instid1(VALU_DEP_1)
	v_sub_f32_e32 v3, v3, v5
	v_sub_f32_e32 v2, v2, v3
	s_delay_alu instid0(VALU_DEP_1)
	v_cvt_f16_f32_e32 v2, v2
	global_store_b16 v[0:1], v2, off
.LBB74_10:
	s_nop 0
	s_sendmsg sendmsg(MSG_DEALLOC_VGPRS)
	s_endpgm
	.section	.rodata,"a",@progbits
	.p2align	6, 0x0
	.amdhsa_kernel _ZN12_GLOBAL__N_120softmax_warp_forwardIN3c104HalfES2_fLi2ELb1ELb0ELi64EEEvPT0_PKT_iiiPKbib
		.amdhsa_group_segment_fixed_size 0
		.amdhsa_private_segment_fixed_size 0
		.amdhsa_kernarg_size 304
		.amdhsa_user_sgpr_count 15
		.amdhsa_user_sgpr_dispatch_ptr 0
		.amdhsa_user_sgpr_queue_ptr 0
		.amdhsa_user_sgpr_kernarg_segment_ptr 1
		.amdhsa_user_sgpr_dispatch_id 0
		.amdhsa_user_sgpr_private_segment_size 0
		.amdhsa_wavefront_size32 1
		.amdhsa_uses_dynamic_stack 0
		.amdhsa_enable_private_segment 0
		.amdhsa_system_sgpr_workgroup_id_x 1
		.amdhsa_system_sgpr_workgroup_id_y 0
		.amdhsa_system_sgpr_workgroup_id_z 0
		.amdhsa_system_sgpr_workgroup_info 0
		.amdhsa_system_vgpr_workitem_id 1
		.amdhsa_next_free_vgpr 13
		.amdhsa_next_free_sgpr 16
		.amdhsa_reserve_vcc 1
		.amdhsa_float_round_mode_32 0
		.amdhsa_float_round_mode_16_64 0
		.amdhsa_float_denorm_mode_32 3
		.amdhsa_float_denorm_mode_16_64 3
		.amdhsa_dx10_clamp 1
		.amdhsa_ieee_mode 1
		.amdhsa_fp16_overflow 0
		.amdhsa_workgroup_processor_mode 1
		.amdhsa_memory_ordered 1
		.amdhsa_forward_progress 0
		.amdhsa_shared_vgpr_count 0
		.amdhsa_exception_fp_ieee_invalid_op 0
		.amdhsa_exception_fp_denorm_src 0
		.amdhsa_exception_fp_ieee_div_zero 0
		.amdhsa_exception_fp_ieee_overflow 0
		.amdhsa_exception_fp_ieee_underflow 0
		.amdhsa_exception_fp_ieee_inexact 0
		.amdhsa_exception_int_div_zero 0
	.end_amdhsa_kernel
	.section	.text._ZN12_GLOBAL__N_120softmax_warp_forwardIN3c104HalfES2_fLi2ELb1ELb0ELi64EEEvPT0_PKT_iiiPKbib,"axG",@progbits,_ZN12_GLOBAL__N_120softmax_warp_forwardIN3c104HalfES2_fLi2ELb1ELb0ELi64EEEvPT0_PKT_iiiPKbib,comdat
.Lfunc_end74:
	.size	_ZN12_GLOBAL__N_120softmax_warp_forwardIN3c104HalfES2_fLi2ELb1ELb0ELi64EEEvPT0_PKT_iiiPKbib, .Lfunc_end74-_ZN12_GLOBAL__N_120softmax_warp_forwardIN3c104HalfES2_fLi2ELb1ELb0ELi64EEEvPT0_PKT_iiiPKbib
                                        ; -- End function
	.section	.AMDGPU.csdata,"",@progbits
; Kernel info:
; codeLenInByte = 1132
; NumSgprs: 18
; NumVgprs: 13
; ScratchSize: 0
; MemoryBound: 0
; FloatMode: 240
; IeeeMode: 1
; LDSByteSize: 0 bytes/workgroup (compile time only)
; SGPRBlocks: 2
; VGPRBlocks: 1
; NumSGPRsForWavesPerEU: 18
; NumVGPRsForWavesPerEU: 13
; Occupancy: 16
; WaveLimiterHint : 0
; COMPUTE_PGM_RSRC2:SCRATCH_EN: 0
; COMPUTE_PGM_RSRC2:USER_SGPR: 15
; COMPUTE_PGM_RSRC2:TRAP_HANDLER: 0
; COMPUTE_PGM_RSRC2:TGID_X_EN: 1
; COMPUTE_PGM_RSRC2:TGID_Y_EN: 0
; COMPUTE_PGM_RSRC2:TGID_Z_EN: 0
; COMPUTE_PGM_RSRC2:TIDIG_COMP_CNT: 1
	.section	.text._ZN12_GLOBAL__N_120softmax_warp_forwardIN3c104HalfES2_fLi2ELb1ELb0ELi32EEEvPT0_PKT_iiiPKbib,"axG",@progbits,_ZN12_GLOBAL__N_120softmax_warp_forwardIN3c104HalfES2_fLi2ELb1ELb0ELi32EEEvPT0_PKT_iiiPKbib,comdat
	.globl	_ZN12_GLOBAL__N_120softmax_warp_forwardIN3c104HalfES2_fLi2ELb1ELb0ELi32EEEvPT0_PKT_iiiPKbib ; -- Begin function _ZN12_GLOBAL__N_120softmax_warp_forwardIN3c104HalfES2_fLi2ELb1ELb0ELi32EEEvPT0_PKT_iiiPKbib
	.p2align	8
	.type	_ZN12_GLOBAL__N_120softmax_warp_forwardIN3c104HalfES2_fLi2ELb1ELb0ELi32EEEvPT0_PKT_iiiPKbib,@function
_ZN12_GLOBAL__N_120softmax_warp_forwardIN3c104HalfES2_fLi2ELb1ELb0ELi32EEEvPT0_PKT_iiiPKbib: ; @_ZN12_GLOBAL__N_120softmax_warp_forwardIN3c104HalfES2_fLi2ELb1ELb0ELi32EEEvPT0_PKT_iiiPKbib
; %bb.0:
	s_clause 0x1
	s_load_b32 s2, s[0:1], 0x3c
	s_load_b256 s[4:11], s[0:1], 0x0
	v_bfe_u32 v1, v0, 10, 10
	v_and_b32_e32 v2, 0x3ff, v0
	v_dual_mov_b32 v5, 0xff800000 :: v_dual_mov_b32 v6, 0xff800000
	s_waitcnt lgkmcnt(0)
	s_lshr_b32 s0, s2, 16
	s_delay_alu instid0(VALU_DEP_2) | instskip(SKIP_1) | instid1(SALU_CYCLE_1)
	v_cmp_gt_i32_e32 vcc_lo, s10, v2
	s_mul_i32 s15, s15, s0
	v_add_lshl_u32 v3, s15, v1, 1
	s_delay_alu instid0(VALU_DEP_1) | instskip(SKIP_1) | instid1(VALU_DEP_1)
	v_mad_u64_u32 v[0:1], null, v3, s9, v[2:3]
	v_sub_nc_u32_e32 v4, s8, v3
	v_cmp_lt_i32_e64 s0, 0, v4
	s_delay_alu instid0(VALU_DEP_3) | instskip(NEXT) | instid1(VALU_DEP_2)
	v_ashrrev_i32_e32 v1, 31, v0
	s_and_b32 s2, vcc_lo, s0
	s_delay_alu instid0(VALU_DEP_1) | instskip(NEXT) | instid1(VALU_DEP_1)
	v_lshlrev_b64 v[0:1], 1, v[0:1]
	v_add_co_u32 v2, s1, s6, v0
	s_delay_alu instid0(VALU_DEP_1)
	v_add_co_ci_u32_e64 v3, s1, s7, v1, s1
	s_and_saveexec_b32 s1, s2
	s_cbranch_execz .LBB75_2
; %bb.1:
	global_load_u16 v6, v[2:3], off
	s_waitcnt vmcnt(0)
	v_cvt_f32_f16_e32 v6, v6
.LBB75_2:
	s_or_b32 exec_lo, exec_lo, s1
	v_cmp_lt_i32_e64 s1, 1, v4
	s_delay_alu instid0(VALU_DEP_1) | instskip(NEXT) | instid1(SALU_CYCLE_1)
	s_and_b32 s1, vcc_lo, s1
	s_and_saveexec_b32 s2, s1
	s_cbranch_execz .LBB75_4
; %bb.3:
	s_mov_b32 s11, 0
	s_delay_alu instid0(SALU_CYCLE_1) | instskip(NEXT) | instid1(SALU_CYCLE_1)
	s_lshl_b64 s[6:7], s[10:11], 1
	v_add_co_u32 v2, s1, v2, s6
	s_delay_alu instid0(VALU_DEP_1)
	v_add_co_ci_u32_e64 v3, s1, s7, v3, s1
	global_load_u16 v2, v[2:3], off
	s_waitcnt vmcnt(0)
	v_cvt_f32_f16_e32 v5, v2
.LBB75_4:
	s_or_b32 exec_lo, exec_lo, s2
	v_mbcnt_lo_u32_b32 v2, -1, 0
	s_delay_alu instid0(VALU_DEP_1) | instskip(SKIP_2) | instid1(VALU_DEP_3)
	v_and_b32_e32 v3, 28, v2
	v_xor_b32_e32 v7, 2, v2
	v_xor_b32_e32 v10, 1, v2
	v_add_nc_u32_e32 v3, 4, v3
	s_delay_alu instid0(VALU_DEP_1) | instskip(NEXT) | instid1(VALU_DEP_1)
	v_cmp_lt_i32_e64 s1, v7, v3
	v_cndmask_b32_e64 v7, v2, v7, s1
	s_delay_alu instid0(VALU_DEP_4) | instskip(NEXT) | instid1(VALU_DEP_2)
	v_cmp_lt_i32_e64 s1, v10, v3
	v_lshlrev_b32_e32 v7, 2, v7
	s_delay_alu instid0(VALU_DEP_2)
	v_cndmask_b32_e64 v2, v2, v10, s1
	ds_bpermute_b32 v8, v7, v6
	ds_bpermute_b32 v9, v7, v5
	v_lshlrev_b32_e32 v10, 2, v2
	s_waitcnt lgkmcnt(1)
	v_cmp_lt_f32_e64 s1, v6, v8
	s_delay_alu instid0(VALU_DEP_1)
	v_cndmask_b32_e64 v2, v6, v8, s1
	s_waitcnt lgkmcnt(0)
	v_cmp_lt_f32_e64 s1, v5, v9
	ds_bpermute_b32 v8, v10, v2
	v_cndmask_b32_e64 v3, v5, v9, s1
	ds_bpermute_b32 v9, v10, v3
	s_waitcnt lgkmcnt(1)
	v_cmp_lt_f32_e64 s1, v2, v8
	s_delay_alu instid0(VALU_DEP_1) | instskip(SKIP_2) | instid1(VALU_DEP_1)
	v_cndmask_b32_e64 v2, v2, v8, s1
	s_waitcnt lgkmcnt(0)
	v_cmp_lt_f32_e64 s1, v3, v9
	v_cndmask_b32_e64 v8, v3, v9, s1
	s_delay_alu instid0(VALU_DEP_1) | instskip(NEXT) | instid1(VALU_DEP_1)
	v_dual_sub_f32 v3, v6, v2 :: v_dual_sub_f32 v2, v5, v8
	v_mul_f32_e32 v5, 0x3fb8aa3b, v3
	v_cmp_ngt_f32_e64 s1, 0xc2ce8ed0, v3
	s_delay_alu instid0(VALU_DEP_3) | instskip(NEXT) | instid1(VALU_DEP_3)
	v_mul_f32_e32 v6, 0x3fb8aa3b, v2
	v_fma_f32 v8, 0x3fb8aa3b, v3, -v5
	v_rndne_f32_e32 v9, v5
	s_delay_alu instid0(VALU_DEP_3) | instskip(SKIP_1) | instid1(VALU_DEP_3)
	v_fma_f32 v11, 0x3fb8aa3b, v2, -v6
	v_rndne_f32_e32 v12, v6
	v_dual_fmac_f32 v8, 0x32a5705f, v3 :: v_dual_sub_f32 v5, v5, v9
	s_delay_alu instid0(VALU_DEP_2) | instskip(NEXT) | instid1(VALU_DEP_2)
	v_dual_fmac_f32 v11, 0x32a5705f, v2 :: v_dual_sub_f32 v6, v6, v12
	v_add_f32_e32 v5, v5, v8
	v_cvt_i32_f32_e32 v8, v9
	v_cvt_i32_f32_e32 v9, v12
	s_delay_alu instid0(VALU_DEP_4) | instskip(NEXT) | instid1(VALU_DEP_4)
	v_add_f32_e32 v6, v6, v11
	v_exp_f32_e32 v5, v5
	s_delay_alu instid0(VALU_DEP_1) | instskip(SKIP_3) | instid1(VALU_DEP_2)
	v_exp_f32_e32 v6, v6
	s_waitcnt_depctr 0xfff
	v_ldexp_f32 v5, v5, v8
	v_ldexp_f32 v6, v6, v9
	v_cndmask_b32_e64 v5, 0, v5, s1
	v_cmp_ngt_f32_e64 s1, 0xc2ce8ed0, v2
	s_delay_alu instid0(VALU_DEP_1) | instskip(SKIP_1) | instid1(VALU_DEP_1)
	v_cndmask_b32_e64 v6, 0, v6, s1
	v_cmp_nlt_f32_e64 s1, 0x42b17218, v3
	v_cndmask_b32_e64 v5, 0x7f800000, v5, s1
	v_cmp_nlt_f32_e64 s1, 0x42b17218, v2
	ds_bpermute_b32 v8, v7, v5
	v_cndmask_b32_e64 v6, 0x7f800000, v6, s1
	ds_bpermute_b32 v9, v7, v6
	s_waitcnt lgkmcnt(1)
	v_add_f32_e32 v7, v5, v8
	ds_bpermute_b32 v8, v10, v7
	s_waitcnt lgkmcnt(1)
	v_add_f32_e32 v5, v6, v9
	ds_bpermute_b32 v6, v10, v5
	s_and_saveexec_b32 s1, s0
	s_cbranch_execz .LBB75_10
; %bb.5:
	v_add_co_u32 v0, s0, s4, v0
	s_delay_alu instid0(VALU_DEP_1)
	v_add_co_ci_u32_e64 v1, s0, s5, v1, s0
	s_and_saveexec_b32 s2, vcc_lo
	s_cbranch_execz .LBB75_7
; %bb.6:
	s_waitcnt lgkmcnt(1)
	v_add_f32_e32 v7, v7, v8
	s_delay_alu instid0(VALU_DEP_1) | instskip(NEXT) | instid1(VALU_DEP_1)
	v_cmp_gt_f32_e64 s0, 0x800000, v7
	v_cndmask_b32_e64 v8, 1.0, 0x4f800000, s0
	s_delay_alu instid0(VALU_DEP_1) | instskip(NEXT) | instid1(VALU_DEP_1)
	v_mul_f32_e32 v7, v7, v8
	v_log_f32_e32 v7, v7
	s_waitcnt_depctr 0xfff
	v_mul_f32_e32 v8, 0x3f317217, v7
	v_cmp_gt_f32_e64 s1, 0x7f800000, |v7|
	s_delay_alu instid0(VALU_DEP_2) | instskip(NEXT) | instid1(VALU_DEP_1)
	v_fma_f32 v9, 0x3f317217, v7, -v8
	v_fmamk_f32 v9, v7, 0x3377d1cf, v9
	s_delay_alu instid0(VALU_DEP_1) | instskip(NEXT) | instid1(VALU_DEP_1)
	v_add_f32_e32 v8, v8, v9
	v_cndmask_b32_e64 v7, v7, v8, s1
	v_cndmask_b32_e64 v8, 0, 0x41b17218, s0
	s_delay_alu instid0(VALU_DEP_1) | instskip(NEXT) | instid1(VALU_DEP_1)
	v_sub_f32_e32 v7, v7, v8
	v_sub_f32_e32 v3, v3, v7
	s_delay_alu instid0(VALU_DEP_1)
	v_cvt_f16_f32_e32 v3, v3
	global_store_b16 v[0:1], v3, off
.LBB75_7:
	s_or_b32 exec_lo, exec_lo, s2
	v_cmp_ne_u32_e64 s0, 1, v4
	s_delay_alu instid0(VALU_DEP_1)
	s_and_b32 exec_lo, exec_lo, s0
	s_cbranch_execz .LBB75_10
; %bb.8:
	s_and_b32 exec_lo, exec_lo, vcc_lo
	s_cbranch_execz .LBB75_10
; %bb.9:
	s_waitcnt lgkmcnt(0)
	v_add_f32_e32 v3, v5, v6
	s_mov_b32 s11, 0
	s_delay_alu instid0(SALU_CYCLE_1) | instskip(NEXT) | instid1(VALU_DEP_1)
	s_lshl_b64 s[0:1], s[10:11], 1
	v_cmp_gt_f32_e32 vcc_lo, 0x800000, v3
	v_cndmask_b32_e64 v4, 1.0, 0x4f800000, vcc_lo
	s_delay_alu instid0(VALU_DEP_1) | instskip(NEXT) | instid1(VALU_DEP_1)
	v_mul_f32_e32 v3, v3, v4
	v_log_f32_e32 v3, v3
	s_waitcnt_depctr 0xfff
	v_mul_f32_e32 v4, 0x3f317217, v3
	s_delay_alu instid0(VALU_DEP_1) | instskip(NEXT) | instid1(VALU_DEP_1)
	v_fma_f32 v5, 0x3f317217, v3, -v4
	v_fmamk_f32 v5, v3, 0x3377d1cf, v5
	s_delay_alu instid0(VALU_DEP_1) | instskip(SKIP_2) | instid1(VALU_DEP_3)
	v_add_f32_e32 v4, v4, v5
	v_cndmask_b32_e64 v5, 0, 0x41b17218, vcc_lo
	v_cmp_gt_f32_e64 vcc_lo, 0x7f800000, |v3|
	v_cndmask_b32_e32 v3, v3, v4, vcc_lo
	v_add_co_u32 v0, vcc_lo, v0, s0
	v_add_co_ci_u32_e32 v1, vcc_lo, s1, v1, vcc_lo
	s_delay_alu instid0(VALU_DEP_3) | instskip(NEXT) | instid1(VALU_DEP_1)
	v_sub_f32_e32 v3, v3, v5
	v_sub_f32_e32 v2, v2, v3
	s_delay_alu instid0(VALU_DEP_1)
	v_cvt_f16_f32_e32 v2, v2
	global_store_b16 v[0:1], v2, off
.LBB75_10:
	s_nop 0
	s_sendmsg sendmsg(MSG_DEALLOC_VGPRS)
	s_endpgm
	.section	.rodata,"a",@progbits
	.p2align	6, 0x0
	.amdhsa_kernel _ZN12_GLOBAL__N_120softmax_warp_forwardIN3c104HalfES2_fLi2ELb1ELb0ELi32EEEvPT0_PKT_iiiPKbib
		.amdhsa_group_segment_fixed_size 0
		.amdhsa_private_segment_fixed_size 0
		.amdhsa_kernarg_size 304
		.amdhsa_user_sgpr_count 15
		.amdhsa_user_sgpr_dispatch_ptr 0
		.amdhsa_user_sgpr_queue_ptr 0
		.amdhsa_user_sgpr_kernarg_segment_ptr 1
		.amdhsa_user_sgpr_dispatch_id 0
		.amdhsa_user_sgpr_private_segment_size 0
		.amdhsa_wavefront_size32 1
		.amdhsa_uses_dynamic_stack 0
		.amdhsa_enable_private_segment 0
		.amdhsa_system_sgpr_workgroup_id_x 1
		.amdhsa_system_sgpr_workgroup_id_y 0
		.amdhsa_system_sgpr_workgroup_id_z 0
		.amdhsa_system_sgpr_workgroup_info 0
		.amdhsa_system_vgpr_workitem_id 1
		.amdhsa_next_free_vgpr 13
		.amdhsa_next_free_sgpr 16
		.amdhsa_reserve_vcc 1
		.amdhsa_float_round_mode_32 0
		.amdhsa_float_round_mode_16_64 0
		.amdhsa_float_denorm_mode_32 3
		.amdhsa_float_denorm_mode_16_64 3
		.amdhsa_dx10_clamp 1
		.amdhsa_ieee_mode 1
		.amdhsa_fp16_overflow 0
		.amdhsa_workgroup_processor_mode 1
		.amdhsa_memory_ordered 1
		.amdhsa_forward_progress 0
		.amdhsa_shared_vgpr_count 0
		.amdhsa_exception_fp_ieee_invalid_op 0
		.amdhsa_exception_fp_denorm_src 0
		.amdhsa_exception_fp_ieee_div_zero 0
		.amdhsa_exception_fp_ieee_overflow 0
		.amdhsa_exception_fp_ieee_underflow 0
		.amdhsa_exception_fp_ieee_inexact 0
		.amdhsa_exception_int_div_zero 0
	.end_amdhsa_kernel
	.section	.text._ZN12_GLOBAL__N_120softmax_warp_forwardIN3c104HalfES2_fLi2ELb1ELb0ELi32EEEvPT0_PKT_iiiPKbib,"axG",@progbits,_ZN12_GLOBAL__N_120softmax_warp_forwardIN3c104HalfES2_fLi2ELb1ELb0ELi32EEEvPT0_PKT_iiiPKbib,comdat
.Lfunc_end75:
	.size	_ZN12_GLOBAL__N_120softmax_warp_forwardIN3c104HalfES2_fLi2ELb1ELb0ELi32EEEvPT0_PKT_iiiPKbib, .Lfunc_end75-_ZN12_GLOBAL__N_120softmax_warp_forwardIN3c104HalfES2_fLi2ELb1ELb0ELi32EEEvPT0_PKT_iiiPKbib
                                        ; -- End function
	.section	.AMDGPU.csdata,"",@progbits
; Kernel info:
; codeLenInByte = 1132
; NumSgprs: 18
; NumVgprs: 13
; ScratchSize: 0
; MemoryBound: 0
; FloatMode: 240
; IeeeMode: 1
; LDSByteSize: 0 bytes/workgroup (compile time only)
; SGPRBlocks: 2
; VGPRBlocks: 1
; NumSGPRsForWavesPerEU: 18
; NumVGPRsForWavesPerEU: 13
; Occupancy: 16
; WaveLimiterHint : 0
; COMPUTE_PGM_RSRC2:SCRATCH_EN: 0
; COMPUTE_PGM_RSRC2:USER_SGPR: 15
; COMPUTE_PGM_RSRC2:TRAP_HANDLER: 0
; COMPUTE_PGM_RSRC2:TGID_X_EN: 1
; COMPUTE_PGM_RSRC2:TGID_Y_EN: 0
; COMPUTE_PGM_RSRC2:TGID_Z_EN: 0
; COMPUTE_PGM_RSRC2:TIDIG_COMP_CNT: 1
	.section	.text._ZN12_GLOBAL__N_120softmax_warp_forwardIN3c104HalfES2_fLi3ELb1ELb0ELi64EEEvPT0_PKT_iiiPKbib,"axG",@progbits,_ZN12_GLOBAL__N_120softmax_warp_forwardIN3c104HalfES2_fLi3ELb1ELb0ELi64EEEvPT0_PKT_iiiPKbib,comdat
	.globl	_ZN12_GLOBAL__N_120softmax_warp_forwardIN3c104HalfES2_fLi3ELb1ELb0ELi64EEEvPT0_PKT_iiiPKbib ; -- Begin function _ZN12_GLOBAL__N_120softmax_warp_forwardIN3c104HalfES2_fLi3ELb1ELb0ELi64EEEvPT0_PKT_iiiPKbib
	.p2align	8
	.type	_ZN12_GLOBAL__N_120softmax_warp_forwardIN3c104HalfES2_fLi3ELb1ELb0ELi64EEEvPT0_PKT_iiiPKbib,@function
_ZN12_GLOBAL__N_120softmax_warp_forwardIN3c104HalfES2_fLi3ELb1ELb0ELi64EEEvPT0_PKT_iiiPKbib: ; @_ZN12_GLOBAL__N_120softmax_warp_forwardIN3c104HalfES2_fLi3ELb1ELb0ELi64EEEvPT0_PKT_iiiPKbib
; %bb.0:
	s_clause 0x1
	s_load_b32 s2, s[0:1], 0x3c
	s_load_b256 s[4:11], s[0:1], 0x0
	v_bfe_u32 v1, v0, 10, 10
	v_and_b32_e32 v2, 0x3ff, v0
	v_dual_mov_b32 v5, 0xff800000 :: v_dual_mov_b32 v6, 0xff800000
	s_waitcnt lgkmcnt(0)
	s_lshr_b32 s0, s2, 16
	s_delay_alu instid0(VALU_DEP_2) | instskip(SKIP_1) | instid1(SALU_CYCLE_1)
	v_cmp_gt_i32_e32 vcc_lo, s10, v2
	s_mul_i32 s15, s15, s0
	v_add_lshl_u32 v3, s15, v1, 1
	s_delay_alu instid0(VALU_DEP_1) | instskip(SKIP_1) | instid1(VALU_DEP_1)
	v_mad_u64_u32 v[0:1], null, v3, s9, v[2:3]
	v_sub_nc_u32_e32 v4, s8, v3
	v_cmp_lt_i32_e64 s0, 0, v4
	s_delay_alu instid0(VALU_DEP_3) | instskip(NEXT) | instid1(VALU_DEP_2)
	v_ashrrev_i32_e32 v1, 31, v0
	s_and_b32 s2, vcc_lo, s0
	s_delay_alu instid0(VALU_DEP_1) | instskip(NEXT) | instid1(VALU_DEP_1)
	v_lshlrev_b64 v[0:1], 1, v[0:1]
	v_add_co_u32 v2, s1, s6, v0
	s_delay_alu instid0(VALU_DEP_1)
	v_add_co_ci_u32_e64 v3, s1, s7, v1, s1
	s_and_saveexec_b32 s1, s2
	s_cbranch_execz .LBB76_2
; %bb.1:
	global_load_u16 v6, v[2:3], off
	s_waitcnt vmcnt(0)
	v_cvt_f32_f16_e32 v6, v6
.LBB76_2:
	s_or_b32 exec_lo, exec_lo, s1
	v_cmp_lt_i32_e64 s1, 1, v4
	s_delay_alu instid0(VALU_DEP_1) | instskip(NEXT) | instid1(SALU_CYCLE_1)
	s_and_b32 s1, vcc_lo, s1
	s_and_saveexec_b32 s2, s1
	s_cbranch_execz .LBB76_4
; %bb.3:
	s_mov_b32 s11, 0
	s_delay_alu instid0(SALU_CYCLE_1) | instskip(NEXT) | instid1(SALU_CYCLE_1)
	s_lshl_b64 s[6:7], s[10:11], 1
	v_add_co_u32 v2, s1, v2, s6
	s_delay_alu instid0(VALU_DEP_1)
	v_add_co_ci_u32_e64 v3, s1, s7, v3, s1
	global_load_u16 v2, v[2:3], off
	s_waitcnt vmcnt(0)
	v_cvt_f32_f16_e32 v5, v2
.LBB76_4:
	s_or_b32 exec_lo, exec_lo, s2
	v_mbcnt_lo_u32_b32 v2, -1, 0
	s_delay_alu instid0(VALU_DEP_1) | instskip(SKIP_3) | instid1(VALU_DEP_4)
	v_and_b32_e32 v3, 24, v2
	v_xor_b32_e32 v7, 4, v2
	v_xor_b32_e32 v10, 2, v2
	;; [unrolled: 1-line block ×3, first 2 shown]
	v_add_nc_u32_e32 v3, 8, v3
	s_delay_alu instid0(VALU_DEP_1) | instskip(NEXT) | instid1(VALU_DEP_1)
	v_cmp_lt_i32_e64 s1, v7, v3
	v_cndmask_b32_e64 v7, v2, v7, s1
	v_cmp_lt_i32_e64 s1, v10, v3
	s_delay_alu instid0(VALU_DEP_2) | instskip(NEXT) | instid1(VALU_DEP_2)
	v_lshlrev_b32_e32 v7, 2, v7
	v_cndmask_b32_e64 v10, v2, v10, s1
	ds_bpermute_b32 v8, v7, v6
	ds_bpermute_b32 v9, v7, v5
	v_lshlrev_b32_e32 v10, 2, v10
	s_waitcnt lgkmcnt(1)
	v_cmp_lt_f32_e64 s1, v6, v8
	s_delay_alu instid0(VALU_DEP_1)
	v_cndmask_b32_e64 v8, v6, v8, s1
	s_waitcnt lgkmcnt(0)
	v_cmp_lt_f32_e64 s1, v5, v9
	ds_bpermute_b32 v11, v10, v8
	v_cndmask_b32_e64 v9, v5, v9, s1
	v_cmp_lt_i32_e64 s1, v13, v3
	ds_bpermute_b32 v12, v10, v9
	v_cndmask_b32_e64 v2, v2, v13, s1
	s_delay_alu instid0(VALU_DEP_1) | instskip(SKIP_2) | instid1(VALU_DEP_1)
	v_lshlrev_b32_e32 v13, 2, v2
	s_waitcnt lgkmcnt(1)
	v_cmp_lt_f32_e64 s1, v8, v11
	v_cndmask_b32_e64 v2, v8, v11, s1
	s_waitcnt lgkmcnt(0)
	v_cmp_lt_f32_e64 s1, v9, v12
	ds_bpermute_b32 v8, v13, v2
	v_cndmask_b32_e64 v3, v9, v12, s1
	ds_bpermute_b32 v9, v13, v3
	s_waitcnt lgkmcnt(1)
	v_cmp_lt_f32_e64 s1, v2, v8
	s_delay_alu instid0(VALU_DEP_1) | instskip(SKIP_2) | instid1(VALU_DEP_1)
	v_cndmask_b32_e64 v2, v2, v8, s1
	s_waitcnt lgkmcnt(0)
	v_cmp_lt_f32_e64 s1, v3, v9
	v_cndmask_b32_e64 v8, v3, v9, s1
	s_delay_alu instid0(VALU_DEP_1) | instskip(NEXT) | instid1(VALU_DEP_1)
	v_dual_sub_f32 v3, v6, v2 :: v_dual_sub_f32 v2, v5, v8
	v_mul_f32_e32 v5, 0x3fb8aa3b, v3
	v_cmp_ngt_f32_e64 s1, 0xc2ce8ed0, v3
	s_delay_alu instid0(VALU_DEP_3) | instskip(NEXT) | instid1(VALU_DEP_3)
	v_mul_f32_e32 v6, 0x3fb8aa3b, v2
	v_fma_f32 v8, 0x3fb8aa3b, v3, -v5
	v_rndne_f32_e32 v9, v5
	s_delay_alu instid0(VALU_DEP_3) | instskip(NEXT) | instid1(VALU_DEP_3)
	v_fma_f32 v11, 0x3fb8aa3b, v2, -v6
	v_fmac_f32_e32 v8, 0x32a5705f, v3
	v_rndne_f32_e32 v12, v6
	s_delay_alu instid0(VALU_DEP_1) | instskip(NEXT) | instid1(VALU_DEP_1)
	v_dual_fmac_f32 v11, 0x32a5705f, v2 :: v_dual_sub_f32 v6, v6, v12
	v_dual_sub_f32 v5, v5, v9 :: v_dual_add_f32 v6, v6, v11
	s_delay_alu instid0(VALU_DEP_1) | instskip(SKIP_2) | instid1(VALU_DEP_4)
	v_add_f32_e32 v5, v5, v8
	v_cvt_i32_f32_e32 v8, v9
	v_cvt_i32_f32_e32 v9, v12
	v_exp_f32_e32 v6, v6
	s_delay_alu instid0(VALU_DEP_3) | instskip(SKIP_3) | instid1(VALU_DEP_1)
	v_exp_f32_e32 v5, v5
	s_waitcnt_depctr 0xfff
	v_ldexp_f32 v6, v6, v9
	v_ldexp_f32 v5, v5, v8
	v_cndmask_b32_e64 v5, 0, v5, s1
	v_cmp_ngt_f32_e64 s1, 0xc2ce8ed0, v2
	s_delay_alu instid0(VALU_DEP_1) | instskip(SKIP_1) | instid1(VALU_DEP_1)
	v_cndmask_b32_e64 v6, 0, v6, s1
	v_cmp_nlt_f32_e64 s1, 0x42b17218, v3
	v_cndmask_b32_e64 v5, 0x7f800000, v5, s1
	v_cmp_nlt_f32_e64 s1, 0x42b17218, v2
	ds_bpermute_b32 v8, v7, v5
	v_cndmask_b32_e64 v6, 0x7f800000, v6, s1
	ds_bpermute_b32 v7, v7, v6
	s_waitcnt lgkmcnt(0)
	v_dual_add_f32 v5, v5, v8 :: v_dual_add_f32 v6, v6, v7
	ds_bpermute_b32 v7, v10, v5
	ds_bpermute_b32 v8, v10, v6
	s_waitcnt lgkmcnt(1)
	v_add_f32_e32 v7, v5, v7
	s_waitcnt lgkmcnt(0)
	v_add_f32_e32 v5, v6, v8
	ds_bpermute_b32 v8, v13, v7
	ds_bpermute_b32 v6, v13, v5
	s_and_saveexec_b32 s1, s0
	s_cbranch_execz .LBB76_10
; %bb.5:
	v_add_co_u32 v0, s0, s4, v0
	s_delay_alu instid0(VALU_DEP_1)
	v_add_co_ci_u32_e64 v1, s0, s5, v1, s0
	s_and_saveexec_b32 s2, vcc_lo
	s_cbranch_execz .LBB76_7
; %bb.6:
	s_waitcnt lgkmcnt(1)
	v_add_f32_e32 v7, v7, v8
	s_delay_alu instid0(VALU_DEP_1) | instskip(NEXT) | instid1(VALU_DEP_1)
	v_cmp_gt_f32_e64 s0, 0x800000, v7
	v_cndmask_b32_e64 v8, 1.0, 0x4f800000, s0
	s_delay_alu instid0(VALU_DEP_1) | instskip(NEXT) | instid1(VALU_DEP_1)
	v_mul_f32_e32 v7, v7, v8
	v_log_f32_e32 v7, v7
	s_waitcnt_depctr 0xfff
	v_mul_f32_e32 v8, 0x3f317217, v7
	v_cmp_gt_f32_e64 s1, 0x7f800000, |v7|
	s_delay_alu instid0(VALU_DEP_2) | instskip(NEXT) | instid1(VALU_DEP_1)
	v_fma_f32 v9, 0x3f317217, v7, -v8
	v_fmamk_f32 v9, v7, 0x3377d1cf, v9
	s_delay_alu instid0(VALU_DEP_1) | instskip(NEXT) | instid1(VALU_DEP_1)
	v_add_f32_e32 v8, v8, v9
	v_cndmask_b32_e64 v7, v7, v8, s1
	v_cndmask_b32_e64 v8, 0, 0x41b17218, s0
	s_delay_alu instid0(VALU_DEP_1) | instskip(NEXT) | instid1(VALU_DEP_1)
	v_sub_f32_e32 v7, v7, v8
	v_sub_f32_e32 v3, v3, v7
	s_delay_alu instid0(VALU_DEP_1)
	v_cvt_f16_f32_e32 v3, v3
	global_store_b16 v[0:1], v3, off
.LBB76_7:
	s_or_b32 exec_lo, exec_lo, s2
	v_cmp_ne_u32_e64 s0, 1, v4
	s_delay_alu instid0(VALU_DEP_1)
	s_and_b32 exec_lo, exec_lo, s0
	s_cbranch_execz .LBB76_10
; %bb.8:
	s_and_b32 exec_lo, exec_lo, vcc_lo
	s_cbranch_execz .LBB76_10
; %bb.9:
	s_waitcnt lgkmcnt(0)
	v_add_f32_e32 v3, v5, v6
	s_mov_b32 s11, 0
	s_delay_alu instid0(SALU_CYCLE_1) | instskip(NEXT) | instid1(VALU_DEP_1)
	s_lshl_b64 s[0:1], s[10:11], 1
	v_cmp_gt_f32_e32 vcc_lo, 0x800000, v3
	v_cndmask_b32_e64 v4, 1.0, 0x4f800000, vcc_lo
	s_delay_alu instid0(VALU_DEP_1) | instskip(NEXT) | instid1(VALU_DEP_1)
	v_mul_f32_e32 v3, v3, v4
	v_log_f32_e32 v3, v3
	s_waitcnt_depctr 0xfff
	v_mul_f32_e32 v4, 0x3f317217, v3
	s_delay_alu instid0(VALU_DEP_1) | instskip(NEXT) | instid1(VALU_DEP_1)
	v_fma_f32 v5, 0x3f317217, v3, -v4
	v_fmamk_f32 v5, v3, 0x3377d1cf, v5
	s_delay_alu instid0(VALU_DEP_1) | instskip(SKIP_2) | instid1(VALU_DEP_3)
	v_add_f32_e32 v4, v4, v5
	v_cndmask_b32_e64 v5, 0, 0x41b17218, vcc_lo
	v_cmp_gt_f32_e64 vcc_lo, 0x7f800000, |v3|
	v_cndmask_b32_e32 v3, v3, v4, vcc_lo
	v_add_co_u32 v0, vcc_lo, v0, s0
	v_add_co_ci_u32_e32 v1, vcc_lo, s1, v1, vcc_lo
	s_delay_alu instid0(VALU_DEP_3) | instskip(NEXT) | instid1(VALU_DEP_1)
	v_sub_f32_e32 v3, v3, v5
	v_sub_f32_e32 v2, v2, v3
	s_delay_alu instid0(VALU_DEP_1)
	v_cvt_f16_f32_e32 v2, v2
	global_store_b16 v[0:1], v2, off
.LBB76_10:
	s_nop 0
	s_sendmsg sendmsg(MSG_DEALLOC_VGPRS)
	s_endpgm
	.section	.rodata,"a",@progbits
	.p2align	6, 0x0
	.amdhsa_kernel _ZN12_GLOBAL__N_120softmax_warp_forwardIN3c104HalfES2_fLi3ELb1ELb0ELi64EEEvPT0_PKT_iiiPKbib
		.amdhsa_group_segment_fixed_size 0
		.amdhsa_private_segment_fixed_size 0
		.amdhsa_kernarg_size 304
		.amdhsa_user_sgpr_count 15
		.amdhsa_user_sgpr_dispatch_ptr 0
		.amdhsa_user_sgpr_queue_ptr 0
		.amdhsa_user_sgpr_kernarg_segment_ptr 1
		.amdhsa_user_sgpr_dispatch_id 0
		.amdhsa_user_sgpr_private_segment_size 0
		.amdhsa_wavefront_size32 1
		.amdhsa_uses_dynamic_stack 0
		.amdhsa_enable_private_segment 0
		.amdhsa_system_sgpr_workgroup_id_x 1
		.amdhsa_system_sgpr_workgroup_id_y 0
		.amdhsa_system_sgpr_workgroup_id_z 0
		.amdhsa_system_sgpr_workgroup_info 0
		.amdhsa_system_vgpr_workitem_id 1
		.amdhsa_next_free_vgpr 14
		.amdhsa_next_free_sgpr 16
		.amdhsa_reserve_vcc 1
		.amdhsa_float_round_mode_32 0
		.amdhsa_float_round_mode_16_64 0
		.amdhsa_float_denorm_mode_32 3
		.amdhsa_float_denorm_mode_16_64 3
		.amdhsa_dx10_clamp 1
		.amdhsa_ieee_mode 1
		.amdhsa_fp16_overflow 0
		.amdhsa_workgroup_processor_mode 1
		.amdhsa_memory_ordered 1
		.amdhsa_forward_progress 0
		.amdhsa_shared_vgpr_count 0
		.amdhsa_exception_fp_ieee_invalid_op 0
		.amdhsa_exception_fp_denorm_src 0
		.amdhsa_exception_fp_ieee_div_zero 0
		.amdhsa_exception_fp_ieee_overflow 0
		.amdhsa_exception_fp_ieee_underflow 0
		.amdhsa_exception_fp_ieee_inexact 0
		.amdhsa_exception_int_div_zero 0
	.end_amdhsa_kernel
	.section	.text._ZN12_GLOBAL__N_120softmax_warp_forwardIN3c104HalfES2_fLi3ELb1ELb0ELi64EEEvPT0_PKT_iiiPKbib,"axG",@progbits,_ZN12_GLOBAL__N_120softmax_warp_forwardIN3c104HalfES2_fLi3ELb1ELb0ELi64EEEvPT0_PKT_iiiPKbib,comdat
.Lfunc_end76:
	.size	_ZN12_GLOBAL__N_120softmax_warp_forwardIN3c104HalfES2_fLi3ELb1ELb0ELi64EEEvPT0_PKT_iiiPKbib, .Lfunc_end76-_ZN12_GLOBAL__N_120softmax_warp_forwardIN3c104HalfES2_fLi3ELb1ELb0ELi64EEEvPT0_PKT_iiiPKbib
                                        ; -- End function
	.section	.AMDGPU.csdata,"",@progbits
; Kernel info:
; codeLenInByte = 1240
; NumSgprs: 18
; NumVgprs: 14
; ScratchSize: 0
; MemoryBound: 0
; FloatMode: 240
; IeeeMode: 1
; LDSByteSize: 0 bytes/workgroup (compile time only)
; SGPRBlocks: 2
; VGPRBlocks: 1
; NumSGPRsForWavesPerEU: 18
; NumVGPRsForWavesPerEU: 14
; Occupancy: 16
; WaveLimiterHint : 0
; COMPUTE_PGM_RSRC2:SCRATCH_EN: 0
; COMPUTE_PGM_RSRC2:USER_SGPR: 15
; COMPUTE_PGM_RSRC2:TRAP_HANDLER: 0
; COMPUTE_PGM_RSRC2:TGID_X_EN: 1
; COMPUTE_PGM_RSRC2:TGID_Y_EN: 0
; COMPUTE_PGM_RSRC2:TGID_Z_EN: 0
; COMPUTE_PGM_RSRC2:TIDIG_COMP_CNT: 1
	.section	.text._ZN12_GLOBAL__N_120softmax_warp_forwardIN3c104HalfES2_fLi3ELb1ELb0ELi32EEEvPT0_PKT_iiiPKbib,"axG",@progbits,_ZN12_GLOBAL__N_120softmax_warp_forwardIN3c104HalfES2_fLi3ELb1ELb0ELi32EEEvPT0_PKT_iiiPKbib,comdat
	.globl	_ZN12_GLOBAL__N_120softmax_warp_forwardIN3c104HalfES2_fLi3ELb1ELb0ELi32EEEvPT0_PKT_iiiPKbib ; -- Begin function _ZN12_GLOBAL__N_120softmax_warp_forwardIN3c104HalfES2_fLi3ELb1ELb0ELi32EEEvPT0_PKT_iiiPKbib
	.p2align	8
	.type	_ZN12_GLOBAL__N_120softmax_warp_forwardIN3c104HalfES2_fLi3ELb1ELb0ELi32EEEvPT0_PKT_iiiPKbib,@function
_ZN12_GLOBAL__N_120softmax_warp_forwardIN3c104HalfES2_fLi3ELb1ELb0ELi32EEEvPT0_PKT_iiiPKbib: ; @_ZN12_GLOBAL__N_120softmax_warp_forwardIN3c104HalfES2_fLi3ELb1ELb0ELi32EEEvPT0_PKT_iiiPKbib
; %bb.0:
	s_clause 0x1
	s_load_b32 s2, s[0:1], 0x3c
	s_load_b256 s[4:11], s[0:1], 0x0
	v_bfe_u32 v1, v0, 10, 10
	v_and_b32_e32 v2, 0x3ff, v0
	v_dual_mov_b32 v5, 0xff800000 :: v_dual_mov_b32 v6, 0xff800000
	s_waitcnt lgkmcnt(0)
	s_lshr_b32 s0, s2, 16
	s_delay_alu instid0(VALU_DEP_2) | instskip(SKIP_1) | instid1(SALU_CYCLE_1)
	v_cmp_gt_i32_e32 vcc_lo, s10, v2
	s_mul_i32 s15, s15, s0
	v_add_lshl_u32 v3, s15, v1, 1
	s_delay_alu instid0(VALU_DEP_1) | instskip(SKIP_1) | instid1(VALU_DEP_1)
	v_mad_u64_u32 v[0:1], null, v3, s9, v[2:3]
	v_sub_nc_u32_e32 v4, s8, v3
	v_cmp_lt_i32_e64 s0, 0, v4
	s_delay_alu instid0(VALU_DEP_3) | instskip(NEXT) | instid1(VALU_DEP_2)
	v_ashrrev_i32_e32 v1, 31, v0
	s_and_b32 s2, vcc_lo, s0
	s_delay_alu instid0(VALU_DEP_1) | instskip(NEXT) | instid1(VALU_DEP_1)
	v_lshlrev_b64 v[0:1], 1, v[0:1]
	v_add_co_u32 v2, s1, s6, v0
	s_delay_alu instid0(VALU_DEP_1)
	v_add_co_ci_u32_e64 v3, s1, s7, v1, s1
	s_and_saveexec_b32 s1, s2
	s_cbranch_execz .LBB77_2
; %bb.1:
	global_load_u16 v6, v[2:3], off
	s_waitcnt vmcnt(0)
	v_cvt_f32_f16_e32 v6, v6
.LBB77_2:
	s_or_b32 exec_lo, exec_lo, s1
	v_cmp_lt_i32_e64 s1, 1, v4
	s_delay_alu instid0(VALU_DEP_1) | instskip(NEXT) | instid1(SALU_CYCLE_1)
	s_and_b32 s1, vcc_lo, s1
	s_and_saveexec_b32 s2, s1
	s_cbranch_execz .LBB77_4
; %bb.3:
	s_mov_b32 s11, 0
	s_delay_alu instid0(SALU_CYCLE_1) | instskip(NEXT) | instid1(SALU_CYCLE_1)
	s_lshl_b64 s[6:7], s[10:11], 1
	v_add_co_u32 v2, s1, v2, s6
	s_delay_alu instid0(VALU_DEP_1)
	v_add_co_ci_u32_e64 v3, s1, s7, v3, s1
	global_load_u16 v2, v[2:3], off
	s_waitcnt vmcnt(0)
	v_cvt_f32_f16_e32 v5, v2
.LBB77_4:
	s_or_b32 exec_lo, exec_lo, s2
	v_mbcnt_lo_u32_b32 v2, -1, 0
	s_delay_alu instid0(VALU_DEP_1) | instskip(SKIP_3) | instid1(VALU_DEP_4)
	v_and_b32_e32 v3, 24, v2
	v_xor_b32_e32 v7, 4, v2
	v_xor_b32_e32 v10, 2, v2
	;; [unrolled: 1-line block ×3, first 2 shown]
	v_add_nc_u32_e32 v3, 8, v3
	s_delay_alu instid0(VALU_DEP_1) | instskip(NEXT) | instid1(VALU_DEP_1)
	v_cmp_lt_i32_e64 s1, v7, v3
	v_cndmask_b32_e64 v7, v2, v7, s1
	v_cmp_lt_i32_e64 s1, v10, v3
	s_delay_alu instid0(VALU_DEP_2) | instskip(NEXT) | instid1(VALU_DEP_2)
	v_lshlrev_b32_e32 v7, 2, v7
	v_cndmask_b32_e64 v10, v2, v10, s1
	ds_bpermute_b32 v8, v7, v6
	ds_bpermute_b32 v9, v7, v5
	v_lshlrev_b32_e32 v10, 2, v10
	s_waitcnt lgkmcnt(1)
	v_cmp_lt_f32_e64 s1, v6, v8
	s_delay_alu instid0(VALU_DEP_1)
	v_cndmask_b32_e64 v8, v6, v8, s1
	s_waitcnt lgkmcnt(0)
	v_cmp_lt_f32_e64 s1, v5, v9
	ds_bpermute_b32 v11, v10, v8
	v_cndmask_b32_e64 v9, v5, v9, s1
	v_cmp_lt_i32_e64 s1, v13, v3
	ds_bpermute_b32 v12, v10, v9
	v_cndmask_b32_e64 v2, v2, v13, s1
	s_delay_alu instid0(VALU_DEP_1) | instskip(SKIP_2) | instid1(VALU_DEP_1)
	v_lshlrev_b32_e32 v13, 2, v2
	s_waitcnt lgkmcnt(1)
	v_cmp_lt_f32_e64 s1, v8, v11
	v_cndmask_b32_e64 v2, v8, v11, s1
	s_waitcnt lgkmcnt(0)
	v_cmp_lt_f32_e64 s1, v9, v12
	ds_bpermute_b32 v8, v13, v2
	v_cndmask_b32_e64 v3, v9, v12, s1
	ds_bpermute_b32 v9, v13, v3
	s_waitcnt lgkmcnt(1)
	v_cmp_lt_f32_e64 s1, v2, v8
	s_delay_alu instid0(VALU_DEP_1) | instskip(SKIP_2) | instid1(VALU_DEP_1)
	v_cndmask_b32_e64 v2, v2, v8, s1
	s_waitcnt lgkmcnt(0)
	v_cmp_lt_f32_e64 s1, v3, v9
	v_cndmask_b32_e64 v8, v3, v9, s1
	s_delay_alu instid0(VALU_DEP_1) | instskip(NEXT) | instid1(VALU_DEP_1)
	v_dual_sub_f32 v3, v6, v2 :: v_dual_sub_f32 v2, v5, v8
	v_mul_f32_e32 v5, 0x3fb8aa3b, v3
	v_cmp_ngt_f32_e64 s1, 0xc2ce8ed0, v3
	s_delay_alu instid0(VALU_DEP_3) | instskip(NEXT) | instid1(VALU_DEP_3)
	v_mul_f32_e32 v6, 0x3fb8aa3b, v2
	v_fma_f32 v8, 0x3fb8aa3b, v3, -v5
	v_rndne_f32_e32 v9, v5
	s_delay_alu instid0(VALU_DEP_3) | instskip(NEXT) | instid1(VALU_DEP_3)
	v_fma_f32 v11, 0x3fb8aa3b, v2, -v6
	v_fmac_f32_e32 v8, 0x32a5705f, v3
	v_rndne_f32_e32 v12, v6
	s_delay_alu instid0(VALU_DEP_1) | instskip(NEXT) | instid1(VALU_DEP_1)
	v_dual_fmac_f32 v11, 0x32a5705f, v2 :: v_dual_sub_f32 v6, v6, v12
	v_dual_sub_f32 v5, v5, v9 :: v_dual_add_f32 v6, v6, v11
	s_delay_alu instid0(VALU_DEP_1) | instskip(SKIP_2) | instid1(VALU_DEP_4)
	v_add_f32_e32 v5, v5, v8
	v_cvt_i32_f32_e32 v8, v9
	v_cvt_i32_f32_e32 v9, v12
	v_exp_f32_e32 v6, v6
	s_delay_alu instid0(VALU_DEP_3) | instskip(SKIP_3) | instid1(VALU_DEP_1)
	v_exp_f32_e32 v5, v5
	s_waitcnt_depctr 0xfff
	v_ldexp_f32 v6, v6, v9
	v_ldexp_f32 v5, v5, v8
	v_cndmask_b32_e64 v5, 0, v5, s1
	v_cmp_ngt_f32_e64 s1, 0xc2ce8ed0, v2
	s_delay_alu instid0(VALU_DEP_1) | instskip(SKIP_1) | instid1(VALU_DEP_1)
	v_cndmask_b32_e64 v6, 0, v6, s1
	v_cmp_nlt_f32_e64 s1, 0x42b17218, v3
	v_cndmask_b32_e64 v5, 0x7f800000, v5, s1
	v_cmp_nlt_f32_e64 s1, 0x42b17218, v2
	ds_bpermute_b32 v8, v7, v5
	v_cndmask_b32_e64 v6, 0x7f800000, v6, s1
	ds_bpermute_b32 v7, v7, v6
	s_waitcnt lgkmcnt(0)
	v_dual_add_f32 v5, v5, v8 :: v_dual_add_f32 v6, v6, v7
	ds_bpermute_b32 v7, v10, v5
	ds_bpermute_b32 v8, v10, v6
	s_waitcnt lgkmcnt(1)
	v_add_f32_e32 v7, v5, v7
	s_waitcnt lgkmcnt(0)
	v_add_f32_e32 v5, v6, v8
	ds_bpermute_b32 v8, v13, v7
	ds_bpermute_b32 v6, v13, v5
	s_and_saveexec_b32 s1, s0
	s_cbranch_execz .LBB77_10
; %bb.5:
	v_add_co_u32 v0, s0, s4, v0
	s_delay_alu instid0(VALU_DEP_1)
	v_add_co_ci_u32_e64 v1, s0, s5, v1, s0
	s_and_saveexec_b32 s2, vcc_lo
	s_cbranch_execz .LBB77_7
; %bb.6:
	s_waitcnt lgkmcnt(1)
	v_add_f32_e32 v7, v7, v8
	s_delay_alu instid0(VALU_DEP_1) | instskip(NEXT) | instid1(VALU_DEP_1)
	v_cmp_gt_f32_e64 s0, 0x800000, v7
	v_cndmask_b32_e64 v8, 1.0, 0x4f800000, s0
	s_delay_alu instid0(VALU_DEP_1) | instskip(NEXT) | instid1(VALU_DEP_1)
	v_mul_f32_e32 v7, v7, v8
	v_log_f32_e32 v7, v7
	s_waitcnt_depctr 0xfff
	v_mul_f32_e32 v8, 0x3f317217, v7
	v_cmp_gt_f32_e64 s1, 0x7f800000, |v7|
	s_delay_alu instid0(VALU_DEP_2) | instskip(NEXT) | instid1(VALU_DEP_1)
	v_fma_f32 v9, 0x3f317217, v7, -v8
	v_fmamk_f32 v9, v7, 0x3377d1cf, v9
	s_delay_alu instid0(VALU_DEP_1) | instskip(NEXT) | instid1(VALU_DEP_1)
	v_add_f32_e32 v8, v8, v9
	v_cndmask_b32_e64 v7, v7, v8, s1
	v_cndmask_b32_e64 v8, 0, 0x41b17218, s0
	s_delay_alu instid0(VALU_DEP_1) | instskip(NEXT) | instid1(VALU_DEP_1)
	v_sub_f32_e32 v7, v7, v8
	v_sub_f32_e32 v3, v3, v7
	s_delay_alu instid0(VALU_DEP_1)
	v_cvt_f16_f32_e32 v3, v3
	global_store_b16 v[0:1], v3, off
.LBB77_7:
	s_or_b32 exec_lo, exec_lo, s2
	v_cmp_ne_u32_e64 s0, 1, v4
	s_delay_alu instid0(VALU_DEP_1)
	s_and_b32 exec_lo, exec_lo, s0
	s_cbranch_execz .LBB77_10
; %bb.8:
	s_and_b32 exec_lo, exec_lo, vcc_lo
	s_cbranch_execz .LBB77_10
; %bb.9:
	s_waitcnt lgkmcnt(0)
	v_add_f32_e32 v3, v5, v6
	s_mov_b32 s11, 0
	s_delay_alu instid0(SALU_CYCLE_1) | instskip(NEXT) | instid1(VALU_DEP_1)
	s_lshl_b64 s[0:1], s[10:11], 1
	v_cmp_gt_f32_e32 vcc_lo, 0x800000, v3
	v_cndmask_b32_e64 v4, 1.0, 0x4f800000, vcc_lo
	s_delay_alu instid0(VALU_DEP_1) | instskip(NEXT) | instid1(VALU_DEP_1)
	v_mul_f32_e32 v3, v3, v4
	v_log_f32_e32 v3, v3
	s_waitcnt_depctr 0xfff
	v_mul_f32_e32 v4, 0x3f317217, v3
	s_delay_alu instid0(VALU_DEP_1) | instskip(NEXT) | instid1(VALU_DEP_1)
	v_fma_f32 v5, 0x3f317217, v3, -v4
	v_fmamk_f32 v5, v3, 0x3377d1cf, v5
	s_delay_alu instid0(VALU_DEP_1) | instskip(SKIP_2) | instid1(VALU_DEP_3)
	v_add_f32_e32 v4, v4, v5
	v_cndmask_b32_e64 v5, 0, 0x41b17218, vcc_lo
	v_cmp_gt_f32_e64 vcc_lo, 0x7f800000, |v3|
	v_cndmask_b32_e32 v3, v3, v4, vcc_lo
	v_add_co_u32 v0, vcc_lo, v0, s0
	v_add_co_ci_u32_e32 v1, vcc_lo, s1, v1, vcc_lo
	s_delay_alu instid0(VALU_DEP_3) | instskip(NEXT) | instid1(VALU_DEP_1)
	v_sub_f32_e32 v3, v3, v5
	v_sub_f32_e32 v2, v2, v3
	s_delay_alu instid0(VALU_DEP_1)
	v_cvt_f16_f32_e32 v2, v2
	global_store_b16 v[0:1], v2, off
.LBB77_10:
	s_nop 0
	s_sendmsg sendmsg(MSG_DEALLOC_VGPRS)
	s_endpgm
	.section	.rodata,"a",@progbits
	.p2align	6, 0x0
	.amdhsa_kernel _ZN12_GLOBAL__N_120softmax_warp_forwardIN3c104HalfES2_fLi3ELb1ELb0ELi32EEEvPT0_PKT_iiiPKbib
		.amdhsa_group_segment_fixed_size 0
		.amdhsa_private_segment_fixed_size 0
		.amdhsa_kernarg_size 304
		.amdhsa_user_sgpr_count 15
		.amdhsa_user_sgpr_dispatch_ptr 0
		.amdhsa_user_sgpr_queue_ptr 0
		.amdhsa_user_sgpr_kernarg_segment_ptr 1
		.amdhsa_user_sgpr_dispatch_id 0
		.amdhsa_user_sgpr_private_segment_size 0
		.amdhsa_wavefront_size32 1
		.amdhsa_uses_dynamic_stack 0
		.amdhsa_enable_private_segment 0
		.amdhsa_system_sgpr_workgroup_id_x 1
		.amdhsa_system_sgpr_workgroup_id_y 0
		.amdhsa_system_sgpr_workgroup_id_z 0
		.amdhsa_system_sgpr_workgroup_info 0
		.amdhsa_system_vgpr_workitem_id 1
		.amdhsa_next_free_vgpr 14
		.amdhsa_next_free_sgpr 16
		.amdhsa_reserve_vcc 1
		.amdhsa_float_round_mode_32 0
		.amdhsa_float_round_mode_16_64 0
		.amdhsa_float_denorm_mode_32 3
		.amdhsa_float_denorm_mode_16_64 3
		.amdhsa_dx10_clamp 1
		.amdhsa_ieee_mode 1
		.amdhsa_fp16_overflow 0
		.amdhsa_workgroup_processor_mode 1
		.amdhsa_memory_ordered 1
		.amdhsa_forward_progress 0
		.amdhsa_shared_vgpr_count 0
		.amdhsa_exception_fp_ieee_invalid_op 0
		.amdhsa_exception_fp_denorm_src 0
		.amdhsa_exception_fp_ieee_div_zero 0
		.amdhsa_exception_fp_ieee_overflow 0
		.amdhsa_exception_fp_ieee_underflow 0
		.amdhsa_exception_fp_ieee_inexact 0
		.amdhsa_exception_int_div_zero 0
	.end_amdhsa_kernel
	.section	.text._ZN12_GLOBAL__N_120softmax_warp_forwardIN3c104HalfES2_fLi3ELb1ELb0ELi32EEEvPT0_PKT_iiiPKbib,"axG",@progbits,_ZN12_GLOBAL__N_120softmax_warp_forwardIN3c104HalfES2_fLi3ELb1ELb0ELi32EEEvPT0_PKT_iiiPKbib,comdat
.Lfunc_end77:
	.size	_ZN12_GLOBAL__N_120softmax_warp_forwardIN3c104HalfES2_fLi3ELb1ELb0ELi32EEEvPT0_PKT_iiiPKbib, .Lfunc_end77-_ZN12_GLOBAL__N_120softmax_warp_forwardIN3c104HalfES2_fLi3ELb1ELb0ELi32EEEvPT0_PKT_iiiPKbib
                                        ; -- End function
	.section	.AMDGPU.csdata,"",@progbits
; Kernel info:
; codeLenInByte = 1240
; NumSgprs: 18
; NumVgprs: 14
; ScratchSize: 0
; MemoryBound: 0
; FloatMode: 240
; IeeeMode: 1
; LDSByteSize: 0 bytes/workgroup (compile time only)
; SGPRBlocks: 2
; VGPRBlocks: 1
; NumSGPRsForWavesPerEU: 18
; NumVGPRsForWavesPerEU: 14
; Occupancy: 16
; WaveLimiterHint : 0
; COMPUTE_PGM_RSRC2:SCRATCH_EN: 0
; COMPUTE_PGM_RSRC2:USER_SGPR: 15
; COMPUTE_PGM_RSRC2:TRAP_HANDLER: 0
; COMPUTE_PGM_RSRC2:TGID_X_EN: 1
; COMPUTE_PGM_RSRC2:TGID_Y_EN: 0
; COMPUTE_PGM_RSRC2:TGID_Z_EN: 0
; COMPUTE_PGM_RSRC2:TIDIG_COMP_CNT: 1
	.section	.text._ZN12_GLOBAL__N_120softmax_warp_forwardIN3c104HalfES2_fLi4ELb1ELb0ELi64EEEvPT0_PKT_iiiPKbib,"axG",@progbits,_ZN12_GLOBAL__N_120softmax_warp_forwardIN3c104HalfES2_fLi4ELb1ELb0ELi64EEEvPT0_PKT_iiiPKbib,comdat
	.globl	_ZN12_GLOBAL__N_120softmax_warp_forwardIN3c104HalfES2_fLi4ELb1ELb0ELi64EEEvPT0_PKT_iiiPKbib ; -- Begin function _ZN12_GLOBAL__N_120softmax_warp_forwardIN3c104HalfES2_fLi4ELb1ELb0ELi64EEEvPT0_PKT_iiiPKbib
	.p2align	8
	.type	_ZN12_GLOBAL__N_120softmax_warp_forwardIN3c104HalfES2_fLi4ELb1ELb0ELi64EEEvPT0_PKT_iiiPKbib,@function
_ZN12_GLOBAL__N_120softmax_warp_forwardIN3c104HalfES2_fLi4ELb1ELb0ELi64EEEvPT0_PKT_iiiPKbib: ; @_ZN12_GLOBAL__N_120softmax_warp_forwardIN3c104HalfES2_fLi4ELb1ELb0ELi64EEEvPT0_PKT_iiiPKbib
; %bb.0:
	s_clause 0x1
	s_load_b32 s2, s[0:1], 0x3c
	s_load_b256 s[4:11], s[0:1], 0x0
	v_bfe_u32 v1, v0, 10, 10
	v_and_b32_e32 v2, 0x3ff, v0
	v_dual_mov_b32 v5, 0xff800000 :: v_dual_mov_b32 v6, 0xff800000
	s_waitcnt lgkmcnt(0)
	s_lshr_b32 s0, s2, 16
	s_delay_alu instid0(VALU_DEP_2) | instskip(SKIP_1) | instid1(SALU_CYCLE_1)
	v_cmp_gt_i32_e32 vcc_lo, s10, v2
	s_mul_i32 s15, s15, s0
	v_add_lshl_u32 v3, s15, v1, 1
	s_delay_alu instid0(VALU_DEP_1) | instskip(SKIP_1) | instid1(VALU_DEP_1)
	v_mad_u64_u32 v[0:1], null, v3, s9, v[2:3]
	v_sub_nc_u32_e32 v4, s8, v3
	v_cmp_lt_i32_e64 s0, 0, v4
	s_delay_alu instid0(VALU_DEP_3) | instskip(NEXT) | instid1(VALU_DEP_2)
	v_ashrrev_i32_e32 v1, 31, v0
	s_and_b32 s2, vcc_lo, s0
	s_delay_alu instid0(VALU_DEP_1) | instskip(NEXT) | instid1(VALU_DEP_1)
	v_lshlrev_b64 v[0:1], 1, v[0:1]
	v_add_co_u32 v2, s1, s6, v0
	s_delay_alu instid0(VALU_DEP_1)
	v_add_co_ci_u32_e64 v3, s1, s7, v1, s1
	s_and_saveexec_b32 s1, s2
	s_cbranch_execz .LBB78_2
; %bb.1:
	global_load_u16 v6, v[2:3], off
	s_waitcnt vmcnt(0)
	v_cvt_f32_f16_e32 v6, v6
.LBB78_2:
	s_or_b32 exec_lo, exec_lo, s1
	v_cmp_lt_i32_e64 s1, 1, v4
	s_delay_alu instid0(VALU_DEP_1) | instskip(NEXT) | instid1(SALU_CYCLE_1)
	s_and_b32 s1, vcc_lo, s1
	s_and_saveexec_b32 s2, s1
	s_cbranch_execz .LBB78_4
; %bb.3:
	s_mov_b32 s11, 0
	s_delay_alu instid0(SALU_CYCLE_1) | instskip(NEXT) | instid1(SALU_CYCLE_1)
	s_lshl_b64 s[6:7], s[10:11], 1
	v_add_co_u32 v2, s1, v2, s6
	s_delay_alu instid0(VALU_DEP_1)
	v_add_co_ci_u32_e64 v3, s1, s7, v3, s1
	global_load_u16 v2, v[2:3], off
	s_waitcnt vmcnt(0)
	v_cvt_f32_f16_e32 v5, v2
.LBB78_4:
	s_or_b32 exec_lo, exec_lo, s2
	v_mbcnt_lo_u32_b32 v2, -1, 0
	s_delay_alu instid0(VALU_DEP_1)
	v_and_b32_e32 v3, 16, v2
	v_xor_b32_e32 v7, 8, v2
	v_xor_b32_e32 v10, 4, v2
	v_xor_b32_e32 v13, 2, v2
	v_xor_b32_e32 v14, 1, v2
	v_add_nc_u32_e32 v3, 16, v3
	s_delay_alu instid0(VALU_DEP_1) | instskip(NEXT) | instid1(VALU_DEP_1)
	v_cmp_lt_i32_e64 s1, v7, v3
	v_cndmask_b32_e64 v7, v2, v7, s1
	v_cmp_lt_i32_e64 s1, v10, v3
	s_delay_alu instid0(VALU_DEP_2) | instskip(NEXT) | instid1(VALU_DEP_2)
	v_lshlrev_b32_e32 v7, 2, v7
	v_cndmask_b32_e64 v10, v2, v10, s1
	ds_bpermute_b32 v8, v7, v6
	ds_bpermute_b32 v9, v7, v5
	v_lshlrev_b32_e32 v10, 2, v10
	s_waitcnt lgkmcnt(1)
	v_cmp_lt_f32_e64 s1, v6, v8
	s_delay_alu instid0(VALU_DEP_1)
	v_cndmask_b32_e64 v8, v6, v8, s1
	s_waitcnt lgkmcnt(0)
	v_cmp_lt_f32_e64 s1, v5, v9
	ds_bpermute_b32 v11, v10, v8
	v_cndmask_b32_e64 v9, v5, v9, s1
	v_cmp_lt_i32_e64 s1, v13, v3
	ds_bpermute_b32 v12, v10, v9
	v_cndmask_b32_e64 v13, v2, v13, s1
	s_delay_alu instid0(VALU_DEP_1) | instskip(SKIP_2) | instid1(VALU_DEP_1)
	v_lshlrev_b32_e32 v13, 2, v13
	s_waitcnt lgkmcnt(1)
	v_cmp_lt_f32_e64 s1, v8, v11
	v_cndmask_b32_e64 v8, v8, v11, s1
	s_waitcnt lgkmcnt(0)
	v_cmp_lt_f32_e64 s1, v9, v12
	ds_bpermute_b32 v11, v13, v8
	v_cndmask_b32_e64 v9, v9, v12, s1
	v_cmp_lt_i32_e64 s1, v14, v3
	ds_bpermute_b32 v12, v13, v9
	v_cndmask_b32_e64 v2, v2, v14, s1
	s_delay_alu instid0(VALU_DEP_1) | instskip(SKIP_2) | instid1(VALU_DEP_1)
	v_lshlrev_b32_e32 v14, 2, v2
	s_waitcnt lgkmcnt(1)
	v_cmp_lt_f32_e64 s1, v8, v11
	v_cndmask_b32_e64 v2, v8, v11, s1
	s_waitcnt lgkmcnt(0)
	v_cmp_lt_f32_e64 s1, v9, v12
	ds_bpermute_b32 v8, v14, v2
	v_cndmask_b32_e64 v3, v9, v12, s1
	ds_bpermute_b32 v9, v14, v3
	s_waitcnt lgkmcnt(1)
	v_cmp_lt_f32_e64 s1, v2, v8
	s_delay_alu instid0(VALU_DEP_1) | instskip(SKIP_2) | instid1(VALU_DEP_1)
	v_cndmask_b32_e64 v2, v2, v8, s1
	s_waitcnt lgkmcnt(0)
	v_cmp_lt_f32_e64 s1, v3, v9
	v_cndmask_b32_e64 v8, v3, v9, s1
	s_delay_alu instid0(VALU_DEP_1) | instskip(NEXT) | instid1(VALU_DEP_1)
	v_dual_sub_f32 v3, v6, v2 :: v_dual_sub_f32 v2, v5, v8
	v_mul_f32_e32 v5, 0x3fb8aa3b, v3
	v_cmp_ngt_f32_e64 s1, 0xc2ce8ed0, v3
	s_delay_alu instid0(VALU_DEP_3) | instskip(NEXT) | instid1(VALU_DEP_3)
	v_mul_f32_e32 v6, 0x3fb8aa3b, v2
	v_fma_f32 v8, 0x3fb8aa3b, v3, -v5
	v_rndne_f32_e32 v9, v5
	s_delay_alu instid0(VALU_DEP_3) | instskip(SKIP_1) | instid1(VALU_DEP_3)
	v_fma_f32 v11, 0x3fb8aa3b, v2, -v6
	v_rndne_f32_e32 v12, v6
	v_dual_sub_f32 v5, v5, v9 :: v_dual_fmac_f32 v8, 0x32a5705f, v3
	s_delay_alu instid0(VALU_DEP_2) | instskip(NEXT) | instid1(VALU_DEP_2)
	v_dual_fmac_f32 v11, 0x32a5705f, v2 :: v_dual_sub_f32 v6, v6, v12
	v_add_f32_e32 v5, v5, v8
	v_cvt_i32_f32_e32 v8, v9
	v_cvt_i32_f32_e32 v9, v12
	s_delay_alu instid0(VALU_DEP_4) | instskip(NEXT) | instid1(VALU_DEP_4)
	v_add_f32_e32 v6, v6, v11
	v_exp_f32_e32 v5, v5
	s_delay_alu instid0(VALU_DEP_1) | instskip(SKIP_3) | instid1(VALU_DEP_2)
	v_exp_f32_e32 v6, v6
	s_waitcnt_depctr 0xfff
	v_ldexp_f32 v5, v5, v8
	v_ldexp_f32 v6, v6, v9
	v_cndmask_b32_e64 v5, 0, v5, s1
	v_cmp_ngt_f32_e64 s1, 0xc2ce8ed0, v2
	s_delay_alu instid0(VALU_DEP_1) | instskip(SKIP_1) | instid1(VALU_DEP_1)
	v_cndmask_b32_e64 v6, 0, v6, s1
	v_cmp_nlt_f32_e64 s1, 0x42b17218, v3
	v_cndmask_b32_e64 v5, 0x7f800000, v5, s1
	v_cmp_nlt_f32_e64 s1, 0x42b17218, v2
	ds_bpermute_b32 v8, v7, v5
	v_cndmask_b32_e64 v6, 0x7f800000, v6, s1
	ds_bpermute_b32 v7, v7, v6
	s_waitcnt lgkmcnt(0)
	v_dual_add_f32 v5, v5, v8 :: v_dual_add_f32 v6, v6, v7
	ds_bpermute_b32 v7, v10, v5
	ds_bpermute_b32 v8, v10, v6
	s_waitcnt lgkmcnt(0)
	v_dual_add_f32 v5, v5, v7 :: v_dual_add_f32 v6, v6, v8
	ds_bpermute_b32 v7, v13, v5
	ds_bpermute_b32 v8, v13, v6
	s_waitcnt lgkmcnt(1)
	v_add_f32_e32 v7, v5, v7
	s_waitcnt lgkmcnt(0)
	v_add_f32_e32 v5, v6, v8
	ds_bpermute_b32 v8, v14, v7
	ds_bpermute_b32 v6, v14, v5
	s_and_saveexec_b32 s1, s0
	s_cbranch_execz .LBB78_10
; %bb.5:
	v_add_co_u32 v0, s0, s4, v0
	s_delay_alu instid0(VALU_DEP_1)
	v_add_co_ci_u32_e64 v1, s0, s5, v1, s0
	s_and_saveexec_b32 s2, vcc_lo
	s_cbranch_execz .LBB78_7
; %bb.6:
	s_waitcnt lgkmcnt(1)
	v_add_f32_e32 v7, v7, v8
	s_delay_alu instid0(VALU_DEP_1) | instskip(NEXT) | instid1(VALU_DEP_1)
	v_cmp_gt_f32_e64 s0, 0x800000, v7
	v_cndmask_b32_e64 v8, 1.0, 0x4f800000, s0
	s_delay_alu instid0(VALU_DEP_1) | instskip(NEXT) | instid1(VALU_DEP_1)
	v_mul_f32_e32 v7, v7, v8
	v_log_f32_e32 v7, v7
	s_waitcnt_depctr 0xfff
	v_mul_f32_e32 v8, 0x3f317217, v7
	v_cmp_gt_f32_e64 s1, 0x7f800000, |v7|
	s_delay_alu instid0(VALU_DEP_2) | instskip(NEXT) | instid1(VALU_DEP_1)
	v_fma_f32 v9, 0x3f317217, v7, -v8
	v_fmamk_f32 v9, v7, 0x3377d1cf, v9
	s_delay_alu instid0(VALU_DEP_1) | instskip(NEXT) | instid1(VALU_DEP_1)
	v_add_f32_e32 v8, v8, v9
	v_cndmask_b32_e64 v7, v7, v8, s1
	v_cndmask_b32_e64 v8, 0, 0x41b17218, s0
	s_delay_alu instid0(VALU_DEP_1) | instskip(NEXT) | instid1(VALU_DEP_1)
	v_sub_f32_e32 v7, v7, v8
	v_sub_f32_e32 v3, v3, v7
	s_delay_alu instid0(VALU_DEP_1)
	v_cvt_f16_f32_e32 v3, v3
	global_store_b16 v[0:1], v3, off
.LBB78_7:
	s_or_b32 exec_lo, exec_lo, s2
	v_cmp_ne_u32_e64 s0, 1, v4
	s_delay_alu instid0(VALU_DEP_1)
	s_and_b32 exec_lo, exec_lo, s0
	s_cbranch_execz .LBB78_10
; %bb.8:
	s_and_b32 exec_lo, exec_lo, vcc_lo
	s_cbranch_execz .LBB78_10
; %bb.9:
	s_waitcnt lgkmcnt(0)
	v_add_f32_e32 v3, v5, v6
	s_mov_b32 s11, 0
	s_delay_alu instid0(SALU_CYCLE_1) | instskip(NEXT) | instid1(VALU_DEP_1)
	s_lshl_b64 s[0:1], s[10:11], 1
	v_cmp_gt_f32_e32 vcc_lo, 0x800000, v3
	v_cndmask_b32_e64 v4, 1.0, 0x4f800000, vcc_lo
	s_delay_alu instid0(VALU_DEP_1) | instskip(NEXT) | instid1(VALU_DEP_1)
	v_mul_f32_e32 v3, v3, v4
	v_log_f32_e32 v3, v3
	s_waitcnt_depctr 0xfff
	v_mul_f32_e32 v4, 0x3f317217, v3
	s_delay_alu instid0(VALU_DEP_1) | instskip(NEXT) | instid1(VALU_DEP_1)
	v_fma_f32 v5, 0x3f317217, v3, -v4
	v_fmamk_f32 v5, v3, 0x3377d1cf, v5
	s_delay_alu instid0(VALU_DEP_1) | instskip(SKIP_2) | instid1(VALU_DEP_3)
	v_add_f32_e32 v4, v4, v5
	v_cndmask_b32_e64 v5, 0, 0x41b17218, vcc_lo
	v_cmp_gt_f32_e64 vcc_lo, 0x7f800000, |v3|
	v_cndmask_b32_e32 v3, v3, v4, vcc_lo
	v_add_co_u32 v0, vcc_lo, v0, s0
	v_add_co_ci_u32_e32 v1, vcc_lo, s1, v1, vcc_lo
	s_delay_alu instid0(VALU_DEP_3) | instskip(NEXT) | instid1(VALU_DEP_1)
	v_sub_f32_e32 v3, v3, v5
	v_sub_f32_e32 v2, v2, v3
	s_delay_alu instid0(VALU_DEP_1)
	v_cvt_f16_f32_e32 v2, v2
	global_store_b16 v[0:1], v2, off
.LBB78_10:
	s_nop 0
	s_sendmsg sendmsg(MSG_DEALLOC_VGPRS)
	s_endpgm
	.section	.rodata,"a",@progbits
	.p2align	6, 0x0
	.amdhsa_kernel _ZN12_GLOBAL__N_120softmax_warp_forwardIN3c104HalfES2_fLi4ELb1ELb0ELi64EEEvPT0_PKT_iiiPKbib
		.amdhsa_group_segment_fixed_size 0
		.amdhsa_private_segment_fixed_size 0
		.amdhsa_kernarg_size 304
		.amdhsa_user_sgpr_count 15
		.amdhsa_user_sgpr_dispatch_ptr 0
		.amdhsa_user_sgpr_queue_ptr 0
		.amdhsa_user_sgpr_kernarg_segment_ptr 1
		.amdhsa_user_sgpr_dispatch_id 0
		.amdhsa_user_sgpr_private_segment_size 0
		.amdhsa_wavefront_size32 1
		.amdhsa_uses_dynamic_stack 0
		.amdhsa_enable_private_segment 0
		.amdhsa_system_sgpr_workgroup_id_x 1
		.amdhsa_system_sgpr_workgroup_id_y 0
		.amdhsa_system_sgpr_workgroup_id_z 0
		.amdhsa_system_sgpr_workgroup_info 0
		.amdhsa_system_vgpr_workitem_id 1
		.amdhsa_next_free_vgpr 15
		.amdhsa_next_free_sgpr 16
		.amdhsa_reserve_vcc 1
		.amdhsa_float_round_mode_32 0
		.amdhsa_float_round_mode_16_64 0
		.amdhsa_float_denorm_mode_32 3
		.amdhsa_float_denorm_mode_16_64 3
		.amdhsa_dx10_clamp 1
		.amdhsa_ieee_mode 1
		.amdhsa_fp16_overflow 0
		.amdhsa_workgroup_processor_mode 1
		.amdhsa_memory_ordered 1
		.amdhsa_forward_progress 0
		.amdhsa_shared_vgpr_count 0
		.amdhsa_exception_fp_ieee_invalid_op 0
		.amdhsa_exception_fp_denorm_src 0
		.amdhsa_exception_fp_ieee_div_zero 0
		.amdhsa_exception_fp_ieee_overflow 0
		.amdhsa_exception_fp_ieee_underflow 0
		.amdhsa_exception_fp_ieee_inexact 0
		.amdhsa_exception_int_div_zero 0
	.end_amdhsa_kernel
	.section	.text._ZN12_GLOBAL__N_120softmax_warp_forwardIN3c104HalfES2_fLi4ELb1ELb0ELi64EEEvPT0_PKT_iiiPKbib,"axG",@progbits,_ZN12_GLOBAL__N_120softmax_warp_forwardIN3c104HalfES2_fLi4ELb1ELb0ELi64EEEvPT0_PKT_iiiPKbib,comdat
.Lfunc_end78:
	.size	_ZN12_GLOBAL__N_120softmax_warp_forwardIN3c104HalfES2_fLi4ELb1ELb0ELi64EEEvPT0_PKT_iiiPKbib, .Lfunc_end78-_ZN12_GLOBAL__N_120softmax_warp_forwardIN3c104HalfES2_fLi4ELb1ELb0ELi64EEEvPT0_PKT_iiiPKbib
                                        ; -- End function
	.section	.AMDGPU.csdata,"",@progbits
; Kernel info:
; codeLenInByte = 1352
; NumSgprs: 18
; NumVgprs: 15
; ScratchSize: 0
; MemoryBound: 0
; FloatMode: 240
; IeeeMode: 1
; LDSByteSize: 0 bytes/workgroup (compile time only)
; SGPRBlocks: 2
; VGPRBlocks: 1
; NumSGPRsForWavesPerEU: 18
; NumVGPRsForWavesPerEU: 15
; Occupancy: 16
; WaveLimiterHint : 0
; COMPUTE_PGM_RSRC2:SCRATCH_EN: 0
; COMPUTE_PGM_RSRC2:USER_SGPR: 15
; COMPUTE_PGM_RSRC2:TRAP_HANDLER: 0
; COMPUTE_PGM_RSRC2:TGID_X_EN: 1
; COMPUTE_PGM_RSRC2:TGID_Y_EN: 0
; COMPUTE_PGM_RSRC2:TGID_Z_EN: 0
; COMPUTE_PGM_RSRC2:TIDIG_COMP_CNT: 1
	.section	.text._ZN12_GLOBAL__N_120softmax_warp_forwardIN3c104HalfES2_fLi4ELb1ELb0ELi32EEEvPT0_PKT_iiiPKbib,"axG",@progbits,_ZN12_GLOBAL__N_120softmax_warp_forwardIN3c104HalfES2_fLi4ELb1ELb0ELi32EEEvPT0_PKT_iiiPKbib,comdat
	.globl	_ZN12_GLOBAL__N_120softmax_warp_forwardIN3c104HalfES2_fLi4ELb1ELb0ELi32EEEvPT0_PKT_iiiPKbib ; -- Begin function _ZN12_GLOBAL__N_120softmax_warp_forwardIN3c104HalfES2_fLi4ELb1ELb0ELi32EEEvPT0_PKT_iiiPKbib
	.p2align	8
	.type	_ZN12_GLOBAL__N_120softmax_warp_forwardIN3c104HalfES2_fLi4ELb1ELb0ELi32EEEvPT0_PKT_iiiPKbib,@function
_ZN12_GLOBAL__N_120softmax_warp_forwardIN3c104HalfES2_fLi4ELb1ELb0ELi32EEEvPT0_PKT_iiiPKbib: ; @_ZN12_GLOBAL__N_120softmax_warp_forwardIN3c104HalfES2_fLi4ELb1ELb0ELi32EEEvPT0_PKT_iiiPKbib
; %bb.0:
	s_clause 0x1
	s_load_b32 s2, s[0:1], 0x3c
	s_load_b256 s[4:11], s[0:1], 0x0
	v_bfe_u32 v1, v0, 10, 10
	v_and_b32_e32 v2, 0x3ff, v0
	v_dual_mov_b32 v5, 0xff800000 :: v_dual_mov_b32 v6, 0xff800000
	s_waitcnt lgkmcnt(0)
	s_lshr_b32 s0, s2, 16
	s_delay_alu instid0(VALU_DEP_2) | instskip(SKIP_1) | instid1(SALU_CYCLE_1)
	v_cmp_gt_i32_e32 vcc_lo, s10, v2
	s_mul_i32 s15, s15, s0
	v_add_lshl_u32 v3, s15, v1, 1
	s_delay_alu instid0(VALU_DEP_1) | instskip(SKIP_1) | instid1(VALU_DEP_1)
	v_mad_u64_u32 v[0:1], null, v3, s9, v[2:3]
	v_sub_nc_u32_e32 v4, s8, v3
	v_cmp_lt_i32_e64 s0, 0, v4
	s_delay_alu instid0(VALU_DEP_3) | instskip(NEXT) | instid1(VALU_DEP_2)
	v_ashrrev_i32_e32 v1, 31, v0
	s_and_b32 s2, vcc_lo, s0
	s_delay_alu instid0(VALU_DEP_1) | instskip(NEXT) | instid1(VALU_DEP_1)
	v_lshlrev_b64 v[0:1], 1, v[0:1]
	v_add_co_u32 v2, s1, s6, v0
	s_delay_alu instid0(VALU_DEP_1)
	v_add_co_ci_u32_e64 v3, s1, s7, v1, s1
	s_and_saveexec_b32 s1, s2
	s_cbranch_execz .LBB79_2
; %bb.1:
	global_load_u16 v6, v[2:3], off
	s_waitcnt vmcnt(0)
	v_cvt_f32_f16_e32 v6, v6
.LBB79_2:
	s_or_b32 exec_lo, exec_lo, s1
	v_cmp_lt_i32_e64 s1, 1, v4
	s_delay_alu instid0(VALU_DEP_1) | instskip(NEXT) | instid1(SALU_CYCLE_1)
	s_and_b32 s1, vcc_lo, s1
	s_and_saveexec_b32 s2, s1
	s_cbranch_execz .LBB79_4
; %bb.3:
	s_mov_b32 s11, 0
	s_delay_alu instid0(SALU_CYCLE_1) | instskip(NEXT) | instid1(SALU_CYCLE_1)
	s_lshl_b64 s[6:7], s[10:11], 1
	v_add_co_u32 v2, s1, v2, s6
	s_delay_alu instid0(VALU_DEP_1)
	v_add_co_ci_u32_e64 v3, s1, s7, v3, s1
	global_load_u16 v2, v[2:3], off
	s_waitcnt vmcnt(0)
	v_cvt_f32_f16_e32 v5, v2
.LBB79_4:
	s_or_b32 exec_lo, exec_lo, s2
	v_mbcnt_lo_u32_b32 v2, -1, 0
	s_delay_alu instid0(VALU_DEP_1)
	v_and_b32_e32 v3, 16, v2
	v_xor_b32_e32 v7, 8, v2
	v_xor_b32_e32 v10, 4, v2
	v_xor_b32_e32 v13, 2, v2
	v_xor_b32_e32 v14, 1, v2
	v_add_nc_u32_e32 v3, 16, v3
	s_delay_alu instid0(VALU_DEP_1) | instskip(NEXT) | instid1(VALU_DEP_1)
	v_cmp_lt_i32_e64 s1, v7, v3
	v_cndmask_b32_e64 v7, v2, v7, s1
	v_cmp_lt_i32_e64 s1, v10, v3
	s_delay_alu instid0(VALU_DEP_2) | instskip(NEXT) | instid1(VALU_DEP_2)
	v_lshlrev_b32_e32 v7, 2, v7
	v_cndmask_b32_e64 v10, v2, v10, s1
	ds_bpermute_b32 v8, v7, v6
	ds_bpermute_b32 v9, v7, v5
	v_lshlrev_b32_e32 v10, 2, v10
	s_waitcnt lgkmcnt(1)
	v_cmp_lt_f32_e64 s1, v6, v8
	s_delay_alu instid0(VALU_DEP_1)
	v_cndmask_b32_e64 v8, v6, v8, s1
	s_waitcnt lgkmcnt(0)
	v_cmp_lt_f32_e64 s1, v5, v9
	ds_bpermute_b32 v11, v10, v8
	v_cndmask_b32_e64 v9, v5, v9, s1
	v_cmp_lt_i32_e64 s1, v13, v3
	ds_bpermute_b32 v12, v10, v9
	v_cndmask_b32_e64 v13, v2, v13, s1
	s_delay_alu instid0(VALU_DEP_1) | instskip(SKIP_2) | instid1(VALU_DEP_1)
	v_lshlrev_b32_e32 v13, 2, v13
	s_waitcnt lgkmcnt(1)
	v_cmp_lt_f32_e64 s1, v8, v11
	v_cndmask_b32_e64 v8, v8, v11, s1
	s_waitcnt lgkmcnt(0)
	v_cmp_lt_f32_e64 s1, v9, v12
	ds_bpermute_b32 v11, v13, v8
	v_cndmask_b32_e64 v9, v9, v12, s1
	v_cmp_lt_i32_e64 s1, v14, v3
	ds_bpermute_b32 v12, v13, v9
	v_cndmask_b32_e64 v2, v2, v14, s1
	s_delay_alu instid0(VALU_DEP_1) | instskip(SKIP_2) | instid1(VALU_DEP_1)
	v_lshlrev_b32_e32 v14, 2, v2
	s_waitcnt lgkmcnt(1)
	v_cmp_lt_f32_e64 s1, v8, v11
	v_cndmask_b32_e64 v2, v8, v11, s1
	s_waitcnt lgkmcnt(0)
	v_cmp_lt_f32_e64 s1, v9, v12
	ds_bpermute_b32 v8, v14, v2
	v_cndmask_b32_e64 v3, v9, v12, s1
	ds_bpermute_b32 v9, v14, v3
	s_waitcnt lgkmcnt(1)
	v_cmp_lt_f32_e64 s1, v2, v8
	s_delay_alu instid0(VALU_DEP_1) | instskip(SKIP_2) | instid1(VALU_DEP_1)
	v_cndmask_b32_e64 v2, v2, v8, s1
	s_waitcnt lgkmcnt(0)
	v_cmp_lt_f32_e64 s1, v3, v9
	v_cndmask_b32_e64 v8, v3, v9, s1
	s_delay_alu instid0(VALU_DEP_1) | instskip(NEXT) | instid1(VALU_DEP_1)
	v_dual_sub_f32 v3, v6, v2 :: v_dual_sub_f32 v2, v5, v8
	v_mul_f32_e32 v5, 0x3fb8aa3b, v3
	v_cmp_ngt_f32_e64 s1, 0xc2ce8ed0, v3
	s_delay_alu instid0(VALU_DEP_3) | instskip(NEXT) | instid1(VALU_DEP_3)
	v_mul_f32_e32 v6, 0x3fb8aa3b, v2
	v_fma_f32 v8, 0x3fb8aa3b, v3, -v5
	v_rndne_f32_e32 v9, v5
	s_delay_alu instid0(VALU_DEP_3) | instskip(SKIP_1) | instid1(VALU_DEP_3)
	v_fma_f32 v11, 0x3fb8aa3b, v2, -v6
	v_rndne_f32_e32 v12, v6
	v_dual_sub_f32 v5, v5, v9 :: v_dual_fmac_f32 v8, 0x32a5705f, v3
	s_delay_alu instid0(VALU_DEP_2) | instskip(NEXT) | instid1(VALU_DEP_2)
	v_dual_fmac_f32 v11, 0x32a5705f, v2 :: v_dual_sub_f32 v6, v6, v12
	v_add_f32_e32 v5, v5, v8
	v_cvt_i32_f32_e32 v8, v9
	v_cvt_i32_f32_e32 v9, v12
	s_delay_alu instid0(VALU_DEP_4) | instskip(NEXT) | instid1(VALU_DEP_4)
	v_add_f32_e32 v6, v6, v11
	v_exp_f32_e32 v5, v5
	s_delay_alu instid0(VALU_DEP_1) | instskip(SKIP_3) | instid1(VALU_DEP_2)
	v_exp_f32_e32 v6, v6
	s_waitcnt_depctr 0xfff
	v_ldexp_f32 v5, v5, v8
	v_ldexp_f32 v6, v6, v9
	v_cndmask_b32_e64 v5, 0, v5, s1
	v_cmp_ngt_f32_e64 s1, 0xc2ce8ed0, v2
	s_delay_alu instid0(VALU_DEP_1) | instskip(SKIP_1) | instid1(VALU_DEP_1)
	v_cndmask_b32_e64 v6, 0, v6, s1
	v_cmp_nlt_f32_e64 s1, 0x42b17218, v3
	v_cndmask_b32_e64 v5, 0x7f800000, v5, s1
	v_cmp_nlt_f32_e64 s1, 0x42b17218, v2
	ds_bpermute_b32 v8, v7, v5
	v_cndmask_b32_e64 v6, 0x7f800000, v6, s1
	ds_bpermute_b32 v7, v7, v6
	s_waitcnt lgkmcnt(0)
	v_dual_add_f32 v5, v5, v8 :: v_dual_add_f32 v6, v6, v7
	ds_bpermute_b32 v7, v10, v5
	ds_bpermute_b32 v8, v10, v6
	s_waitcnt lgkmcnt(0)
	v_dual_add_f32 v5, v5, v7 :: v_dual_add_f32 v6, v6, v8
	ds_bpermute_b32 v7, v13, v5
	ds_bpermute_b32 v8, v13, v6
	s_waitcnt lgkmcnt(1)
	v_add_f32_e32 v7, v5, v7
	s_waitcnt lgkmcnt(0)
	v_add_f32_e32 v5, v6, v8
	ds_bpermute_b32 v8, v14, v7
	ds_bpermute_b32 v6, v14, v5
	s_and_saveexec_b32 s1, s0
	s_cbranch_execz .LBB79_10
; %bb.5:
	v_add_co_u32 v0, s0, s4, v0
	s_delay_alu instid0(VALU_DEP_1)
	v_add_co_ci_u32_e64 v1, s0, s5, v1, s0
	s_and_saveexec_b32 s2, vcc_lo
	s_cbranch_execz .LBB79_7
; %bb.6:
	s_waitcnt lgkmcnt(1)
	v_add_f32_e32 v7, v7, v8
	s_delay_alu instid0(VALU_DEP_1) | instskip(NEXT) | instid1(VALU_DEP_1)
	v_cmp_gt_f32_e64 s0, 0x800000, v7
	v_cndmask_b32_e64 v8, 1.0, 0x4f800000, s0
	s_delay_alu instid0(VALU_DEP_1) | instskip(NEXT) | instid1(VALU_DEP_1)
	v_mul_f32_e32 v7, v7, v8
	v_log_f32_e32 v7, v7
	s_waitcnt_depctr 0xfff
	v_mul_f32_e32 v8, 0x3f317217, v7
	v_cmp_gt_f32_e64 s1, 0x7f800000, |v7|
	s_delay_alu instid0(VALU_DEP_2) | instskip(NEXT) | instid1(VALU_DEP_1)
	v_fma_f32 v9, 0x3f317217, v7, -v8
	v_fmamk_f32 v9, v7, 0x3377d1cf, v9
	s_delay_alu instid0(VALU_DEP_1) | instskip(NEXT) | instid1(VALU_DEP_1)
	v_add_f32_e32 v8, v8, v9
	v_cndmask_b32_e64 v7, v7, v8, s1
	v_cndmask_b32_e64 v8, 0, 0x41b17218, s0
	s_delay_alu instid0(VALU_DEP_1) | instskip(NEXT) | instid1(VALU_DEP_1)
	v_sub_f32_e32 v7, v7, v8
	v_sub_f32_e32 v3, v3, v7
	s_delay_alu instid0(VALU_DEP_1)
	v_cvt_f16_f32_e32 v3, v3
	global_store_b16 v[0:1], v3, off
.LBB79_7:
	s_or_b32 exec_lo, exec_lo, s2
	v_cmp_ne_u32_e64 s0, 1, v4
	s_delay_alu instid0(VALU_DEP_1)
	s_and_b32 exec_lo, exec_lo, s0
	s_cbranch_execz .LBB79_10
; %bb.8:
	s_and_b32 exec_lo, exec_lo, vcc_lo
	s_cbranch_execz .LBB79_10
; %bb.9:
	s_waitcnt lgkmcnt(0)
	v_add_f32_e32 v3, v5, v6
	s_mov_b32 s11, 0
	s_delay_alu instid0(SALU_CYCLE_1) | instskip(NEXT) | instid1(VALU_DEP_1)
	s_lshl_b64 s[0:1], s[10:11], 1
	v_cmp_gt_f32_e32 vcc_lo, 0x800000, v3
	v_cndmask_b32_e64 v4, 1.0, 0x4f800000, vcc_lo
	s_delay_alu instid0(VALU_DEP_1) | instskip(NEXT) | instid1(VALU_DEP_1)
	v_mul_f32_e32 v3, v3, v4
	v_log_f32_e32 v3, v3
	s_waitcnt_depctr 0xfff
	v_mul_f32_e32 v4, 0x3f317217, v3
	s_delay_alu instid0(VALU_DEP_1) | instskip(NEXT) | instid1(VALU_DEP_1)
	v_fma_f32 v5, 0x3f317217, v3, -v4
	v_fmamk_f32 v5, v3, 0x3377d1cf, v5
	s_delay_alu instid0(VALU_DEP_1) | instskip(SKIP_2) | instid1(VALU_DEP_3)
	v_add_f32_e32 v4, v4, v5
	v_cndmask_b32_e64 v5, 0, 0x41b17218, vcc_lo
	v_cmp_gt_f32_e64 vcc_lo, 0x7f800000, |v3|
	v_cndmask_b32_e32 v3, v3, v4, vcc_lo
	v_add_co_u32 v0, vcc_lo, v0, s0
	v_add_co_ci_u32_e32 v1, vcc_lo, s1, v1, vcc_lo
	s_delay_alu instid0(VALU_DEP_3) | instskip(NEXT) | instid1(VALU_DEP_1)
	v_sub_f32_e32 v3, v3, v5
	v_sub_f32_e32 v2, v2, v3
	s_delay_alu instid0(VALU_DEP_1)
	v_cvt_f16_f32_e32 v2, v2
	global_store_b16 v[0:1], v2, off
.LBB79_10:
	s_nop 0
	s_sendmsg sendmsg(MSG_DEALLOC_VGPRS)
	s_endpgm
	.section	.rodata,"a",@progbits
	.p2align	6, 0x0
	.amdhsa_kernel _ZN12_GLOBAL__N_120softmax_warp_forwardIN3c104HalfES2_fLi4ELb1ELb0ELi32EEEvPT0_PKT_iiiPKbib
		.amdhsa_group_segment_fixed_size 0
		.amdhsa_private_segment_fixed_size 0
		.amdhsa_kernarg_size 304
		.amdhsa_user_sgpr_count 15
		.amdhsa_user_sgpr_dispatch_ptr 0
		.amdhsa_user_sgpr_queue_ptr 0
		.amdhsa_user_sgpr_kernarg_segment_ptr 1
		.amdhsa_user_sgpr_dispatch_id 0
		.amdhsa_user_sgpr_private_segment_size 0
		.amdhsa_wavefront_size32 1
		.amdhsa_uses_dynamic_stack 0
		.amdhsa_enable_private_segment 0
		.amdhsa_system_sgpr_workgroup_id_x 1
		.amdhsa_system_sgpr_workgroup_id_y 0
		.amdhsa_system_sgpr_workgroup_id_z 0
		.amdhsa_system_sgpr_workgroup_info 0
		.amdhsa_system_vgpr_workitem_id 1
		.amdhsa_next_free_vgpr 15
		.amdhsa_next_free_sgpr 16
		.amdhsa_reserve_vcc 1
		.amdhsa_float_round_mode_32 0
		.amdhsa_float_round_mode_16_64 0
		.amdhsa_float_denorm_mode_32 3
		.amdhsa_float_denorm_mode_16_64 3
		.amdhsa_dx10_clamp 1
		.amdhsa_ieee_mode 1
		.amdhsa_fp16_overflow 0
		.amdhsa_workgroup_processor_mode 1
		.amdhsa_memory_ordered 1
		.amdhsa_forward_progress 0
		.amdhsa_shared_vgpr_count 0
		.amdhsa_exception_fp_ieee_invalid_op 0
		.amdhsa_exception_fp_denorm_src 0
		.amdhsa_exception_fp_ieee_div_zero 0
		.amdhsa_exception_fp_ieee_overflow 0
		.amdhsa_exception_fp_ieee_underflow 0
		.amdhsa_exception_fp_ieee_inexact 0
		.amdhsa_exception_int_div_zero 0
	.end_amdhsa_kernel
	.section	.text._ZN12_GLOBAL__N_120softmax_warp_forwardIN3c104HalfES2_fLi4ELb1ELb0ELi32EEEvPT0_PKT_iiiPKbib,"axG",@progbits,_ZN12_GLOBAL__N_120softmax_warp_forwardIN3c104HalfES2_fLi4ELb1ELb0ELi32EEEvPT0_PKT_iiiPKbib,comdat
.Lfunc_end79:
	.size	_ZN12_GLOBAL__N_120softmax_warp_forwardIN3c104HalfES2_fLi4ELb1ELb0ELi32EEEvPT0_PKT_iiiPKbib, .Lfunc_end79-_ZN12_GLOBAL__N_120softmax_warp_forwardIN3c104HalfES2_fLi4ELb1ELb0ELi32EEEvPT0_PKT_iiiPKbib
                                        ; -- End function
	.section	.AMDGPU.csdata,"",@progbits
; Kernel info:
; codeLenInByte = 1352
; NumSgprs: 18
; NumVgprs: 15
; ScratchSize: 0
; MemoryBound: 0
; FloatMode: 240
; IeeeMode: 1
; LDSByteSize: 0 bytes/workgroup (compile time only)
; SGPRBlocks: 2
; VGPRBlocks: 1
; NumSGPRsForWavesPerEU: 18
; NumVGPRsForWavesPerEU: 15
; Occupancy: 16
; WaveLimiterHint : 0
; COMPUTE_PGM_RSRC2:SCRATCH_EN: 0
; COMPUTE_PGM_RSRC2:USER_SGPR: 15
; COMPUTE_PGM_RSRC2:TRAP_HANDLER: 0
; COMPUTE_PGM_RSRC2:TGID_X_EN: 1
; COMPUTE_PGM_RSRC2:TGID_Y_EN: 0
; COMPUTE_PGM_RSRC2:TGID_Z_EN: 0
; COMPUTE_PGM_RSRC2:TIDIG_COMP_CNT: 1
	.section	.text._ZN12_GLOBAL__N_120softmax_warp_forwardIN3c104HalfES2_fLi5ELb1ELb0ELi64EEEvPT0_PKT_iiiPKbib,"axG",@progbits,_ZN12_GLOBAL__N_120softmax_warp_forwardIN3c104HalfES2_fLi5ELb1ELb0ELi64EEEvPT0_PKT_iiiPKbib,comdat
	.globl	_ZN12_GLOBAL__N_120softmax_warp_forwardIN3c104HalfES2_fLi5ELb1ELb0ELi64EEEvPT0_PKT_iiiPKbib ; -- Begin function _ZN12_GLOBAL__N_120softmax_warp_forwardIN3c104HalfES2_fLi5ELb1ELb0ELi64EEEvPT0_PKT_iiiPKbib
	.p2align	8
	.type	_ZN12_GLOBAL__N_120softmax_warp_forwardIN3c104HalfES2_fLi5ELb1ELb0ELi64EEEvPT0_PKT_iiiPKbib,@function
_ZN12_GLOBAL__N_120softmax_warp_forwardIN3c104HalfES2_fLi5ELb1ELb0ELi64EEEvPT0_PKT_iiiPKbib: ; @_ZN12_GLOBAL__N_120softmax_warp_forwardIN3c104HalfES2_fLi5ELb1ELb0ELi64EEEvPT0_PKT_iiiPKbib
; %bb.0:
	s_clause 0x1
	s_load_b32 s2, s[0:1], 0x3c
	s_load_b256 s[4:11], s[0:1], 0x0
	v_bfe_u32 v1, v0, 10, 10
	v_and_b32_e32 v2, 0x3ff, v0
	v_dual_mov_b32 v5, 0xff800000 :: v_dual_mov_b32 v6, 0xff800000
	s_waitcnt lgkmcnt(0)
	s_lshr_b32 s0, s2, 16
	s_delay_alu instid0(VALU_DEP_2) | instskip(SKIP_1) | instid1(SALU_CYCLE_1)
	v_cmp_gt_i32_e32 vcc_lo, s10, v2
	s_mul_i32 s15, s15, s0
	v_add_lshl_u32 v3, s15, v1, 1
	s_delay_alu instid0(VALU_DEP_1) | instskip(SKIP_1) | instid1(VALU_DEP_1)
	v_mad_u64_u32 v[0:1], null, v3, s9, v[2:3]
	v_sub_nc_u32_e32 v4, s8, v3
	v_cmp_lt_i32_e64 s0, 0, v4
	s_delay_alu instid0(VALU_DEP_3) | instskip(NEXT) | instid1(VALU_DEP_2)
	v_ashrrev_i32_e32 v1, 31, v0
	s_and_b32 s2, vcc_lo, s0
	s_delay_alu instid0(VALU_DEP_1) | instskip(NEXT) | instid1(VALU_DEP_1)
	v_lshlrev_b64 v[0:1], 1, v[0:1]
	v_add_co_u32 v2, s1, s6, v0
	s_delay_alu instid0(VALU_DEP_1)
	v_add_co_ci_u32_e64 v3, s1, s7, v1, s1
	s_and_saveexec_b32 s1, s2
	s_cbranch_execz .LBB80_2
; %bb.1:
	global_load_u16 v6, v[2:3], off
	s_waitcnt vmcnt(0)
	v_cvt_f32_f16_e32 v6, v6
.LBB80_2:
	s_or_b32 exec_lo, exec_lo, s1
	v_cmp_lt_i32_e64 s1, 1, v4
	s_delay_alu instid0(VALU_DEP_1) | instskip(NEXT) | instid1(SALU_CYCLE_1)
	s_and_b32 s1, vcc_lo, s1
	s_and_saveexec_b32 s2, s1
	s_cbranch_execz .LBB80_4
; %bb.3:
	s_mov_b32 s11, 0
	s_delay_alu instid0(SALU_CYCLE_1) | instskip(NEXT) | instid1(SALU_CYCLE_1)
	s_lshl_b64 s[6:7], s[10:11], 1
	v_add_co_u32 v2, s1, v2, s6
	s_delay_alu instid0(VALU_DEP_1)
	v_add_co_ci_u32_e64 v3, s1, s7, v3, s1
	global_load_u16 v2, v[2:3], off
	s_waitcnt vmcnt(0)
	v_cvt_f32_f16_e32 v5, v2
.LBB80_4:
	s_or_b32 exec_lo, exec_lo, s2
	v_mbcnt_lo_u32_b32 v2, -1, 0
	s_delay_alu instid0(VALU_DEP_1)
	v_xor_b32_e32 v3, 16, v2
	v_xor_b32_e32 v9, 8, v2
	;; [unrolled: 1-line block ×5, first 2 shown]
	v_cmp_gt_i32_e64 s1, 32, v3
	s_delay_alu instid0(VALU_DEP_1) | instskip(SKIP_1) | instid1(VALU_DEP_2)
	v_cndmask_b32_e64 v3, v2, v3, s1
	v_cmp_gt_i32_e64 s1, 32, v9
	v_lshlrev_b32_e32 v7, 2, v3
	s_delay_alu instid0(VALU_DEP_2)
	v_cndmask_b32_e64 v9, v2, v9, s1
	ds_bpermute_b32 v3, v7, v6
	ds_bpermute_b32 v8, v7, v5
	v_lshlrev_b32_e32 v9, 2, v9
	s_waitcnt lgkmcnt(1)
	v_cmp_lt_f32_e64 s1, v6, v3
	s_delay_alu instid0(VALU_DEP_1)
	v_cndmask_b32_e64 v3, v6, v3, s1
	s_waitcnt lgkmcnt(0)
	v_cmp_lt_f32_e64 s1, v5, v8
	ds_bpermute_b32 v10, v9, v3
	v_cndmask_b32_e64 v8, v5, v8, s1
	v_cmp_gt_i32_e64 s1, 32, v12
	ds_bpermute_b32 v11, v9, v8
	v_cndmask_b32_e64 v12, v2, v12, s1
	s_delay_alu instid0(VALU_DEP_1) | instskip(SKIP_2) | instid1(VALU_DEP_1)
	v_lshlrev_b32_e32 v12, 2, v12
	s_waitcnt lgkmcnt(1)
	v_cmp_lt_f32_e64 s1, v3, v10
	v_cndmask_b32_e64 v3, v3, v10, s1
	s_waitcnt lgkmcnt(0)
	v_cmp_lt_f32_e64 s1, v8, v11
	ds_bpermute_b32 v10, v12, v3
	v_cndmask_b32_e64 v8, v8, v11, s1
	v_cmp_gt_i32_e64 s1, 32, v13
	ds_bpermute_b32 v11, v12, v8
	v_cndmask_b32_e64 v13, v2, v13, s1
	s_delay_alu instid0(VALU_DEP_1) | instskip(SKIP_2) | instid1(VALU_DEP_1)
	v_lshlrev_b32_e32 v13, 2, v13
	s_waitcnt lgkmcnt(1)
	v_cmp_lt_f32_e64 s1, v3, v10
	;; [unrolled: 12-line block ×3, first 2 shown]
	v_cndmask_b32_e64 v2, v3, v10, s1
	s_waitcnt lgkmcnt(0)
	v_cmp_lt_f32_e64 s1, v8, v11
	s_delay_alu instid0(VALU_DEP_1) | instskip(SKIP_4) | instid1(VALU_DEP_1)
	v_cndmask_b32_e64 v3, v8, v11, s1
	ds_bpermute_b32 v8, v14, v2
	ds_bpermute_b32 v10, v14, v3
	s_waitcnt lgkmcnt(1)
	v_cmp_lt_f32_e64 s1, v2, v8
	v_cndmask_b32_e64 v2, v2, v8, s1
	s_waitcnt lgkmcnt(0)
	v_cmp_lt_f32_e64 s1, v3, v10
	s_delay_alu instid0(VALU_DEP_1) | instskip(NEXT) | instid1(VALU_DEP_1)
	v_cndmask_b32_e64 v8, v3, v10, s1
	v_dual_sub_f32 v3, v6, v2 :: v_dual_sub_f32 v2, v5, v8
	s_delay_alu instid0(VALU_DEP_1) | instskip(SKIP_1) | instid1(VALU_DEP_3)
	v_mul_f32_e32 v5, 0x3fb8aa3b, v3
	v_cmp_ngt_f32_e64 s1, 0xc2ce8ed0, v3
	v_mul_f32_e32 v6, 0x3fb8aa3b, v2
	s_delay_alu instid0(VALU_DEP_3) | instskip(SKIP_1) | instid1(VALU_DEP_3)
	v_fma_f32 v8, 0x3fb8aa3b, v3, -v5
	v_rndne_f32_e32 v10, v5
	v_fma_f32 v11, 0x3fb8aa3b, v2, -v6
	v_rndne_f32_e32 v15, v6
	s_delay_alu instid0(VALU_DEP_3) | instskip(NEXT) | instid1(VALU_DEP_2)
	v_dual_fmac_f32 v8, 0x32a5705f, v3 :: v_dual_sub_f32 v5, v5, v10
	v_dual_fmac_f32 v11, 0x32a5705f, v2 :: v_dual_sub_f32 v6, v6, v15
	s_delay_alu instid0(VALU_DEP_2) | instskip(SKIP_2) | instid1(VALU_DEP_4)
	v_add_f32_e32 v5, v5, v8
	v_cvt_i32_f32_e32 v8, v10
	v_cvt_i32_f32_e32 v10, v15
	v_add_f32_e32 v6, v6, v11
	s_delay_alu instid0(VALU_DEP_4) | instskip(NEXT) | instid1(VALU_DEP_1)
	v_exp_f32_e32 v5, v5
	v_exp_f32_e32 v6, v6
	s_waitcnt_depctr 0xfff
	v_ldexp_f32 v5, v5, v8
	v_ldexp_f32 v6, v6, v10
	s_delay_alu instid0(VALU_DEP_2) | instskip(SKIP_1) | instid1(VALU_DEP_1)
	v_cndmask_b32_e64 v5, 0, v5, s1
	v_cmp_ngt_f32_e64 s1, 0xc2ce8ed0, v2
	v_cndmask_b32_e64 v6, 0, v6, s1
	v_cmp_nlt_f32_e64 s1, 0x42b17218, v3
	s_delay_alu instid0(VALU_DEP_1)
	v_cndmask_b32_e64 v5, 0x7f800000, v5, s1
	v_cmp_nlt_f32_e64 s1, 0x42b17218, v2
	ds_bpermute_b32 v8, v7, v5
	v_cndmask_b32_e64 v6, 0x7f800000, v6, s1
	ds_bpermute_b32 v7, v7, v6
	s_waitcnt lgkmcnt(0)
	v_dual_add_f32 v5, v5, v8 :: v_dual_add_f32 v6, v6, v7
	ds_bpermute_b32 v7, v9, v5
	ds_bpermute_b32 v8, v9, v6
	s_waitcnt lgkmcnt(0)
	v_dual_add_f32 v5, v5, v7 :: v_dual_add_f32 v6, v6, v8
	ds_bpermute_b32 v7, v12, v5
	ds_bpermute_b32 v8, v12, v6
	s_waitcnt lgkmcnt(0)
	v_dual_add_f32 v5, v5, v7 :: v_dual_add_f32 v6, v6, v8
	ds_bpermute_b32 v7, v13, v5
	ds_bpermute_b32 v8, v13, v6
	s_waitcnt lgkmcnt(1)
	v_add_f32_e32 v7, v5, v7
	s_waitcnt lgkmcnt(0)
	v_add_f32_e32 v5, v6, v8
	ds_bpermute_b32 v8, v14, v7
	ds_bpermute_b32 v6, v14, v5
	s_and_saveexec_b32 s1, s0
	s_cbranch_execz .LBB80_10
; %bb.5:
	v_add_co_u32 v0, s0, s4, v0
	s_delay_alu instid0(VALU_DEP_1)
	v_add_co_ci_u32_e64 v1, s0, s5, v1, s0
	s_and_saveexec_b32 s2, vcc_lo
	s_cbranch_execz .LBB80_7
; %bb.6:
	s_waitcnt lgkmcnt(1)
	v_add_f32_e32 v7, v7, v8
	s_delay_alu instid0(VALU_DEP_1) | instskip(NEXT) | instid1(VALU_DEP_1)
	v_cmp_gt_f32_e64 s0, 0x800000, v7
	v_cndmask_b32_e64 v8, 1.0, 0x4f800000, s0
	s_delay_alu instid0(VALU_DEP_1) | instskip(NEXT) | instid1(VALU_DEP_1)
	v_mul_f32_e32 v7, v7, v8
	v_log_f32_e32 v7, v7
	s_waitcnt_depctr 0xfff
	v_mul_f32_e32 v8, 0x3f317217, v7
	v_cmp_gt_f32_e64 s1, 0x7f800000, |v7|
	s_delay_alu instid0(VALU_DEP_2) | instskip(NEXT) | instid1(VALU_DEP_1)
	v_fma_f32 v9, 0x3f317217, v7, -v8
	v_fmamk_f32 v9, v7, 0x3377d1cf, v9
	s_delay_alu instid0(VALU_DEP_1) | instskip(NEXT) | instid1(VALU_DEP_1)
	v_add_f32_e32 v8, v8, v9
	v_cndmask_b32_e64 v7, v7, v8, s1
	v_cndmask_b32_e64 v8, 0, 0x41b17218, s0
	s_delay_alu instid0(VALU_DEP_1) | instskip(NEXT) | instid1(VALU_DEP_1)
	v_sub_f32_e32 v7, v7, v8
	v_sub_f32_e32 v3, v3, v7
	s_delay_alu instid0(VALU_DEP_1)
	v_cvt_f16_f32_e32 v3, v3
	global_store_b16 v[0:1], v3, off
.LBB80_7:
	s_or_b32 exec_lo, exec_lo, s2
	v_cmp_ne_u32_e64 s0, 1, v4
	s_delay_alu instid0(VALU_DEP_1)
	s_and_b32 exec_lo, exec_lo, s0
	s_cbranch_execz .LBB80_10
; %bb.8:
	s_and_b32 exec_lo, exec_lo, vcc_lo
	s_cbranch_execz .LBB80_10
; %bb.9:
	s_waitcnt lgkmcnt(0)
	v_add_f32_e32 v3, v5, v6
	s_mov_b32 s11, 0
	s_delay_alu instid0(SALU_CYCLE_1) | instskip(NEXT) | instid1(VALU_DEP_1)
	s_lshl_b64 s[0:1], s[10:11], 1
	v_cmp_gt_f32_e32 vcc_lo, 0x800000, v3
	v_cndmask_b32_e64 v4, 1.0, 0x4f800000, vcc_lo
	s_delay_alu instid0(VALU_DEP_1) | instskip(NEXT) | instid1(VALU_DEP_1)
	v_mul_f32_e32 v3, v3, v4
	v_log_f32_e32 v3, v3
	s_waitcnt_depctr 0xfff
	v_mul_f32_e32 v4, 0x3f317217, v3
	s_delay_alu instid0(VALU_DEP_1) | instskip(NEXT) | instid1(VALU_DEP_1)
	v_fma_f32 v5, 0x3f317217, v3, -v4
	v_fmamk_f32 v5, v3, 0x3377d1cf, v5
	s_delay_alu instid0(VALU_DEP_1) | instskip(SKIP_2) | instid1(VALU_DEP_3)
	v_add_f32_e32 v4, v4, v5
	v_cndmask_b32_e64 v5, 0, 0x41b17218, vcc_lo
	v_cmp_gt_f32_e64 vcc_lo, 0x7f800000, |v3|
	v_cndmask_b32_e32 v3, v3, v4, vcc_lo
	v_add_co_u32 v0, vcc_lo, v0, s0
	v_add_co_ci_u32_e32 v1, vcc_lo, s1, v1, vcc_lo
	s_delay_alu instid0(VALU_DEP_3) | instskip(NEXT) | instid1(VALU_DEP_1)
	v_sub_f32_e32 v3, v3, v5
	v_sub_f32_e32 v2, v2, v3
	s_delay_alu instid0(VALU_DEP_1)
	v_cvt_f16_f32_e32 v2, v2
	global_store_b16 v[0:1], v2, off
.LBB80_10:
	s_nop 0
	s_sendmsg sendmsg(MSG_DEALLOC_VGPRS)
	s_endpgm
	.section	.rodata,"a",@progbits
	.p2align	6, 0x0
	.amdhsa_kernel _ZN12_GLOBAL__N_120softmax_warp_forwardIN3c104HalfES2_fLi5ELb1ELb0ELi64EEEvPT0_PKT_iiiPKbib
		.amdhsa_group_segment_fixed_size 0
		.amdhsa_private_segment_fixed_size 0
		.amdhsa_kernarg_size 304
		.amdhsa_user_sgpr_count 15
		.amdhsa_user_sgpr_dispatch_ptr 0
		.amdhsa_user_sgpr_queue_ptr 0
		.amdhsa_user_sgpr_kernarg_segment_ptr 1
		.amdhsa_user_sgpr_dispatch_id 0
		.amdhsa_user_sgpr_private_segment_size 0
		.amdhsa_wavefront_size32 1
		.amdhsa_uses_dynamic_stack 0
		.amdhsa_enable_private_segment 0
		.amdhsa_system_sgpr_workgroup_id_x 1
		.amdhsa_system_sgpr_workgroup_id_y 0
		.amdhsa_system_sgpr_workgroup_id_z 0
		.amdhsa_system_sgpr_workgroup_info 0
		.amdhsa_system_vgpr_workitem_id 1
		.amdhsa_next_free_vgpr 16
		.amdhsa_next_free_sgpr 16
		.amdhsa_reserve_vcc 1
		.amdhsa_float_round_mode_32 0
		.amdhsa_float_round_mode_16_64 0
		.amdhsa_float_denorm_mode_32 3
		.amdhsa_float_denorm_mode_16_64 3
		.amdhsa_dx10_clamp 1
		.amdhsa_ieee_mode 1
		.amdhsa_fp16_overflow 0
		.amdhsa_workgroup_processor_mode 1
		.amdhsa_memory_ordered 1
		.amdhsa_forward_progress 0
		.amdhsa_shared_vgpr_count 0
		.amdhsa_exception_fp_ieee_invalid_op 0
		.amdhsa_exception_fp_denorm_src 0
		.amdhsa_exception_fp_ieee_div_zero 0
		.amdhsa_exception_fp_ieee_overflow 0
		.amdhsa_exception_fp_ieee_underflow 0
		.amdhsa_exception_fp_ieee_inexact 0
		.amdhsa_exception_int_div_zero 0
	.end_amdhsa_kernel
	.section	.text._ZN12_GLOBAL__N_120softmax_warp_forwardIN3c104HalfES2_fLi5ELb1ELb0ELi64EEEvPT0_PKT_iiiPKbib,"axG",@progbits,_ZN12_GLOBAL__N_120softmax_warp_forwardIN3c104HalfES2_fLi5ELb1ELb0ELi64EEEvPT0_PKT_iiiPKbib,comdat
.Lfunc_end80:
	.size	_ZN12_GLOBAL__N_120softmax_warp_forwardIN3c104HalfES2_fLi5ELb1ELb0ELi64EEEvPT0_PKT_iiiPKbib, .Lfunc_end80-_ZN12_GLOBAL__N_120softmax_warp_forwardIN3c104HalfES2_fLi5ELb1ELb0ELi64EEEvPT0_PKT_iiiPKbib
                                        ; -- End function
	.section	.AMDGPU.csdata,"",@progbits
; Kernel info:
; codeLenInByte = 1460
; NumSgprs: 18
; NumVgprs: 16
; ScratchSize: 0
; MemoryBound: 0
; FloatMode: 240
; IeeeMode: 1
; LDSByteSize: 0 bytes/workgroup (compile time only)
; SGPRBlocks: 2
; VGPRBlocks: 1
; NumSGPRsForWavesPerEU: 18
; NumVGPRsForWavesPerEU: 16
; Occupancy: 16
; WaveLimiterHint : 0
; COMPUTE_PGM_RSRC2:SCRATCH_EN: 0
; COMPUTE_PGM_RSRC2:USER_SGPR: 15
; COMPUTE_PGM_RSRC2:TRAP_HANDLER: 0
; COMPUTE_PGM_RSRC2:TGID_X_EN: 1
; COMPUTE_PGM_RSRC2:TGID_Y_EN: 0
; COMPUTE_PGM_RSRC2:TGID_Z_EN: 0
; COMPUTE_PGM_RSRC2:TIDIG_COMP_CNT: 1
	.section	.text._ZN12_GLOBAL__N_120softmax_warp_forwardIN3c104HalfES2_fLi5ELb1ELb0ELi32EEEvPT0_PKT_iiiPKbib,"axG",@progbits,_ZN12_GLOBAL__N_120softmax_warp_forwardIN3c104HalfES2_fLi5ELb1ELb0ELi32EEEvPT0_PKT_iiiPKbib,comdat
	.globl	_ZN12_GLOBAL__N_120softmax_warp_forwardIN3c104HalfES2_fLi5ELb1ELb0ELi32EEEvPT0_PKT_iiiPKbib ; -- Begin function _ZN12_GLOBAL__N_120softmax_warp_forwardIN3c104HalfES2_fLi5ELb1ELb0ELi32EEEvPT0_PKT_iiiPKbib
	.p2align	8
	.type	_ZN12_GLOBAL__N_120softmax_warp_forwardIN3c104HalfES2_fLi5ELb1ELb0ELi32EEEvPT0_PKT_iiiPKbib,@function
_ZN12_GLOBAL__N_120softmax_warp_forwardIN3c104HalfES2_fLi5ELb1ELb0ELi32EEEvPT0_PKT_iiiPKbib: ; @_ZN12_GLOBAL__N_120softmax_warp_forwardIN3c104HalfES2_fLi5ELb1ELb0ELi32EEEvPT0_PKT_iiiPKbib
; %bb.0:
	s_clause 0x1
	s_load_b32 s2, s[0:1], 0x3c
	s_load_b256 s[4:11], s[0:1], 0x0
	v_bfe_u32 v1, v0, 10, 10
	v_and_b32_e32 v2, 0x3ff, v0
	v_dual_mov_b32 v5, 0xff800000 :: v_dual_mov_b32 v6, 0xff800000
	s_waitcnt lgkmcnt(0)
	s_lshr_b32 s0, s2, 16
	s_delay_alu instid0(VALU_DEP_2) | instskip(SKIP_1) | instid1(SALU_CYCLE_1)
	v_cmp_gt_i32_e32 vcc_lo, s10, v2
	s_mul_i32 s15, s15, s0
	v_add_lshl_u32 v3, s15, v1, 1
	s_delay_alu instid0(VALU_DEP_1) | instskip(SKIP_1) | instid1(VALU_DEP_1)
	v_mad_u64_u32 v[0:1], null, v3, s9, v[2:3]
	v_sub_nc_u32_e32 v4, s8, v3
	v_cmp_lt_i32_e64 s0, 0, v4
	s_delay_alu instid0(VALU_DEP_3) | instskip(NEXT) | instid1(VALU_DEP_2)
	v_ashrrev_i32_e32 v1, 31, v0
	s_and_b32 s2, vcc_lo, s0
	s_delay_alu instid0(VALU_DEP_1) | instskip(NEXT) | instid1(VALU_DEP_1)
	v_lshlrev_b64 v[0:1], 1, v[0:1]
	v_add_co_u32 v2, s1, s6, v0
	s_delay_alu instid0(VALU_DEP_1)
	v_add_co_ci_u32_e64 v3, s1, s7, v1, s1
	s_and_saveexec_b32 s1, s2
	s_cbranch_execz .LBB81_2
; %bb.1:
	global_load_u16 v6, v[2:3], off
	s_waitcnt vmcnt(0)
	v_cvt_f32_f16_e32 v6, v6
.LBB81_2:
	s_or_b32 exec_lo, exec_lo, s1
	v_cmp_lt_i32_e64 s1, 1, v4
	s_delay_alu instid0(VALU_DEP_1) | instskip(NEXT) | instid1(SALU_CYCLE_1)
	s_and_b32 s1, vcc_lo, s1
	s_and_saveexec_b32 s2, s1
	s_cbranch_execz .LBB81_4
; %bb.3:
	s_mov_b32 s11, 0
	s_delay_alu instid0(SALU_CYCLE_1) | instskip(NEXT) | instid1(SALU_CYCLE_1)
	s_lshl_b64 s[6:7], s[10:11], 1
	v_add_co_u32 v2, s1, v2, s6
	s_delay_alu instid0(VALU_DEP_1)
	v_add_co_ci_u32_e64 v3, s1, s7, v3, s1
	global_load_u16 v2, v[2:3], off
	s_waitcnt vmcnt(0)
	v_cvt_f32_f16_e32 v5, v2
.LBB81_4:
	s_or_b32 exec_lo, exec_lo, s2
	v_mbcnt_lo_u32_b32 v2, -1, 0
	s_delay_alu instid0(VALU_DEP_1)
	v_xor_b32_e32 v3, 16, v2
	v_xor_b32_e32 v9, 8, v2
	;; [unrolled: 1-line block ×5, first 2 shown]
	v_cmp_gt_i32_e64 s1, 32, v3
	s_delay_alu instid0(VALU_DEP_1) | instskip(SKIP_1) | instid1(VALU_DEP_2)
	v_cndmask_b32_e64 v3, v2, v3, s1
	v_cmp_gt_i32_e64 s1, 32, v9
	v_lshlrev_b32_e32 v7, 2, v3
	s_delay_alu instid0(VALU_DEP_2)
	v_cndmask_b32_e64 v9, v2, v9, s1
	ds_bpermute_b32 v3, v7, v6
	ds_bpermute_b32 v8, v7, v5
	v_lshlrev_b32_e32 v9, 2, v9
	s_waitcnt lgkmcnt(1)
	v_cmp_lt_f32_e64 s1, v6, v3
	s_delay_alu instid0(VALU_DEP_1)
	v_cndmask_b32_e64 v3, v6, v3, s1
	s_waitcnt lgkmcnt(0)
	v_cmp_lt_f32_e64 s1, v5, v8
	ds_bpermute_b32 v10, v9, v3
	v_cndmask_b32_e64 v8, v5, v8, s1
	v_cmp_gt_i32_e64 s1, 32, v12
	ds_bpermute_b32 v11, v9, v8
	v_cndmask_b32_e64 v12, v2, v12, s1
	s_delay_alu instid0(VALU_DEP_1) | instskip(SKIP_2) | instid1(VALU_DEP_1)
	v_lshlrev_b32_e32 v12, 2, v12
	s_waitcnt lgkmcnt(1)
	v_cmp_lt_f32_e64 s1, v3, v10
	v_cndmask_b32_e64 v3, v3, v10, s1
	s_waitcnt lgkmcnt(0)
	v_cmp_lt_f32_e64 s1, v8, v11
	ds_bpermute_b32 v10, v12, v3
	v_cndmask_b32_e64 v8, v8, v11, s1
	v_cmp_gt_i32_e64 s1, 32, v13
	ds_bpermute_b32 v11, v12, v8
	v_cndmask_b32_e64 v13, v2, v13, s1
	s_delay_alu instid0(VALU_DEP_1) | instskip(SKIP_2) | instid1(VALU_DEP_1)
	v_lshlrev_b32_e32 v13, 2, v13
	s_waitcnt lgkmcnt(1)
	v_cmp_lt_f32_e64 s1, v3, v10
	;; [unrolled: 12-line block ×3, first 2 shown]
	v_cndmask_b32_e64 v2, v3, v10, s1
	s_waitcnt lgkmcnt(0)
	v_cmp_lt_f32_e64 s1, v8, v11
	s_delay_alu instid0(VALU_DEP_1) | instskip(SKIP_4) | instid1(VALU_DEP_1)
	v_cndmask_b32_e64 v3, v8, v11, s1
	ds_bpermute_b32 v8, v14, v2
	ds_bpermute_b32 v10, v14, v3
	s_waitcnt lgkmcnt(1)
	v_cmp_lt_f32_e64 s1, v2, v8
	v_cndmask_b32_e64 v2, v2, v8, s1
	s_waitcnt lgkmcnt(0)
	v_cmp_lt_f32_e64 s1, v3, v10
	s_delay_alu instid0(VALU_DEP_1) | instskip(NEXT) | instid1(VALU_DEP_1)
	v_cndmask_b32_e64 v8, v3, v10, s1
	v_dual_sub_f32 v3, v6, v2 :: v_dual_sub_f32 v2, v5, v8
	s_delay_alu instid0(VALU_DEP_1) | instskip(SKIP_1) | instid1(VALU_DEP_3)
	v_mul_f32_e32 v5, 0x3fb8aa3b, v3
	v_cmp_ngt_f32_e64 s1, 0xc2ce8ed0, v3
	v_mul_f32_e32 v6, 0x3fb8aa3b, v2
	s_delay_alu instid0(VALU_DEP_3) | instskip(SKIP_1) | instid1(VALU_DEP_3)
	v_fma_f32 v8, 0x3fb8aa3b, v3, -v5
	v_rndne_f32_e32 v10, v5
	v_fma_f32 v11, 0x3fb8aa3b, v2, -v6
	v_rndne_f32_e32 v15, v6
	s_delay_alu instid0(VALU_DEP_3) | instskip(NEXT) | instid1(VALU_DEP_2)
	v_dual_fmac_f32 v8, 0x32a5705f, v3 :: v_dual_sub_f32 v5, v5, v10
	v_dual_fmac_f32 v11, 0x32a5705f, v2 :: v_dual_sub_f32 v6, v6, v15
	s_delay_alu instid0(VALU_DEP_2) | instskip(SKIP_2) | instid1(VALU_DEP_4)
	v_add_f32_e32 v5, v5, v8
	v_cvt_i32_f32_e32 v8, v10
	v_cvt_i32_f32_e32 v10, v15
	v_add_f32_e32 v6, v6, v11
	s_delay_alu instid0(VALU_DEP_4) | instskip(NEXT) | instid1(VALU_DEP_1)
	v_exp_f32_e32 v5, v5
	v_exp_f32_e32 v6, v6
	s_waitcnt_depctr 0xfff
	v_ldexp_f32 v5, v5, v8
	v_ldexp_f32 v6, v6, v10
	s_delay_alu instid0(VALU_DEP_2) | instskip(SKIP_1) | instid1(VALU_DEP_1)
	v_cndmask_b32_e64 v5, 0, v5, s1
	v_cmp_ngt_f32_e64 s1, 0xc2ce8ed0, v2
	v_cndmask_b32_e64 v6, 0, v6, s1
	v_cmp_nlt_f32_e64 s1, 0x42b17218, v3
	s_delay_alu instid0(VALU_DEP_1)
	v_cndmask_b32_e64 v5, 0x7f800000, v5, s1
	v_cmp_nlt_f32_e64 s1, 0x42b17218, v2
	ds_bpermute_b32 v8, v7, v5
	v_cndmask_b32_e64 v6, 0x7f800000, v6, s1
	ds_bpermute_b32 v7, v7, v6
	s_waitcnt lgkmcnt(0)
	v_dual_add_f32 v5, v5, v8 :: v_dual_add_f32 v6, v6, v7
	ds_bpermute_b32 v7, v9, v5
	ds_bpermute_b32 v8, v9, v6
	s_waitcnt lgkmcnt(0)
	v_dual_add_f32 v5, v5, v7 :: v_dual_add_f32 v6, v6, v8
	ds_bpermute_b32 v7, v12, v5
	;; [unrolled: 4-line block ×3, first 2 shown]
	ds_bpermute_b32 v8, v13, v6
	s_waitcnt lgkmcnt(1)
	v_add_f32_e32 v7, v5, v7
	s_waitcnt lgkmcnt(0)
	v_add_f32_e32 v5, v6, v8
	ds_bpermute_b32 v8, v14, v7
	ds_bpermute_b32 v6, v14, v5
	s_and_saveexec_b32 s1, s0
	s_cbranch_execz .LBB81_10
; %bb.5:
	v_add_co_u32 v0, s0, s4, v0
	s_delay_alu instid0(VALU_DEP_1)
	v_add_co_ci_u32_e64 v1, s0, s5, v1, s0
	s_and_saveexec_b32 s2, vcc_lo
	s_cbranch_execz .LBB81_7
; %bb.6:
	s_waitcnt lgkmcnt(1)
	v_add_f32_e32 v7, v7, v8
	s_delay_alu instid0(VALU_DEP_1) | instskip(NEXT) | instid1(VALU_DEP_1)
	v_cmp_gt_f32_e64 s0, 0x800000, v7
	v_cndmask_b32_e64 v8, 1.0, 0x4f800000, s0
	s_delay_alu instid0(VALU_DEP_1) | instskip(NEXT) | instid1(VALU_DEP_1)
	v_mul_f32_e32 v7, v7, v8
	v_log_f32_e32 v7, v7
	s_waitcnt_depctr 0xfff
	v_mul_f32_e32 v8, 0x3f317217, v7
	v_cmp_gt_f32_e64 s1, 0x7f800000, |v7|
	s_delay_alu instid0(VALU_DEP_2) | instskip(NEXT) | instid1(VALU_DEP_1)
	v_fma_f32 v9, 0x3f317217, v7, -v8
	v_fmamk_f32 v9, v7, 0x3377d1cf, v9
	s_delay_alu instid0(VALU_DEP_1) | instskip(NEXT) | instid1(VALU_DEP_1)
	v_add_f32_e32 v8, v8, v9
	v_cndmask_b32_e64 v7, v7, v8, s1
	v_cndmask_b32_e64 v8, 0, 0x41b17218, s0
	s_delay_alu instid0(VALU_DEP_1) | instskip(NEXT) | instid1(VALU_DEP_1)
	v_sub_f32_e32 v7, v7, v8
	v_sub_f32_e32 v3, v3, v7
	s_delay_alu instid0(VALU_DEP_1)
	v_cvt_f16_f32_e32 v3, v3
	global_store_b16 v[0:1], v3, off
.LBB81_7:
	s_or_b32 exec_lo, exec_lo, s2
	v_cmp_ne_u32_e64 s0, 1, v4
	s_delay_alu instid0(VALU_DEP_1)
	s_and_b32 exec_lo, exec_lo, s0
	s_cbranch_execz .LBB81_10
; %bb.8:
	s_and_b32 exec_lo, exec_lo, vcc_lo
	s_cbranch_execz .LBB81_10
; %bb.9:
	s_waitcnt lgkmcnt(0)
	v_add_f32_e32 v3, v5, v6
	s_mov_b32 s11, 0
	s_delay_alu instid0(SALU_CYCLE_1) | instskip(NEXT) | instid1(VALU_DEP_1)
	s_lshl_b64 s[0:1], s[10:11], 1
	v_cmp_gt_f32_e32 vcc_lo, 0x800000, v3
	v_cndmask_b32_e64 v4, 1.0, 0x4f800000, vcc_lo
	s_delay_alu instid0(VALU_DEP_1) | instskip(NEXT) | instid1(VALU_DEP_1)
	v_mul_f32_e32 v3, v3, v4
	v_log_f32_e32 v3, v3
	s_waitcnt_depctr 0xfff
	v_mul_f32_e32 v4, 0x3f317217, v3
	s_delay_alu instid0(VALU_DEP_1) | instskip(NEXT) | instid1(VALU_DEP_1)
	v_fma_f32 v5, 0x3f317217, v3, -v4
	v_fmamk_f32 v5, v3, 0x3377d1cf, v5
	s_delay_alu instid0(VALU_DEP_1) | instskip(SKIP_2) | instid1(VALU_DEP_3)
	v_add_f32_e32 v4, v4, v5
	v_cndmask_b32_e64 v5, 0, 0x41b17218, vcc_lo
	v_cmp_gt_f32_e64 vcc_lo, 0x7f800000, |v3|
	v_cndmask_b32_e32 v3, v3, v4, vcc_lo
	v_add_co_u32 v0, vcc_lo, v0, s0
	v_add_co_ci_u32_e32 v1, vcc_lo, s1, v1, vcc_lo
	s_delay_alu instid0(VALU_DEP_3) | instskip(NEXT) | instid1(VALU_DEP_1)
	v_sub_f32_e32 v3, v3, v5
	v_sub_f32_e32 v2, v2, v3
	s_delay_alu instid0(VALU_DEP_1)
	v_cvt_f16_f32_e32 v2, v2
	global_store_b16 v[0:1], v2, off
.LBB81_10:
	s_nop 0
	s_sendmsg sendmsg(MSG_DEALLOC_VGPRS)
	s_endpgm
	.section	.rodata,"a",@progbits
	.p2align	6, 0x0
	.amdhsa_kernel _ZN12_GLOBAL__N_120softmax_warp_forwardIN3c104HalfES2_fLi5ELb1ELb0ELi32EEEvPT0_PKT_iiiPKbib
		.amdhsa_group_segment_fixed_size 0
		.amdhsa_private_segment_fixed_size 0
		.amdhsa_kernarg_size 304
		.amdhsa_user_sgpr_count 15
		.amdhsa_user_sgpr_dispatch_ptr 0
		.amdhsa_user_sgpr_queue_ptr 0
		.amdhsa_user_sgpr_kernarg_segment_ptr 1
		.amdhsa_user_sgpr_dispatch_id 0
		.amdhsa_user_sgpr_private_segment_size 0
		.amdhsa_wavefront_size32 1
		.amdhsa_uses_dynamic_stack 0
		.amdhsa_enable_private_segment 0
		.amdhsa_system_sgpr_workgroup_id_x 1
		.amdhsa_system_sgpr_workgroup_id_y 0
		.amdhsa_system_sgpr_workgroup_id_z 0
		.amdhsa_system_sgpr_workgroup_info 0
		.amdhsa_system_vgpr_workitem_id 1
		.amdhsa_next_free_vgpr 16
		.amdhsa_next_free_sgpr 16
		.amdhsa_reserve_vcc 1
		.amdhsa_float_round_mode_32 0
		.amdhsa_float_round_mode_16_64 0
		.amdhsa_float_denorm_mode_32 3
		.amdhsa_float_denorm_mode_16_64 3
		.amdhsa_dx10_clamp 1
		.amdhsa_ieee_mode 1
		.amdhsa_fp16_overflow 0
		.amdhsa_workgroup_processor_mode 1
		.amdhsa_memory_ordered 1
		.amdhsa_forward_progress 0
		.amdhsa_shared_vgpr_count 0
		.amdhsa_exception_fp_ieee_invalid_op 0
		.amdhsa_exception_fp_denorm_src 0
		.amdhsa_exception_fp_ieee_div_zero 0
		.amdhsa_exception_fp_ieee_overflow 0
		.amdhsa_exception_fp_ieee_underflow 0
		.amdhsa_exception_fp_ieee_inexact 0
		.amdhsa_exception_int_div_zero 0
	.end_amdhsa_kernel
	.section	.text._ZN12_GLOBAL__N_120softmax_warp_forwardIN3c104HalfES2_fLi5ELb1ELb0ELi32EEEvPT0_PKT_iiiPKbib,"axG",@progbits,_ZN12_GLOBAL__N_120softmax_warp_forwardIN3c104HalfES2_fLi5ELb1ELb0ELi32EEEvPT0_PKT_iiiPKbib,comdat
.Lfunc_end81:
	.size	_ZN12_GLOBAL__N_120softmax_warp_forwardIN3c104HalfES2_fLi5ELb1ELb0ELi32EEEvPT0_PKT_iiiPKbib, .Lfunc_end81-_ZN12_GLOBAL__N_120softmax_warp_forwardIN3c104HalfES2_fLi5ELb1ELb0ELi32EEEvPT0_PKT_iiiPKbib
                                        ; -- End function
	.section	.AMDGPU.csdata,"",@progbits
; Kernel info:
; codeLenInByte = 1460
; NumSgprs: 18
; NumVgprs: 16
; ScratchSize: 0
; MemoryBound: 0
; FloatMode: 240
; IeeeMode: 1
; LDSByteSize: 0 bytes/workgroup (compile time only)
; SGPRBlocks: 2
; VGPRBlocks: 1
; NumSGPRsForWavesPerEU: 18
; NumVGPRsForWavesPerEU: 16
; Occupancy: 16
; WaveLimiterHint : 0
; COMPUTE_PGM_RSRC2:SCRATCH_EN: 0
; COMPUTE_PGM_RSRC2:USER_SGPR: 15
; COMPUTE_PGM_RSRC2:TRAP_HANDLER: 0
; COMPUTE_PGM_RSRC2:TGID_X_EN: 1
; COMPUTE_PGM_RSRC2:TGID_Y_EN: 0
; COMPUTE_PGM_RSRC2:TGID_Z_EN: 0
; COMPUTE_PGM_RSRC2:TIDIG_COMP_CNT: 1
	.section	.text._ZN12_GLOBAL__N_120softmax_warp_forwardIN3c104HalfES2_fLi6ELb1ELb0ELi64EEEvPT0_PKT_iiiPKbib,"axG",@progbits,_ZN12_GLOBAL__N_120softmax_warp_forwardIN3c104HalfES2_fLi6ELb1ELb0ELi64EEEvPT0_PKT_iiiPKbib,comdat
	.globl	_ZN12_GLOBAL__N_120softmax_warp_forwardIN3c104HalfES2_fLi6ELb1ELb0ELi64EEEvPT0_PKT_iiiPKbib ; -- Begin function _ZN12_GLOBAL__N_120softmax_warp_forwardIN3c104HalfES2_fLi6ELb1ELb0ELi64EEEvPT0_PKT_iiiPKbib
	.p2align	8
	.type	_ZN12_GLOBAL__N_120softmax_warp_forwardIN3c104HalfES2_fLi6ELb1ELb0ELi64EEEvPT0_PKT_iiiPKbib,@function
_ZN12_GLOBAL__N_120softmax_warp_forwardIN3c104HalfES2_fLi6ELb1ELb0ELi64EEEvPT0_PKT_iiiPKbib: ; @_ZN12_GLOBAL__N_120softmax_warp_forwardIN3c104HalfES2_fLi6ELb1ELb0ELi64EEEvPT0_PKT_iiiPKbib
; %bb.0:
	s_clause 0x1
	s_load_b32 s2, s[0:1], 0x3c
	s_load_b256 s[4:11], s[0:1], 0x0
	v_bfe_u32 v1, v0, 10, 10
	v_and_b32_e32 v2, 0x3ff, v0
	v_dual_mov_b32 v5, 0xff800000 :: v_dual_mov_b32 v6, 0xff800000
	s_waitcnt lgkmcnt(0)
	s_lshr_b32 s0, s2, 16
	s_delay_alu instid0(VALU_DEP_2) | instskip(SKIP_1) | instid1(SALU_CYCLE_1)
	v_cmp_gt_i32_e32 vcc_lo, s10, v2
	s_mul_i32 s15, s15, s0
	v_add_lshl_u32 v3, s15, v1, 1
	s_delay_alu instid0(VALU_DEP_1) | instskip(SKIP_1) | instid1(VALU_DEP_1)
	v_mad_u64_u32 v[0:1], null, v3, s9, v[2:3]
	v_sub_nc_u32_e32 v4, s8, v3
	v_cmp_lt_i32_e64 s0, 0, v4
	s_delay_alu instid0(VALU_DEP_3) | instskip(NEXT) | instid1(VALU_DEP_2)
	v_ashrrev_i32_e32 v1, 31, v0
	s_and_b32 s2, vcc_lo, s0
	s_delay_alu instid0(VALU_DEP_1) | instskip(NEXT) | instid1(VALU_DEP_1)
	v_lshlrev_b64 v[0:1], 1, v[0:1]
	v_add_co_u32 v2, s1, s6, v0
	s_delay_alu instid0(VALU_DEP_1)
	v_add_co_ci_u32_e64 v3, s1, s7, v1, s1
	s_and_saveexec_b32 s1, s2
	s_cbranch_execz .LBB82_2
; %bb.1:
	global_load_u16 v6, v[2:3], off
	s_waitcnt vmcnt(0)
	v_cvt_f32_f16_e32 v6, v6
.LBB82_2:
	s_or_b32 exec_lo, exec_lo, s1
	v_cmp_lt_i32_e64 s1, 1, v4
	s_delay_alu instid0(VALU_DEP_1) | instskip(NEXT) | instid1(SALU_CYCLE_1)
	s_and_b32 s1, vcc_lo, s1
	s_and_saveexec_b32 s2, s1
	s_cbranch_execz .LBB82_4
; %bb.3:
	s_mov_b32 s11, 0
	s_delay_alu instid0(SALU_CYCLE_1) | instskip(NEXT) | instid1(SALU_CYCLE_1)
	s_lshl_b64 s[6:7], s[10:11], 1
	v_add_co_u32 v2, s1, v2, s6
	s_delay_alu instid0(VALU_DEP_1)
	v_add_co_ci_u32_e64 v3, s1, s7, v3, s1
	global_load_u16 v2, v[2:3], off
	s_waitcnt vmcnt(0)
	v_cvt_f32_f16_e32 v5, v2
.LBB82_4:
	s_or_b32 exec_lo, exec_lo, s2
	v_mbcnt_lo_u32_b32 v2, -1, 0
	s_delay_alu instid0(VALU_DEP_1)
	v_or_b32_e32 v3, 32, v2
	v_xor_b32_e32 v9, 16, v2
	v_xor_b32_e32 v12, 8, v2
	;; [unrolled: 1-line block ×4, first 2 shown]
	v_cmp_gt_i32_e64 s1, 64, v3
	v_xor_b32_e32 v15, 1, v2
	s_delay_alu instid0(VALU_DEP_2) | instskip(SKIP_1) | instid1(VALU_DEP_2)
	v_cndmask_b32_e64 v3, v2, v3, s1
	v_cmp_gt_i32_e64 s1, 64, v9
	v_lshlrev_b32_e32 v7, 2, v3
	s_delay_alu instid0(VALU_DEP_2)
	v_cndmask_b32_e64 v9, v2, v9, s1
	ds_bpermute_b32 v3, v7, v6
	ds_bpermute_b32 v8, v7, v5
	v_lshlrev_b32_e32 v9, 2, v9
	s_waitcnt lgkmcnt(1)
	v_cmp_lt_f32_e64 s1, v6, v3
	s_delay_alu instid0(VALU_DEP_1)
	v_cndmask_b32_e64 v3, v6, v3, s1
	s_waitcnt lgkmcnt(0)
	v_cmp_lt_f32_e64 s1, v5, v8
	ds_bpermute_b32 v10, v9, v3
	v_cndmask_b32_e64 v8, v5, v8, s1
	v_cmp_gt_i32_e64 s1, 64, v12
	ds_bpermute_b32 v11, v9, v8
	v_cndmask_b32_e64 v12, v2, v12, s1
	s_delay_alu instid0(VALU_DEP_1) | instskip(SKIP_2) | instid1(VALU_DEP_1)
	v_lshlrev_b32_e32 v12, 2, v12
	s_waitcnt lgkmcnt(1)
	v_cmp_lt_f32_e64 s1, v3, v10
	v_cndmask_b32_e64 v3, v3, v10, s1
	s_waitcnt lgkmcnt(0)
	v_cmp_lt_f32_e64 s1, v8, v11
	ds_bpermute_b32 v10, v12, v3
	v_cndmask_b32_e64 v8, v8, v11, s1
	v_cmp_gt_i32_e64 s1, 64, v13
	ds_bpermute_b32 v11, v12, v8
	v_cndmask_b32_e64 v13, v2, v13, s1
	s_delay_alu instid0(VALU_DEP_1) | instskip(SKIP_2) | instid1(VALU_DEP_1)
	v_lshlrev_b32_e32 v13, 2, v13
	s_waitcnt lgkmcnt(1)
	v_cmp_lt_f32_e64 s1, v3, v10
	;; [unrolled: 12-line block ×4, first 2 shown]
	v_cndmask_b32_e64 v2, v3, v10, s1
	s_waitcnt lgkmcnt(0)
	v_cmp_lt_f32_e64 s1, v8, v11
	s_delay_alu instid0(VALU_DEP_1) | instskip(SKIP_4) | instid1(VALU_DEP_1)
	v_cndmask_b32_e64 v3, v8, v11, s1
	ds_bpermute_b32 v8, v15, v2
	ds_bpermute_b32 v10, v15, v3
	s_waitcnt lgkmcnt(1)
	v_cmp_lt_f32_e64 s1, v2, v8
	v_cndmask_b32_e64 v2, v2, v8, s1
	s_waitcnt lgkmcnt(0)
	v_cmp_lt_f32_e64 s1, v3, v10
	s_delay_alu instid0(VALU_DEP_1) | instskip(NEXT) | instid1(VALU_DEP_1)
	v_cndmask_b32_e64 v8, v3, v10, s1
	v_dual_sub_f32 v3, v6, v2 :: v_dual_sub_f32 v2, v5, v8
	s_delay_alu instid0(VALU_DEP_1) | instskip(SKIP_1) | instid1(VALU_DEP_3)
	v_mul_f32_e32 v5, 0x3fb8aa3b, v3
	v_cmp_ngt_f32_e64 s1, 0xc2ce8ed0, v3
	v_mul_f32_e32 v6, 0x3fb8aa3b, v2
	s_delay_alu instid0(VALU_DEP_3) | instskip(SKIP_1) | instid1(VALU_DEP_3)
	v_fma_f32 v8, 0x3fb8aa3b, v3, -v5
	v_rndne_f32_e32 v10, v5
	v_fma_f32 v11, 0x3fb8aa3b, v2, -v6
	v_rndne_f32_e32 v16, v6
	s_delay_alu instid0(VALU_DEP_2) | instskip(NEXT) | instid1(VALU_DEP_2)
	v_dual_fmac_f32 v8, 0x32a5705f, v3 :: v_dual_fmac_f32 v11, 0x32a5705f, v2
	v_dual_sub_f32 v6, v6, v16 :: v_dual_sub_f32 v5, v5, v10
	s_delay_alu instid0(VALU_DEP_1) | instskip(SKIP_2) | instid1(VALU_DEP_3)
	v_dual_add_f32 v6, v6, v11 :: v_dual_add_f32 v5, v5, v8
	v_cvt_i32_f32_e32 v8, v10
	v_cvt_i32_f32_e32 v10, v16
	v_exp_f32_e32 v6, v6
	s_delay_alu instid0(VALU_DEP_3) | instskip(SKIP_3) | instid1(VALU_DEP_1)
	v_exp_f32_e32 v5, v5
	s_waitcnt_depctr 0xfff
	v_ldexp_f32 v6, v6, v10
	v_ldexp_f32 v5, v5, v8
	v_cndmask_b32_e64 v5, 0, v5, s1
	v_cmp_ngt_f32_e64 s1, 0xc2ce8ed0, v2
	s_delay_alu instid0(VALU_DEP_1) | instskip(SKIP_1) | instid1(VALU_DEP_1)
	v_cndmask_b32_e64 v6, 0, v6, s1
	v_cmp_nlt_f32_e64 s1, 0x42b17218, v3
	v_cndmask_b32_e64 v5, 0x7f800000, v5, s1
	v_cmp_nlt_f32_e64 s1, 0x42b17218, v2
	ds_bpermute_b32 v8, v7, v5
	v_cndmask_b32_e64 v6, 0x7f800000, v6, s1
	ds_bpermute_b32 v7, v7, v6
	s_waitcnt lgkmcnt(0)
	v_dual_add_f32 v5, v5, v8 :: v_dual_add_f32 v6, v6, v7
	ds_bpermute_b32 v7, v9, v5
	ds_bpermute_b32 v8, v9, v6
	s_waitcnt lgkmcnt(0)
	v_dual_add_f32 v5, v5, v7 :: v_dual_add_f32 v6, v6, v8
	ds_bpermute_b32 v7, v12, v5
	;; [unrolled: 4-line block ×4, first 2 shown]
	ds_bpermute_b32 v8, v14, v6
	s_waitcnt lgkmcnt(1)
	v_add_f32_e32 v7, v5, v7
	s_waitcnt lgkmcnt(0)
	v_add_f32_e32 v5, v6, v8
	ds_bpermute_b32 v8, v15, v7
	ds_bpermute_b32 v6, v15, v5
	s_and_saveexec_b32 s1, s0
	s_cbranch_execz .LBB82_10
; %bb.5:
	v_add_co_u32 v0, s0, s4, v0
	s_delay_alu instid0(VALU_DEP_1)
	v_add_co_ci_u32_e64 v1, s0, s5, v1, s0
	s_and_saveexec_b32 s2, vcc_lo
	s_cbranch_execz .LBB82_7
; %bb.6:
	s_waitcnt lgkmcnt(1)
	v_add_f32_e32 v7, v7, v8
	s_delay_alu instid0(VALU_DEP_1) | instskip(NEXT) | instid1(VALU_DEP_1)
	v_cmp_gt_f32_e64 s0, 0x800000, v7
	v_cndmask_b32_e64 v8, 1.0, 0x4f800000, s0
	s_delay_alu instid0(VALU_DEP_1) | instskip(NEXT) | instid1(VALU_DEP_1)
	v_mul_f32_e32 v7, v7, v8
	v_log_f32_e32 v7, v7
	s_waitcnt_depctr 0xfff
	v_mul_f32_e32 v8, 0x3f317217, v7
	v_cmp_gt_f32_e64 s1, 0x7f800000, |v7|
	s_delay_alu instid0(VALU_DEP_2) | instskip(NEXT) | instid1(VALU_DEP_1)
	v_fma_f32 v9, 0x3f317217, v7, -v8
	v_fmamk_f32 v9, v7, 0x3377d1cf, v9
	s_delay_alu instid0(VALU_DEP_1) | instskip(NEXT) | instid1(VALU_DEP_1)
	v_add_f32_e32 v8, v8, v9
	v_cndmask_b32_e64 v7, v7, v8, s1
	v_cndmask_b32_e64 v8, 0, 0x41b17218, s0
	s_delay_alu instid0(VALU_DEP_1) | instskip(NEXT) | instid1(VALU_DEP_1)
	v_sub_f32_e32 v7, v7, v8
	v_sub_f32_e32 v3, v3, v7
	s_delay_alu instid0(VALU_DEP_1)
	v_cvt_f16_f32_e32 v3, v3
	global_store_b16 v[0:1], v3, off
.LBB82_7:
	s_or_b32 exec_lo, exec_lo, s2
	v_cmp_ne_u32_e64 s0, 1, v4
	s_delay_alu instid0(VALU_DEP_1)
	s_and_b32 exec_lo, exec_lo, s0
	s_cbranch_execz .LBB82_10
; %bb.8:
	s_and_b32 exec_lo, exec_lo, vcc_lo
	s_cbranch_execz .LBB82_10
; %bb.9:
	s_waitcnt lgkmcnt(0)
	v_add_f32_e32 v3, v5, v6
	s_mov_b32 s11, 0
	s_delay_alu instid0(SALU_CYCLE_1) | instskip(NEXT) | instid1(VALU_DEP_1)
	s_lshl_b64 s[0:1], s[10:11], 1
	v_cmp_gt_f32_e32 vcc_lo, 0x800000, v3
	v_cndmask_b32_e64 v4, 1.0, 0x4f800000, vcc_lo
	s_delay_alu instid0(VALU_DEP_1) | instskip(NEXT) | instid1(VALU_DEP_1)
	v_mul_f32_e32 v3, v3, v4
	v_log_f32_e32 v3, v3
	s_waitcnt_depctr 0xfff
	v_mul_f32_e32 v4, 0x3f317217, v3
	s_delay_alu instid0(VALU_DEP_1) | instskip(NEXT) | instid1(VALU_DEP_1)
	v_fma_f32 v5, 0x3f317217, v3, -v4
	v_fmamk_f32 v5, v3, 0x3377d1cf, v5
	s_delay_alu instid0(VALU_DEP_1) | instskip(SKIP_2) | instid1(VALU_DEP_3)
	v_add_f32_e32 v4, v4, v5
	v_cndmask_b32_e64 v5, 0, 0x41b17218, vcc_lo
	v_cmp_gt_f32_e64 vcc_lo, 0x7f800000, |v3|
	v_cndmask_b32_e32 v3, v3, v4, vcc_lo
	v_add_co_u32 v0, vcc_lo, v0, s0
	v_add_co_ci_u32_e32 v1, vcc_lo, s1, v1, vcc_lo
	s_delay_alu instid0(VALU_DEP_3) | instskip(NEXT) | instid1(VALU_DEP_1)
	v_sub_f32_e32 v3, v3, v5
	v_sub_f32_e32 v2, v2, v3
	s_delay_alu instid0(VALU_DEP_1)
	v_cvt_f16_f32_e32 v2, v2
	global_store_b16 v[0:1], v2, off
.LBB82_10:
	s_nop 0
	s_sendmsg sendmsg(MSG_DEALLOC_VGPRS)
	s_endpgm
	.section	.rodata,"a",@progbits
	.p2align	6, 0x0
	.amdhsa_kernel _ZN12_GLOBAL__N_120softmax_warp_forwardIN3c104HalfES2_fLi6ELb1ELb0ELi64EEEvPT0_PKT_iiiPKbib
		.amdhsa_group_segment_fixed_size 0
		.amdhsa_private_segment_fixed_size 0
		.amdhsa_kernarg_size 304
		.amdhsa_user_sgpr_count 15
		.amdhsa_user_sgpr_dispatch_ptr 0
		.amdhsa_user_sgpr_queue_ptr 0
		.amdhsa_user_sgpr_kernarg_segment_ptr 1
		.amdhsa_user_sgpr_dispatch_id 0
		.amdhsa_user_sgpr_private_segment_size 0
		.amdhsa_wavefront_size32 1
		.amdhsa_uses_dynamic_stack 0
		.amdhsa_enable_private_segment 0
		.amdhsa_system_sgpr_workgroup_id_x 1
		.amdhsa_system_sgpr_workgroup_id_y 0
		.amdhsa_system_sgpr_workgroup_id_z 0
		.amdhsa_system_sgpr_workgroup_info 0
		.amdhsa_system_vgpr_workitem_id 1
		.amdhsa_next_free_vgpr 17
		.amdhsa_next_free_sgpr 16
		.amdhsa_reserve_vcc 1
		.amdhsa_float_round_mode_32 0
		.amdhsa_float_round_mode_16_64 0
		.amdhsa_float_denorm_mode_32 3
		.amdhsa_float_denorm_mode_16_64 3
		.amdhsa_dx10_clamp 1
		.amdhsa_ieee_mode 1
		.amdhsa_fp16_overflow 0
		.amdhsa_workgroup_processor_mode 1
		.amdhsa_memory_ordered 1
		.amdhsa_forward_progress 0
		.amdhsa_shared_vgpr_count 0
		.amdhsa_exception_fp_ieee_invalid_op 0
		.amdhsa_exception_fp_denorm_src 0
		.amdhsa_exception_fp_ieee_div_zero 0
		.amdhsa_exception_fp_ieee_overflow 0
		.amdhsa_exception_fp_ieee_underflow 0
		.amdhsa_exception_fp_ieee_inexact 0
		.amdhsa_exception_int_div_zero 0
	.end_amdhsa_kernel
	.section	.text._ZN12_GLOBAL__N_120softmax_warp_forwardIN3c104HalfES2_fLi6ELb1ELb0ELi64EEEvPT0_PKT_iiiPKbib,"axG",@progbits,_ZN12_GLOBAL__N_120softmax_warp_forwardIN3c104HalfES2_fLi6ELb1ELb0ELi64EEEvPT0_PKT_iiiPKbib,comdat
.Lfunc_end82:
	.size	_ZN12_GLOBAL__N_120softmax_warp_forwardIN3c104HalfES2_fLi6ELb1ELb0ELi64EEEvPT0_PKT_iiiPKbib, .Lfunc_end82-_ZN12_GLOBAL__N_120softmax_warp_forwardIN3c104HalfES2_fLi6ELb1ELb0ELi64EEEvPT0_PKT_iiiPKbib
                                        ; -- End function
	.section	.AMDGPU.csdata,"",@progbits
; Kernel info:
; codeLenInByte = 1564
; NumSgprs: 18
; NumVgprs: 17
; ScratchSize: 0
; MemoryBound: 0
; FloatMode: 240
; IeeeMode: 1
; LDSByteSize: 0 bytes/workgroup (compile time only)
; SGPRBlocks: 2
; VGPRBlocks: 2
; NumSGPRsForWavesPerEU: 18
; NumVGPRsForWavesPerEU: 17
; Occupancy: 16
; WaveLimiterHint : 0
; COMPUTE_PGM_RSRC2:SCRATCH_EN: 0
; COMPUTE_PGM_RSRC2:USER_SGPR: 15
; COMPUTE_PGM_RSRC2:TRAP_HANDLER: 0
; COMPUTE_PGM_RSRC2:TGID_X_EN: 1
; COMPUTE_PGM_RSRC2:TGID_Y_EN: 0
; COMPUTE_PGM_RSRC2:TGID_Z_EN: 0
; COMPUTE_PGM_RSRC2:TIDIG_COMP_CNT: 1
	.section	.text._ZN12_GLOBAL__N_120softmax_warp_forwardIN3c104HalfES2_fLi6ELb1ELb0ELi32EEEvPT0_PKT_iiiPKbib,"axG",@progbits,_ZN12_GLOBAL__N_120softmax_warp_forwardIN3c104HalfES2_fLi6ELb1ELb0ELi32EEEvPT0_PKT_iiiPKbib,comdat
	.globl	_ZN12_GLOBAL__N_120softmax_warp_forwardIN3c104HalfES2_fLi6ELb1ELb0ELi32EEEvPT0_PKT_iiiPKbib ; -- Begin function _ZN12_GLOBAL__N_120softmax_warp_forwardIN3c104HalfES2_fLi6ELb1ELb0ELi32EEEvPT0_PKT_iiiPKbib
	.p2align	8
	.type	_ZN12_GLOBAL__N_120softmax_warp_forwardIN3c104HalfES2_fLi6ELb1ELb0ELi32EEEvPT0_PKT_iiiPKbib,@function
_ZN12_GLOBAL__N_120softmax_warp_forwardIN3c104HalfES2_fLi6ELb1ELb0ELi32EEEvPT0_PKT_iiiPKbib: ; @_ZN12_GLOBAL__N_120softmax_warp_forwardIN3c104HalfES2_fLi6ELb1ELb0ELi32EEEvPT0_PKT_iiiPKbib
; %bb.0:
	s_clause 0x1
	s_load_b32 s2, s[0:1], 0x3c
	s_load_b256 s[4:11], s[0:1], 0x0
	v_bfe_u32 v1, v0, 10, 10
	v_and_b32_e32 v4, 0x3ff, v0
	v_dual_mov_b32 v6, 0xff800000 :: v_dual_mov_b32 v7, 0xff800000
	s_waitcnt lgkmcnt(0)
	s_lshr_b32 s0, s2, 16
	s_delay_alu instid0(SALU_CYCLE_1) | instskip(SKIP_2) | instid1(VALU_DEP_1)
	s_mul_i32 s15, s15, s0
	v_cmp_gt_i32_e64 s0, s10, v4
	v_add_lshl_u32 v2, s15, v1, 1
	v_mad_u64_u32 v[0:1], null, v2, s9, v[4:5]
	v_sub_nc_u32_e32 v5, s8, v2
	s_delay_alu instid0(VALU_DEP_1) | instskip(NEXT) | instid1(VALU_DEP_3)
	v_cmp_lt_i32_e64 s1, 0, v5
	v_ashrrev_i32_e32 v1, 31, v0
	s_delay_alu instid0(VALU_DEP_2) | instskip(NEXT) | instid1(VALU_DEP_1)
	s_and_b32 s3, s1, s0
	v_lshlrev_b64 v[0:1], 1, v[0:1]
	s_delay_alu instid0(VALU_DEP_1) | instskip(NEXT) | instid1(VALU_DEP_2)
	v_add_co_u32 v2, vcc_lo, s6, v0
	v_add_co_ci_u32_e32 v3, vcc_lo, s7, v1, vcc_lo
	s_and_saveexec_b32 s2, s3
	s_cbranch_execz .LBB83_2
; %bb.1:
	global_load_u16 v7, v[2:3], off
	s_waitcnt vmcnt(0)
	v_cvt_f32_f16_e32 v7, v7
.LBB83_2:
	s_or_b32 exec_lo, exec_lo, s2
	v_add_nc_u32_e32 v4, 32, v4
	s_delay_alu instid0(VALU_DEP_1) | instskip(SKIP_1) | instid1(SALU_CYCLE_1)
	v_cmp_gt_i32_e32 vcc_lo, s10, v4
	s_and_b32 s3, s1, vcc_lo
	s_and_saveexec_b32 s2, s3
	s_cbranch_execz .LBB83_4
; %bb.3:
	global_load_u16 v4, v[2:3], off offset:64
	s_waitcnt vmcnt(0)
	v_cvt_f32_f16_e32 v6, v4
.LBB83_4:
	s_or_b32 exec_lo, exec_lo, s2
	v_cmp_lt_i32_e64 s2, 1, v5
	v_mov_b32_e32 v4, 0xff800000
	v_mov_b32_e32 v8, 0xff800000
	s_delay_alu instid0(VALU_DEP_3) | instskip(NEXT) | instid1(SALU_CYCLE_1)
	s_and_b32 s3, s2, s0
	s_and_saveexec_b32 s6, s3
	s_cbranch_execz .LBB83_6
; %bb.5:
	s_mov_b32 s11, 0
	s_delay_alu instid0(SALU_CYCLE_1) | instskip(NEXT) | instid1(SALU_CYCLE_1)
	s_lshl_b64 s[8:9], s[10:11], 1
	v_add_co_u32 v8, s3, v2, s8
	s_delay_alu instid0(VALU_DEP_1)
	v_add_co_ci_u32_e64 v9, s3, s9, v3, s3
	global_load_u16 v8, v[8:9], off
	s_waitcnt vmcnt(0)
	v_cvt_f32_f16_e32 v8, v8
.LBB83_6:
	s_or_b32 exec_lo, exec_lo, s6
	s_and_b32 s2, s2, vcc_lo
	s_delay_alu instid0(SALU_CYCLE_1)
	s_and_saveexec_b32 s3, s2
	s_cbranch_execz .LBB83_8
; %bb.7:
	s_mov_b32 s11, 0
	s_delay_alu instid0(SALU_CYCLE_1) | instskip(NEXT) | instid1(SALU_CYCLE_1)
	s_lshl_b64 s[6:7], s[10:11], 1
	v_add_co_u32 v2, s2, v2, s6
	s_delay_alu instid0(VALU_DEP_1)
	v_add_co_ci_u32_e64 v3, s2, s7, v3, s2
	global_load_u16 v2, v[2:3], off offset:64
	s_waitcnt vmcnt(0)
	v_cvt_f32_f16_e32 v4, v2
.LBB83_8:
	s_or_b32 exec_lo, exec_lo, s3
	v_mbcnt_lo_u32_b32 v2, -1, 0
	s_delay_alu instid0(VALU_DEP_1)
	v_xor_b32_e32 v3, 16, v2
	v_xor_b32_e32 v13, 8, v2
	;; [unrolled: 1-line block ×5, first 2 shown]
	v_cmp_gt_i32_e64 s2, 32, v3
	s_delay_alu instid0(VALU_DEP_1) | instskip(SKIP_1) | instid1(VALU_DEP_2)
	v_cndmask_b32_e64 v3, v2, v3, s2
	v_cmp_gt_f32_e64 s2, v7, v6
	v_lshlrev_b32_e32 v10, 2, v3
	s_delay_alu instid0(VALU_DEP_2)
	v_cndmask_b32_e64 v9, v6, v7, s2
	v_cmp_gt_f32_e64 s2, v8, v4
	ds_bpermute_b32 v11, v10, v9
	v_cndmask_b32_e64 v3, v4, v8, s2
	v_cmp_gt_i32_e64 s2, 32, v13
	ds_bpermute_b32 v12, v10, v3
	v_cndmask_b32_e64 v13, v2, v13, s2
	s_delay_alu instid0(VALU_DEP_1) | instskip(SKIP_2) | instid1(VALU_DEP_1)
	v_lshlrev_b32_e32 v13, 2, v13
	s_waitcnt lgkmcnt(1)
	v_cmp_lt_f32_e64 s2, v9, v11
	v_cndmask_b32_e64 v9, v9, v11, s2
	s_waitcnt lgkmcnt(0)
	v_cmp_lt_f32_e64 s2, v3, v12
	ds_bpermute_b32 v11, v13, v9
	v_cndmask_b32_e64 v3, v3, v12, s2
	v_cmp_gt_i32_e64 s2, 32, v14
	ds_bpermute_b32 v12, v13, v3
	v_cndmask_b32_e64 v14, v2, v14, s2
	s_delay_alu instid0(VALU_DEP_1) | instskip(SKIP_2) | instid1(VALU_DEP_1)
	v_lshlrev_b32_e32 v14, 2, v14
	s_waitcnt lgkmcnt(1)
	v_cmp_lt_f32_e64 s2, v9, v11
	v_cndmask_b32_e64 v9, v9, v11, s2
	s_waitcnt lgkmcnt(0)
	v_cmp_lt_f32_e64 s2, v3, v12
	;; [unrolled: 12-line block ×4, first 2 shown]
	ds_bpermute_b32 v9, v16, v2
	v_cndmask_b32_e64 v3, v3, v12, s2
	ds_bpermute_b32 v11, v16, v3
	s_waitcnt lgkmcnt(1)
	v_cmp_lt_f32_e64 s2, v2, v9
	s_delay_alu instid0(VALU_DEP_1) | instskip(SKIP_2) | instid1(VALU_DEP_2)
	v_cndmask_b32_e64 v2, v2, v9, s2
	s_waitcnt lgkmcnt(0)
	v_cmp_lt_f32_e64 s2, v3, v11
	v_sub_f32_e32 v7, v7, v2
	s_delay_alu instid0(VALU_DEP_2) | instskip(SKIP_1) | instid1(VALU_DEP_3)
	v_cndmask_b32_e64 v9, v3, v11, s2
	v_sub_f32_e32 v6, v6, v2
	v_cmp_ngt_f32_e64 s2, 0xc2ce8ed0, v7
	s_delay_alu instid0(VALU_DEP_3) | instskip(SKIP_2) | instid1(VALU_DEP_3)
	v_sub_f32_e32 v3, v8, v9
	v_sub_f32_e32 v2, v4, v9
	v_mul_f32_e32 v4, 0x3fb8aa3b, v7
	v_mul_f32_e32 v9, 0x3fb8aa3b, v3
	s_delay_alu instid0(VALU_DEP_3) | instskip(NEXT) | instid1(VALU_DEP_3)
	v_mul_f32_e32 v11, 0x3fb8aa3b, v2
	v_fma_f32 v12, 0x3fb8aa3b, v7, -v4
	v_rndne_f32_e32 v17, v4
	s_delay_alu instid0(VALU_DEP_4)
	v_fma_f32 v20, 0x3fb8aa3b, v3, -v9
	v_rndne_f32_e32 v21, v9
	v_mul_f32_e32 v8, 0x3fb8aa3b, v6
	v_fma_f32 v22, 0x3fb8aa3b, v2, -v11
	v_rndne_f32_e32 v23, v11
	v_sub_f32_e32 v4, v4, v17
	v_dual_fmac_f32 v20, 0x32a5705f, v3 :: v_dual_sub_f32 v9, v9, v21
	v_fma_f32 v18, 0x3fb8aa3b, v6, -v8
	s_delay_alu instid0(VALU_DEP_4) | instskip(SKIP_1) | instid1(VALU_DEP_4)
	v_sub_f32_e32 v11, v11, v23
	v_rndne_f32_e32 v19, v8
	v_dual_fmac_f32 v12, 0x32a5705f, v7 :: v_dual_add_f32 v9, v9, v20
	s_delay_alu instid0(VALU_DEP_4) | instskip(SKIP_1) | instid1(VALU_DEP_4)
	v_fmac_f32_e32 v18, 0x32a5705f, v6
	v_fmac_f32_e32 v22, 0x32a5705f, v2
	v_sub_f32_e32 v8, v8, v19
	s_delay_alu instid0(VALU_DEP_4)
	v_add_f32_e32 v4, v4, v12
	v_cvt_i32_f32_e32 v12, v17
	v_exp_f32_e32 v9, v9
	v_add_f32_e32 v11, v11, v22
	v_add_f32_e32 v8, v8, v18
	v_exp_f32_e32 v4, v4
	v_cvt_i32_f32_e32 v17, v19
	v_cvt_i32_f32_e32 v18, v21
	v_exp_f32_e32 v11, v11
	v_exp_f32_e32 v8, v8
	v_cvt_i32_f32_e32 v19, v23
	s_delay_alu instid0(VALU_DEP_2) | instskip(NEXT) | instid1(TRANS32_DEP_3)
	v_ldexp_f32 v9, v9, v18
	v_ldexp_f32 v4, v4, v12
	s_waitcnt_depctr 0xfff
	v_ldexp_f32 v11, v11, v19
	v_ldexp_f32 v8, v8, v17
	v_cndmask_b32_e64 v4, 0, v4, s2
	v_cmp_ngt_f32_e64 s2, 0xc2ce8ed0, v6
	s_delay_alu instid0(VALU_DEP_1) | instskip(SKIP_1) | instid1(VALU_DEP_1)
	v_cndmask_b32_e64 v8, 0, v8, s2
	v_cmp_ngt_f32_e64 s2, 0xc2ce8ed0, v3
	v_cndmask_b32_e64 v9, 0, v9, s2
	v_cmp_ngt_f32_e64 s2, 0xc2ce8ed0, v2
	s_delay_alu instid0(VALU_DEP_1) | instskip(SKIP_1) | instid1(VALU_DEP_1)
	v_cndmask_b32_e64 v11, 0, v11, s2
	v_cmp_nlt_f32_e64 s2, 0x42b17218, v7
	v_cndmask_b32_e64 v4, 0x7f800000, v4, s2
	v_cmp_nlt_f32_e64 s2, 0x42b17218, v6
	s_delay_alu instid0(VALU_DEP_1) | instskip(SKIP_1) | instid1(VALU_DEP_2)
	v_cndmask_b32_e64 v8, 0x7f800000, v8, s2
	v_cmp_nlt_f32_e64 s2, 0x42b17218, v3
	v_add_f32_e32 v4, v4, v8
	s_delay_alu instid0(VALU_DEP_2) | instskip(SKIP_1) | instid1(VALU_DEP_1)
	v_cndmask_b32_e64 v9, 0x7f800000, v9, s2
	v_cmp_nlt_f32_e64 s2, 0x42b17218, v2
	v_cndmask_b32_e64 v11, 0x7f800000, v11, s2
	s_delay_alu instid0(VALU_DEP_1)
	v_add_f32_e32 v8, v9, v11
	ds_bpermute_b32 v9, v10, v4
	ds_bpermute_b32 v10, v10, v8
	s_waitcnt lgkmcnt(1)
	v_add_f32_e32 v4, v4, v9
	s_waitcnt lgkmcnt(0)
	v_add_f32_e32 v8, v8, v10
	ds_bpermute_b32 v9, v13, v4
	ds_bpermute_b32 v10, v13, v8
	s_waitcnt lgkmcnt(1)
	v_add_f32_e32 v4, v4, v9
	s_waitcnt lgkmcnt(0)
	v_add_f32_e32 v8, v8, v10
	ds_bpermute_b32 v9, v14, v4
	ds_bpermute_b32 v10, v14, v8
	s_waitcnt lgkmcnt(1)
	v_add_f32_e32 v4, v4, v9
	s_waitcnt lgkmcnt(0)
	v_add_f32_e32 v8, v8, v10
	ds_bpermute_b32 v9, v15, v4
	ds_bpermute_b32 v10, v15, v8
	s_waitcnt lgkmcnt(1)
	v_add_f32_e32 v9, v4, v9
	s_waitcnt lgkmcnt(0)
	v_add_f32_e32 v4, v8, v10
	ds_bpermute_b32 v10, v16, v9
	ds_bpermute_b32 v8, v16, v4
	s_and_saveexec_b32 s2, s1
	s_cbranch_execz .LBB83_16
; %bb.9:
	v_add_co_u32 v0, s1, s4, v0
	s_delay_alu instid0(VALU_DEP_1)
	v_add_co_ci_u32_e64 v1, s1, s5, v1, s1
	s_and_saveexec_b32 s3, s0
	s_cbranch_execz .LBB83_12
; %bb.10:
	s_waitcnt lgkmcnt(1)
	v_add_f32_e32 v9, v9, v10
	s_delay_alu instid0(VALU_DEP_1) | instskip(NEXT) | instid1(VALU_DEP_1)
	v_cmp_gt_f32_e64 s1, 0x800000, v9
	v_cndmask_b32_e64 v10, 1.0, 0x4f800000, s1
	s_delay_alu instid0(VALU_DEP_1) | instskip(NEXT) | instid1(VALU_DEP_1)
	v_mul_f32_e32 v9, v9, v10
	v_log_f32_e32 v9, v9
	s_waitcnt_depctr 0xfff
	v_mul_f32_e32 v10, 0x3f317217, v9
	v_cmp_gt_f32_e64 s2, 0x7f800000, |v9|
	s_delay_alu instid0(VALU_DEP_2) | instskip(NEXT) | instid1(VALU_DEP_1)
	v_fma_f32 v11, 0x3f317217, v9, -v10
	v_fmamk_f32 v11, v9, 0x3377d1cf, v11
	s_delay_alu instid0(VALU_DEP_1) | instskip(NEXT) | instid1(VALU_DEP_1)
	v_add_f32_e32 v10, v10, v11
	v_cndmask_b32_e64 v9, v9, v10, s2
	v_cndmask_b32_e64 v10, 0, 0x41b17218, s1
	s_delay_alu instid0(VALU_DEP_1) | instskip(NEXT) | instid1(VALU_DEP_1)
	v_sub_f32_e32 v9, v9, v10
	v_sub_f32_e32 v7, v7, v9
	s_delay_alu instid0(VALU_DEP_1)
	v_cvt_f16_f32_e32 v7, v7
	global_store_b16 v[0:1], v7, off
	s_and_b32 exec_lo, exec_lo, vcc_lo
	s_cbranch_execz .LBB83_12
; %bb.11:
	v_sub_f32_e32 v6, v6, v9
	s_delay_alu instid0(VALU_DEP_1)
	v_cvt_f16_f32_e32 v6, v6
	global_store_b16 v[0:1], v6, off offset:64
.LBB83_12:
	s_or_b32 exec_lo, exec_lo, s3
	v_cmp_ne_u32_e64 s1, 1, v5
	s_delay_alu instid0(VALU_DEP_1)
	s_and_b32 exec_lo, exec_lo, s1
	s_cbranch_execz .LBB83_16
; %bb.13:
	s_and_b32 exec_lo, exec_lo, s0
	s_cbranch_execz .LBB83_16
; %bb.14:
	s_waitcnt lgkmcnt(0)
	v_add_f32_e32 v4, v4, v8
	s_mov_b32 s11, 0
	s_delay_alu instid0(VALU_DEP_1) | instskip(NEXT) | instid1(VALU_DEP_1)
	v_cmp_gt_f32_e64 s0, 0x800000, v4
	v_cndmask_b32_e64 v5, 1.0, 0x4f800000, s0
	s_delay_alu instid0(VALU_DEP_1) | instskip(NEXT) | instid1(VALU_DEP_1)
	v_mul_f32_e32 v4, v4, v5
	v_log_f32_e32 v4, v4
	s_waitcnt_depctr 0xfff
	v_mul_f32_e32 v5, 0x3f317217, v4
	s_delay_alu instid0(VALU_DEP_1) | instskip(NEXT) | instid1(VALU_DEP_1)
	v_fma_f32 v6, 0x3f317217, v4, -v5
	v_fmamk_f32 v6, v4, 0x3377d1cf, v6
	s_delay_alu instid0(VALU_DEP_1) | instskip(SKIP_2) | instid1(VALU_DEP_1)
	v_add_f32_e32 v5, v5, v6
	v_cndmask_b32_e64 v6, 0, 0x41b17218, s0
	v_cmp_gt_f32_e64 s0, 0x7f800000, |v4|
	v_cndmask_b32_e64 v4, v4, v5, s0
	s_lshl_b64 s[0:1], s[10:11], 1
	s_delay_alu instid0(SALU_CYCLE_1) | instskip(NEXT) | instid1(VALU_DEP_2)
	v_add_co_u32 v5, s0, v0, s0
	v_sub_f32_e32 v4, v4, v6
	v_add_co_ci_u32_e64 v6, s0, s1, v1, s0
	s_delay_alu instid0(VALU_DEP_2) | instskip(NEXT) | instid1(VALU_DEP_1)
	v_sub_f32_e32 v3, v3, v4
	v_cvt_f16_f32_e32 v3, v3
	global_store_b16 v[5:6], v3, off
	s_and_b32 exec_lo, exec_lo, vcc_lo
	s_cbranch_execz .LBB83_16
; %bb.15:
	s_ashr_i32 s11, s10, 31
	v_sub_f32_e32 v2, v2, v4
	s_lshl_b64 s[0:1], s[10:11], 1
	s_delay_alu instid0(SALU_CYCLE_1) | instskip(NEXT) | instid1(VALU_DEP_2)
	v_add_co_u32 v0, vcc_lo, v0, s0
	v_cvt_f16_f32_e32 v2, v2
	v_add_co_ci_u32_e32 v1, vcc_lo, s1, v1, vcc_lo
	global_store_b16 v[0:1], v2, off offset:64
.LBB83_16:
	s_nop 0
	s_sendmsg sendmsg(MSG_DEALLOC_VGPRS)
	s_endpgm
	.section	.rodata,"a",@progbits
	.p2align	6, 0x0
	.amdhsa_kernel _ZN12_GLOBAL__N_120softmax_warp_forwardIN3c104HalfES2_fLi6ELb1ELb0ELi32EEEvPT0_PKT_iiiPKbib
		.amdhsa_group_segment_fixed_size 0
		.amdhsa_private_segment_fixed_size 0
		.amdhsa_kernarg_size 304
		.amdhsa_user_sgpr_count 15
		.amdhsa_user_sgpr_dispatch_ptr 0
		.amdhsa_user_sgpr_queue_ptr 0
		.amdhsa_user_sgpr_kernarg_segment_ptr 1
		.amdhsa_user_sgpr_dispatch_id 0
		.amdhsa_user_sgpr_private_segment_size 0
		.amdhsa_wavefront_size32 1
		.amdhsa_uses_dynamic_stack 0
		.amdhsa_enable_private_segment 0
		.amdhsa_system_sgpr_workgroup_id_x 1
		.amdhsa_system_sgpr_workgroup_id_y 0
		.amdhsa_system_sgpr_workgroup_id_z 0
		.amdhsa_system_sgpr_workgroup_info 0
		.amdhsa_system_vgpr_workitem_id 1
		.amdhsa_next_free_vgpr 24
		.amdhsa_next_free_sgpr 16
		.amdhsa_reserve_vcc 1
		.amdhsa_float_round_mode_32 0
		.amdhsa_float_round_mode_16_64 0
		.amdhsa_float_denorm_mode_32 3
		.amdhsa_float_denorm_mode_16_64 3
		.amdhsa_dx10_clamp 1
		.amdhsa_ieee_mode 1
		.amdhsa_fp16_overflow 0
		.amdhsa_workgroup_processor_mode 1
		.amdhsa_memory_ordered 1
		.amdhsa_forward_progress 0
		.amdhsa_shared_vgpr_count 0
		.amdhsa_exception_fp_ieee_invalid_op 0
		.amdhsa_exception_fp_denorm_src 0
		.amdhsa_exception_fp_ieee_div_zero 0
		.amdhsa_exception_fp_ieee_overflow 0
		.amdhsa_exception_fp_ieee_underflow 0
		.amdhsa_exception_fp_ieee_inexact 0
		.amdhsa_exception_int_div_zero 0
	.end_amdhsa_kernel
	.section	.text._ZN12_GLOBAL__N_120softmax_warp_forwardIN3c104HalfES2_fLi6ELb1ELb0ELi32EEEvPT0_PKT_iiiPKbib,"axG",@progbits,_ZN12_GLOBAL__N_120softmax_warp_forwardIN3c104HalfES2_fLi6ELb1ELb0ELi32EEEvPT0_PKT_iiiPKbib,comdat
.Lfunc_end83:
	.size	_ZN12_GLOBAL__N_120softmax_warp_forwardIN3c104HalfES2_fLi6ELb1ELb0ELi32EEEvPT0_PKT_iiiPKbib, .Lfunc_end83-_ZN12_GLOBAL__N_120softmax_warp_forwardIN3c104HalfES2_fLi6ELb1ELb0ELi32EEEvPT0_PKT_iiiPKbib
                                        ; -- End function
	.section	.AMDGPU.csdata,"",@progbits
; Kernel info:
; codeLenInByte = 1952
; NumSgprs: 18
; NumVgprs: 24
; ScratchSize: 0
; MemoryBound: 0
; FloatMode: 240
; IeeeMode: 1
; LDSByteSize: 0 bytes/workgroup (compile time only)
; SGPRBlocks: 2
; VGPRBlocks: 2
; NumSGPRsForWavesPerEU: 18
; NumVGPRsForWavesPerEU: 24
; Occupancy: 16
; WaveLimiterHint : 0
; COMPUTE_PGM_RSRC2:SCRATCH_EN: 0
; COMPUTE_PGM_RSRC2:USER_SGPR: 15
; COMPUTE_PGM_RSRC2:TRAP_HANDLER: 0
; COMPUTE_PGM_RSRC2:TGID_X_EN: 1
; COMPUTE_PGM_RSRC2:TGID_Y_EN: 0
; COMPUTE_PGM_RSRC2:TGID_Z_EN: 0
; COMPUTE_PGM_RSRC2:TIDIG_COMP_CNT: 1
	.section	.text._ZN12_GLOBAL__N_120softmax_warp_forwardIN3c104HalfES2_fLi7ELb1ELb0ELi64EEEvPT0_PKT_iiiPKbib,"axG",@progbits,_ZN12_GLOBAL__N_120softmax_warp_forwardIN3c104HalfES2_fLi7ELb1ELb0ELi64EEEvPT0_PKT_iiiPKbib,comdat
	.globl	_ZN12_GLOBAL__N_120softmax_warp_forwardIN3c104HalfES2_fLi7ELb1ELb0ELi64EEEvPT0_PKT_iiiPKbib ; -- Begin function _ZN12_GLOBAL__N_120softmax_warp_forwardIN3c104HalfES2_fLi7ELb1ELb0ELi64EEEvPT0_PKT_iiiPKbib
	.p2align	8
	.type	_ZN12_GLOBAL__N_120softmax_warp_forwardIN3c104HalfES2_fLi7ELb1ELb0ELi64EEEvPT0_PKT_iiiPKbib,@function
_ZN12_GLOBAL__N_120softmax_warp_forwardIN3c104HalfES2_fLi7ELb1ELb0ELi64EEEvPT0_PKT_iiiPKbib: ; @_ZN12_GLOBAL__N_120softmax_warp_forwardIN3c104HalfES2_fLi7ELb1ELb0ELi64EEEvPT0_PKT_iiiPKbib
; %bb.0:
	s_clause 0x1
	s_load_b32 s2, s[0:1], 0x3c
	s_load_b256 s[4:11], s[0:1], 0x0
	v_bfe_u32 v1, v0, 10, 10
	v_and_b32_e32 v4, 0x3ff, v0
	v_dual_mov_b32 v6, 0xff800000 :: v_dual_mov_b32 v7, 0xff800000
	s_waitcnt lgkmcnt(0)
	s_lshr_b32 s0, s2, 16
	s_delay_alu instid0(SALU_CYCLE_1) | instskip(SKIP_2) | instid1(VALU_DEP_1)
	s_mul_i32 s15, s15, s0
	v_cmp_gt_i32_e64 s0, s10, v4
	v_add_lshl_u32 v2, s15, v1, 1
	v_mad_u64_u32 v[0:1], null, v2, s9, v[4:5]
	v_sub_nc_u32_e32 v5, s8, v2
	s_delay_alu instid0(VALU_DEP_1) | instskip(NEXT) | instid1(VALU_DEP_3)
	v_cmp_lt_i32_e64 s1, 0, v5
	v_ashrrev_i32_e32 v1, 31, v0
	s_delay_alu instid0(VALU_DEP_2) | instskip(NEXT) | instid1(VALU_DEP_1)
	s_and_b32 s3, s1, s0
	v_lshlrev_b64 v[0:1], 1, v[0:1]
	s_delay_alu instid0(VALU_DEP_1) | instskip(NEXT) | instid1(VALU_DEP_2)
	v_add_co_u32 v2, vcc_lo, s6, v0
	v_add_co_ci_u32_e32 v3, vcc_lo, s7, v1, vcc_lo
	s_and_saveexec_b32 s2, s3
	s_cbranch_execz .LBB84_2
; %bb.1:
	global_load_u16 v7, v[2:3], off
	s_waitcnt vmcnt(0)
	v_cvt_f32_f16_e32 v7, v7
.LBB84_2:
	s_or_b32 exec_lo, exec_lo, s2
	v_add_nc_u32_e32 v4, 64, v4
	s_delay_alu instid0(VALU_DEP_1) | instskip(SKIP_1) | instid1(SALU_CYCLE_1)
	v_cmp_gt_i32_e32 vcc_lo, s10, v4
	s_and_b32 s3, s1, vcc_lo
	s_and_saveexec_b32 s2, s3
	s_cbranch_execz .LBB84_4
; %bb.3:
	global_load_u16 v4, v[2:3], off offset:128
	s_waitcnt vmcnt(0)
	v_cvt_f32_f16_e32 v6, v4
.LBB84_4:
	s_or_b32 exec_lo, exec_lo, s2
	v_cmp_lt_i32_e64 s2, 1, v5
	v_mov_b32_e32 v4, 0xff800000
	v_mov_b32_e32 v8, 0xff800000
	s_delay_alu instid0(VALU_DEP_3) | instskip(NEXT) | instid1(SALU_CYCLE_1)
	s_and_b32 s3, s2, s0
	s_and_saveexec_b32 s6, s3
	s_cbranch_execz .LBB84_6
; %bb.5:
	s_mov_b32 s11, 0
	s_delay_alu instid0(SALU_CYCLE_1) | instskip(NEXT) | instid1(SALU_CYCLE_1)
	s_lshl_b64 s[8:9], s[10:11], 1
	v_add_co_u32 v8, s3, v2, s8
	s_delay_alu instid0(VALU_DEP_1)
	v_add_co_ci_u32_e64 v9, s3, s9, v3, s3
	global_load_u16 v8, v[8:9], off
	s_waitcnt vmcnt(0)
	v_cvt_f32_f16_e32 v8, v8
.LBB84_6:
	s_or_b32 exec_lo, exec_lo, s6
	s_and_b32 s2, s2, vcc_lo
	s_delay_alu instid0(SALU_CYCLE_1)
	s_and_saveexec_b32 s3, s2
	s_cbranch_execz .LBB84_8
; %bb.7:
	s_mov_b32 s11, 0
	s_delay_alu instid0(SALU_CYCLE_1) | instskip(NEXT) | instid1(SALU_CYCLE_1)
	s_lshl_b64 s[6:7], s[10:11], 1
	v_add_co_u32 v2, s2, v2, s6
	s_delay_alu instid0(VALU_DEP_1)
	v_add_co_ci_u32_e64 v3, s2, s7, v3, s2
	global_load_u16 v2, v[2:3], off offset:128
	s_waitcnt vmcnt(0)
	v_cvt_f32_f16_e32 v4, v2
.LBB84_8:
	s_or_b32 exec_lo, exec_lo, s3
	v_mbcnt_lo_u32_b32 v2, -1, 0
	s_delay_alu instid0(VALU_DEP_1)
	v_or_b32_e32 v3, 32, v2
	v_xor_b32_e32 v13, 16, v2
	v_xor_b32_e32 v14, 8, v2
	;; [unrolled: 1-line block ×4, first 2 shown]
	v_cmp_gt_i32_e64 s2, 64, v3
	v_xor_b32_e32 v17, 1, v2
	s_delay_alu instid0(VALU_DEP_2) | instskip(SKIP_1) | instid1(VALU_DEP_2)
	v_cndmask_b32_e64 v3, v2, v3, s2
	v_cmp_gt_f32_e64 s2, v7, v6
	v_lshlrev_b32_e32 v10, 2, v3
	s_delay_alu instid0(VALU_DEP_2)
	v_cndmask_b32_e64 v9, v6, v7, s2
	v_cmp_gt_f32_e64 s2, v8, v4
	ds_bpermute_b32 v11, v10, v9
	v_cndmask_b32_e64 v3, v4, v8, s2
	v_cmp_gt_i32_e64 s2, 64, v13
	ds_bpermute_b32 v12, v10, v3
	v_cndmask_b32_e64 v13, v2, v13, s2
	s_delay_alu instid0(VALU_DEP_1) | instskip(SKIP_2) | instid1(VALU_DEP_1)
	v_lshlrev_b32_e32 v13, 2, v13
	s_waitcnt lgkmcnt(1)
	v_cmp_lt_f32_e64 s2, v9, v11
	v_cndmask_b32_e64 v9, v9, v11, s2
	s_waitcnt lgkmcnt(0)
	v_cmp_lt_f32_e64 s2, v3, v12
	ds_bpermute_b32 v11, v13, v9
	v_cndmask_b32_e64 v3, v3, v12, s2
	v_cmp_gt_i32_e64 s2, 64, v14
	ds_bpermute_b32 v12, v13, v3
	v_cndmask_b32_e64 v14, v2, v14, s2
	s_delay_alu instid0(VALU_DEP_1) | instskip(SKIP_2) | instid1(VALU_DEP_1)
	v_lshlrev_b32_e32 v14, 2, v14
	s_waitcnt lgkmcnt(1)
	v_cmp_lt_f32_e64 s2, v9, v11
	v_cndmask_b32_e64 v9, v9, v11, s2
	s_waitcnt lgkmcnt(0)
	v_cmp_lt_f32_e64 s2, v3, v12
	;; [unrolled: 12-line block ×5, first 2 shown]
	ds_bpermute_b32 v9, v17, v2
	v_cndmask_b32_e64 v3, v3, v12, s2
	ds_bpermute_b32 v11, v17, v3
	s_waitcnt lgkmcnt(1)
	v_cmp_lt_f32_e64 s2, v2, v9
	s_delay_alu instid0(VALU_DEP_1) | instskip(SKIP_2) | instid1(VALU_DEP_2)
	v_cndmask_b32_e64 v2, v2, v9, s2
	s_waitcnt lgkmcnt(0)
	v_cmp_lt_f32_e64 s2, v3, v11
	v_sub_f32_e32 v7, v7, v2
	s_delay_alu instid0(VALU_DEP_2) | instskip(SKIP_1) | instid1(VALU_DEP_3)
	v_cndmask_b32_e64 v9, v3, v11, s2
	v_sub_f32_e32 v6, v6, v2
	v_cmp_ngt_f32_e64 s2, 0xc2ce8ed0, v7
	s_delay_alu instid0(VALU_DEP_3) | instskip(SKIP_1) | instid1(VALU_DEP_2)
	v_sub_f32_e32 v2, v4, v9
	v_dual_mul_f32 v4, 0x3fb8aa3b, v7 :: v_dual_sub_f32 v3, v8, v9
	v_mul_f32_e32 v11, 0x3fb8aa3b, v2
	s_delay_alu instid0(VALU_DEP_2) | instskip(NEXT) | instid1(VALU_DEP_3)
	v_fma_f32 v12, 0x3fb8aa3b, v7, -v4
	v_mul_f32_e32 v9, 0x3fb8aa3b, v3
	v_rndne_f32_e32 v18, v4
	s_delay_alu instid0(VALU_DEP_4) | instskip(SKIP_1) | instid1(VALU_DEP_4)
	v_rndne_f32_e32 v24, v11
	v_mul_f32_e32 v8, 0x3fb8aa3b, v6
	v_fma_f32 v21, 0x3fb8aa3b, v3, -v9
	v_rndne_f32_e32 v22, v9
	v_fma_f32 v23, 0x3fb8aa3b, v2, -v11
	v_sub_f32_e32 v11, v11, v24
	v_fma_f32 v19, 0x3fb8aa3b, v6, -v8
	v_rndne_f32_e32 v20, v8
	v_fmac_f32_e32 v12, 0x32a5705f, v7
	v_dual_sub_f32 v4, v4, v18 :: v_dual_fmac_f32 v21, 0x32a5705f, v3
	s_delay_alu instid0(VALU_DEP_3) | instskip(NEXT) | instid1(VALU_DEP_2)
	v_dual_fmac_f32 v19, 0x32a5705f, v6 :: v_dual_sub_f32 v8, v8, v20
	v_dual_sub_f32 v9, v9, v22 :: v_dual_add_f32 v4, v4, v12
	v_fmac_f32_e32 v23, 0x32a5705f, v2
	v_cvt_i32_f32_e32 v12, v18
	s_delay_alu instid0(VALU_DEP_3) | instskip(NEXT) | instid1(VALU_DEP_4)
	v_dual_add_f32 v8, v8, v19 :: v_dual_add_f32 v9, v9, v21
	v_exp_f32_e32 v4, v4
	s_delay_alu instid0(VALU_DEP_3) | instskip(SKIP_1) | instid1(VALU_DEP_3)
	v_add_f32_e32 v11, v11, v23
	v_cvt_i32_f32_e32 v18, v20
	v_exp_f32_e32 v8, v8
	v_exp_f32_e32 v9, v9
	v_cvt_i32_f32_e32 v19, v22
	v_exp_f32_e32 v11, v11
	v_cvt_i32_f32_e32 v20, v24
	v_ldexp_f32 v4, v4, v12
	s_delay_alu instid0(TRANS32_DEP_3)
	v_ldexp_f32 v8, v8, v18
	s_waitcnt_depctr 0xfff
	v_ldexp_f32 v9, v9, v19
	v_cndmask_b32_e64 v4, 0, v4, s2
	v_cmp_ngt_f32_e64 s2, 0xc2ce8ed0, v6
	v_ldexp_f32 v11, v11, v20
	s_delay_alu instid0(VALU_DEP_2) | instskip(SKIP_1) | instid1(VALU_DEP_1)
	v_cndmask_b32_e64 v8, 0, v8, s2
	v_cmp_ngt_f32_e64 s2, 0xc2ce8ed0, v3
	v_cndmask_b32_e64 v9, 0, v9, s2
	v_cmp_ngt_f32_e64 s2, 0xc2ce8ed0, v2
	s_delay_alu instid0(VALU_DEP_1) | instskip(SKIP_1) | instid1(VALU_DEP_1)
	v_cndmask_b32_e64 v11, 0, v11, s2
	v_cmp_nlt_f32_e64 s2, 0x42b17218, v7
	v_cndmask_b32_e64 v4, 0x7f800000, v4, s2
	v_cmp_nlt_f32_e64 s2, 0x42b17218, v6
	s_delay_alu instid0(VALU_DEP_1) | instskip(SKIP_1) | instid1(VALU_DEP_2)
	v_cndmask_b32_e64 v8, 0x7f800000, v8, s2
	v_cmp_nlt_f32_e64 s2, 0x42b17218, v3
	v_add_f32_e32 v4, v4, v8
	s_delay_alu instid0(VALU_DEP_2) | instskip(SKIP_1) | instid1(VALU_DEP_1)
	v_cndmask_b32_e64 v9, 0x7f800000, v9, s2
	v_cmp_nlt_f32_e64 s2, 0x42b17218, v2
	v_cndmask_b32_e64 v11, 0x7f800000, v11, s2
	s_delay_alu instid0(VALU_DEP_1)
	v_add_f32_e32 v8, v9, v11
	ds_bpermute_b32 v9, v10, v4
	s_waitcnt lgkmcnt(0)
	v_add_f32_e32 v4, v4, v9
	ds_bpermute_b32 v9, v13, v4
	s_waitcnt lgkmcnt(0)
	v_add_f32_e32 v4, v4, v9
	ds_bpermute_b32 v9, v14, v4
	s_waitcnt lgkmcnt(0)
	v_add_f32_e32 v4, v4, v9
	ds_bpermute_b32 v9, v15, v4
	s_waitcnt lgkmcnt(0)
	v_add_f32_e32 v4, v4, v9
	ds_bpermute_b32 v9, v16, v4
	s_waitcnt lgkmcnt(0)
	v_add_f32_e32 v9, v4, v9
	ds_bpermute_b32 v10, v10, v8
	s_waitcnt lgkmcnt(0)
	v_add_f32_e32 v8, v8, v10
	ds_bpermute_b32 v10, v13, v8
	s_waitcnt lgkmcnt(0)
	v_add_f32_e32 v8, v8, v10
	ds_bpermute_b32 v10, v14, v8
	s_waitcnt lgkmcnt(0)
	v_add_f32_e32 v8, v8, v10
	ds_bpermute_b32 v10, v15, v8
	s_waitcnt lgkmcnt(0)
	v_add_f32_e32 v8, v8, v10
	ds_bpermute_b32 v10, v16, v8
	s_waitcnt lgkmcnt(0)
	v_add_f32_e32 v4, v8, v10
	ds_bpermute_b32 v10, v17, v9
	ds_bpermute_b32 v8, v17, v4
	s_and_saveexec_b32 s2, s1
	s_cbranch_execz .LBB84_16
; %bb.9:
	v_add_co_u32 v0, s1, s4, v0
	s_delay_alu instid0(VALU_DEP_1)
	v_add_co_ci_u32_e64 v1, s1, s5, v1, s1
	s_and_saveexec_b32 s3, s0
	s_cbranch_execz .LBB84_12
; %bb.10:
	s_waitcnt lgkmcnt(1)
	v_add_f32_e32 v9, v9, v10
	s_delay_alu instid0(VALU_DEP_1) | instskip(NEXT) | instid1(VALU_DEP_1)
	v_cmp_gt_f32_e64 s1, 0x800000, v9
	v_cndmask_b32_e64 v10, 1.0, 0x4f800000, s1
	s_delay_alu instid0(VALU_DEP_1) | instskip(NEXT) | instid1(VALU_DEP_1)
	v_mul_f32_e32 v9, v9, v10
	v_log_f32_e32 v9, v9
	s_waitcnt_depctr 0xfff
	v_mul_f32_e32 v10, 0x3f317217, v9
	v_cmp_gt_f32_e64 s2, 0x7f800000, |v9|
	s_delay_alu instid0(VALU_DEP_2) | instskip(NEXT) | instid1(VALU_DEP_1)
	v_fma_f32 v11, 0x3f317217, v9, -v10
	v_fmamk_f32 v11, v9, 0x3377d1cf, v11
	s_delay_alu instid0(VALU_DEP_1) | instskip(NEXT) | instid1(VALU_DEP_1)
	v_add_f32_e32 v10, v10, v11
	v_cndmask_b32_e64 v9, v9, v10, s2
	v_cndmask_b32_e64 v10, 0, 0x41b17218, s1
	s_delay_alu instid0(VALU_DEP_1) | instskip(NEXT) | instid1(VALU_DEP_1)
	v_sub_f32_e32 v9, v9, v10
	v_sub_f32_e32 v7, v7, v9
	s_delay_alu instid0(VALU_DEP_1)
	v_cvt_f16_f32_e32 v7, v7
	global_store_b16 v[0:1], v7, off
	s_and_b32 exec_lo, exec_lo, vcc_lo
	s_cbranch_execz .LBB84_12
; %bb.11:
	v_sub_f32_e32 v6, v6, v9
	s_delay_alu instid0(VALU_DEP_1)
	v_cvt_f16_f32_e32 v6, v6
	global_store_b16 v[0:1], v6, off offset:128
.LBB84_12:
	s_or_b32 exec_lo, exec_lo, s3
	v_cmp_ne_u32_e64 s1, 1, v5
	s_delay_alu instid0(VALU_DEP_1)
	s_and_b32 exec_lo, exec_lo, s1
	s_cbranch_execz .LBB84_16
; %bb.13:
	s_and_b32 exec_lo, exec_lo, s0
	s_cbranch_execz .LBB84_16
; %bb.14:
	s_waitcnt lgkmcnt(0)
	v_add_f32_e32 v4, v4, v8
	s_mov_b32 s11, 0
	s_delay_alu instid0(VALU_DEP_1) | instskip(NEXT) | instid1(VALU_DEP_1)
	v_cmp_gt_f32_e64 s0, 0x800000, v4
	v_cndmask_b32_e64 v5, 1.0, 0x4f800000, s0
	s_delay_alu instid0(VALU_DEP_1) | instskip(NEXT) | instid1(VALU_DEP_1)
	v_mul_f32_e32 v4, v4, v5
	v_log_f32_e32 v4, v4
	s_waitcnt_depctr 0xfff
	v_mul_f32_e32 v5, 0x3f317217, v4
	s_delay_alu instid0(VALU_DEP_1) | instskip(NEXT) | instid1(VALU_DEP_1)
	v_fma_f32 v6, 0x3f317217, v4, -v5
	v_fmamk_f32 v6, v4, 0x3377d1cf, v6
	s_delay_alu instid0(VALU_DEP_1) | instskip(SKIP_2) | instid1(VALU_DEP_1)
	v_add_f32_e32 v5, v5, v6
	v_cndmask_b32_e64 v6, 0, 0x41b17218, s0
	v_cmp_gt_f32_e64 s0, 0x7f800000, |v4|
	v_cndmask_b32_e64 v4, v4, v5, s0
	s_lshl_b64 s[0:1], s[10:11], 1
	s_delay_alu instid0(SALU_CYCLE_1) | instskip(NEXT) | instid1(VALU_DEP_2)
	v_add_co_u32 v5, s0, v0, s0
	v_sub_f32_e32 v4, v4, v6
	v_add_co_ci_u32_e64 v6, s0, s1, v1, s0
	s_delay_alu instid0(VALU_DEP_2) | instskip(NEXT) | instid1(VALU_DEP_1)
	v_sub_f32_e32 v3, v3, v4
	v_cvt_f16_f32_e32 v3, v3
	global_store_b16 v[5:6], v3, off
	s_and_b32 exec_lo, exec_lo, vcc_lo
	s_cbranch_execz .LBB84_16
; %bb.15:
	s_ashr_i32 s11, s10, 31
	v_sub_f32_e32 v2, v2, v4
	s_lshl_b64 s[0:1], s[10:11], 1
	s_delay_alu instid0(SALU_CYCLE_1) | instskip(NEXT) | instid1(VALU_DEP_2)
	v_add_co_u32 v0, vcc_lo, v0, s0
	v_cvt_f16_f32_e32 v2, v2
	v_add_co_ci_u32_e32 v1, vcc_lo, s1, v1, vcc_lo
	global_store_b16 v[0:1], v2, off offset:128
.LBB84_16:
	s_nop 0
	s_sendmsg sendmsg(MSG_DEALLOC_VGPRS)
	s_endpgm
	.section	.rodata,"a",@progbits
	.p2align	6, 0x0
	.amdhsa_kernel _ZN12_GLOBAL__N_120softmax_warp_forwardIN3c104HalfES2_fLi7ELb1ELb0ELi64EEEvPT0_PKT_iiiPKbib
		.amdhsa_group_segment_fixed_size 0
		.amdhsa_private_segment_fixed_size 0
		.amdhsa_kernarg_size 304
		.amdhsa_user_sgpr_count 15
		.amdhsa_user_sgpr_dispatch_ptr 0
		.amdhsa_user_sgpr_queue_ptr 0
		.amdhsa_user_sgpr_kernarg_segment_ptr 1
		.amdhsa_user_sgpr_dispatch_id 0
		.amdhsa_user_sgpr_private_segment_size 0
		.amdhsa_wavefront_size32 1
		.amdhsa_uses_dynamic_stack 0
		.amdhsa_enable_private_segment 0
		.amdhsa_system_sgpr_workgroup_id_x 1
		.amdhsa_system_sgpr_workgroup_id_y 0
		.amdhsa_system_sgpr_workgroup_id_z 0
		.amdhsa_system_sgpr_workgroup_info 0
		.amdhsa_system_vgpr_workitem_id 1
		.amdhsa_next_free_vgpr 25
		.amdhsa_next_free_sgpr 16
		.amdhsa_reserve_vcc 1
		.amdhsa_float_round_mode_32 0
		.amdhsa_float_round_mode_16_64 0
		.amdhsa_float_denorm_mode_32 3
		.amdhsa_float_denorm_mode_16_64 3
		.amdhsa_dx10_clamp 1
		.amdhsa_ieee_mode 1
		.amdhsa_fp16_overflow 0
		.amdhsa_workgroup_processor_mode 1
		.amdhsa_memory_ordered 1
		.amdhsa_forward_progress 0
		.amdhsa_shared_vgpr_count 0
		.amdhsa_exception_fp_ieee_invalid_op 0
		.amdhsa_exception_fp_denorm_src 0
		.amdhsa_exception_fp_ieee_div_zero 0
		.amdhsa_exception_fp_ieee_overflow 0
		.amdhsa_exception_fp_ieee_underflow 0
		.amdhsa_exception_fp_ieee_inexact 0
		.amdhsa_exception_int_div_zero 0
	.end_amdhsa_kernel
	.section	.text._ZN12_GLOBAL__N_120softmax_warp_forwardIN3c104HalfES2_fLi7ELb1ELb0ELi64EEEvPT0_PKT_iiiPKbib,"axG",@progbits,_ZN12_GLOBAL__N_120softmax_warp_forwardIN3c104HalfES2_fLi7ELb1ELb0ELi64EEEvPT0_PKT_iiiPKbib,comdat
.Lfunc_end84:
	.size	_ZN12_GLOBAL__N_120softmax_warp_forwardIN3c104HalfES2_fLi7ELb1ELb0ELi64EEEvPT0_PKT_iiiPKbib, .Lfunc_end84-_ZN12_GLOBAL__N_120softmax_warp_forwardIN3c104HalfES2_fLi7ELb1ELb0ELi64EEEvPT0_PKT_iiiPKbib
                                        ; -- End function
	.section	.AMDGPU.csdata,"",@progbits
; Kernel info:
; codeLenInByte = 2068
; NumSgprs: 18
; NumVgprs: 25
; ScratchSize: 0
; MemoryBound: 0
; FloatMode: 240
; IeeeMode: 1
; LDSByteSize: 0 bytes/workgroup (compile time only)
; SGPRBlocks: 2
; VGPRBlocks: 3
; NumSGPRsForWavesPerEU: 18
; NumVGPRsForWavesPerEU: 25
; Occupancy: 16
; WaveLimiterHint : 0
; COMPUTE_PGM_RSRC2:SCRATCH_EN: 0
; COMPUTE_PGM_RSRC2:USER_SGPR: 15
; COMPUTE_PGM_RSRC2:TRAP_HANDLER: 0
; COMPUTE_PGM_RSRC2:TGID_X_EN: 1
; COMPUTE_PGM_RSRC2:TGID_Y_EN: 0
; COMPUTE_PGM_RSRC2:TGID_Z_EN: 0
; COMPUTE_PGM_RSRC2:TIDIG_COMP_CNT: 1
	.section	.text._ZN12_GLOBAL__N_120softmax_warp_forwardIN3c104HalfES2_fLi7ELb1ELb0ELi32EEEvPT0_PKT_iiiPKbib,"axG",@progbits,_ZN12_GLOBAL__N_120softmax_warp_forwardIN3c104HalfES2_fLi7ELb1ELb0ELi32EEEvPT0_PKT_iiiPKbib,comdat
	.globl	_ZN12_GLOBAL__N_120softmax_warp_forwardIN3c104HalfES2_fLi7ELb1ELb0ELi32EEEvPT0_PKT_iiiPKbib ; -- Begin function _ZN12_GLOBAL__N_120softmax_warp_forwardIN3c104HalfES2_fLi7ELb1ELb0ELi32EEEvPT0_PKT_iiiPKbib
	.p2align	8
	.type	_ZN12_GLOBAL__N_120softmax_warp_forwardIN3c104HalfES2_fLi7ELb1ELb0ELi32EEEvPT0_PKT_iiiPKbib,@function
_ZN12_GLOBAL__N_120softmax_warp_forwardIN3c104HalfES2_fLi7ELb1ELb0ELi32EEEvPT0_PKT_iiiPKbib: ; @_ZN12_GLOBAL__N_120softmax_warp_forwardIN3c104HalfES2_fLi7ELb1ELb0ELi32EEEvPT0_PKT_iiiPKbib
; %bb.0:
	s_clause 0x1
	s_load_b32 s2, s[0:1], 0x3c
	s_load_b256 s[16:23], s[0:1], 0x0
	v_bfe_u32 v1, v0, 10, 10
	v_and_b32_e32 v4, 0x3ff, v0
	v_mov_b32_e32 v6, 0xff800000
	v_mov_b32_e32 v8, 0xff800000
	s_waitcnt lgkmcnt(0)
	s_lshr_b32 s0, s2, 16
	v_cmp_gt_i32_e64 s1, s22, v4
	s_mul_i32 s15, s15, s0
	s_delay_alu instid0(SALU_CYCLE_1) | instskip(NEXT) | instid1(VALU_DEP_1)
	v_add_lshl_u32 v2, s15, v1, 1
	v_mad_u64_u32 v[0:1], null, v2, s21, v[4:5]
	v_sub_nc_u32_e32 v5, s20, v2
	s_delay_alu instid0(VALU_DEP_1) | instskip(NEXT) | instid1(VALU_DEP_3)
	v_cmp_lt_i32_e64 s3, 0, v5
	v_ashrrev_i32_e32 v1, 31, v0
	s_delay_alu instid0(VALU_DEP_2) | instskip(NEXT) | instid1(VALU_DEP_1)
	s_and_b32 s2, s3, s1
	v_lshlrev_b64 v[0:1], 1, v[0:1]
	s_delay_alu instid0(VALU_DEP_1) | instskip(NEXT) | instid1(VALU_DEP_2)
	v_add_co_u32 v2, vcc_lo, s18, v0
	v_add_co_ci_u32_e32 v3, vcc_lo, s19, v1, vcc_lo
	s_and_saveexec_b32 s0, s2
	s_cbranch_execz .LBB85_2
; %bb.1:
	global_load_u16 v7, v[2:3], off
	s_waitcnt vmcnt(0)
	v_cvt_f32_f16_e32 v8, v7
.LBB85_2:
	s_or_b32 exec_lo, exec_lo, s0
	v_add_nc_u32_e32 v7, 32, v4
	s_delay_alu instid0(VALU_DEP_1) | instskip(SKIP_1) | instid1(SALU_CYCLE_1)
	v_cmp_gt_i32_e32 vcc_lo, s22, v7
	s_and_b32 s2, s3, vcc_lo
	s_and_saveexec_b32 s0, s2
	s_cbranch_execz .LBB85_4
; %bb.3:
	global_load_u16 v6, v[2:3], off offset:64
	s_waitcnt vmcnt(0)
	v_cvt_f32_f16_e32 v6, v6
.LBB85_4:
	s_or_b32 exec_lo, exec_lo, s0
	v_dual_mov_b32 v10, 0xff800000 :: v_dual_add_nc_u32 v7, 64, v4
	s_delay_alu instid0(VALU_DEP_1) | instskip(SKIP_1) | instid1(VALU_DEP_2)
	v_cmp_gt_i32_e64 s0, s22, v7
	v_mov_b32_e32 v7, 0xff800000
	s_and_b32 s4, s3, s0
	s_delay_alu instid0(SALU_CYCLE_1)
	s_and_saveexec_b32 s2, s4
	s_cbranch_execz .LBB85_6
; %bb.5:
	global_load_u16 v9, v[2:3], off offset:128
	s_waitcnt vmcnt(0)
	v_cvt_f32_f16_e32 v10, v9
.LBB85_6:
	s_or_b32 exec_lo, exec_lo, s2
	v_add_nc_u32_e32 v4, 0x60, v4
	s_delay_alu instid0(VALU_DEP_1) | instskip(NEXT) | instid1(VALU_DEP_1)
	v_cmp_gt_i32_e64 s2, s22, v4
	s_and_b32 s5, s3, s2
	s_delay_alu instid0(SALU_CYCLE_1)
	s_and_saveexec_b32 s4, s5
	s_cbranch_execz .LBB85_8
; %bb.7:
	global_load_u16 v4, v[2:3], off offset:192
	s_waitcnt vmcnt(0)
	v_cvt_f32_f16_e32 v7, v4
.LBB85_8:
	s_or_b32 exec_lo, exec_lo, s4
	v_cmp_lt_i32_e64 s4, 1, v5
	v_dual_mov_b32 v9, 0xff800000 :: v_dual_mov_b32 v4, 0xff800000
	s_delay_alu instid0(VALU_DEP_2) | instskip(NEXT) | instid1(SALU_CYCLE_1)
	s_and_b32 s5, s4, s1
	s_and_saveexec_b32 s6, s5
	s_cbranch_execz .LBB85_10
; %bb.9:
	s_mov_b32 s23, 0
	s_delay_alu instid0(SALU_CYCLE_1) | instskip(NEXT) | instid1(SALU_CYCLE_1)
	s_lshl_b64 s[8:9], s[22:23], 1
	v_add_co_u32 v11, s5, v2, s8
	s_delay_alu instid0(VALU_DEP_1)
	v_add_co_ci_u32_e64 v12, s5, s9, v3, s5
	global_load_u16 v4, v[11:12], off
	s_waitcnt vmcnt(0)
	v_cvt_f32_f16_e32 v4, v4
.LBB85_10:
	s_or_b32 exec_lo, exec_lo, s6
	s_and_b32 s5, s4, vcc_lo
	s_delay_alu instid0(SALU_CYCLE_1)
	s_and_saveexec_b32 s6, s5
	s_cbranch_execz .LBB85_12
; %bb.11:
	s_mov_b32 s23, 0
	s_delay_alu instid0(SALU_CYCLE_1) | instskip(NEXT) | instid1(SALU_CYCLE_1)
	s_lshl_b64 s[8:9], s[22:23], 1
	v_add_co_u32 v11, s5, v2, s8
	s_delay_alu instid0(VALU_DEP_1)
	v_add_co_ci_u32_e64 v12, s5, s9, v3, s5
	global_load_u16 v9, v[11:12], off offset:64
	s_waitcnt vmcnt(0)
	v_cvt_f32_f16_e32 v9, v9
.LBB85_12:
	s_or_b32 exec_lo, exec_lo, s6
	v_dual_mov_b32 v11, 0xff800000 :: v_dual_mov_b32 v12, 0xff800000
	s_and_b32 s5, s4, s0
	s_delay_alu instid0(SALU_CYCLE_1)
	s_and_saveexec_b32 s6, s5
	s_cbranch_execz .LBB85_14
; %bb.13:
	s_mov_b32 s23, 0
	s_delay_alu instid0(SALU_CYCLE_1) | instskip(NEXT) | instid1(SALU_CYCLE_1)
	s_lshl_b64 s[8:9], s[22:23], 1
	v_add_co_u32 v12, s5, v2, s8
	s_delay_alu instid0(VALU_DEP_1)
	v_add_co_ci_u32_e64 v13, s5, s9, v3, s5
	global_load_u16 v12, v[12:13], off offset:128
	s_waitcnt vmcnt(0)
	v_cvt_f32_f16_e32 v12, v12
.LBB85_14:
	s_or_b32 exec_lo, exec_lo, s6
	s_and_b32 s4, s4, s2
	s_delay_alu instid0(SALU_CYCLE_1)
	s_and_saveexec_b32 s5, s4
	s_cbranch_execz .LBB85_16
; %bb.15:
	s_mov_b32 s23, 0
	s_delay_alu instid0(SALU_CYCLE_1) | instskip(NEXT) | instid1(SALU_CYCLE_1)
	s_lshl_b64 s[6:7], s[22:23], 1
	v_add_co_u32 v2, s4, v2, s6
	s_delay_alu instid0(VALU_DEP_1)
	v_add_co_ci_u32_e64 v3, s4, s7, v3, s4
	global_load_u16 v2, v[2:3], off offset:192
	s_waitcnt vmcnt(0)
	v_cvt_f32_f16_e32 v11, v2
.LBB85_16:
	s_or_b32 exec_lo, exec_lo, s5
	v_cmp_gt_f32_e64 s4, v8, v6
	v_mbcnt_lo_u32_b32 v2, -1, 0
	s_delay_alu instid0(VALU_DEP_2) | instskip(SKIP_1) | instid1(VALU_DEP_3)
	v_cndmask_b32_e64 v3, v6, v8, s4
	v_cmp_gt_f32_e64 s4, v4, v9
	v_xor_b32_e32 v13, 16, v2
	v_xor_b32_e32 v17, 8, v2
	;; [unrolled: 1-line block ×4, first 2 shown]
	v_cndmask_b32_e64 v14, v9, v4, s4
	v_cmp_gt_f32_e64 s4, v3, v10
	v_xor_b32_e32 v20, 1, v2
	s_delay_alu instid0(VALU_DEP_2) | instskip(SKIP_1) | instid1(VALU_DEP_1)
	v_cndmask_b32_e64 v3, v10, v3, s4
	v_cmp_gt_i32_e64 s4, 32, v13
	v_cndmask_b32_e64 v13, v2, v13, s4
	v_cmp_gt_f32_e64 s4, v14, v12
	s_delay_alu instid0(VALU_DEP_2) | instskip(NEXT) | instid1(VALU_DEP_2)
	v_lshlrev_b32_e32 v13, 2, v13
	v_cndmask_b32_e64 v14, v12, v14, s4
	v_cmp_gt_f32_e64 s4, v3, v7
	s_delay_alu instid0(VALU_DEP_1) | instskip(NEXT) | instid1(VALU_DEP_3)
	v_cndmask_b32_e64 v3, v7, v3, s4
	v_cmp_gt_f32_e64 s4, v14, v11
	ds_bpermute_b32 v15, v13, v3
	v_cndmask_b32_e64 v14, v11, v14, s4
	v_cmp_gt_i32_e64 s4, 32, v17
	ds_bpermute_b32 v16, v13, v14
	v_cndmask_b32_e64 v17, v2, v17, s4
	s_delay_alu instid0(VALU_DEP_1) | instskip(SKIP_2) | instid1(VALU_DEP_1)
	v_lshlrev_b32_e32 v17, 2, v17
	s_waitcnt lgkmcnt(1)
	v_cmp_lt_f32_e64 s4, v3, v15
	v_cndmask_b32_e64 v3, v3, v15, s4
	s_waitcnt lgkmcnt(0)
	v_cmp_lt_f32_e64 s4, v14, v16
	ds_bpermute_b32 v15, v17, v3
	v_cndmask_b32_e64 v14, v14, v16, s4
	v_cmp_gt_i32_e64 s4, 32, v18
	ds_bpermute_b32 v16, v17, v14
	v_cndmask_b32_e64 v18, v2, v18, s4
	s_delay_alu instid0(VALU_DEP_1) | instskip(SKIP_2) | instid1(VALU_DEP_1)
	v_lshlrev_b32_e32 v18, 2, v18
	s_waitcnt lgkmcnt(1)
	v_cmp_lt_f32_e64 s4, v3, v15
	v_cndmask_b32_e64 v3, v3, v15, s4
	s_waitcnt lgkmcnt(0)
	v_cmp_lt_f32_e64 s4, v14, v16
	;; [unrolled: 12-line block ×4, first 2 shown]
	s_delay_alu instid0(VALU_DEP_1) | instskip(SKIP_4) | instid1(VALU_DEP_1)
	v_cndmask_b32_e64 v3, v14, v16, s4
	ds_bpermute_b32 v14, v20, v2
	ds_bpermute_b32 v15, v20, v3
	s_waitcnt lgkmcnt(1)
	v_cmp_lt_f32_e64 s4, v2, v14
	v_cndmask_b32_e64 v2, v2, v14, s4
	s_waitcnt lgkmcnt(0)
	v_cmp_lt_f32_e64 s4, v3, v15
	s_delay_alu instid0(VALU_DEP_2) | instskip(NEXT) | instid1(VALU_DEP_2)
	v_sub_f32_e32 v6, v6, v2
	v_cndmask_b32_e64 v14, v3, v15, s4
	v_sub_f32_e32 v3, v8, v2
	v_sub_f32_e32 v8, v10, v2
	;; [unrolled: 1-line block ×3, first 2 shown]
	s_delay_alu instid0(VALU_DEP_4) | instskip(SKIP_1) | instid1(VALU_DEP_3)
	v_sub_f32_e32 v4, v4, v14
	v_sub_f32_e32 v7, v12, v14
	v_mul_f32_e32 v15, 0x3fb8aa3b, v10
	s_delay_alu instid0(VALU_DEP_1)
	v_rndne_f32_e32 v31, v15
	v_sub_f32_e32 v2, v9, v14
	v_dual_sub_f32 v9, v11, v14 :: v_dual_mul_f32 v14, 0x3fb8aa3b, v8
	v_mul_f32_e32 v11, 0x3fb8aa3b, v3
	v_fma_f32 v30, 0x3fb8aa3b, v10, -v15
	v_sub_f32_e32 v15, v15, v31
	v_cmp_ngt_f32_e64 s4, 0xc2ce8ed0, v3
	v_rndne_f32_e32 v29, v14
	v_mul_f32_e32 v21, 0x3fb8aa3b, v2
	v_fma_f32 v24, 0x3fb8aa3b, v3, -v11
	v_rndne_f32_e32 v25, v11
	v_fma_f32 v28, 0x3fb8aa3b, v8, -v14
	v_sub_f32_e32 v14, v14, v29
	v_rndne_f32_e32 v35, v21
	v_mul_f32_e32 v12, 0x3fb8aa3b, v6
	v_fma_f32 v34, 0x3fb8aa3b, v2, -v21
	v_dual_sub_f32 v11, v11, v25 :: v_dual_mul_f32 v16, 0x3fb8aa3b, v4
	s_delay_alu instid0(VALU_DEP_4)
	v_sub_f32_e32 v21, v21, v35
	v_dual_mul_f32 v22, 0x3fb8aa3b, v7 :: v_dual_mul_f32 v23, 0x3fb8aa3b, v9
	v_fma_f32 v26, 0x3fb8aa3b, v6, -v12
	v_rndne_f32_e32 v27, v12
	v_fmac_f32_e32 v30, 0x32a5705f, v10
	v_fmac_f32_e32 v24, 0x32a5705f, v3
	v_rndne_f32_e32 v39, v23
	v_fmac_f32_e32 v26, 0x32a5705f, v6
	s_delay_alu instid0(VALU_DEP_4) | instskip(NEXT) | instid1(VALU_DEP_4)
	v_dual_sub_f32 v12, v12, v27 :: v_dual_add_f32 v15, v15, v30
	v_add_f32_e32 v11, v11, v24
	v_fma_f32 v38, 0x3fb8aa3b, v9, -v23
	v_dual_sub_f32 v23, v23, v39 :: v_dual_fmac_f32 v34, 0x32a5705f, v2
	v_fmac_f32_e32 v28, 0x32a5705f, v8
	v_add_f32_e32 v12, v12, v26
	v_exp_f32_e32 v11, v11
	v_fma_f32 v32, 0x3fb8aa3b, v4, -v16
	v_rndne_f32_e32 v33, v16
	v_cvt_i32_f32_e32 v25, v25
	v_dual_add_f32 v21, v21, v34 :: v_dual_add_f32 v14, v14, v28
	v_exp_f32_e32 v12, v12
	v_cvt_i32_f32_e32 v27, v27
	v_sub_f32_e32 v16, v16, v33
	v_fmac_f32_e32 v38, 0x32a5705f, v9
	v_fmac_f32_e32 v32, 0x32a5705f, v4
	v_exp_f32_e32 v14, v14
	v_ldexp_f32 v11, v11, v25
	v_fma_f32 v36, 0x3fb8aa3b, v7, -v22
	v_add_f32_e32 v23, v23, v38
	v_rndne_f32_e32 v37, v22
	v_cvt_i32_f32_e32 v29, v29
	v_add_f32_e32 v16, v16, v32
	v_exp_f32_e32 v15, v15
	v_ldexp_f32 v12, v12, v27
	v_cndmask_b32_e64 v11, 0, v11, s4
	v_cmp_ngt_f32_e64 s4, 0xc2ce8ed0, v6
	v_cvt_i32_f32_e32 v31, v31
	v_fmac_f32_e32 v36, 0x32a5705f, v7
	v_sub_f32_e32 v22, v22, v37
	v_exp_f32_e32 v16, v16
	v_ldexp_f32 v14, v14, v29
	v_cndmask_b32_e64 v12, 0, v12, s4
	v_cmp_ngt_f32_e64 s4, 0xc2ce8ed0, v8
	v_cvt_i32_f32_e32 v33, v33
	v_add_f32_e32 v22, v22, v36
	v_exp_f32_e32 v21, v21
	v_ldexp_f32 v15, v15, v31
	v_cndmask_b32_e64 v14, 0, v14, s4
	v_cmp_ngt_f32_e64 s4, 0xc2ce8ed0, v10
	v_cvt_i32_f32_e32 v35, v35
	v_exp_f32_e32 v22, v22
	v_ldexp_f32 v16, v16, v33
	v_exp_f32_e32 v23, v23
	v_cndmask_b32_e64 v15, 0, v15, s4
	v_cmp_ngt_f32_e64 s4, 0xc2ce8ed0, v4
	v_cvt_i32_f32_e32 v24, v37
	v_ldexp_f32 v21, v21, v35
	v_cvt_i32_f32_e32 v26, v39
	s_delay_alu instid0(VALU_DEP_4)
	v_cndmask_b32_e64 v16, 0, v16, s4
	v_cmp_ngt_f32_e64 s4, 0xc2ce8ed0, v2
	v_ldexp_f32 v22, v22, v24
	s_delay_alu instid0(TRANS32_DEP_1) | instid1(VALU_DEP_4)
	v_ldexp_f32 v23, v23, v26
	s_delay_alu instid0(VALU_DEP_3) | instskip(SKIP_1) | instid1(VALU_DEP_1)
	v_cndmask_b32_e64 v21, 0, v21, s4
	v_cmp_ngt_f32_e64 s4, 0xc2ce8ed0, v7
	v_cndmask_b32_e64 v22, 0, v22, s4
	v_cmp_ngt_f32_e64 s4, 0xc2ce8ed0, v9
	s_delay_alu instid0(VALU_DEP_1) | instskip(SKIP_1) | instid1(VALU_DEP_1)
	v_cndmask_b32_e64 v23, 0, v23, s4
	v_cmp_nlt_f32_e64 s4, 0x42b17218, v3
	v_cndmask_b32_e64 v11, 0x7f800000, v11, s4
	v_cmp_nlt_f32_e64 s4, 0x42b17218, v6
	s_delay_alu instid0(VALU_DEP_1) | instskip(SKIP_1) | instid1(VALU_DEP_2)
	v_cndmask_b32_e64 v12, 0x7f800000, v12, s4
	v_cmp_nlt_f32_e64 s4, 0x42b17218, v4
	v_add_f32_e32 v11, v11, v12
	s_delay_alu instid0(VALU_DEP_2) | instskip(SKIP_1) | instid1(VALU_DEP_1)
	v_cndmask_b32_e64 v16, 0x7f800000, v16, s4
	v_cmp_nlt_f32_e64 s4, 0x42b17218, v2
	v_cndmask_b32_e64 v21, 0x7f800000, v21, s4
	v_cmp_nlt_f32_e64 s4, 0x42b17218, v8
	s_delay_alu instid0(VALU_DEP_2) | instskip(NEXT) | instid1(VALU_DEP_2)
	v_add_f32_e32 v12, v16, v21
	v_cndmask_b32_e64 v14, 0x7f800000, v14, s4
	v_cmp_nlt_f32_e64 s4, 0x42b17218, v7
	s_delay_alu instid0(VALU_DEP_2) | instskip(NEXT) | instid1(VALU_DEP_2)
	v_add_f32_e32 v11, v11, v14
	;; [unrolled: 4-line block ×4, first 2 shown]
	v_cndmask_b32_e64 v16, 0x7f800000, v23, s4
	ds_bpermute_b32 v14, v13, v11
	v_add_f32_e32 v12, v12, v16
	ds_bpermute_b32 v13, v13, v12
	s_waitcnt lgkmcnt(0)
	v_dual_add_f32 v11, v11, v14 :: v_dual_add_f32 v12, v12, v13
	ds_bpermute_b32 v13, v17, v11
	ds_bpermute_b32 v14, v17, v12
	s_waitcnt lgkmcnt(0)
	v_dual_add_f32 v11, v11, v13 :: v_dual_add_f32 v12, v12, v14
	ds_bpermute_b32 v13, v18, v11
	;; [unrolled: 4-line block ×3, first 2 shown]
	ds_bpermute_b32 v14, v19, v12
	s_waitcnt lgkmcnt(1)
	v_add_f32_e32 v13, v11, v13
	s_waitcnt lgkmcnt(0)
	v_add_f32_e32 v11, v12, v14
	ds_bpermute_b32 v14, v20, v13
	ds_bpermute_b32 v12, v20, v11
	s_and_saveexec_b32 s4, s3
	s_cbranch_execz .LBB85_28
; %bb.17:
	v_add_co_u32 v0, s3, s16, v0
	s_delay_alu instid0(VALU_DEP_1)
	v_add_co_ci_u32_e64 v1, s3, s17, v1, s3
	s_and_saveexec_b32 s5, s1
	s_cbranch_execz .LBB85_22
; %bb.18:
	s_waitcnt lgkmcnt(1)
	v_add_f32_e32 v13, v13, v14
	s_delay_alu instid0(VALU_DEP_1) | instskip(NEXT) | instid1(VALU_DEP_1)
	v_cmp_gt_f32_e64 s3, 0x800000, v13
	v_cndmask_b32_e64 v14, 1.0, 0x4f800000, s3
	s_delay_alu instid0(VALU_DEP_1) | instskip(NEXT) | instid1(VALU_DEP_1)
	v_mul_f32_e32 v13, v13, v14
	v_log_f32_e32 v13, v13
	s_waitcnt_depctr 0xfff
	v_mul_f32_e32 v14, 0x3f317217, v13
	v_cmp_gt_f32_e64 s4, 0x7f800000, |v13|
	s_delay_alu instid0(VALU_DEP_2) | instskip(NEXT) | instid1(VALU_DEP_1)
	v_fma_f32 v15, 0x3f317217, v13, -v14
	v_fmamk_f32 v15, v13, 0x3377d1cf, v15
	s_delay_alu instid0(VALU_DEP_1) | instskip(NEXT) | instid1(VALU_DEP_1)
	v_add_f32_e32 v14, v14, v15
	v_cndmask_b32_e64 v13, v13, v14, s4
	v_cndmask_b32_e64 v14, 0, 0x41b17218, s3
	s_delay_alu instid0(VALU_DEP_1) | instskip(NEXT) | instid1(VALU_DEP_1)
	v_sub_f32_e32 v13, v13, v14
	v_sub_f32_e32 v3, v3, v13
	s_delay_alu instid0(VALU_DEP_1)
	v_cvt_f16_f32_e32 v3, v3
	global_store_b16 v[0:1], v3, off
	s_and_b32 exec_lo, exec_lo, vcc_lo
	s_cbranch_execz .LBB85_22
; %bb.19:
	v_sub_f32_e32 v3, v6, v13
	s_delay_alu instid0(VALU_DEP_1)
	v_cvt_f16_f32_e32 v3, v3
	global_store_b16 v[0:1], v3, off offset:64
	s_and_b32 exec_lo, exec_lo, s0
	s_cbranch_execz .LBB85_22
; %bb.20:
	v_sub_f32_e32 v3, v8, v13
	s_delay_alu instid0(VALU_DEP_1)
	v_cvt_f16_f32_e32 v3, v3
	global_store_b16 v[0:1], v3, off offset:128
	s_and_b32 exec_lo, exec_lo, s2
	s_cbranch_execz .LBB85_22
; %bb.21:
	v_sub_f32_e32 v3, v10, v13
	s_delay_alu instid0(VALU_DEP_1)
	v_cvt_f16_f32_e32 v3, v3
	global_store_b16 v[0:1], v3, off offset:192
.LBB85_22:
	s_or_b32 exec_lo, exec_lo, s5
	v_cmp_ne_u32_e64 s3, 1, v5
	s_delay_alu instid0(VALU_DEP_1)
	s_and_b32 exec_lo, exec_lo, s3
	s_cbranch_execz .LBB85_28
; %bb.23:
	s_and_b32 exec_lo, exec_lo, s1
	s_cbranch_execz .LBB85_28
; %bb.24:
	s_waitcnt lgkmcnt(0)
	v_add_f32_e32 v3, v11, v12
	s_ashr_i32 s23, s22, 31
	s_delay_alu instid0(SALU_CYCLE_1) | instskip(NEXT) | instid1(VALU_DEP_1)
	s_lshl_b64 s[4:5], s[22:23], 1
	v_cmp_gt_f32_e64 s1, 0x800000, v3
	s_delay_alu instid0(VALU_DEP_1) | instskip(NEXT) | instid1(VALU_DEP_1)
	v_cndmask_b32_e64 v5, 1.0, 0x4f800000, s1
	v_mul_f32_e32 v3, v3, v5
	s_delay_alu instid0(VALU_DEP_1) | instskip(SKIP_2) | instid1(VALU_DEP_1)
	v_log_f32_e32 v3, v3
	s_waitcnt_depctr 0xfff
	v_mul_f32_e32 v5, 0x3f317217, v3
	v_fma_f32 v6, 0x3f317217, v3, -v5
	s_delay_alu instid0(VALU_DEP_1) | instskip(NEXT) | instid1(VALU_DEP_1)
	v_fmamk_f32 v6, v3, 0x3377d1cf, v6
	v_add_f32_e32 v5, v5, v6
	v_cndmask_b32_e64 v6, 0, 0x41b17218, s1
	v_cmp_gt_f32_e64 s1, 0x7f800000, |v3|
	s_delay_alu instid0(VALU_DEP_1) | instskip(SKIP_1) | instid1(VALU_DEP_1)
	v_cndmask_b32_e64 v3, v3, v5, s1
	v_add_co_u32 v0, s1, v0, s4
	v_add_co_ci_u32_e64 v1, s1, s5, v1, s1
	s_delay_alu instid0(VALU_DEP_3) | instskip(NEXT) | instid1(VALU_DEP_1)
	v_sub_f32_e32 v3, v3, v6
	v_sub_f32_e32 v4, v4, v3
	s_delay_alu instid0(VALU_DEP_1)
	v_cvt_f16_f32_e32 v4, v4
	global_store_b16 v[0:1], v4, off
	s_and_b32 exec_lo, exec_lo, vcc_lo
	s_cbranch_execz .LBB85_28
; %bb.25:
	v_sub_f32_e32 v2, v2, v3
	s_delay_alu instid0(VALU_DEP_1)
	v_cvt_f16_f32_e32 v2, v2
	global_store_b16 v[0:1], v2, off offset:64
	s_and_b32 exec_lo, exec_lo, s0
	s_cbranch_execz .LBB85_28
; %bb.26:
	v_sub_f32_e32 v2, v7, v3
	s_delay_alu instid0(VALU_DEP_1)
	v_cvt_f16_f32_e32 v2, v2
	global_store_b16 v[0:1], v2, off offset:128
	s_and_b32 exec_lo, exec_lo, s2
	s_cbranch_execz .LBB85_28
; %bb.27:
	v_sub_f32_e32 v2, v9, v3
	s_delay_alu instid0(VALU_DEP_1)
	v_cvt_f16_f32_e32 v2, v2
	global_store_b16 v[0:1], v2, off offset:192
.LBB85_28:
	s_nop 0
	s_sendmsg sendmsg(MSG_DEALLOC_VGPRS)
	s_endpgm
	.section	.rodata,"a",@progbits
	.p2align	6, 0x0
	.amdhsa_kernel _ZN12_GLOBAL__N_120softmax_warp_forwardIN3c104HalfES2_fLi7ELb1ELb0ELi32EEEvPT0_PKT_iiiPKbib
		.amdhsa_group_segment_fixed_size 0
		.amdhsa_private_segment_fixed_size 0
		.amdhsa_kernarg_size 304
		.amdhsa_user_sgpr_count 15
		.amdhsa_user_sgpr_dispatch_ptr 0
		.amdhsa_user_sgpr_queue_ptr 0
		.amdhsa_user_sgpr_kernarg_segment_ptr 1
		.amdhsa_user_sgpr_dispatch_id 0
		.amdhsa_user_sgpr_private_segment_size 0
		.amdhsa_wavefront_size32 1
		.amdhsa_uses_dynamic_stack 0
		.amdhsa_enable_private_segment 0
		.amdhsa_system_sgpr_workgroup_id_x 1
		.amdhsa_system_sgpr_workgroup_id_y 0
		.amdhsa_system_sgpr_workgroup_id_z 0
		.amdhsa_system_sgpr_workgroup_info 0
		.amdhsa_system_vgpr_workitem_id 1
		.amdhsa_next_free_vgpr 40
		.amdhsa_next_free_sgpr 24
		.amdhsa_reserve_vcc 1
		.amdhsa_float_round_mode_32 0
		.amdhsa_float_round_mode_16_64 0
		.amdhsa_float_denorm_mode_32 3
		.amdhsa_float_denorm_mode_16_64 3
		.amdhsa_dx10_clamp 1
		.amdhsa_ieee_mode 1
		.amdhsa_fp16_overflow 0
		.amdhsa_workgroup_processor_mode 1
		.amdhsa_memory_ordered 1
		.amdhsa_forward_progress 0
		.amdhsa_shared_vgpr_count 0
		.amdhsa_exception_fp_ieee_invalid_op 0
		.amdhsa_exception_fp_denorm_src 0
		.amdhsa_exception_fp_ieee_div_zero 0
		.amdhsa_exception_fp_ieee_overflow 0
		.amdhsa_exception_fp_ieee_underflow 0
		.amdhsa_exception_fp_ieee_inexact 0
		.amdhsa_exception_int_div_zero 0
	.end_amdhsa_kernel
	.section	.text._ZN12_GLOBAL__N_120softmax_warp_forwardIN3c104HalfES2_fLi7ELb1ELb0ELi32EEEvPT0_PKT_iiiPKbib,"axG",@progbits,_ZN12_GLOBAL__N_120softmax_warp_forwardIN3c104HalfES2_fLi7ELb1ELb0ELi32EEEvPT0_PKT_iiiPKbib,comdat
.Lfunc_end85:
	.size	_ZN12_GLOBAL__N_120softmax_warp_forwardIN3c104HalfES2_fLi7ELb1ELb0ELi32EEEvPT0_PKT_iiiPKbib, .Lfunc_end85-_ZN12_GLOBAL__N_120softmax_warp_forwardIN3c104HalfES2_fLi7ELb1ELb0ELi32EEEvPT0_PKT_iiiPKbib
                                        ; -- End function
	.section	.AMDGPU.csdata,"",@progbits
; Kernel info:
; codeLenInByte = 2808
; NumSgprs: 26
; NumVgprs: 40
; ScratchSize: 0
; MemoryBound: 0
; FloatMode: 240
; IeeeMode: 1
; LDSByteSize: 0 bytes/workgroup (compile time only)
; SGPRBlocks: 3
; VGPRBlocks: 4
; NumSGPRsForWavesPerEU: 26
; NumVGPRsForWavesPerEU: 40
; Occupancy: 16
; WaveLimiterHint : 0
; COMPUTE_PGM_RSRC2:SCRATCH_EN: 0
; COMPUTE_PGM_RSRC2:USER_SGPR: 15
; COMPUTE_PGM_RSRC2:TRAP_HANDLER: 0
; COMPUTE_PGM_RSRC2:TGID_X_EN: 1
; COMPUTE_PGM_RSRC2:TGID_Y_EN: 0
; COMPUTE_PGM_RSRC2:TGID_Z_EN: 0
; COMPUTE_PGM_RSRC2:TIDIG_COMP_CNT: 1
	.section	.text._ZN12_GLOBAL__N_120softmax_warp_forwardIN3c104HalfES2_fLi8ELb1ELb0ELi64EEEvPT0_PKT_iiiPKbib,"axG",@progbits,_ZN12_GLOBAL__N_120softmax_warp_forwardIN3c104HalfES2_fLi8ELb1ELb0ELi64EEEvPT0_PKT_iiiPKbib,comdat
	.globl	_ZN12_GLOBAL__N_120softmax_warp_forwardIN3c104HalfES2_fLi8ELb1ELb0ELi64EEEvPT0_PKT_iiiPKbib ; -- Begin function _ZN12_GLOBAL__N_120softmax_warp_forwardIN3c104HalfES2_fLi8ELb1ELb0ELi64EEEvPT0_PKT_iiiPKbib
	.p2align	8
	.type	_ZN12_GLOBAL__N_120softmax_warp_forwardIN3c104HalfES2_fLi8ELb1ELb0ELi64EEEvPT0_PKT_iiiPKbib,@function
_ZN12_GLOBAL__N_120softmax_warp_forwardIN3c104HalfES2_fLi8ELb1ELb0ELi64EEEvPT0_PKT_iiiPKbib: ; @_ZN12_GLOBAL__N_120softmax_warp_forwardIN3c104HalfES2_fLi8ELb1ELb0ELi64EEEvPT0_PKT_iiiPKbib
; %bb.0:
	s_clause 0x1
	s_load_b32 s2, s[0:1], 0x3c
	s_load_b256 s[4:11], s[0:1], 0x0
	v_bfe_u32 v1, v0, 10, 10
	v_mov_b32_e32 v6, 0xff800000
	v_mov_b32_e32 v8, 0xff800000
	s_waitcnt lgkmcnt(0)
	s_lshr_b32 s0, s2, 16
	s_delay_alu instid0(SALU_CYCLE_1) | instskip(SKIP_1) | instid1(VALU_DEP_1)
	v_mad_u64_u32 v[3:4], null, s15, s0, v[1:2]
	v_and_b32_e32 v2, 0x3ff, v0
	v_cmp_gt_i32_e64 s1, s10, v2
	s_delay_alu instid0(VALU_DEP_3) | instskip(SKIP_1) | instid1(VALU_DEP_1)
	v_mad_u64_u32 v[0:1], null, v3, s9, v[2:3]
	v_sub_nc_u32_e32 v5, s8, v3
	v_cmp_lt_i32_e64 s3, 0, v5
	s_delay_alu instid0(VALU_DEP_3) | instskip(NEXT) | instid1(VALU_DEP_2)
	v_ashrrev_i32_e32 v1, 31, v0
	s_and_b32 s2, s3, s1
	s_delay_alu instid0(VALU_DEP_1) | instskip(NEXT) | instid1(VALU_DEP_1)
	v_lshlrev_b64 v[0:1], 1, v[0:1]
	v_add_co_u32 v3, vcc_lo, s6, v0
	s_delay_alu instid0(VALU_DEP_2)
	v_add_co_ci_u32_e32 v4, vcc_lo, s7, v1, vcc_lo
	s_and_saveexec_b32 s0, s2
	s_cbranch_execz .LBB86_2
; %bb.1:
	global_load_u16 v7, v[3:4], off
	s_waitcnt vmcnt(0)
	v_cvt_f32_f16_e32 v8, v7
.LBB86_2:
	s_or_b32 exec_lo, exec_lo, s0
	v_add_nc_u32_e32 v7, 64, v2
	s_delay_alu instid0(VALU_DEP_1) | instskip(SKIP_1) | instid1(SALU_CYCLE_1)
	v_cmp_gt_i32_e32 vcc_lo, s10, v7
	s_and_b32 s2, s3, vcc_lo
	s_and_saveexec_b32 s0, s2
	s_cbranch_execz .LBB86_4
; %bb.3:
	global_load_u16 v6, v[3:4], off offset:128
	s_waitcnt vmcnt(0)
	v_cvt_f32_f16_e32 v6, v6
.LBB86_4:
	s_or_b32 exec_lo, exec_lo, s0
	v_add_nc_u32_e32 v7, 0x80, v2
	v_mov_b32_e32 v9, 0xff800000
	s_delay_alu instid0(VALU_DEP_2) | instskip(SKIP_1) | instid1(VALU_DEP_2)
	v_cmp_gt_i32_e64 s0, s10, v7
	v_mov_b32_e32 v7, 0xff800000
	s_and_b32 s6, s3, s0
	s_delay_alu instid0(SALU_CYCLE_1)
	s_and_saveexec_b32 s2, s6
	s_cbranch_execz .LBB86_6
; %bb.5:
	global_load_u16 v9, v[3:4], off offset:256
	s_waitcnt vmcnt(0)
	v_cvt_f32_f16_e32 v9, v9
.LBB86_6:
	s_or_b32 exec_lo, exec_lo, s2
	v_add_nc_u32_e32 v2, 0xc0, v2
	s_delay_alu instid0(VALU_DEP_1) | instskip(NEXT) | instid1(VALU_DEP_1)
	v_cmp_gt_i32_e64 s2, s10, v2
	s_and_b32 s6, s3, s2
	s_delay_alu instid0(SALU_CYCLE_1)
	s_and_saveexec_b32 s3, s6
	s_cbranch_execz .LBB86_8
; %bb.7:
	global_load_u16 v2, v[3:4], off offset:384
	s_waitcnt vmcnt(0)
	v_cvt_f32_f16_e32 v7, v2
.LBB86_8:
	s_or_b32 exec_lo, exec_lo, s3
	v_cmp_gt_f32_e64 s3, v8, v6
	v_mbcnt_lo_u32_b32 v2, -1, 0
	s_mov_b32 s6, exec_lo
	s_delay_alu instid0(VALU_DEP_2) | instskip(NEXT) | instid1(VALU_DEP_2)
	v_cndmask_b32_e64 v3, v6, v8, s3
	v_or_b32_e32 v4, 32, v2
	v_xor_b32_e32 v11, 16, v2
	v_xor_b32_e32 v12, 8, v2
	;; [unrolled: 1-line block ×3, first 2 shown]
	v_cmp_gt_f32_e64 s3, v3, v9
	v_xor_b32_e32 v14, 2, v2
	v_xor_b32_e32 v15, 1, v2
	s_delay_alu instid0(VALU_DEP_3) | instskip(SKIP_1) | instid1(VALU_DEP_1)
	v_cndmask_b32_e64 v3, v9, v3, s3
	v_cmp_gt_i32_e64 s3, 64, v4
	v_cndmask_b32_e64 v4, v2, v4, s3
	s_delay_alu instid0(VALU_DEP_3) | instskip(NEXT) | instid1(VALU_DEP_2)
	v_cmp_gt_f32_e64 s3, v3, v7
	v_lshlrev_b32_e32 v10, 2, v4
	s_delay_alu instid0(VALU_DEP_2) | instskip(SKIP_3) | instid1(VALU_DEP_1)
	v_cndmask_b32_e64 v3, v7, v3, s3
	v_cmp_gt_i32_e64 s3, 64, v11
	ds_bpermute_b32 v4, v10, v3
	v_cndmask_b32_e64 v11, v2, v11, s3
	v_lshlrev_b32_e32 v11, 2, v11
	s_waitcnt lgkmcnt(0)
	v_cmp_lt_f32_e64 s3, v3, v4
	s_delay_alu instid0(VALU_DEP_1) | instskip(SKIP_3) | instid1(VALU_DEP_1)
	v_cndmask_b32_e64 v3, v3, v4, s3
	v_cmp_gt_i32_e64 s3, 64, v12
	ds_bpermute_b32 v4, v11, v3
	v_cndmask_b32_e64 v12, v2, v12, s3
	v_lshlrev_b32_e32 v12, 2, v12
	s_waitcnt lgkmcnt(0)
	v_cmp_lt_f32_e64 s3, v3, v4
	s_delay_alu instid0(VALU_DEP_1) | instskip(SKIP_3) | instid1(VALU_DEP_1)
	;; [unrolled: 8-line block ×5, first 2 shown]
	v_cndmask_b32_e64 v2, v3, v4, s3
	ds_bpermute_b32 v3, v15, v2
	s_waitcnt lgkmcnt(0)
	v_cmp_lt_f32_e64 s3, v2, v3
	v_cndmask_b32_e64 v16, v2, v3, s3
	s_delay_alu instid0(VALU_DEP_1) | instskip(SKIP_2) | instid1(VALU_DEP_3)
	v_sub_f32_e32 v2, v8, v16
	v_sub_f32_e32 v3, v6, v16
	;; [unrolled: 1-line block ×3, first 2 shown]
	v_dual_sub_f32 v4, v9, v16 :: v_dual_mul_f32 v7, 0x3fb8aa3b, v2
	s_delay_alu instid0(VALU_DEP_3) | instskip(SKIP_1) | instid1(VALU_DEP_3)
	v_mul_f32_e32 v8, 0x3fb8aa3b, v3
	v_cmp_ngt_f32_e64 s3, 0xc2ce8ed0, v2
	v_mul_f32_e32 v9, 0x3fb8aa3b, v4
	s_delay_alu instid0(VALU_DEP_4)
	v_fma_f32 v17, 0x3fb8aa3b, v2, -v7
	v_rndne_f32_e32 v18, v7
	v_rndne_f32_e32 v20, v8
	v_fma_f32 v19, 0x3fb8aa3b, v3, -v8
	v_fma_f32 v21, 0x3fb8aa3b, v4, -v9
	v_fmac_f32_e32 v17, 0x32a5705f, v2
	s_delay_alu instid0(VALU_DEP_4) | instskip(SKIP_3) | instid1(VALU_DEP_4)
	v_dual_sub_f32 v7, v7, v18 :: v_dual_sub_f32 v8, v8, v20
	v_mul_f32_e32 v16, 0x3fb8aa3b, v6
	v_rndne_f32_e32 v22, v9
	v_cvt_i32_f32_e32 v18, v18
	v_add_f32_e32 v7, v7, v17
	s_delay_alu instid0(VALU_DEP_4) | instskip(SKIP_2) | instid1(VALU_DEP_4)
	v_fma_f32 v23, 0x3fb8aa3b, v6, -v16
	v_rndne_f32_e32 v17, v16
	v_fmac_f32_e32 v19, 0x32a5705f, v3
	v_exp_f32_e32 v7, v7
	s_delay_alu instid0(VALU_DEP_2) | instskip(NEXT) | instid1(VALU_DEP_2)
	v_dual_fmac_f32 v23, 0x32a5705f, v6 :: v_dual_sub_f32 v16, v16, v17
	v_dual_fmac_f32 v21, 0x32a5705f, v4 :: v_dual_add_f32 v8, v8, v19
	v_sub_f32_e32 v9, v9, v22
	v_cvt_i32_f32_e32 v19, v20
	s_delay_alu instid0(VALU_DEP_4) | instskip(SKIP_3) | instid1(TRANS32_DEP_2)
	v_add_f32_e32 v16, v16, v23
	v_cvt_i32_f32_e32 v20, v22
	v_exp_f32_e32 v8, v8
	v_add_f32_e32 v9, v9, v21
	v_ldexp_f32 v7, v7, v18
	v_exp_f32_e32 v16, v16
	v_cvt_i32_f32_e32 v17, v17
	s_delay_alu instid0(VALU_DEP_3) | instskip(NEXT) | instid1(VALU_DEP_2)
	v_exp_f32_e32 v9, v9
	v_cndmask_b32_e64 v7, 0, v7, s3
	v_cmp_ngt_f32_e64 s3, 0xc2ce8ed0, v3
	s_delay_alu instid0(TRANS32_DEP_3)
	v_ldexp_f32 v8, v8, v19
	s_waitcnt_depctr 0xfff
	v_ldexp_f32 v16, v16, v17
	v_cndmask_b32_e64 v8, 0, v8, s3
	v_ldexp_f32 v9, v9, v20
	v_cmp_ngt_f32_e64 s3, 0xc2ce8ed0, v4
	s_delay_alu instid0(VALU_DEP_1) | instskip(SKIP_1) | instid1(VALU_DEP_1)
	v_cndmask_b32_e64 v9, 0, v9, s3
	v_cmp_nlt_f32_e64 s3, 0x42b17218, v2
	v_cndmask_b32_e64 v7, 0x7f800000, v7, s3
	v_cmp_nlt_f32_e64 s3, 0x42b17218, v3
	s_delay_alu instid0(VALU_DEP_1) | instskip(SKIP_1) | instid1(VALU_DEP_2)
	v_cndmask_b32_e64 v8, 0x7f800000, v8, s3
	v_cmp_nlt_f32_e64 s3, 0x42b17218, v4
	v_add_f32_e32 v7, v7, v8
	s_delay_alu instid0(VALU_DEP_2) | instskip(SKIP_1) | instid1(VALU_DEP_2)
	v_cndmask_b32_e64 v9, 0x7f800000, v9, s3
	v_cmp_ngt_f32_e64 s3, 0xc2ce8ed0, v6
	v_add_f32_e32 v7, v7, v9
	s_delay_alu instid0(VALU_DEP_2) | instskip(SKIP_1) | instid1(VALU_DEP_1)
	v_cndmask_b32_e64 v8, 0, v16, s3
	v_cmp_nlt_f32_e64 s3, 0x42b17218, v6
	v_cndmask_b32_e64 v8, 0x7f800000, v8, s3
	s_delay_alu instid0(VALU_DEP_1)
	v_add_f32_e32 v7, v7, v8
	ds_bpermute_b32 v8, v10, v7
	s_waitcnt lgkmcnt(0)
	v_add_f32_e32 v7, v7, v8
	ds_bpermute_b32 v8, v11, v7
	s_waitcnt lgkmcnt(0)
	;; [unrolled: 3-line block ×5, first 2 shown]
	v_add_f32_e32 v7, v7, v8
	ds_bpermute_b32 v8, v15, v7
	v_cmpx_lt_i32_e32 0, v5
	s_cbranch_execz .LBB86_14
; %bb.9:
	s_and_b32 exec_lo, exec_lo, s1
	s_cbranch_execz .LBB86_14
; %bb.10:
	s_waitcnt lgkmcnt(0)
	v_add_f32_e32 v5, v7, v8
	s_delay_alu instid0(VALU_DEP_1) | instskip(NEXT) | instid1(VALU_DEP_1)
	v_cmp_gt_f32_e64 s1, 0x800000, v5
	v_cndmask_b32_e64 v7, 1.0, 0x4f800000, s1
	s_delay_alu instid0(VALU_DEP_1) | instskip(NEXT) | instid1(VALU_DEP_1)
	v_mul_f32_e32 v5, v5, v7
	v_log_f32_e32 v5, v5
	s_waitcnt_depctr 0xfff
	v_mul_f32_e32 v7, 0x3f317217, v5
	v_cmp_gt_f32_e64 s3, 0x7f800000, |v5|
	s_delay_alu instid0(VALU_DEP_2) | instskip(NEXT) | instid1(VALU_DEP_1)
	v_fma_f32 v8, 0x3f317217, v5, -v7
	v_fmamk_f32 v8, v5, 0x3377d1cf, v8
	s_delay_alu instid0(VALU_DEP_1) | instskip(NEXT) | instid1(VALU_DEP_1)
	v_add_f32_e32 v7, v7, v8
	v_cndmask_b32_e64 v5, v5, v7, s3
	v_cndmask_b32_e64 v7, 0, 0x41b17218, s1
	v_add_co_u32 v0, s1, s4, v0
	s_delay_alu instid0(VALU_DEP_1) | instskip(NEXT) | instid1(VALU_DEP_3)
	v_add_co_ci_u32_e64 v1, s1, s5, v1, s1
	v_sub_f32_e32 v5, v5, v7
	s_delay_alu instid0(VALU_DEP_1) | instskip(NEXT) | instid1(VALU_DEP_1)
	v_sub_f32_e32 v2, v2, v5
	v_cvt_f16_f32_e32 v2, v2
	global_store_b16 v[0:1], v2, off
	s_and_b32 exec_lo, exec_lo, vcc_lo
	s_cbranch_execz .LBB86_14
; %bb.11:
	v_sub_f32_e32 v2, v3, v5
	s_delay_alu instid0(VALU_DEP_1)
	v_cvt_f16_f32_e32 v2, v2
	global_store_b16 v[0:1], v2, off offset:128
	s_and_b32 exec_lo, exec_lo, s0
	s_cbranch_execz .LBB86_14
; %bb.12:
	v_sub_f32_e32 v2, v4, v5
	s_delay_alu instid0(VALU_DEP_1)
	v_cvt_f16_f32_e32 v2, v2
	global_store_b16 v[0:1], v2, off offset:256
	s_and_b32 exec_lo, exec_lo, s2
	s_cbranch_execz .LBB86_14
; %bb.13:
	v_sub_f32_e32 v2, v6, v5
	s_delay_alu instid0(VALU_DEP_1)
	v_cvt_f16_f32_e32 v2, v2
	global_store_b16 v[0:1], v2, off offset:384
.LBB86_14:
	s_nop 0
	s_sendmsg sendmsg(MSG_DEALLOC_VGPRS)
	s_endpgm
	.section	.rodata,"a",@progbits
	.p2align	6, 0x0
	.amdhsa_kernel _ZN12_GLOBAL__N_120softmax_warp_forwardIN3c104HalfES2_fLi8ELb1ELb0ELi64EEEvPT0_PKT_iiiPKbib
		.amdhsa_group_segment_fixed_size 0
		.amdhsa_private_segment_fixed_size 0
		.amdhsa_kernarg_size 304
		.amdhsa_user_sgpr_count 15
		.amdhsa_user_sgpr_dispatch_ptr 0
		.amdhsa_user_sgpr_queue_ptr 0
		.amdhsa_user_sgpr_kernarg_segment_ptr 1
		.amdhsa_user_sgpr_dispatch_id 0
		.amdhsa_user_sgpr_private_segment_size 0
		.amdhsa_wavefront_size32 1
		.amdhsa_uses_dynamic_stack 0
		.amdhsa_enable_private_segment 0
		.amdhsa_system_sgpr_workgroup_id_x 1
		.amdhsa_system_sgpr_workgroup_id_y 0
		.amdhsa_system_sgpr_workgroup_id_z 0
		.amdhsa_system_sgpr_workgroup_info 0
		.amdhsa_system_vgpr_workitem_id 1
		.amdhsa_next_free_vgpr 24
		.amdhsa_next_free_sgpr 16
		.amdhsa_reserve_vcc 1
		.amdhsa_float_round_mode_32 0
		.amdhsa_float_round_mode_16_64 0
		.amdhsa_float_denorm_mode_32 3
		.amdhsa_float_denorm_mode_16_64 3
		.amdhsa_dx10_clamp 1
		.amdhsa_ieee_mode 1
		.amdhsa_fp16_overflow 0
		.amdhsa_workgroup_processor_mode 1
		.amdhsa_memory_ordered 1
		.amdhsa_forward_progress 0
		.amdhsa_shared_vgpr_count 0
		.amdhsa_exception_fp_ieee_invalid_op 0
		.amdhsa_exception_fp_denorm_src 0
		.amdhsa_exception_fp_ieee_div_zero 0
		.amdhsa_exception_fp_ieee_overflow 0
		.amdhsa_exception_fp_ieee_underflow 0
		.amdhsa_exception_fp_ieee_inexact 0
		.amdhsa_exception_int_div_zero 0
	.end_amdhsa_kernel
	.section	.text._ZN12_GLOBAL__N_120softmax_warp_forwardIN3c104HalfES2_fLi8ELb1ELb0ELi64EEEvPT0_PKT_iiiPKbib,"axG",@progbits,_ZN12_GLOBAL__N_120softmax_warp_forwardIN3c104HalfES2_fLi8ELb1ELb0ELi64EEEvPT0_PKT_iiiPKbib,comdat
.Lfunc_end86:
	.size	_ZN12_GLOBAL__N_120softmax_warp_forwardIN3c104HalfES2_fLi8ELb1ELb0ELi64EEEvPT0_PKT_iiiPKbib, .Lfunc_end86-_ZN12_GLOBAL__N_120softmax_warp_forwardIN3c104HalfES2_fLi8ELb1ELb0ELi64EEEvPT0_PKT_iiiPKbib
                                        ; -- End function
	.section	.AMDGPU.csdata,"",@progbits
; Kernel info:
; codeLenInByte = 1608
; NumSgprs: 18
; NumVgprs: 24
; ScratchSize: 0
; MemoryBound: 0
; FloatMode: 240
; IeeeMode: 1
; LDSByteSize: 0 bytes/workgroup (compile time only)
; SGPRBlocks: 2
; VGPRBlocks: 2
; NumSGPRsForWavesPerEU: 18
; NumVGPRsForWavesPerEU: 24
; Occupancy: 16
; WaveLimiterHint : 0
; COMPUTE_PGM_RSRC2:SCRATCH_EN: 0
; COMPUTE_PGM_RSRC2:USER_SGPR: 15
; COMPUTE_PGM_RSRC2:TRAP_HANDLER: 0
; COMPUTE_PGM_RSRC2:TGID_X_EN: 1
; COMPUTE_PGM_RSRC2:TGID_Y_EN: 0
; COMPUTE_PGM_RSRC2:TGID_Z_EN: 0
; COMPUTE_PGM_RSRC2:TIDIG_COMP_CNT: 1
	.section	.text._ZN12_GLOBAL__N_120softmax_warp_forwardIN3c104HalfES2_fLi8ELb1ELb0ELi32EEEvPT0_PKT_iiiPKbib,"axG",@progbits,_ZN12_GLOBAL__N_120softmax_warp_forwardIN3c104HalfES2_fLi8ELb1ELb0ELi32EEEvPT0_PKT_iiiPKbib,comdat
	.globl	_ZN12_GLOBAL__N_120softmax_warp_forwardIN3c104HalfES2_fLi8ELb1ELb0ELi32EEEvPT0_PKT_iiiPKbib ; -- Begin function _ZN12_GLOBAL__N_120softmax_warp_forwardIN3c104HalfES2_fLi8ELb1ELb0ELi32EEEvPT0_PKT_iiiPKbib
	.p2align	8
	.type	_ZN12_GLOBAL__N_120softmax_warp_forwardIN3c104HalfES2_fLi8ELb1ELb0ELi32EEEvPT0_PKT_iiiPKbib,@function
_ZN12_GLOBAL__N_120softmax_warp_forwardIN3c104HalfES2_fLi8ELb1ELb0ELi32EEEvPT0_PKT_iiiPKbib: ; @_ZN12_GLOBAL__N_120softmax_warp_forwardIN3c104HalfES2_fLi8ELb1ELb0ELi32EEEvPT0_PKT_iiiPKbib
; %bb.0:
	s_clause 0x1
	s_load_b32 s2, s[0:1], 0x3c
	s_load_b256 s[16:23], s[0:1], 0x0
	v_bfe_u32 v1, v0, 10, 10
	v_dual_mov_b32 v6, 0xff800000 :: v_dual_mov_b32 v9, 0xff800000
	s_waitcnt lgkmcnt(0)
	s_lshr_b32 s0, s2, 16
	s_delay_alu instid0(VALU_DEP_2) | instid1(SALU_CYCLE_1)
	v_mad_u64_u32 v[3:4], null, s15, s0, v[1:2]
	v_and_b32_e32 v2, 0x3ff, v0
	s_delay_alu instid0(VALU_DEP_1) | instskip(NEXT) | instid1(VALU_DEP_3)
	v_cmp_gt_i32_e64 s1, s22, v2
	v_mad_u64_u32 v[0:1], null, v3, s21, v[2:3]
	v_sub_nc_u32_e32 v5, s20, v3
	s_delay_alu instid0(VALU_DEP_1) | instskip(NEXT) | instid1(VALU_DEP_3)
	v_cmp_lt_i32_e64 s7, 0, v5
	v_ashrrev_i32_e32 v1, 31, v0
	s_delay_alu instid0(VALU_DEP_2) | instskip(NEXT) | instid1(VALU_DEP_1)
	s_and_b32 s2, s7, s1
	v_lshlrev_b64 v[0:1], 1, v[0:1]
	s_delay_alu instid0(VALU_DEP_1) | instskip(NEXT) | instid1(VALU_DEP_2)
	v_add_co_u32 v3, vcc_lo, s18, v0
	v_add_co_ci_u32_e32 v4, vcc_lo, s19, v1, vcc_lo
	s_and_saveexec_b32 s0, s2
	s_cbranch_execz .LBB87_2
; %bb.1:
	global_load_u16 v7, v[3:4], off
	s_waitcnt vmcnt(0)
	v_cvt_f32_f16_e32 v9, v7
.LBB87_2:
	s_or_b32 exec_lo, exec_lo, s0
	v_add_nc_u32_e32 v7, 32, v2
	s_delay_alu instid0(VALU_DEP_1) | instskip(SKIP_1) | instid1(SALU_CYCLE_1)
	v_cmp_gt_i32_e32 vcc_lo, s22, v7
	s_and_b32 s2, s7, vcc_lo
	s_and_saveexec_b32 s0, s2
	s_cbranch_execz .LBB87_4
; %bb.3:
	global_load_u16 v6, v[3:4], off offset:64
	s_waitcnt vmcnt(0)
	v_cvt_f32_f16_e32 v6, v6
.LBB87_4:
	s_or_b32 exec_lo, exec_lo, s0
	v_add_nc_u32_e32 v7, 64, v2
	v_mov_b32_e32 v11, 0xff800000
	s_delay_alu instid0(VALU_DEP_2) | instskip(SKIP_1) | instid1(VALU_DEP_2)
	v_cmp_gt_i32_e64 s0, s22, v7
	v_mov_b32_e32 v7, 0xff800000
	s_and_b32 s3, s7, s0
	s_delay_alu instid0(SALU_CYCLE_1)
	s_and_saveexec_b32 s2, s3
	s_cbranch_execz .LBB87_6
; %bb.5:
	global_load_u16 v8, v[3:4], off offset:128
	s_waitcnt vmcnt(0)
	v_cvt_f32_f16_e32 v11, v8
.LBB87_6:
	s_or_b32 exec_lo, exec_lo, s2
	v_add_nc_u32_e32 v8, 0x60, v2
	s_delay_alu instid0(VALU_DEP_1) | instskip(NEXT) | instid1(VALU_DEP_1)
	v_cmp_gt_i32_e64 s2, s22, v8
	s_and_b32 s4, s7, s2
	s_delay_alu instid0(SALU_CYCLE_1)
	s_and_saveexec_b32 s3, s4
	s_cbranch_execz .LBB87_8
; %bb.7:
	global_load_u16 v7, v[3:4], off offset:192
	s_waitcnt vmcnt(0)
	v_cvt_f32_f16_e32 v7, v7
.LBB87_8:
	s_or_b32 exec_lo, exec_lo, s3
	v_add_nc_u32_e32 v8, 0x80, v2
	v_mov_b32_e32 v12, 0xff800000
	s_delay_alu instid0(VALU_DEP_2) | instskip(SKIP_1) | instid1(VALU_DEP_2)
	v_cmp_gt_i32_e64 s3, s22, v8
	v_mov_b32_e32 v8, 0xff800000
	s_and_b32 s5, s7, s3
	s_delay_alu instid0(SALU_CYCLE_1)
	s_and_saveexec_b32 s4, s5
	s_cbranch_execz .LBB87_10
; %bb.9:
	global_load_u16 v10, v[3:4], off offset:256
	s_waitcnt vmcnt(0)
	v_cvt_f32_f16_e32 v12, v10
.LBB87_10:
	s_or_b32 exec_lo, exec_lo, s4
	v_add_nc_u32_e32 v10, 0xa0, v2
	s_delay_alu instid0(VALU_DEP_1) | instskip(NEXT) | instid1(VALU_DEP_1)
	v_cmp_gt_i32_e64 s4, s22, v10
	s_and_b32 s6, s7, s4
	s_delay_alu instid0(SALU_CYCLE_1)
	;; [unrolled: 28-line block ×3, first 2 shown]
	s_and_saveexec_b32 s7, s8
	s_cbranch_execz .LBB87_16
; %bb.15:
	global_load_u16 v2, v[3:4], off offset:448
	s_waitcnt vmcnt(0)
	v_cvt_f32_f16_e32 v10, v2
.LBB87_16:
	s_or_b32 exec_lo, exec_lo, s7
	v_cmp_gt_f32_e64 s7, v9, v6
	v_mbcnt_lo_u32_b32 v3, -1, 0
	s_mov_b32 s8, exec_lo
	s_delay_alu instid0(VALU_DEP_2) | instskip(NEXT) | instid1(VALU_DEP_2)
	v_cndmask_b32_e64 v2, v6, v9, s7
	v_xor_b32_e32 v4, 16, v3
	v_xor_b32_e32 v15, 8, v3
	;; [unrolled: 1-line block ×4, first 2 shown]
	v_cmp_gt_f32_e64 s7, v2, v11
	v_xor_b32_e32 v18, 1, v3
	s_delay_alu instid0(VALU_DEP_2) | instskip(NEXT) | instid1(VALU_DEP_1)
	v_cndmask_b32_e64 v2, v11, v2, s7
	v_cmp_gt_f32_e64 s7, v2, v7
	s_delay_alu instid0(VALU_DEP_1) | instskip(NEXT) | instid1(VALU_DEP_1)
	v_cndmask_b32_e64 v2, v7, v2, s7
	v_cmp_gt_f32_e64 s7, v2, v12
	s_delay_alu instid0(VALU_DEP_1) | instskip(NEXT) | instid1(VALU_DEP_1)
	v_cndmask_b32_e64 v2, v12, v2, s7
	v_cmp_gt_f32_e64 s7, v2, v8
	s_delay_alu instid0(VALU_DEP_1) | instskip(SKIP_1) | instid1(VALU_DEP_1)
	v_cndmask_b32_e64 v2, v8, v2, s7
	v_cmp_gt_i32_e64 s7, 32, v4
	v_cndmask_b32_e64 v4, v3, v4, s7
	s_delay_alu instid0(VALU_DEP_3) | instskip(NEXT) | instid1(VALU_DEP_2)
	v_cmp_gt_f32_e64 s7, v2, v13
	v_lshlrev_b32_e32 v14, 2, v4
	s_delay_alu instid0(VALU_DEP_2) | instskip(NEXT) | instid1(VALU_DEP_1)
	v_cndmask_b32_e64 v2, v13, v2, s7
	v_cmp_gt_f32_e64 s7, v2, v10
	s_delay_alu instid0(VALU_DEP_1) | instskip(SKIP_3) | instid1(VALU_DEP_1)
	v_cndmask_b32_e64 v2, v10, v2, s7
	v_cmp_gt_i32_e64 s7, 32, v15
	ds_bpermute_b32 v4, v14, v2
	v_cndmask_b32_e64 v15, v3, v15, s7
	v_lshlrev_b32_e32 v15, 2, v15
	s_waitcnt lgkmcnt(0)
	v_cmp_lt_f32_e64 s7, v2, v4
	s_delay_alu instid0(VALU_DEP_1) | instskip(SKIP_3) | instid1(VALU_DEP_1)
	v_cndmask_b32_e64 v2, v2, v4, s7
	v_cmp_gt_i32_e64 s7, 32, v16
	ds_bpermute_b32 v4, v15, v2
	v_cndmask_b32_e64 v16, v3, v16, s7
	v_lshlrev_b32_e32 v16, 2, v16
	s_waitcnt lgkmcnt(0)
	v_cmp_lt_f32_e64 s7, v2, v4
	s_delay_alu instid0(VALU_DEP_1) | instskip(SKIP_3) | instid1(VALU_DEP_1)
	v_cndmask_b32_e64 v2, v2, v4, s7
	v_cmp_gt_i32_e64 s7, 32, v17
	ds_bpermute_b32 v4, v16, v2
	v_cndmask_b32_e64 v17, v3, v17, s7
	v_lshlrev_b32_e32 v17, 2, v17
	s_waitcnt lgkmcnt(0)
	v_cmp_lt_f32_e64 s7, v2, v4
	s_delay_alu instid0(VALU_DEP_1) | instskip(SKIP_3) | instid1(VALU_DEP_1)
	v_cndmask_b32_e64 v2, v2, v4, s7
	v_cmp_gt_i32_e64 s7, 32, v18
	ds_bpermute_b32 v4, v17, v2
	v_cndmask_b32_e64 v3, v3, v18, s7
	v_lshlrev_b32_e32 v18, 2, v3
	s_waitcnt lgkmcnt(0)
	v_cmp_lt_f32_e64 s7, v2, v4
	s_delay_alu instid0(VALU_DEP_1) | instskip(SKIP_3) | instid1(VALU_DEP_1)
	v_cndmask_b32_e64 v2, v2, v4, s7
	ds_bpermute_b32 v3, v18, v2
	s_waitcnt lgkmcnt(0)
	v_cmp_lt_f32_e64 s7, v2, v3
	v_cndmask_b32_e64 v19, v2, v3, s7
	s_delay_alu instid0(VALU_DEP_1)
	v_sub_f32_e32 v2, v9, v19
	v_sub_f32_e32 v3, v6, v19
	;; [unrolled: 1-line block ×5, first 2 shown]
	v_dual_mul_f32 v11, 0x3fb8aa3b, v2 :: v_dual_sub_f32 v10, v10, v19
	v_sub_f32_e32 v8, v8, v19
	v_cmp_ngt_f32_e64 s7, 0xc2ce8ed0, v2
	s_delay_alu instid0(VALU_DEP_3) | instskip(NEXT) | instid1(VALU_DEP_4)
	v_fma_f32 v24, 0x3fb8aa3b, v2, -v11
	v_mul_f32_e32 v23, 0x3fb8aa3b, v10
	v_sub_f32_e32 v9, v13, v19
	v_mul_f32_e32 v19, 0x3fb8aa3b, v6
	v_mul_f32_e32 v13, 0x3fb8aa3b, v4
	v_fmac_f32_e32 v24, 0x32a5705f, v2
	v_rndne_f32_e32 v25, v11
	v_mul_f32_e32 v12, 0x3fb8aa3b, v3
	v_rndne_f32_e32 v31, v19
	v_fma_f32 v28, 0x3fb8aa3b, v4, -v13
	v_rndne_f32_e32 v29, v13
	v_sub_f32_e32 v11, v11, v25
	v_fma_f32 v26, 0x3fb8aa3b, v3, -v12
	v_rndne_f32_e32 v27, v12
	s_delay_alu instid0(VALU_DEP_4) | instskip(SKIP_1) | instid1(VALU_DEP_4)
	v_dual_mul_f32 v20, 0x3fb8aa3b, v7 :: v_dual_sub_f32 v13, v13, v29
	v_fma_f32 v30, 0x3fb8aa3b, v6, -v19
	v_dual_fmac_f32 v26, 0x32a5705f, v3 :: v_dual_add_f32 v11, v11, v24
	v_dual_fmac_f32 v28, 0x32a5705f, v4 :: v_dual_sub_f32 v19, v19, v31
	v_sub_f32_e32 v12, v12, v27
	v_cvt_i32_f32_e32 v25, v25
	s_delay_alu instid0(VALU_DEP_4) | instskip(NEXT) | instid1(VALU_DEP_3)
	v_exp_f32_e32 v11, v11
	v_add_f32_e32 v13, v13, v28
	s_delay_alu instid0(VALU_DEP_3) | instskip(SKIP_2) | instid1(VALU_DEP_4)
	v_dual_mul_f32 v21, 0x3fb8aa3b, v8 :: v_dual_add_f32 v12, v12, v26
	v_cvt_i32_f32_e32 v27, v27
	v_fma_f32 v32, 0x3fb8aa3b, v7, -v20
	v_exp_f32_e32 v13, v13
	s_delay_alu instid0(VALU_DEP_3) | instskip(SKIP_2) | instid1(TRANS32_DEP_3)
	v_rndne_f32_e32 v35, v21
	v_exp_f32_e32 v12, v12
	v_cvt_i32_f32_e32 v29, v29
	v_ldexp_f32 v11, v11, v25
	v_fmac_f32_e32 v30, 0x32a5705f, v6
	v_fma_f32 v34, 0x3fb8aa3b, v8, -v21
	v_sub_f32_e32 v21, v21, v35
	v_fmac_f32_e32 v32, 0x32a5705f, v7
	v_cndmask_b32_e64 v11, 0, v11, s7
	v_add_f32_e32 v19, v19, v30
	v_cmp_ngt_f32_e64 s7, 0xc2ce8ed0, v3
	v_ldexp_f32 v12, v12, v27
	v_ldexp_f32 v13, v13, v29
	v_cvt_i32_f32_e32 v31, v31
	v_exp_f32_e32 v19, v19
	v_mul_f32_e32 v22, 0x3fb8aa3b, v9
	v_cndmask_b32_e64 v12, 0, v12, s7
	v_cmp_ngt_f32_e64 s7, 0xc2ce8ed0, v4
	v_rndne_f32_e32 v33, v20
	v_rndne_f32_e32 v39, v23
	v_rndne_f32_e32 v37, v22
	v_fma_f32 v36, 0x3fb8aa3b, v9, -v22
	v_cndmask_b32_e64 v13, 0, v13, s7
	v_cmp_nlt_f32_e64 s7, 0x42b17218, v2
	v_ldexp_f32 v19, v19, v31
	v_sub_f32_e32 v20, v20, v33
	v_fma_f32 v38, 0x3fb8aa3b, v10, -v23
	v_sub_f32_e32 v23, v23, v39
	v_cndmask_b32_e64 v11, 0x7f800000, v11, s7
	v_cmp_nlt_f32_e64 s7, 0x42b17218, v3
	v_add_f32_e32 v20, v20, v32
	v_cvt_i32_f32_e32 v33, v33
	v_cvt_i32_f32_e32 v35, v35
	;; [unrolled: 1-line block ×3, first 2 shown]
	v_cndmask_b32_e64 v12, 0x7f800000, v12, s7
	v_cmp_ngt_f32_e64 s7, 0xc2ce8ed0, v6
	v_sub_f32_e32 v22, v22, v37
	v_exp_f32_e32 v20, v20
	v_cvt_i32_f32_e32 v26, v39
	v_add_f32_e32 v11, v11, v12
	v_cndmask_b32_e64 v19, 0, v19, s7
	v_cmp_nlt_f32_e64 s7, 0x42b17218, v4
	s_delay_alu instid0(VALU_DEP_1) | instskip(SKIP_1) | instid1(TRANS32_DEP_1)
	v_cndmask_b32_e64 v13, 0x7f800000, v13, s7
	v_fmac_f32_e32 v38, 0x32a5705f, v10
	v_ldexp_f32 v20, v20, v33
	v_cmp_ngt_f32_e64 s7, 0xc2ce8ed0, v7
	s_delay_alu instid0(VALU_DEP_4) | instskip(NEXT) | instid1(VALU_DEP_4)
	v_dual_add_f32 v11, v11, v13 :: v_dual_fmac_f32 v34, 0x32a5705f, v8
	v_dual_add_f32 v23, v23, v38 :: v_dual_fmac_f32 v36, 0x32a5705f, v9
	s_delay_alu instid0(VALU_DEP_3) | instskip(SKIP_1) | instid1(VALU_DEP_4)
	v_cndmask_b32_e64 v12, 0, v20, s7
	v_cmp_nlt_f32_e64 s7, 0x42b17218, v6
	v_add_f32_e32 v21, v21, v34
	s_delay_alu instid0(VALU_DEP_4) | instskip(SKIP_1) | instid1(VALU_DEP_3)
	v_exp_f32_e32 v23, v23
	v_add_f32_e32 v22, v22, v36
	v_cndmask_b32_e64 v19, 0x7f800000, v19, s7
	s_delay_alu instid0(VALU_DEP_3) | instskip(SKIP_1) | instid1(VALU_DEP_3)
	v_exp_f32_e32 v21, v21
	v_cmp_ngt_f32_e64 s7, 0xc2ce8ed0, v8
	v_exp_f32_e32 v22, v22
	s_delay_alu instid0(VALU_DEP_2) | instskip(SKIP_3) | instid1(VALU_DEP_2)
	v_add_f32_e32 v11, v11, v19
	s_waitcnt_depctr 0xfff
	v_ldexp_f32 v21, v21, v35
	v_ldexp_f32 v22, v22, v24
	v_cndmask_b32_e64 v13, 0, v21, s7
	v_cmp_nlt_f32_e64 s7, 0x42b17218, v7
	s_delay_alu instid0(VALU_DEP_1) | instskip(SKIP_1) | instid1(VALU_DEP_2)
	v_cndmask_b32_e64 v12, 0x7f800000, v12, s7
	v_cmp_ngt_f32_e64 s7, 0xc2ce8ed0, v9
	v_add_f32_e32 v11, v11, v12
	s_delay_alu instid0(VALU_DEP_2) | instskip(SKIP_2) | instid1(VALU_DEP_2)
	v_cndmask_b32_e64 v19, 0, v22, s7
	v_cmp_nlt_f32_e64 s7, 0x42b17218, v8
	v_ldexp_f32 v12, v23, v26
	v_cndmask_b32_e64 v13, 0x7f800000, v13, s7
	v_cmp_nlt_f32_e64 s7, 0x42b17218, v9
	s_delay_alu instid0(VALU_DEP_2) | instskip(NEXT) | instid1(VALU_DEP_2)
	v_add_f32_e32 v11, v11, v13
	v_cndmask_b32_e64 v19, 0x7f800000, v19, s7
	v_cmp_ngt_f32_e64 s7, 0xc2ce8ed0, v10
	s_delay_alu instid0(VALU_DEP_2) | instskip(NEXT) | instid1(VALU_DEP_2)
	v_add_f32_e32 v11, v11, v19
	v_cndmask_b32_e64 v12, 0, v12, s7
	v_cmp_nlt_f32_e64 s7, 0x42b17218, v10
	s_delay_alu instid0(VALU_DEP_1) | instskip(NEXT) | instid1(VALU_DEP_1)
	v_cndmask_b32_e64 v12, 0x7f800000, v12, s7
	v_add_f32_e32 v11, v11, v12
	ds_bpermute_b32 v12, v14, v11
	s_waitcnt lgkmcnt(0)
	v_add_f32_e32 v11, v11, v12
	ds_bpermute_b32 v12, v15, v11
	s_waitcnt lgkmcnt(0)
	;; [unrolled: 3-line block ×4, first 2 shown]
	v_add_f32_e32 v11, v11, v12
	ds_bpermute_b32 v12, v18, v11
	v_cmpx_lt_i32_e32 0, v5
	s_cbranch_execz .LBB87_26
; %bb.17:
	s_and_b32 exec_lo, exec_lo, s1
	s_cbranch_execz .LBB87_26
; %bb.18:
	s_waitcnt lgkmcnt(0)
	v_add_f32_e32 v5, v11, v12
	s_delay_alu instid0(VALU_DEP_1) | instskip(NEXT) | instid1(VALU_DEP_1)
	v_cmp_gt_f32_e64 s1, 0x800000, v5
	v_cndmask_b32_e64 v11, 1.0, 0x4f800000, s1
	s_delay_alu instid0(VALU_DEP_1) | instskip(NEXT) | instid1(VALU_DEP_1)
	v_mul_f32_e32 v5, v5, v11
	v_log_f32_e32 v5, v5
	s_waitcnt_depctr 0xfff
	v_mul_f32_e32 v11, 0x3f317217, v5
	v_cmp_gt_f32_e64 s7, 0x7f800000, |v5|
	s_delay_alu instid0(VALU_DEP_2) | instskip(NEXT) | instid1(VALU_DEP_1)
	v_fma_f32 v12, 0x3f317217, v5, -v11
	v_fmamk_f32 v12, v5, 0x3377d1cf, v12
	s_delay_alu instid0(VALU_DEP_1) | instskip(NEXT) | instid1(VALU_DEP_1)
	v_add_f32_e32 v11, v11, v12
	v_cndmask_b32_e64 v5, v5, v11, s7
	v_cndmask_b32_e64 v11, 0, 0x41b17218, s1
	v_add_co_u32 v0, s1, s16, v0
	s_delay_alu instid0(VALU_DEP_1) | instskip(NEXT) | instid1(VALU_DEP_3)
	v_add_co_ci_u32_e64 v1, s1, s17, v1, s1
	v_sub_f32_e32 v5, v5, v11
	s_delay_alu instid0(VALU_DEP_1) | instskip(NEXT) | instid1(VALU_DEP_1)
	v_sub_f32_e32 v2, v2, v5
	v_cvt_f16_f32_e32 v2, v2
	global_store_b16 v[0:1], v2, off
	s_and_b32 exec_lo, exec_lo, vcc_lo
	s_cbranch_execz .LBB87_26
; %bb.19:
	v_sub_f32_e32 v2, v3, v5
	s_delay_alu instid0(VALU_DEP_1)
	v_cvt_f16_f32_e32 v2, v2
	global_store_b16 v[0:1], v2, off offset:64
	s_and_b32 exec_lo, exec_lo, s0
	s_cbranch_execz .LBB87_26
; %bb.20:
	v_sub_f32_e32 v2, v4, v5
	s_delay_alu instid0(VALU_DEP_1)
	v_cvt_f16_f32_e32 v2, v2
	global_store_b16 v[0:1], v2, off offset:128
	s_and_b32 exec_lo, exec_lo, s2
	;; [unrolled: 7-line block ×6, first 2 shown]
	s_cbranch_execz .LBB87_26
; %bb.25:
	v_sub_f32_e32 v2, v10, v5
	s_delay_alu instid0(VALU_DEP_1)
	v_cvt_f16_f32_e32 v2, v2
	global_store_b16 v[0:1], v2, off offset:448
.LBB87_26:
	s_nop 0
	s_sendmsg sendmsg(MSG_DEALLOC_VGPRS)
	s_endpgm
	.section	.rodata,"a",@progbits
	.p2align	6, 0x0
	.amdhsa_kernel _ZN12_GLOBAL__N_120softmax_warp_forwardIN3c104HalfES2_fLi8ELb1ELb0ELi32EEEvPT0_PKT_iiiPKbib
		.amdhsa_group_segment_fixed_size 0
		.amdhsa_private_segment_fixed_size 0
		.amdhsa_kernarg_size 304
		.amdhsa_user_sgpr_count 15
		.amdhsa_user_sgpr_dispatch_ptr 0
		.amdhsa_user_sgpr_queue_ptr 0
		.amdhsa_user_sgpr_kernarg_segment_ptr 1
		.amdhsa_user_sgpr_dispatch_id 0
		.amdhsa_user_sgpr_private_segment_size 0
		.amdhsa_wavefront_size32 1
		.amdhsa_uses_dynamic_stack 0
		.amdhsa_enable_private_segment 0
		.amdhsa_system_sgpr_workgroup_id_x 1
		.amdhsa_system_sgpr_workgroup_id_y 0
		.amdhsa_system_sgpr_workgroup_id_z 0
		.amdhsa_system_sgpr_workgroup_info 0
		.amdhsa_system_vgpr_workitem_id 1
		.amdhsa_next_free_vgpr 40
		.amdhsa_next_free_sgpr 24
		.amdhsa_reserve_vcc 1
		.amdhsa_float_round_mode_32 0
		.amdhsa_float_round_mode_16_64 0
		.amdhsa_float_denorm_mode_32 3
		.amdhsa_float_denorm_mode_16_64 3
		.amdhsa_dx10_clamp 1
		.amdhsa_ieee_mode 1
		.amdhsa_fp16_overflow 0
		.amdhsa_workgroup_processor_mode 1
		.amdhsa_memory_ordered 1
		.amdhsa_forward_progress 0
		.amdhsa_shared_vgpr_count 0
		.amdhsa_exception_fp_ieee_invalid_op 0
		.amdhsa_exception_fp_denorm_src 0
		.amdhsa_exception_fp_ieee_div_zero 0
		.amdhsa_exception_fp_ieee_overflow 0
		.amdhsa_exception_fp_ieee_underflow 0
		.amdhsa_exception_fp_ieee_inexact 0
		.amdhsa_exception_int_div_zero 0
	.end_amdhsa_kernel
	.section	.text._ZN12_GLOBAL__N_120softmax_warp_forwardIN3c104HalfES2_fLi8ELb1ELb0ELi32EEEvPT0_PKT_iiiPKbib,"axG",@progbits,_ZN12_GLOBAL__N_120softmax_warp_forwardIN3c104HalfES2_fLi8ELb1ELb0ELi32EEEvPT0_PKT_iiiPKbib,comdat
.Lfunc_end87:
	.size	_ZN12_GLOBAL__N_120softmax_warp_forwardIN3c104HalfES2_fLi8ELb1ELb0ELi32EEEvPT0_PKT_iiiPKbib, .Lfunc_end87-_ZN12_GLOBAL__N_120softmax_warp_forwardIN3c104HalfES2_fLi8ELb1ELb0ELi32EEEvPT0_PKT_iiiPKbib
                                        ; -- End function
	.section	.AMDGPU.csdata,"",@progbits
; Kernel info:
; codeLenInByte = 2420
; NumSgprs: 26
; NumVgprs: 40
; ScratchSize: 0
; MemoryBound: 0
; FloatMode: 240
; IeeeMode: 1
; LDSByteSize: 0 bytes/workgroup (compile time only)
; SGPRBlocks: 3
; VGPRBlocks: 4
; NumSGPRsForWavesPerEU: 26
; NumVGPRsForWavesPerEU: 40
; Occupancy: 16
; WaveLimiterHint : 0
; COMPUTE_PGM_RSRC2:SCRATCH_EN: 0
; COMPUTE_PGM_RSRC2:USER_SGPR: 15
; COMPUTE_PGM_RSRC2:TRAP_HANDLER: 0
; COMPUTE_PGM_RSRC2:TGID_X_EN: 1
; COMPUTE_PGM_RSRC2:TGID_Y_EN: 0
; COMPUTE_PGM_RSRC2:TGID_Z_EN: 0
; COMPUTE_PGM_RSRC2:TIDIG_COMP_CNT: 1
	.section	.text._ZN12_GLOBAL__N_120softmax_warp_forwardIN3c104HalfES2_fLi9ELb1ELb0ELi64EEEvPT0_PKT_iiiPKbib,"axG",@progbits,_ZN12_GLOBAL__N_120softmax_warp_forwardIN3c104HalfES2_fLi9ELb1ELb0ELi64EEEvPT0_PKT_iiiPKbib,comdat
	.globl	_ZN12_GLOBAL__N_120softmax_warp_forwardIN3c104HalfES2_fLi9ELb1ELb0ELi64EEEvPT0_PKT_iiiPKbib ; -- Begin function _ZN12_GLOBAL__N_120softmax_warp_forwardIN3c104HalfES2_fLi9ELb1ELb0ELi64EEEvPT0_PKT_iiiPKbib
	.p2align	8
	.type	_ZN12_GLOBAL__N_120softmax_warp_forwardIN3c104HalfES2_fLi9ELb1ELb0ELi64EEEvPT0_PKT_iiiPKbib,@function
_ZN12_GLOBAL__N_120softmax_warp_forwardIN3c104HalfES2_fLi9ELb1ELb0ELi64EEEvPT0_PKT_iiiPKbib: ; @_ZN12_GLOBAL__N_120softmax_warp_forwardIN3c104HalfES2_fLi9ELb1ELb0ELi64EEEvPT0_PKT_iiiPKbib
; %bb.0:
	s_clause 0x1
	s_load_b32 s2, s[0:1], 0x3c
	s_load_b256 s[16:23], s[0:1], 0x0
	v_bfe_u32 v1, v0, 10, 10
	v_dual_mov_b32 v6, 0xff800000 :: v_dual_mov_b32 v9, 0xff800000
	s_waitcnt lgkmcnt(0)
	s_lshr_b32 s0, s2, 16
	s_delay_alu instid0(VALU_DEP_2) | instid1(SALU_CYCLE_1)
	v_mad_u64_u32 v[3:4], null, s15, s0, v[1:2]
	v_and_b32_e32 v2, 0x3ff, v0
	s_delay_alu instid0(VALU_DEP_1) | instskip(NEXT) | instid1(VALU_DEP_3)
	v_cmp_gt_i32_e64 s1, s22, v2
	v_mad_u64_u32 v[0:1], null, v3, s21, v[2:3]
	v_sub_nc_u32_e32 v5, s20, v3
	s_delay_alu instid0(VALU_DEP_1) | instskip(NEXT) | instid1(VALU_DEP_3)
	v_cmp_lt_i32_e64 s7, 0, v5
	v_ashrrev_i32_e32 v1, 31, v0
	s_delay_alu instid0(VALU_DEP_2) | instskip(NEXT) | instid1(VALU_DEP_1)
	s_and_b32 s2, s7, s1
	v_lshlrev_b64 v[0:1], 1, v[0:1]
	s_delay_alu instid0(VALU_DEP_1) | instskip(NEXT) | instid1(VALU_DEP_2)
	v_add_co_u32 v3, vcc_lo, s18, v0
	v_add_co_ci_u32_e32 v4, vcc_lo, s19, v1, vcc_lo
	s_and_saveexec_b32 s0, s2
	s_cbranch_execz .LBB88_2
; %bb.1:
	global_load_u16 v7, v[3:4], off
	s_waitcnt vmcnt(0)
	v_cvt_f32_f16_e32 v9, v7
.LBB88_2:
	s_or_b32 exec_lo, exec_lo, s0
	v_add_nc_u32_e32 v7, 64, v2
	s_delay_alu instid0(VALU_DEP_1) | instskip(SKIP_1) | instid1(SALU_CYCLE_1)
	v_cmp_gt_i32_e32 vcc_lo, s22, v7
	s_and_b32 s2, s7, vcc_lo
	s_and_saveexec_b32 s0, s2
	s_cbranch_execz .LBB88_4
; %bb.3:
	global_load_u16 v6, v[3:4], off offset:128
	s_waitcnt vmcnt(0)
	v_cvt_f32_f16_e32 v6, v6
.LBB88_4:
	s_or_b32 exec_lo, exec_lo, s0
	v_add_nc_u32_e32 v7, 0x80, v2
	v_mov_b32_e32 v11, 0xff800000
	s_delay_alu instid0(VALU_DEP_2) | instskip(SKIP_1) | instid1(VALU_DEP_2)
	v_cmp_gt_i32_e64 s0, s22, v7
	v_mov_b32_e32 v7, 0xff800000
	s_and_b32 s3, s7, s0
	s_delay_alu instid0(SALU_CYCLE_1)
	s_and_saveexec_b32 s2, s3
	s_cbranch_execz .LBB88_6
; %bb.5:
	global_load_u16 v8, v[3:4], off offset:256
	s_waitcnt vmcnt(0)
	v_cvt_f32_f16_e32 v11, v8
.LBB88_6:
	s_or_b32 exec_lo, exec_lo, s2
	v_add_nc_u32_e32 v8, 0xc0, v2
	s_delay_alu instid0(VALU_DEP_1) | instskip(NEXT) | instid1(VALU_DEP_1)
	v_cmp_gt_i32_e64 s2, s22, v8
	s_and_b32 s4, s7, s2
	s_delay_alu instid0(SALU_CYCLE_1)
	s_and_saveexec_b32 s3, s4
	s_cbranch_execz .LBB88_8
; %bb.7:
	global_load_u16 v7, v[3:4], off offset:384
	s_waitcnt vmcnt(0)
	v_cvt_f32_f16_e32 v7, v7
.LBB88_8:
	s_or_b32 exec_lo, exec_lo, s3
	v_add_nc_u32_e32 v8, 0x100, v2
	v_mov_b32_e32 v12, 0xff800000
	s_delay_alu instid0(VALU_DEP_2) | instskip(SKIP_1) | instid1(VALU_DEP_2)
	v_cmp_gt_i32_e64 s3, s22, v8
	v_mov_b32_e32 v8, 0xff800000
	s_and_b32 s5, s7, s3
	s_delay_alu instid0(SALU_CYCLE_1)
	s_and_saveexec_b32 s4, s5
	s_cbranch_execz .LBB88_10
; %bb.9:
	global_load_u16 v10, v[3:4], off offset:512
	s_waitcnt vmcnt(0)
	v_cvt_f32_f16_e32 v12, v10
.LBB88_10:
	s_or_b32 exec_lo, exec_lo, s4
	v_add_nc_u32_e32 v10, 0x140, v2
	s_delay_alu instid0(VALU_DEP_1) | instskip(NEXT) | instid1(VALU_DEP_1)
	v_cmp_gt_i32_e64 s4, s22, v10
	s_and_b32 s6, s7, s4
	s_delay_alu instid0(SALU_CYCLE_1)
	;; [unrolled: 28-line block ×3, first 2 shown]
	s_and_saveexec_b32 s7, s8
	s_cbranch_execz .LBB88_16
; %bb.15:
	global_load_u16 v2, v[3:4], off offset:896
	s_waitcnt vmcnt(0)
	v_cvt_f32_f16_e32 v10, v2
.LBB88_16:
	s_or_b32 exec_lo, exec_lo, s7
	v_cmp_gt_f32_e64 s7, v9, v6
	v_mbcnt_lo_u32_b32 v3, -1, 0
	s_mov_b32 s8, exec_lo
	s_delay_alu instid0(VALU_DEP_2) | instskip(NEXT) | instid1(VALU_DEP_2)
	v_cndmask_b32_e64 v2, v6, v9, s7
	v_or_b32_e32 v4, 32, v3
	v_xor_b32_e32 v15, 16, v3
	v_xor_b32_e32 v16, 8, v3
	;; [unrolled: 1-line block ×3, first 2 shown]
	v_cmp_gt_f32_e64 s7, v2, v11
	v_xor_b32_e32 v18, 2, v3
	v_xor_b32_e32 v19, 1, v3
	s_delay_alu instid0(VALU_DEP_3) | instskip(NEXT) | instid1(VALU_DEP_1)
	v_cndmask_b32_e64 v2, v11, v2, s7
	v_cmp_gt_f32_e64 s7, v2, v7
	s_delay_alu instid0(VALU_DEP_1) | instskip(NEXT) | instid1(VALU_DEP_1)
	v_cndmask_b32_e64 v2, v7, v2, s7
	v_cmp_gt_f32_e64 s7, v2, v12
	s_delay_alu instid0(VALU_DEP_1) | instskip(NEXT) | instid1(VALU_DEP_1)
	v_cndmask_b32_e64 v2, v12, v2, s7
	v_cmp_gt_f32_e64 s7, v2, v8
	s_delay_alu instid0(VALU_DEP_1) | instskip(SKIP_1) | instid1(VALU_DEP_1)
	v_cndmask_b32_e64 v2, v8, v2, s7
	v_cmp_gt_i32_e64 s7, 64, v4
	v_cndmask_b32_e64 v4, v3, v4, s7
	s_delay_alu instid0(VALU_DEP_3) | instskip(NEXT) | instid1(VALU_DEP_2)
	v_cmp_gt_f32_e64 s7, v2, v13
	v_lshlrev_b32_e32 v14, 2, v4
	s_delay_alu instid0(VALU_DEP_2) | instskip(NEXT) | instid1(VALU_DEP_1)
	v_cndmask_b32_e64 v2, v13, v2, s7
	v_cmp_gt_f32_e64 s7, v2, v10
	s_delay_alu instid0(VALU_DEP_1) | instskip(SKIP_3) | instid1(VALU_DEP_1)
	v_cndmask_b32_e64 v2, v10, v2, s7
	v_cmp_gt_i32_e64 s7, 64, v15
	ds_bpermute_b32 v4, v14, v2
	v_cndmask_b32_e64 v15, v3, v15, s7
	v_lshlrev_b32_e32 v15, 2, v15
	s_waitcnt lgkmcnt(0)
	v_cmp_lt_f32_e64 s7, v2, v4
	s_delay_alu instid0(VALU_DEP_1) | instskip(SKIP_3) | instid1(VALU_DEP_1)
	v_cndmask_b32_e64 v2, v2, v4, s7
	v_cmp_gt_i32_e64 s7, 64, v16
	ds_bpermute_b32 v4, v15, v2
	v_cndmask_b32_e64 v16, v3, v16, s7
	v_lshlrev_b32_e32 v16, 2, v16
	s_waitcnt lgkmcnt(0)
	v_cmp_lt_f32_e64 s7, v2, v4
	;; [unrolled: 8-line block ×5, first 2 shown]
	s_delay_alu instid0(VALU_DEP_1) | instskip(SKIP_3) | instid1(VALU_DEP_1)
	v_cndmask_b32_e64 v2, v2, v4, s7
	ds_bpermute_b32 v3, v19, v2
	s_waitcnt lgkmcnt(0)
	v_cmp_lt_f32_e64 s7, v2, v3
	v_cndmask_b32_e64 v20, v2, v3, s7
	s_delay_alu instid0(VALU_DEP_1) | instskip(SKIP_4) | instid1(VALU_DEP_4)
	v_sub_f32_e32 v2, v9, v20
	v_sub_f32_e32 v3, v6, v20
	v_sub_f32_e32 v6, v7, v20
	v_sub_f32_e32 v4, v11, v20
	v_sub_f32_e32 v7, v12, v20
	v_dual_mul_f32 v11, 0x3fb8aa3b, v2 :: v_dual_mul_f32 v12, 0x3fb8aa3b, v3
	v_sub_f32_e32 v9, v13, v20
	s_delay_alu instid0(VALU_DEP_3) | instskip(NEXT) | instid1(VALU_DEP_3)
	v_dual_sub_f32 v8, v8, v20 :: v_dual_mul_f32 v21, 0x3fb8aa3b, v7
	v_fma_f32 v25, 0x3fb8aa3b, v2, -v11
	v_rndne_f32_e32 v26, v11
	v_sub_f32_e32 v10, v10, v20
	v_dual_mul_f32 v20, 0x3fb8aa3b, v6 :: v_dual_mul_f32 v23, 0x3fb8aa3b, v9
	s_delay_alu instid0(VALU_DEP_4) | instskip(NEXT) | instid1(VALU_DEP_3)
	v_fmac_f32_e32 v25, 0x32a5705f, v2
	v_dual_mul_f32 v13, 0x3fb8aa3b, v4 :: v_dual_mul_f32 v24, 0x3fb8aa3b, v10
	v_dual_mul_f32 v22, 0x3fb8aa3b, v8 :: v_dual_sub_f32 v11, v11, v26
	v_fma_f32 v27, 0x3fb8aa3b, v3, -v12
	v_rndne_f32_e32 v28, v12
	s_delay_alu instid0(VALU_DEP_4) | instskip(SKIP_2) | instid1(VALU_DEP_4)
	v_fma_f32 v29, 0x3fb8aa3b, v4, -v13
	v_rndne_f32_e32 v30, v13
	v_add_f32_e32 v11, v11, v25
	v_dual_fmac_f32 v27, 0x32a5705f, v3 :: v_dual_sub_f32 v12, v12, v28
	v_rndne_f32_e32 v32, v20
	v_fmac_f32_e32 v29, 0x32a5705f, v4
	v_sub_f32_e32 v13, v13, v30
	v_exp_f32_e32 v11, v11
	v_add_f32_e32 v12, v12, v27
	v_fma_f32 v31, 0x3fb8aa3b, v6, -v20
	v_sub_f32_e32 v20, v20, v32
	v_cvt_i32_f32_e32 v26, v26
	v_add_f32_e32 v13, v13, v29
	v_exp_f32_e32 v12, v12
	v_cvt_i32_f32_e32 v28, v28
	v_cmp_ngt_f32_e64 s7, 0xc2ce8ed0, v2
	v_rndne_f32_e32 v34, v21
	v_exp_f32_e32 v13, v13
	v_ldexp_f32 v11, v11, v26
	v_rndne_f32_e32 v36, v22
	v_cvt_i32_f32_e32 v30, v30
	v_fmac_f32_e32 v31, 0x32a5705f, v6
	v_fma_f32 v33, 0x3fb8aa3b, v7, -v21
	v_ldexp_f32 v12, v12, v28
	v_cndmask_b32_e64 v11, 0, v11, s7
	v_cmp_ngt_f32_e64 s7, 0xc2ce8ed0, v3
	v_fma_f32 v35, 0x3fb8aa3b, v8, -v22
	v_dual_sub_f32 v22, v22, v36 :: v_dual_sub_f32 v21, v21, v34
	v_add_f32_e32 v20, v20, v31
	v_ldexp_f32 v13, v13, v30
	v_cndmask_b32_e64 v12, 0, v12, s7
	v_cmp_ngt_f32_e64 s7, 0xc2ce8ed0, v4
	v_rndne_f32_e32 v40, v24
	v_fmac_f32_e32 v33, 0x32a5705f, v7
	v_exp_f32_e32 v20, v20
	v_fma_f32 v39, 0x3fb8aa3b, v10, -v24
	v_cndmask_b32_e64 v13, 0, v13, s7
	v_sub_f32_e32 v24, v24, v40
	v_cmp_nlt_f32_e64 s7, 0x42b17218, v2
	v_cvt_i32_f32_e32 v32, v32
	v_add_f32_e32 v21, v21, v33
	v_fma_f32 v37, 0x3fb8aa3b, v9, -v23
	v_fmac_f32_e32 v39, 0x32a5705f, v10
	v_cndmask_b32_e64 v11, 0x7f800000, v11, s7
	v_cmp_nlt_f32_e64 s7, 0x42b17218, v3
	v_fmac_f32_e32 v35, 0x32a5705f, v8
	v_exp_f32_e32 v21, v21
	v_add_f32_e32 v24, v24, v39
	v_ldexp_f32 v20, v20, v32
	v_cndmask_b32_e64 v12, 0x7f800000, v12, s7
	v_cmp_ngt_f32_e64 s7, 0xc2ce8ed0, v6
	v_rndne_f32_e32 v38, v23
	v_cvt_i32_f32_e32 v34, v34
	v_dual_fmac_f32 v37, 0x32a5705f, v9 :: v_dual_add_f32 v22, v22, v35
	s_delay_alu instid0(VALU_DEP_4)
	v_cndmask_b32_e64 v20, 0, v20, s7
	v_cmp_nlt_f32_e64 s7, 0x42b17218, v4
	v_sub_f32_e32 v23, v23, v38
	v_ldexp_f32 v21, v21, v34
	v_exp_f32_e32 v22, v22
	v_cvt_i32_f32_e32 v36, v36
	v_cndmask_b32_e64 v13, 0x7f800000, v13, s7
	v_cmp_ngt_f32_e64 s7, 0xc2ce8ed0, v7
	v_add_f32_e32 v23, v23, v37
	v_add_f32_e32 v11, v11, v12
	v_cvt_i32_f32_e32 v25, v38
	v_exp_f32_e32 v24, v24
	v_cndmask_b32_e64 v12, 0, v21, s7
	v_cmp_nlt_f32_e64 s7, 0x42b17218, v6
	v_exp_f32_e32 v23, v23
	v_ldexp_f32 v22, v22, v36
	v_add_f32_e32 v11, v11, v13
	v_cvt_i32_f32_e32 v27, v40
	v_cndmask_b32_e64 v20, 0x7f800000, v20, s7
	v_cmp_ngt_f32_e64 s7, 0xc2ce8ed0, v8
	s_delay_alu instid0(VALU_DEP_2) | instskip(NEXT) | instid1(VALU_DEP_2)
	v_add_f32_e32 v11, v11, v20
	v_cndmask_b32_e64 v13, 0, v22, s7
	v_cmp_nlt_f32_e64 s7, 0x42b17218, v7
	s_delay_alu instid0(TRANS32_DEP_1) | instskip(NEXT) | instid1(VALU_DEP_2)
	v_ldexp_f32 v23, v23, v25
	v_cndmask_b32_e64 v12, 0x7f800000, v12, s7
	v_cmp_ngt_f32_e64 s7, 0xc2ce8ed0, v9
	s_delay_alu instid0(VALU_DEP_2) | instskip(NEXT) | instid1(VALU_DEP_2)
	v_add_f32_e32 v11, v11, v12
	v_cndmask_b32_e64 v20, 0, v23, s7
	v_cmp_nlt_f32_e64 s7, 0x42b17218, v8
	v_ldexp_f32 v12, v24, v27
	s_delay_alu instid0(VALU_DEP_2) | instskip(SKIP_1) | instid1(VALU_DEP_2)
	v_cndmask_b32_e64 v13, 0x7f800000, v13, s7
	v_cmp_nlt_f32_e64 s7, 0x42b17218, v9
	v_add_f32_e32 v11, v11, v13
	s_delay_alu instid0(VALU_DEP_2) | instskip(SKIP_1) | instid1(VALU_DEP_2)
	v_cndmask_b32_e64 v20, 0x7f800000, v20, s7
	v_cmp_ngt_f32_e64 s7, 0xc2ce8ed0, v10
	v_add_f32_e32 v11, v11, v20
	s_delay_alu instid0(VALU_DEP_2) | instskip(SKIP_1) | instid1(VALU_DEP_1)
	v_cndmask_b32_e64 v12, 0, v12, s7
	v_cmp_nlt_f32_e64 s7, 0x42b17218, v10
	v_cndmask_b32_e64 v12, 0x7f800000, v12, s7
	s_delay_alu instid0(VALU_DEP_1)
	v_add_f32_e32 v11, v11, v12
	ds_bpermute_b32 v12, v14, v11
	s_waitcnt lgkmcnt(0)
	v_add_f32_e32 v11, v11, v12
	ds_bpermute_b32 v12, v15, v11
	s_waitcnt lgkmcnt(0)
	;; [unrolled: 3-line block ×5, first 2 shown]
	v_add_f32_e32 v11, v11, v12
	ds_bpermute_b32 v12, v19, v11
	v_cmpx_lt_i32_e32 0, v5
	s_cbranch_execz .LBB88_26
; %bb.17:
	s_and_b32 exec_lo, exec_lo, s1
	s_cbranch_execz .LBB88_26
; %bb.18:
	s_waitcnt lgkmcnt(0)
	v_add_f32_e32 v5, v11, v12
	s_delay_alu instid0(VALU_DEP_1) | instskip(NEXT) | instid1(VALU_DEP_1)
	v_cmp_gt_f32_e64 s1, 0x800000, v5
	v_cndmask_b32_e64 v11, 1.0, 0x4f800000, s1
	s_delay_alu instid0(VALU_DEP_1) | instskip(NEXT) | instid1(VALU_DEP_1)
	v_mul_f32_e32 v5, v5, v11
	v_log_f32_e32 v5, v5
	s_waitcnt_depctr 0xfff
	v_mul_f32_e32 v11, 0x3f317217, v5
	v_cmp_gt_f32_e64 s7, 0x7f800000, |v5|
	s_delay_alu instid0(VALU_DEP_2) | instskip(NEXT) | instid1(VALU_DEP_1)
	v_fma_f32 v12, 0x3f317217, v5, -v11
	v_fmamk_f32 v12, v5, 0x3377d1cf, v12
	s_delay_alu instid0(VALU_DEP_1) | instskip(NEXT) | instid1(VALU_DEP_1)
	v_add_f32_e32 v11, v11, v12
	v_cndmask_b32_e64 v5, v5, v11, s7
	v_cndmask_b32_e64 v11, 0, 0x41b17218, s1
	v_add_co_u32 v0, s1, s16, v0
	s_delay_alu instid0(VALU_DEP_1) | instskip(NEXT) | instid1(VALU_DEP_3)
	v_add_co_ci_u32_e64 v1, s1, s17, v1, s1
	v_sub_f32_e32 v5, v5, v11
	s_delay_alu instid0(VALU_DEP_1) | instskip(NEXT) | instid1(VALU_DEP_1)
	v_sub_f32_e32 v2, v2, v5
	v_cvt_f16_f32_e32 v2, v2
	global_store_b16 v[0:1], v2, off
	s_and_b32 exec_lo, exec_lo, vcc_lo
	s_cbranch_execz .LBB88_26
; %bb.19:
	v_sub_f32_e32 v2, v3, v5
	s_delay_alu instid0(VALU_DEP_1)
	v_cvt_f16_f32_e32 v2, v2
	global_store_b16 v[0:1], v2, off offset:128
	s_and_b32 exec_lo, exec_lo, s0
	s_cbranch_execz .LBB88_26
; %bb.20:
	v_sub_f32_e32 v2, v4, v5
	s_delay_alu instid0(VALU_DEP_1)
	v_cvt_f16_f32_e32 v2, v2
	global_store_b16 v[0:1], v2, off offset:256
	s_and_b32 exec_lo, exec_lo, s2
	;; [unrolled: 7-line block ×6, first 2 shown]
	s_cbranch_execz .LBB88_26
; %bb.25:
	v_sub_f32_e32 v2, v10, v5
	s_delay_alu instid0(VALU_DEP_1)
	v_cvt_f16_f32_e32 v2, v2
	global_store_b16 v[0:1], v2, off offset:896
.LBB88_26:
	s_nop 0
	s_sendmsg sendmsg(MSG_DEALLOC_VGPRS)
	s_endpgm
	.section	.rodata,"a",@progbits
	.p2align	6, 0x0
	.amdhsa_kernel _ZN12_GLOBAL__N_120softmax_warp_forwardIN3c104HalfES2_fLi9ELb1ELb0ELi64EEEvPT0_PKT_iiiPKbib
		.amdhsa_group_segment_fixed_size 0
		.amdhsa_private_segment_fixed_size 0
		.amdhsa_kernarg_size 304
		.amdhsa_user_sgpr_count 15
		.amdhsa_user_sgpr_dispatch_ptr 0
		.amdhsa_user_sgpr_queue_ptr 0
		.amdhsa_user_sgpr_kernarg_segment_ptr 1
		.amdhsa_user_sgpr_dispatch_id 0
		.amdhsa_user_sgpr_private_segment_size 0
		.amdhsa_wavefront_size32 1
		.amdhsa_uses_dynamic_stack 0
		.amdhsa_enable_private_segment 0
		.amdhsa_system_sgpr_workgroup_id_x 1
		.amdhsa_system_sgpr_workgroup_id_y 0
		.amdhsa_system_sgpr_workgroup_id_z 0
		.amdhsa_system_sgpr_workgroup_info 0
		.amdhsa_system_vgpr_workitem_id 1
		.amdhsa_next_free_vgpr 41
		.amdhsa_next_free_sgpr 24
		.amdhsa_reserve_vcc 1
		.amdhsa_float_round_mode_32 0
		.amdhsa_float_round_mode_16_64 0
		.amdhsa_float_denorm_mode_32 3
		.amdhsa_float_denorm_mode_16_64 3
		.amdhsa_dx10_clamp 1
		.amdhsa_ieee_mode 1
		.amdhsa_fp16_overflow 0
		.amdhsa_workgroup_processor_mode 1
		.amdhsa_memory_ordered 1
		.amdhsa_forward_progress 0
		.amdhsa_shared_vgpr_count 0
		.amdhsa_exception_fp_ieee_invalid_op 0
		.amdhsa_exception_fp_denorm_src 0
		.amdhsa_exception_fp_ieee_div_zero 0
		.amdhsa_exception_fp_ieee_overflow 0
		.amdhsa_exception_fp_ieee_underflow 0
		.amdhsa_exception_fp_ieee_inexact 0
		.amdhsa_exception_int_div_zero 0
	.end_amdhsa_kernel
	.section	.text._ZN12_GLOBAL__N_120softmax_warp_forwardIN3c104HalfES2_fLi9ELb1ELb0ELi64EEEvPT0_PKT_iiiPKbib,"axG",@progbits,_ZN12_GLOBAL__N_120softmax_warp_forwardIN3c104HalfES2_fLi9ELb1ELb0ELi64EEEvPT0_PKT_iiiPKbib,comdat
.Lfunc_end88:
	.size	_ZN12_GLOBAL__N_120softmax_warp_forwardIN3c104HalfES2_fLi9ELb1ELb0ELi64EEEvPT0_PKT_iiiPKbib, .Lfunc_end88-_ZN12_GLOBAL__N_120softmax_warp_forwardIN3c104HalfES2_fLi9ELb1ELb0ELi64EEEvPT0_PKT_iiiPKbib
                                        ; -- End function
	.section	.AMDGPU.csdata,"",@progbits
; Kernel info:
; codeLenInByte = 2460
; NumSgprs: 26
; NumVgprs: 41
; ScratchSize: 0
; MemoryBound: 0
; FloatMode: 240
; IeeeMode: 1
; LDSByteSize: 0 bytes/workgroup (compile time only)
; SGPRBlocks: 3
; VGPRBlocks: 5
; NumSGPRsForWavesPerEU: 26
; NumVGPRsForWavesPerEU: 41
; Occupancy: 16
; WaveLimiterHint : 0
; COMPUTE_PGM_RSRC2:SCRATCH_EN: 0
; COMPUTE_PGM_RSRC2:USER_SGPR: 15
; COMPUTE_PGM_RSRC2:TRAP_HANDLER: 0
; COMPUTE_PGM_RSRC2:TGID_X_EN: 1
; COMPUTE_PGM_RSRC2:TGID_Y_EN: 0
; COMPUTE_PGM_RSRC2:TGID_Z_EN: 0
; COMPUTE_PGM_RSRC2:TIDIG_COMP_CNT: 1
	.section	.text._ZN12_GLOBAL__N_120softmax_warp_forwardIN3c104HalfES2_fLi9ELb1ELb0ELi32EEEvPT0_PKT_iiiPKbib,"axG",@progbits,_ZN12_GLOBAL__N_120softmax_warp_forwardIN3c104HalfES2_fLi9ELb1ELb0ELi32EEEvPT0_PKT_iiiPKbib,comdat
	.globl	_ZN12_GLOBAL__N_120softmax_warp_forwardIN3c104HalfES2_fLi9ELb1ELb0ELi32EEEvPT0_PKT_iiiPKbib ; -- Begin function _ZN12_GLOBAL__N_120softmax_warp_forwardIN3c104HalfES2_fLi9ELb1ELb0ELi32EEEvPT0_PKT_iiiPKbib
	.p2align	8
	.type	_ZN12_GLOBAL__N_120softmax_warp_forwardIN3c104HalfES2_fLi9ELb1ELb0ELi32EEEvPT0_PKT_iiiPKbib,@function
_ZN12_GLOBAL__N_120softmax_warp_forwardIN3c104HalfES2_fLi9ELb1ELb0ELi32EEEvPT0_PKT_iiiPKbib: ; @_ZN12_GLOBAL__N_120softmax_warp_forwardIN3c104HalfES2_fLi9ELb1ELb0ELi32EEEvPT0_PKT_iiiPKbib
; %bb.0:
	s_clause 0x1
	s_load_b32 s2, s[0:1], 0x3c
	s_load_b256 s[16:23], s[0:1], 0x0
	v_bfe_u32 v1, v0, 10, 10
	v_mov_b32_e32 v7, 0xff800000
	v_mov_b32_e32 v11, 0xff800000
	s_waitcnt lgkmcnt(0)
	s_lshr_b32 s0, s2, 16
	s_delay_alu instid0(SALU_CYCLE_1) | instskip(SKIP_1) | instid1(VALU_DEP_1)
	v_mad_u64_u32 v[3:4], null, s15, s0, v[1:2]
	v_and_b32_e32 v2, 0x3ff, v0
	v_cmp_gt_i32_e64 s1, s22, v2
	s_delay_alu instid0(VALU_DEP_3) | instskip(SKIP_1) | instid1(VALU_DEP_1)
	v_mad_u64_u32 v[0:1], null, v3, s21, v[2:3]
	v_sub_nc_u32_e32 v5, s20, v3
	v_cmp_lt_i32_e64 s15, 0, v5
	s_delay_alu instid0(VALU_DEP_3) | instskip(NEXT) | instid1(VALU_DEP_2)
	v_ashrrev_i32_e32 v1, 31, v0
	s_and_b32 s2, s15, s1
	s_delay_alu instid0(VALU_DEP_1) | instskip(NEXT) | instid1(VALU_DEP_1)
	v_lshlrev_b64 v[0:1], 1, v[0:1]
	v_add_co_u32 v3, vcc_lo, s18, v0
	s_delay_alu instid0(VALU_DEP_2)
	v_add_co_ci_u32_e32 v4, vcc_lo, s19, v1, vcc_lo
	s_and_saveexec_b32 s0, s2
	s_cbranch_execz .LBB89_2
; %bb.1:
	global_load_u16 v6, v[3:4], off
	s_waitcnt vmcnt(0)
	v_cvt_f32_f16_e32 v11, v6
.LBB89_2:
	s_or_b32 exec_lo, exec_lo, s0
	v_add_nc_u32_e32 v6, 32, v2
	s_delay_alu instid0(VALU_DEP_1) | instskip(SKIP_1) | instid1(SALU_CYCLE_1)
	v_cmp_gt_i32_e32 vcc_lo, s22, v6
	s_and_b32 s2, s15, vcc_lo
	s_and_saveexec_b32 s0, s2
	s_cbranch_execz .LBB89_4
; %bb.3:
	global_load_u16 v6, v[3:4], off offset:64
	s_waitcnt vmcnt(0)
	v_cvt_f32_f16_e32 v7, v6
.LBB89_4:
	s_or_b32 exec_lo, exec_lo, s0
	v_dual_mov_b32 v9, 0xff800000 :: v_dual_add_nc_u32 v6, 64, v2
	v_mov_b32_e32 v14, 0xff800000
	s_delay_alu instid0(VALU_DEP_2) | instskip(NEXT) | instid1(VALU_DEP_1)
	v_cmp_gt_i32_e64 s0, s22, v6
	s_and_b32 s3, s15, s0
	s_delay_alu instid0(SALU_CYCLE_1)
	s_and_saveexec_b32 s2, s3
	s_cbranch_execz .LBB89_6
; %bb.5:
	global_load_u16 v6, v[3:4], off offset:128
	s_waitcnt vmcnt(0)
	v_cvt_f32_f16_e32 v14, v6
.LBB89_6:
	s_or_b32 exec_lo, exec_lo, s2
	v_add_nc_u32_e32 v6, 0x60, v2
	s_delay_alu instid0(VALU_DEP_1) | instskip(NEXT) | instid1(VALU_DEP_1)
	v_cmp_gt_i32_e64 s2, s22, v6
	s_and_b32 s4, s15, s2
	s_delay_alu instid0(SALU_CYCLE_1)
	s_and_saveexec_b32 s3, s4
	s_cbranch_execz .LBB89_8
; %bb.7:
	global_load_u16 v6, v[3:4], off offset:192
	s_waitcnt vmcnt(0)
	v_cvt_f32_f16_e32 v9, v6
.LBB89_8:
	s_or_b32 exec_lo, exec_lo, s3
	v_add_nc_u32_e32 v6, 0x80, v2
	v_dual_mov_b32 v13, 0xff800000 :: v_dual_mov_b32 v16, 0xff800000
	s_delay_alu instid0(VALU_DEP_2) | instskip(NEXT) | instid1(VALU_DEP_1)
	v_cmp_gt_i32_e64 s3, s22, v6
	s_and_b32 s5, s15, s3
	s_delay_alu instid0(SALU_CYCLE_1)
	s_and_saveexec_b32 s4, s5
	s_cbranch_execz .LBB89_10
; %bb.9:
	global_load_u16 v6, v[3:4], off offset:256
	s_waitcnt vmcnt(0)
	v_cvt_f32_f16_e32 v16, v6
.LBB89_10:
	s_or_b32 exec_lo, exec_lo, s4
	v_add_nc_u32_e32 v6, 0xa0, v2
	s_delay_alu instid0(VALU_DEP_1) | instskip(NEXT) | instid1(VALU_DEP_1)
	v_cmp_gt_i32_e64 s4, s22, v6
	s_and_b32 s6, s15, s4
	s_delay_alu instid0(SALU_CYCLE_1)
	s_and_saveexec_b32 s5, s6
	s_cbranch_execz .LBB89_12
; %bb.11:
	global_load_u16 v6, v[3:4], off offset:320
	s_waitcnt vmcnt(0)
	v_cvt_f32_f16_e32 v13, v6
.LBB89_12:
	s_or_b32 exec_lo, exec_lo, s5
	v_add_nc_u32_e32 v6, 0xc0, v2
	v_dual_mov_b32 v15, 0xff800000 :: v_dual_mov_b32 v18, 0xff800000
	;; [unrolled: 27-line block ×5, first 2 shown]
	s_delay_alu instid0(VALU_DEP_2) | instskip(NEXT) | instid1(VALU_DEP_1)
	v_cmp_gt_i32_e64 s11, s22, v6
	s_and_b32 s13, s15, s11
	s_delay_alu instid0(SALU_CYCLE_1)
	s_and_saveexec_b32 s12, s13
	s_cbranch_execz .LBB89_26
; %bb.25:
	global_load_u16 v6, v[3:4], off offset:768
	s_waitcnt vmcnt(0)
	v_cvt_f32_f16_e32 v24, v6
.LBB89_26:
	s_or_b32 exec_lo, exec_lo, s12
	v_add_nc_u32_e32 v6, 0x1a0, v2
	s_delay_alu instid0(VALU_DEP_1) | instskip(NEXT) | instid1(VALU_DEP_1)
	v_cmp_gt_i32_e64 s12, s22, v6
	s_and_b32 s14, s15, s12
	s_delay_alu instid0(SALU_CYCLE_1)
	s_and_saveexec_b32 s13, s14
	s_cbranch_execz .LBB89_28
; %bb.27:
	global_load_u16 v6, v[3:4], off offset:832
	s_waitcnt vmcnt(0)
	v_cvt_f32_f16_e32 v21, v6
.LBB89_28:
	s_or_b32 exec_lo, exec_lo, s13
	v_add_nc_u32_e32 v6, 0x1c0, v2
	v_mov_b32_e32 v23, 0xff800000
	v_mov_b32_e32 v25, 0xff800000
	s_delay_alu instid0(VALU_DEP_3) | instskip(NEXT) | instid1(VALU_DEP_1)
	v_cmp_gt_i32_e64 s13, s22, v6
	s_and_b32 s18, s15, s13
	s_delay_alu instid0(SALU_CYCLE_1)
	s_and_saveexec_b32 s14, s18
	s_cbranch_execz .LBB89_30
; %bb.29:
	global_load_u16 v6, v[3:4], off offset:896
	s_waitcnt vmcnt(0)
	v_cvt_f32_f16_e32 v25, v6
.LBB89_30:
	s_or_b32 exec_lo, exec_lo, s14
	v_add_nc_u32_e32 v2, 0x1e0, v2
	s_delay_alu instid0(VALU_DEP_1) | instskip(NEXT) | instid1(VALU_DEP_1)
	v_cmp_gt_i32_e64 s14, s22, v2
	s_and_b32 s18, s15, s14
	s_delay_alu instid0(SALU_CYCLE_1)
	s_and_saveexec_b32 s15, s18
	s_cbranch_execz .LBB89_32
; %bb.31:
	global_load_u16 v2, v[3:4], off offset:960
	s_waitcnt vmcnt(0)
	v_cvt_f32_f16_e32 v23, v2
.LBB89_32:
	s_or_b32 exec_lo, exec_lo, s15
	v_cmp_gt_f32_e64 s15, v11, v7
	v_mbcnt_lo_u32_b32 v3, -1, 0
	s_mov_b32 s18, exec_lo
	s_delay_alu instid0(VALU_DEP_2) | instskip(NEXT) | instid1(VALU_DEP_2)
	v_cndmask_b32_e64 v2, v7, v11, s15
	v_xor_b32_e32 v4, 16, v3
	s_delay_alu instid0(VALU_DEP_2) | instskip(NEXT) | instid1(VALU_DEP_1)
	v_cmp_gt_f32_e64 s15, v2, v14
	v_cndmask_b32_e64 v2, v14, v2, s15
	s_delay_alu instid0(VALU_DEP_1) | instskip(NEXT) | instid1(VALU_DEP_1)
	v_cmp_gt_f32_e64 s15, v2, v9
	v_cndmask_b32_e64 v2, v9, v2, s15
	s_delay_alu instid0(VALU_DEP_1) | instskip(NEXT) | instid1(VALU_DEP_1)
	;; [unrolled: 3-line block ×11, first 2 shown]
	v_cmp_gt_f32_e64 s15, v2, v21
	v_cndmask_b32_e64 v2, v21, v2, s15
	v_cmp_gt_i32_e64 s15, 32, v4
	s_delay_alu instid0(VALU_DEP_1) | instskip(NEXT) | instid1(VALU_DEP_3)
	v_cndmask_b32_e64 v4, v3, v4, s15
	v_cmp_gt_f32_e64 s15, v2, v25
	s_delay_alu instid0(VALU_DEP_1) | instskip(NEXT) | instid1(VALU_DEP_3)
	v_cndmask_b32_e64 v6, v25, v2, s15
	v_lshlrev_b32_e32 v2, 2, v4
	s_delay_alu instid0(VALU_DEP_2) | instskip(NEXT) | instid1(VALU_DEP_1)
	v_cmp_gt_f32_e64 s15, v6, v23
	v_cndmask_b32_e64 v4, v23, v6, s15
	v_xor_b32_e32 v6, 8, v3
	ds_bpermute_b32 v8, v2, v4
	v_cmp_gt_i32_e64 s15, 32, v6
	s_delay_alu instid0(VALU_DEP_1) | instskip(NEXT) | instid1(VALU_DEP_1)
	v_cndmask_b32_e64 v6, v3, v6, s15
	v_lshlrev_b32_e32 v6, 2, v6
	s_waitcnt lgkmcnt(0)
	v_cmp_lt_f32_e64 s15, v4, v8
	s_delay_alu instid0(VALU_DEP_1) | instskip(SKIP_3) | instid1(VALU_DEP_1)
	v_cndmask_b32_e64 v4, v4, v8, s15
	v_xor_b32_e32 v8, 4, v3
	ds_bpermute_b32 v10, v6, v4
	v_cmp_gt_i32_e64 s15, 32, v8
	v_cndmask_b32_e64 v8, v3, v8, s15
	s_delay_alu instid0(VALU_DEP_1) | instskip(SKIP_2) | instid1(VALU_DEP_1)
	v_lshlrev_b32_e32 v8, 2, v8
	s_waitcnt lgkmcnt(0)
	v_cmp_lt_f32_e64 s15, v4, v10
	v_cndmask_b32_e64 v4, v4, v10, s15
	v_xor_b32_e32 v10, 2, v3
	ds_bpermute_b32 v12, v8, v4
	v_cmp_gt_i32_e64 s15, 32, v10
	s_delay_alu instid0(VALU_DEP_1) | instskip(NEXT) | instid1(VALU_DEP_1)
	v_cndmask_b32_e64 v10, v3, v10, s15
	v_lshlrev_b32_e32 v10, 2, v10
	s_waitcnt lgkmcnt(0)
	v_cmp_lt_f32_e64 s15, v4, v12
	s_delay_alu instid0(VALU_DEP_1) | instskip(SKIP_3) | instid1(VALU_DEP_1)
	v_cndmask_b32_e64 v4, v4, v12, s15
	v_xor_b32_e32 v12, 1, v3
	ds_bpermute_b32 v26, v10, v4
	v_cmp_gt_i32_e64 s15, 32, v12
	v_cndmask_b32_e64 v3, v3, v12, s15
	s_delay_alu instid0(VALU_DEP_1) | instskip(SKIP_2) | instid1(VALU_DEP_1)
	v_lshlrev_b32_e32 v12, 2, v3
	s_waitcnt lgkmcnt(0)
	v_cmp_lt_f32_e64 s15, v4, v26
	v_cndmask_b32_e64 v3, v4, v26, s15
	ds_bpermute_b32 v4, v12, v3
	s_waitcnt lgkmcnt(0)
	v_cmp_lt_f32_e64 s15, v3, v4
	s_delay_alu instid0(VALU_DEP_1) | instskip(NEXT) | instid1(VALU_DEP_1)
	v_cndmask_b32_e64 v26, v3, v4, s15
	v_sub_f32_e32 v9, v9, v26
	v_sub_f32_e32 v3, v11, v26
	;; [unrolled: 1-line block ×7, first 2 shown]
	v_dual_mul_f32 v24, 0x3fb8aa3b, v3 :: v_dual_sub_f32 v13, v13, v26
	v_sub_f32_e32 v4, v7, v26
	v_sub_f32_e32 v7, v14, v26
	v_dual_sub_f32 v15, v15, v26 :: v_dual_mul_f32 v28, 0x3fb8aa3b, v11
	s_delay_alu instid0(VALU_DEP_4) | instskip(SKIP_1) | instid1(VALU_DEP_3)
	v_fma_f32 v40, 0x3fb8aa3b, v3, -v24
	v_rndne_f32_e32 v41, v24
	v_dual_sub_f32 v14, v18, v26 :: v_dual_mul_f32 v31, 0x3fb8aa3b, v15
	s_delay_alu instid0(VALU_DEP_3) | instskip(NEXT) | instid1(VALU_DEP_3)
	v_dual_sub_f32 v23, v23, v26 :: v_dual_fmac_f32 v40, 0x32a5705f, v3
	v_sub_f32_e32 v24, v24, v41
	v_mul_f32_e32 v37, 0x3fb8aa3b, v21
	v_dual_sub_f32 v19, v19, v26 :: v_dual_mul_f32 v36, 0x3fb8aa3b, v20
	v_sub_f32_e32 v18, v22, v26
	v_dual_sub_f32 v22, v25, v26 :: v_dual_mul_f32 v39, 0x3fb8aa3b, v23
	v_dual_mul_f32 v26, 0x3fb8aa3b, v7 :: v_dual_mul_f32 v29, 0x3fb8aa3b, v13
	v_mul_f32_e32 v25, 0x3fb8aa3b, v4
	v_mul_f32_e32 v33, 0x3fb8aa3b, v17
	v_rndne_f32_e32 v55, v31
	s_delay_alu instid0(VALU_DEP_4)
	v_fma_f32 v44, 0x3fb8aa3b, v7, -v26
	v_rndne_f32_e32 v45, v26
	v_fma_f32 v42, 0x3fb8aa3b, v4, -v25
	v_rndne_f32_e32 v43, v25
	v_mul_f32_e32 v30, 0x3fb8aa3b, v14
	v_add_f32_e32 v24, v24, v40
	v_fma_f32 v54, 0x3fb8aa3b, v15, -v31
	v_dual_fmac_f32 v42, 0x32a5705f, v4 :: v_dual_sub_f32 v31, v31, v55
	v_sub_f32_e32 v25, v25, v43
	v_rndne_f32_e32 v59, v33
	v_fmac_f32_e32 v44, 0x32a5705f, v7
	v_sub_f32_e32 v26, v26, v45
	v_exp_f32_e32 v24, v24
	v_add_f32_e32 v25, v25, v42
	v_dual_mul_f32 v27, 0x3fb8aa3b, v9 :: v_dual_mul_f32 v32, 0x3fb8aa3b, v16
	v_fma_f32 v58, 0x3fb8aa3b, v17, -v33
	v_sub_f32_e32 v33, v33, v59
	v_cvt_i32_f32_e32 v41, v41
	v_add_f32_e32 v26, v26, v44
	v_exp_f32_e32 v25, v25
	v_mul_f32_e32 v35, 0x3fb8aa3b, v19
	v_fma_f32 v46, 0x3fb8aa3b, v9, -v27
	v_rndne_f32_e32 v47, v27
	v_cvt_i32_f32_e32 v43, v43
	v_exp_f32_e32 v26, v26
	v_ldexp_f32 v24, v24, v41
	v_cmp_ngt_f32_e64 s15, 0xc2ce8ed0, v3
	v_dual_mul_f32 v34, 0x3fb8aa3b, v18 :: v_dual_sub_f32 v27, v27, v47
	v_fma_f32 v48, 0x3fb8aa3b, v11, -v28
	v_rndne_f32_e32 v63, v35
	v_cvt_i32_f32_e32 v45, v45
	v_fmac_f32_e32 v46, 0x32a5705f, v9
	v_ldexp_f32 v25, v25, v43
	v_cndmask_b32_e64 v24, 0, v24, s15
	v_cmp_ngt_f32_e64 s15, 0xc2ce8ed0, v4
	v_rndne_f32_e32 v49, v28
	v_fma_f32 v62, 0x3fb8aa3b, v19, -v35
	v_sub_f32_e32 v35, v35, v63
	v_dual_fmac_f32 v48, 0x32a5705f, v11 :: v_dual_add_f32 v27, v27, v46
	v_ldexp_f32 v26, v26, v45
	v_cndmask_b32_e64 v25, 0, v25, s15
	v_cmp_ngt_f32_e64 s15, 0xc2ce8ed0, v7
	v_rndne_f32_e32 v67, v37
	v_sub_f32_e32 v28, v28, v49
	v_exp_f32_e32 v27, v27
	v_fma_f32 v50, 0x3fb8aa3b, v13, -v29
	v_cndmask_b32_e64 v26, 0, v26, s15
	v_cmp_nlt_f32_e64 s15, 0x42b17218, v3
	v_rndne_f32_e32 v51, v29
	v_fma_f32 v66, 0x3fb8aa3b, v21, -v37
	v_sub_f32_e32 v37, v37, v67
	v_cvt_i32_f32_e32 v47, v47
	v_add_f32_e32 v28, v28, v48
	v_cndmask_b32_e64 v24, 0x7f800000, v24, s15
	v_cmp_nlt_f32_e64 s15, 0x42b17218, v4
	v_dual_mul_f32 v38, 0x3fb8aa3b, v22 :: v_dual_sub_f32 v29, v29, v51
	v_rndne_f32_e32 v53, v30
	v_rndne_f32_e32 v71, v39
	v_fmac_f32_e32 v50, 0x32a5705f, v13
	v_exp_f32_e32 v28, v28
	v_ldexp_f32 v27, v27, v47
	v_cndmask_b32_e64 v25, 0x7f800000, v25, s15
	v_cmp_ngt_f32_e64 s15, 0xc2ce8ed0, v9
	v_fma_f32 v52, 0x3fb8aa3b, v14, -v30
	v_fma_f32 v70, 0x3fb8aa3b, v23, -v39
	v_sub_f32_e32 v39, v39, v71
	v_cvt_i32_f32_e32 v49, v49
	v_dual_sub_f32 v30, v30, v53 :: v_dual_add_f32 v29, v29, v50
	v_cndmask_b32_e64 v27, 0, v27, s15
	v_cmp_nlt_f32_e64 s15, 0x42b17218, v7
	v_fmac_f32_e32 v52, 0x32a5705f, v14
	v_ldexp_f32 v28, v28, v49
	v_exp_f32_e32 v29, v29
	v_cvt_i32_f32_e32 v51, v51
	v_cndmask_b32_e64 v26, 0x7f800000, v26, s15
	v_cmp_ngt_f32_e64 s15, 0xc2ce8ed0, v11
	v_fmac_f32_e32 v66, 0x32a5705f, v21
	v_add_f32_e32 v30, v30, v52
	v_add_f32_e32 v24, v24, v25
	v_fma_f32 v56, 0x3fb8aa3b, v16, -v32
	v_cndmask_b32_e64 v25, 0, v28, s15
	v_cmp_nlt_f32_e64 s15, 0x42b17218, v9
	v_dual_fmac_f32 v58, 0x32a5705f, v17 :: v_dual_add_f32 v37, v37, v66
	v_fmac_f32_e32 v54, 0x32a5705f, v15
	v_exp_f32_e32 v30, v30
	v_ldexp_f32 v29, v29, v51
	s_delay_alu instid0(VALU_DEP_3)
	v_add_f32_e32 v33, v33, v58
	v_cndmask_b32_e64 v27, 0x7f800000, v27, s15
	v_cmp_ngt_f32_e64 s15, 0xc2ce8ed0, v13
	v_rndne_f32_e32 v57, v32
	v_cvt_i32_f32_e32 v53, v53
	v_dual_fmac_f32 v56, 0x32a5705f, v16 :: v_dual_add_f32 v31, v31, v54
	v_add_f32_e32 v24, v24, v26
	v_cndmask_b32_e64 v26, 0, v29, s15
	v_cmp_nlt_f32_e64 s15, 0x42b17218, v11
	v_fmac_f32_e32 v62, 0x32a5705f, v19
	v_sub_f32_e32 v32, v32, v57
	v_exp_f32_e32 v31, v31
	v_ldexp_f32 v30, v30, v53
	v_cndmask_b32_e64 v25, 0x7f800000, v25, s15
	v_add_f32_e32 v35, v35, v62
	v_cmp_ngt_f32_e64 s15, 0xc2ce8ed0, v14
	v_cvt_i32_f32_e32 v55, v55
	v_add_f32_e32 v32, v32, v56
	v_add_f32_e32 v24, v24, v27
	v_fma_f32 v60, 0x3fb8aa3b, v18, -v34
	v_cndmask_b32_e64 v27, 0, v30, s15
	v_cmp_nlt_f32_e64 s15, 0x42b17218, v13
	v_exp_f32_e32 v32, v32
	v_ldexp_f32 v31, v31, v55
	v_rndne_f32_e32 v61, v34
	v_cvt_i32_f32_e32 v57, v57
	v_cndmask_b32_e64 v26, 0x7f800000, v26, s15
	v_cmp_ngt_f32_e64 s15, 0xc2ce8ed0, v15
	v_add_f32_e32 v24, v24, v25
	v_fmac_f32_e32 v60, 0x32a5705f, v18
	v_fmac_f32_e32 v70, 0x32a5705f, v23
	v_sub_f32_e32 v34, v34, v61
	v_cndmask_b32_e64 v25, 0, v31, s15
	v_cmp_nlt_f32_e64 s15, 0x42b17218, v14
	v_exp_f32_e32 v33, v33
	v_add_f32_e32 v39, v39, v70
	v_ldexp_f32 v32, v32, v57
	v_cvt_i32_f32_e32 v59, v59
	v_cndmask_b32_e64 v27, 0x7f800000, v27, s15
	v_cmp_ngt_f32_e64 s15, 0xc2ce8ed0, v16
	v_add_f32_e32 v34, v34, v60
	v_add_f32_e32 v24, v24, v26
	v_fma_f32 v64, 0x3fb8aa3b, v20, -v36
	v_rndne_f32_e32 v65, v36
	v_cndmask_b32_e64 v26, 0, v32, s15
	v_cmp_nlt_f32_e64 s15, 0x42b17218, v15
	v_exp_f32_e32 v34, v34
	v_ldexp_f32 v33, v33, v59
	v_cvt_i32_f32_e32 v61, v61
	v_add_f32_e32 v24, v24, v27
	v_cndmask_b32_e64 v25, 0x7f800000, v25, s15
	v_cmp_ngt_f32_e64 s15, 0xc2ce8ed0, v17
	v_fmac_f32_e32 v64, 0x32a5705f, v20
	v_sub_f32_e32 v36, v36, v65
	v_exp_f32_e32 v35, v35
	v_cvt_i32_f32_e32 v63, v63
	v_cndmask_b32_e64 v27, 0, v33, s15
	v_cmp_nlt_f32_e64 s15, 0x42b17218, v16
	v_ldexp_f32 v34, v34, v61
	v_add_f32_e32 v36, v36, v64
	v_add_f32_e32 v24, v24, v25
	v_fma_f32 v68, 0x3fb8aa3b, v22, -v38
	v_cndmask_b32_e64 v26, 0x7f800000, v26, s15
	v_cmp_ngt_f32_e64 s15, 0xc2ce8ed0, v18
	v_exp_f32_e32 v36, v36
	v_ldexp_f32 v35, v35, v63
	v_rndne_f32_e32 v69, v38
	v_cvt_i32_f32_e32 v65, v65
	v_cndmask_b32_e64 v25, 0, v34, s15
	v_cmp_nlt_f32_e64 s15, 0x42b17218, v17
	v_add_f32_e32 v24, v24, v26
	v_fmac_f32_e32 v68, 0x32a5705f, v22
	v_sub_f32_e32 v38, v38, v69
	v_exp_f32_e32 v37, v37
	v_cndmask_b32_e64 v27, 0x7f800000, v27, s15
	v_cmp_ngt_f32_e64 s15, 0xc2ce8ed0, v19
	v_ldexp_f32 v36, v36, v65
	v_cvt_i32_f32_e32 v67, v67
	v_add_f32_e32 v38, v38, v68
	v_add_f32_e32 v24, v24, v27
	v_cndmask_b32_e64 v26, 0, v35, s15
	v_cmp_nlt_f32_e64 s15, 0x42b17218, v18
	v_cvt_i32_f32_e32 v69, v69
	v_exp_f32_e32 v38, v38
	v_ldexp_f32 v37, v37, v67
	v_exp_f32_e32 v39, v39
	v_cndmask_b32_e64 v25, 0x7f800000, v25, s15
	v_cmp_ngt_f32_e64 s15, 0xc2ce8ed0, v20
	v_cvt_i32_f32_e32 v71, v71
	s_delay_alu instid0(VALU_DEP_3) | instskip(NEXT) | instid1(VALU_DEP_3)
	v_add_f32_e32 v24, v24, v25
	v_cndmask_b32_e64 v27, 0, v36, s15
	v_cmp_nlt_f32_e64 s15, 0x42b17218, v19
	s_delay_alu instid0(TRANS32_DEP_2) | instskip(NEXT) | instid1(VALU_DEP_2)
	v_ldexp_f32 v38, v38, v69
	v_cndmask_b32_e64 v26, 0x7f800000, v26, s15
	v_cmp_ngt_f32_e64 s15, 0xc2ce8ed0, v21
	s_delay_alu instid0(VALU_DEP_2) | instskip(NEXT) | instid1(VALU_DEP_2)
	v_add_f32_e32 v24, v24, v26
	v_cndmask_b32_e64 v25, 0, v37, s15
	v_cmp_nlt_f32_e64 s15, 0x42b17218, v20
	s_delay_alu instid0(VALU_DEP_1) | instskip(SKIP_1) | instid1(VALU_DEP_2)
	v_cndmask_b32_e64 v27, 0x7f800000, v27, s15
	v_cmp_ngt_f32_e64 s15, 0xc2ce8ed0, v22
	v_add_f32_e32 v24, v24, v27
	s_delay_alu instid0(VALU_DEP_2) | instskip(SKIP_2) | instid1(VALU_DEP_2)
	v_cndmask_b32_e64 v26, 0, v38, s15
	v_cmp_nlt_f32_e64 s15, 0x42b17218, v21
	v_ldexp_f32 v27, v39, v71
	v_cndmask_b32_e64 v25, 0x7f800000, v25, s15
	v_cmp_nlt_f32_e64 s15, 0x42b17218, v22
	s_delay_alu instid0(VALU_DEP_2) | instskip(NEXT) | instid1(VALU_DEP_2)
	v_add_f32_e32 v24, v24, v25
	v_cndmask_b32_e64 v26, 0x7f800000, v26, s15
	v_cmp_ngt_f32_e64 s15, 0xc2ce8ed0, v23
	s_delay_alu instid0(VALU_DEP_2) | instskip(NEXT) | instid1(VALU_DEP_2)
	v_add_f32_e32 v24, v24, v26
	v_cndmask_b32_e64 v25, 0, v27, s15
	v_cmp_nlt_f32_e64 s15, 0x42b17218, v23
	s_delay_alu instid0(VALU_DEP_1) | instskip(NEXT) | instid1(VALU_DEP_1)
	v_cndmask_b32_e64 v25, 0x7f800000, v25, s15
	v_add_f32_e32 v24, v24, v25
	ds_bpermute_b32 v2, v2, v24
	s_waitcnt lgkmcnt(0)
	v_add_f32_e32 v2, v24, v2
	ds_bpermute_b32 v6, v6, v2
	s_waitcnt lgkmcnt(0)
	;; [unrolled: 3-line block ×4, first 2 shown]
	v_add_f32_e32 v2, v2, v6
	ds_bpermute_b32 v6, v12, v2
	v_cmpx_lt_i32_e32 0, v5
	s_cbranch_execz .LBB89_50
; %bb.33:
	s_and_b32 exec_lo, exec_lo, s1
	s_cbranch_execz .LBB89_50
; %bb.34:
	s_waitcnt lgkmcnt(0)
	v_add_f32_e32 v2, v2, v6
	s_delay_alu instid0(VALU_DEP_1) | instskip(NEXT) | instid1(VALU_DEP_1)
	v_cmp_gt_f32_e64 s1, 0x800000, v2
	v_cndmask_b32_e64 v5, 1.0, 0x4f800000, s1
	s_delay_alu instid0(VALU_DEP_1) | instskip(NEXT) | instid1(VALU_DEP_1)
	v_mul_f32_e32 v2, v2, v5
	v_log_f32_e32 v2, v2
	s_waitcnt_depctr 0xfff
	v_mul_f32_e32 v5, 0x3f317217, v2
	v_cmp_gt_f32_e64 s15, 0x7f800000, |v2|
	s_delay_alu instid0(VALU_DEP_2) | instskip(NEXT) | instid1(VALU_DEP_1)
	v_fma_f32 v6, 0x3f317217, v2, -v5
	v_fmamk_f32 v6, v2, 0x3377d1cf, v6
	s_delay_alu instid0(VALU_DEP_1) | instskip(NEXT) | instid1(VALU_DEP_1)
	v_add_f32_e32 v5, v5, v6
	v_cndmask_b32_e64 v2, v2, v5, s15
	v_cndmask_b32_e64 v5, 0, 0x41b17218, s1
	v_add_co_u32 v0, s1, s16, v0
	s_delay_alu instid0(VALU_DEP_1) | instskip(NEXT) | instid1(VALU_DEP_3)
	v_add_co_ci_u32_e64 v1, s1, s17, v1, s1
	v_sub_f32_e32 v2, v2, v5
	s_delay_alu instid0(VALU_DEP_1) | instskip(NEXT) | instid1(VALU_DEP_1)
	v_sub_f32_e32 v3, v3, v2
	v_cvt_f16_f32_e32 v3, v3
	global_store_b16 v[0:1], v3, off
	s_and_b32 exec_lo, exec_lo, vcc_lo
	s_cbranch_execz .LBB89_50
; %bb.35:
	v_sub_f32_e32 v3, v4, v2
	s_delay_alu instid0(VALU_DEP_1)
	v_cvt_f16_f32_e32 v3, v3
	global_store_b16 v[0:1], v3, off offset:64
	s_and_b32 exec_lo, exec_lo, s0
	s_cbranch_execz .LBB89_50
; %bb.36:
	v_sub_f32_e32 v3, v7, v2
	s_delay_alu instid0(VALU_DEP_1)
	v_cvt_f16_f32_e32 v3, v3
	global_store_b16 v[0:1], v3, off offset:128
	s_and_b32 exec_lo, exec_lo, s2
	;; [unrolled: 7-line block ×14, first 2 shown]
	s_cbranch_execz .LBB89_50
; %bb.49:
	v_sub_f32_e32 v2, v23, v2
	s_delay_alu instid0(VALU_DEP_1)
	v_cvt_f16_f32_e32 v2, v2
	global_store_b16 v[0:1], v2, off offset:960
.LBB89_50:
	s_nop 0
	s_sendmsg sendmsg(MSG_DEALLOC_VGPRS)
	s_endpgm
	.section	.rodata,"a",@progbits
	.p2align	6, 0x0
	.amdhsa_kernel _ZN12_GLOBAL__N_120softmax_warp_forwardIN3c104HalfES2_fLi9ELb1ELb0ELi32EEEvPT0_PKT_iiiPKbib
		.amdhsa_group_segment_fixed_size 0
		.amdhsa_private_segment_fixed_size 0
		.amdhsa_kernarg_size 304
		.amdhsa_user_sgpr_count 15
		.amdhsa_user_sgpr_dispatch_ptr 0
		.amdhsa_user_sgpr_queue_ptr 0
		.amdhsa_user_sgpr_kernarg_segment_ptr 1
		.amdhsa_user_sgpr_dispatch_id 0
		.amdhsa_user_sgpr_private_segment_size 0
		.amdhsa_wavefront_size32 1
		.amdhsa_uses_dynamic_stack 0
		.amdhsa_enable_private_segment 0
		.amdhsa_system_sgpr_workgroup_id_x 1
		.amdhsa_system_sgpr_workgroup_id_y 0
		.amdhsa_system_sgpr_workgroup_id_z 0
		.amdhsa_system_sgpr_workgroup_info 0
		.amdhsa_system_vgpr_workitem_id 1
		.amdhsa_next_free_vgpr 72
		.amdhsa_next_free_sgpr 24
		.amdhsa_reserve_vcc 1
		.amdhsa_float_round_mode_32 0
		.amdhsa_float_round_mode_16_64 0
		.amdhsa_float_denorm_mode_32 3
		.amdhsa_float_denorm_mode_16_64 3
		.amdhsa_dx10_clamp 1
		.amdhsa_ieee_mode 1
		.amdhsa_fp16_overflow 0
		.amdhsa_workgroup_processor_mode 1
		.amdhsa_memory_ordered 1
		.amdhsa_forward_progress 0
		.amdhsa_shared_vgpr_count 0
		.amdhsa_exception_fp_ieee_invalid_op 0
		.amdhsa_exception_fp_denorm_src 0
		.amdhsa_exception_fp_ieee_div_zero 0
		.amdhsa_exception_fp_ieee_overflow 0
		.amdhsa_exception_fp_ieee_underflow 0
		.amdhsa_exception_fp_ieee_inexact 0
		.amdhsa_exception_int_div_zero 0
	.end_amdhsa_kernel
	.section	.text._ZN12_GLOBAL__N_120softmax_warp_forwardIN3c104HalfES2_fLi9ELb1ELb0ELi32EEEvPT0_PKT_iiiPKbib,"axG",@progbits,_ZN12_GLOBAL__N_120softmax_warp_forwardIN3c104HalfES2_fLi9ELb1ELb0ELi32EEEvPT0_PKT_iiiPKbib,comdat
.Lfunc_end89:
	.size	_ZN12_GLOBAL__N_120softmax_warp_forwardIN3c104HalfES2_fLi9ELb1ELb0ELi32EEEvPT0_PKT_iiiPKbib, .Lfunc_end89-_ZN12_GLOBAL__N_120softmax_warp_forwardIN3c104HalfES2_fLi9ELb1ELb0ELi32EEEvPT0_PKT_iiiPKbib
                                        ; -- End function
	.section	.AMDGPU.csdata,"",@progbits
; Kernel info:
; codeLenInByte = 4144
; NumSgprs: 26
; NumVgprs: 72
; ScratchSize: 0
; MemoryBound: 0
; FloatMode: 240
; IeeeMode: 1
; LDSByteSize: 0 bytes/workgroup (compile time only)
; SGPRBlocks: 3
; VGPRBlocks: 8
; NumSGPRsForWavesPerEU: 26
; NumVGPRsForWavesPerEU: 72
; Occupancy: 16
; WaveLimiterHint : 0
; COMPUTE_PGM_RSRC2:SCRATCH_EN: 0
; COMPUTE_PGM_RSRC2:USER_SGPR: 15
; COMPUTE_PGM_RSRC2:TRAP_HANDLER: 0
; COMPUTE_PGM_RSRC2:TGID_X_EN: 1
; COMPUTE_PGM_RSRC2:TGID_Y_EN: 0
; COMPUTE_PGM_RSRC2:TGID_Z_EN: 0
; COMPUTE_PGM_RSRC2:TIDIG_COMP_CNT: 1
	.section	.text._ZN12_GLOBAL__N_120softmax_warp_forwardIN3c104HalfES2_fLi10ELb1ELb0ELi64EEEvPT0_PKT_iiiPKbib,"axG",@progbits,_ZN12_GLOBAL__N_120softmax_warp_forwardIN3c104HalfES2_fLi10ELb1ELb0ELi64EEEvPT0_PKT_iiiPKbib,comdat
	.globl	_ZN12_GLOBAL__N_120softmax_warp_forwardIN3c104HalfES2_fLi10ELb1ELb0ELi64EEEvPT0_PKT_iiiPKbib ; -- Begin function _ZN12_GLOBAL__N_120softmax_warp_forwardIN3c104HalfES2_fLi10ELb1ELb0ELi64EEEvPT0_PKT_iiiPKbib
	.p2align	8
	.type	_ZN12_GLOBAL__N_120softmax_warp_forwardIN3c104HalfES2_fLi10ELb1ELb0ELi64EEEvPT0_PKT_iiiPKbib,@function
_ZN12_GLOBAL__N_120softmax_warp_forwardIN3c104HalfES2_fLi10ELb1ELb0ELi64EEEvPT0_PKT_iiiPKbib: ; @_ZN12_GLOBAL__N_120softmax_warp_forwardIN3c104HalfES2_fLi10ELb1ELb0ELi64EEEvPT0_PKT_iiiPKbib
; %bb.0:
	s_clause 0x1
	s_load_b32 s2, s[0:1], 0x3c
	s_load_b256 s[16:23], s[0:1], 0x0
	v_bfe_u32 v1, v0, 10, 10
	v_mov_b32_e32 v6, 0xff800000
	v_mov_b32_e32 v8, 0xff800000
	s_waitcnt lgkmcnt(0)
	s_lshr_b32 s0, s2, 16
	s_delay_alu instid0(SALU_CYCLE_1) | instskip(SKIP_1) | instid1(VALU_DEP_1)
	v_mad_u64_u32 v[3:4], null, s15, s0, v[1:2]
	v_and_b32_e32 v2, 0x3ff, v0
	v_cmp_gt_i32_e64 s1, s22, v2
	s_delay_alu instid0(VALU_DEP_3) | instskip(SKIP_1) | instid1(VALU_DEP_1)
	v_mad_u64_u32 v[0:1], null, v3, s21, v[2:3]
	v_sub_nc_u32_e32 v5, s20, v3
	v_cmp_lt_i32_e64 s15, 0, v5
	s_delay_alu instid0(VALU_DEP_3) | instskip(NEXT) | instid1(VALU_DEP_2)
	v_ashrrev_i32_e32 v1, 31, v0
	s_and_b32 s2, s15, s1
	s_delay_alu instid0(VALU_DEP_1) | instskip(NEXT) | instid1(VALU_DEP_1)
	v_lshlrev_b64 v[0:1], 1, v[0:1]
	v_add_co_u32 v3, vcc_lo, s18, v0
	s_delay_alu instid0(VALU_DEP_2)
	v_add_co_ci_u32_e32 v4, vcc_lo, s19, v1, vcc_lo
	s_and_saveexec_b32 s0, s2
	s_cbranch_execz .LBB90_2
; %bb.1:
	global_load_u16 v7, v[3:4], off
	s_waitcnt vmcnt(0)
	v_cvt_f32_f16_e32 v8, v7
.LBB90_2:
	s_or_b32 exec_lo, exec_lo, s0
	v_add_nc_u32_e32 v7, 64, v2
	s_delay_alu instid0(VALU_DEP_1) | instskip(SKIP_1) | instid1(SALU_CYCLE_1)
	v_cmp_gt_i32_e32 vcc_lo, s22, v7
	s_and_b32 s2, s15, vcc_lo
	s_and_saveexec_b32 s0, s2
	s_cbranch_execz .LBB90_4
; %bb.3:
	global_load_u16 v6, v[3:4], off offset:128
	s_waitcnt vmcnt(0)
	v_cvt_f32_f16_e32 v6, v6
.LBB90_4:
	s_or_b32 exec_lo, exec_lo, s0
	v_add_nc_u32_e32 v7, 0x80, v2
	v_mov_b32_e32 v10, 0xff800000
	v_mov_b32_e32 v12, 0xff800000
	s_delay_alu instid0(VALU_DEP_3) | instskip(NEXT) | instid1(VALU_DEP_1)
	v_cmp_gt_i32_e64 s0, s22, v7
	s_and_b32 s3, s15, s0
	s_delay_alu instid0(SALU_CYCLE_1)
	s_and_saveexec_b32 s2, s3
	s_cbranch_execz .LBB90_6
; %bb.5:
	global_load_u16 v7, v[3:4], off offset:256
	s_waitcnt vmcnt(0)
	v_cvt_f32_f16_e32 v12, v7
.LBB90_6:
	s_or_b32 exec_lo, exec_lo, s2
	v_add_nc_u32_e32 v7, 0xc0, v2
	s_delay_alu instid0(VALU_DEP_1) | instskip(NEXT) | instid1(VALU_DEP_1)
	v_cmp_gt_i32_e64 s2, s22, v7
	s_and_b32 s4, s15, s2
	s_delay_alu instid0(SALU_CYCLE_1)
	s_and_saveexec_b32 s3, s4
	s_cbranch_execz .LBB90_8
; %bb.7:
	global_load_u16 v7, v[3:4], off offset:384
	s_waitcnt vmcnt(0)
	v_cvt_f32_f16_e32 v10, v7
.LBB90_8:
	s_or_b32 exec_lo, exec_lo, s3
	v_add_nc_u32_e32 v7, 0x100, v2
	v_dual_mov_b32 v14, 0xff800000 :: v_dual_mov_b32 v15, 0xff800000
	s_delay_alu instid0(VALU_DEP_2) | instskip(NEXT) | instid1(VALU_DEP_1)
	v_cmp_gt_i32_e64 s3, s22, v7
	s_and_b32 s5, s15, s3
	s_delay_alu instid0(SALU_CYCLE_1)
	s_and_saveexec_b32 s4, s5
	s_cbranch_execz .LBB90_10
; %bb.9:
	global_load_u16 v7, v[3:4], off offset:512
	s_waitcnt vmcnt(0)
	v_cvt_f32_f16_e32 v15, v7
.LBB90_10:
	s_or_b32 exec_lo, exec_lo, s4
	v_add_nc_u32_e32 v7, 0x140, v2
	s_delay_alu instid0(VALU_DEP_1) | instskip(NEXT) | instid1(VALU_DEP_1)
	v_cmp_gt_i32_e64 s4, s22, v7
	s_and_b32 s6, s15, s4
	s_delay_alu instid0(SALU_CYCLE_1)
	s_and_saveexec_b32 s5, s6
	s_cbranch_execz .LBB90_12
; %bb.11:
	global_load_u16 v7, v[3:4], off offset:640
	s_waitcnt vmcnt(0)
	v_cvt_f32_f16_e32 v14, v7
.LBB90_12:
	s_or_b32 exec_lo, exec_lo, s5
	v_add_nc_u32_e32 v7, 0x180, v2
	v_dual_mov_b32 v16, 0xff800000 :: v_dual_mov_b32 v17, 0xff800000
	s_delay_alu instid0(VALU_DEP_2) | instskip(NEXT) | instid1(VALU_DEP_1)
	;; [unrolled: 27-line block ×6, first 2 shown]
	v_cmp_gt_i32_e64 s13, s22, v7
	s_and_b32 s18, s15, s13
	s_delay_alu instid0(SALU_CYCLE_1)
	s_and_saveexec_b32 s14, s18
	s_cbranch_execz .LBB90_30
; %bb.29:
	global_load_u16 v7, v[3:4], off offset:1792
	s_waitcnt vmcnt(0)
	v_cvt_f32_f16_e32 v25, v7
.LBB90_30:
	s_or_b32 exec_lo, exec_lo, s14
	v_add_nc_u32_e32 v2, 0x3c0, v2
	s_delay_alu instid0(VALU_DEP_1) | instskip(NEXT) | instid1(VALU_DEP_1)
	v_cmp_gt_i32_e64 s14, s22, v2
	s_and_b32 s18, s15, s14
	s_delay_alu instid0(SALU_CYCLE_1)
	s_and_saveexec_b32 s15, s18
	s_cbranch_execz .LBB90_32
; %bb.31:
	global_load_u16 v2, v[3:4], off offset:1920
	s_waitcnt vmcnt(0)
	v_cvt_f32_f16_e32 v24, v2
.LBB90_32:
	s_or_b32 exec_lo, exec_lo, s15
	v_cmp_gt_f32_e64 s15, v8, v6
	v_mbcnt_lo_u32_b32 v4, -1, 0
	s_mov_b32 s18, exec_lo
	s_delay_alu instid0(VALU_DEP_2) | instskip(NEXT) | instid1(VALU_DEP_2)
	v_cndmask_b32_e64 v2, v6, v8, s15
	v_or_b32_e32 v3, 32, v4
	s_delay_alu instid0(VALU_DEP_2) | instskip(NEXT) | instid1(VALU_DEP_1)
	v_cmp_gt_f32_e64 s15, v2, v12
	v_cndmask_b32_e64 v2, v12, v2, s15
	s_delay_alu instid0(VALU_DEP_1) | instskip(NEXT) | instid1(VALU_DEP_1)
	v_cmp_gt_f32_e64 s15, v2, v10
	v_cndmask_b32_e64 v2, v10, v2, s15
	s_delay_alu instid0(VALU_DEP_1) | instskip(NEXT) | instid1(VALU_DEP_1)
	;; [unrolled: 3-line block ×11, first 2 shown]
	v_cmp_gt_f32_e64 s15, v2, v22
	v_cndmask_b32_e64 v2, v22, v2, s15
	v_cmp_gt_i32_e64 s15, 64, v3
	s_delay_alu instid0(VALU_DEP_1) | instskip(NEXT) | instid1(VALU_DEP_3)
	v_cndmask_b32_e64 v3, v4, v3, s15
	v_cmp_gt_f32_e64 s15, v2, v25
	s_delay_alu instid0(VALU_DEP_1) | instskip(NEXT) | instid1(VALU_DEP_3)
	v_cndmask_b32_e64 v7, v25, v2, s15
	v_lshlrev_b32_e32 v2, 2, v3
	v_xor_b32_e32 v3, 16, v4
	s_delay_alu instid0(VALU_DEP_3) | instskip(NEXT) | instid1(VALU_DEP_1)
	v_cmp_gt_f32_e64 s15, v7, v24
	v_cndmask_b32_e64 v7, v24, v7, s15
	s_delay_alu instid0(VALU_DEP_3) | instskip(SKIP_2) | instid1(VALU_DEP_1)
	v_cmp_gt_i32_e64 s15, 64, v3
	ds_bpermute_b32 v9, v2, v7
	v_cndmask_b32_e64 v3, v4, v3, s15
	v_lshlrev_b32_e32 v3, 2, v3
	s_waitcnt lgkmcnt(0)
	v_cmp_lt_f32_e64 s15, v7, v9
	s_delay_alu instid0(VALU_DEP_1) | instskip(SKIP_3) | instid1(VALU_DEP_1)
	v_cndmask_b32_e64 v9, v7, v9, s15
	v_xor_b32_e32 v7, 8, v4
	ds_bpermute_b32 v11, v3, v9
	v_cmp_gt_i32_e64 s15, 64, v7
	v_cndmask_b32_e64 v7, v4, v7, s15
	s_delay_alu instid0(VALU_DEP_1) | instskip(SKIP_2) | instid1(VALU_DEP_1)
	v_lshlrev_b32_e32 v7, 2, v7
	s_waitcnt lgkmcnt(0)
	v_cmp_lt_f32_e64 s15, v9, v11
	v_cndmask_b32_e64 v11, v9, v11, s15
	v_xor_b32_e32 v9, 4, v4
	ds_bpermute_b32 v13, v7, v11
	v_cmp_gt_i32_e64 s15, 64, v9
	s_delay_alu instid0(VALU_DEP_1) | instskip(NEXT) | instid1(VALU_DEP_1)
	v_cndmask_b32_e64 v9, v4, v9, s15
	v_lshlrev_b32_e32 v9, 2, v9
	s_waitcnt lgkmcnt(0)
	v_cmp_lt_f32_e64 s15, v11, v13
	s_delay_alu instid0(VALU_DEP_1) | instskip(SKIP_3) | instid1(VALU_DEP_1)
	v_cndmask_b32_e64 v13, v11, v13, s15
	v_xor_b32_e32 v11, 2, v4
	ds_bpermute_b32 v26, v9, v13
	v_cmp_gt_i32_e64 s15, 64, v11
	v_cndmask_b32_e64 v11, v4, v11, s15
	s_delay_alu instid0(VALU_DEP_1) | instskip(SKIP_2) | instid1(VALU_DEP_1)
	v_lshlrev_b32_e32 v11, 2, v11
	s_waitcnt lgkmcnt(0)
	v_cmp_lt_f32_e64 s15, v13, v26
	v_cndmask_b32_e64 v26, v13, v26, s15
	v_xor_b32_e32 v13, 1, v4
	ds_bpermute_b32 v27, v11, v26
	v_cmp_gt_i32_e64 s15, 64, v13
	s_delay_alu instid0(VALU_DEP_1) | instskip(NEXT) | instid1(VALU_DEP_1)
	v_cndmask_b32_e64 v4, v4, v13, s15
	v_lshlrev_b32_e32 v13, 2, v4
	s_waitcnt lgkmcnt(0)
	v_cmp_lt_f32_e64 s15, v26, v27
	s_delay_alu instid0(VALU_DEP_1) | instskip(SKIP_3) | instid1(VALU_DEP_1)
	v_cndmask_b32_e64 v4, v26, v27, s15
	ds_bpermute_b32 v26, v13, v4
	s_waitcnt lgkmcnt(0)
	v_cmp_lt_f32_e64 s15, v4, v26
	v_cndmask_b32_e64 v26, v4, v26, s15
	s_delay_alu instid0(VALU_DEP_1)
	v_sub_f32_e32 v4, v8, v26
	v_sub_f32_e32 v8, v12, v26
	v_sub_f32_e32 v12, v15, v26
	v_sub_f32_e32 v15, v17, v26
	v_sub_f32_e32 v20, v20, v26
	v_sub_f32_e32 v6, v6, v26
	v_dual_sub_f32 v16, v16, v26 :: v_dual_mul_f32 v27, 0x3fb8aa3b, v8
	v_sub_f32_e32 v17, v19, v26
	v_mul_f32_e32 v31, 0x3fb8aa3b, v15
	v_dual_sub_f32 v19, v21, v26 :: v_dual_mul_f32 v36, 0x3fb8aa3b, v20
	v_sub_f32_e32 v24, v24, v26
	v_sub_f32_e32 v10, v10, v26
	;; [unrolled: 1-line block ×3, first 2 shown]
	v_dual_sub_f32 v18, v18, v26 :: v_dual_mul_f32 v29, 0x3fb8aa3b, v12
	v_mul_f32_e32 v32, 0x3fb8aa3b, v16
	v_dual_sub_f32 v22, v22, v26 :: v_dual_mul_f32 v33, 0x3fb8aa3b, v17
	v_mul_f32_e32 v35, 0x3fb8aa3b, v19
	v_dual_sub_f32 v21, v23, v26 :: v_dual_mul_f32 v40, 0x3fb8aa3b, v24
	v_sub_f32_e32 v23, v25, v26
	v_dual_mul_f32 v26, 0x3fb8aa3b, v6 :: v_dual_mul_f32 v25, 0x3fb8aa3b, v4
	s_delay_alu instid0(VALU_DEP_3) | instskip(SKIP_2) | instid1(VALU_DEP_4)
	v_mul_f32_e32 v37, 0x3fb8aa3b, v21
	v_fma_f32 v45, 0x3fb8aa3b, v8, -v27
	v_rndne_f32_e32 v46, v27
	v_rndne_f32_e32 v44, v26
	v_fma_f32 v41, 0x3fb8aa3b, v4, -v25
	v_rndne_f32_e32 v42, v25
	v_fma_f32 v43, 0x3fb8aa3b, v6, -v26
	v_rndne_f32_e32 v56, v32
	v_sub_f32_e32 v26, v26, v44
	v_dual_mul_f32 v28, 0x3fb8aa3b, v10 :: v_dual_mul_f32 v39, 0x3fb8aa3b, v23
	s_delay_alu instid0(VALU_DEP_4) | instskip(SKIP_2) | instid1(VALU_DEP_4)
	v_fmac_f32_e32 v43, 0x32a5705f, v6
	v_fmac_f32_e32 v41, 0x32a5705f, v4
	v_sub_f32_e32 v27, v27, v46
	v_rndne_f32_e32 v48, v28
	v_sub_f32_e32 v25, v25, v42
	v_fma_f32 v47, 0x3fb8aa3b, v10, -v28
	v_add_f32_e32 v26, v26, v43
	v_fma_f32 v55, 0x3fb8aa3b, v16, -v32
	v_sub_f32_e32 v28, v28, v48
	v_dual_mul_f32 v30, 0x3fb8aa3b, v14 :: v_dual_add_f32 v25, v25, v41
	v_fmac_f32_e32 v47, 0x32a5705f, v10
	v_fmac_f32_e32 v45, 0x32a5705f, v8
	v_cvt_i32_f32_e32 v42, v42
	v_sub_f32_e32 v32, v32, v56
	v_exp_f32_e32 v25, v25
	v_add_f32_e32 v28, v28, v47
	v_dual_mul_f32 v34, 0x3fb8aa3b, v18 :: v_dual_add_f32 v27, v27, v45
	v_exp_f32_e32 v26, v26
	v_cvt_i32_f32_e32 v44, v44
	v_cmp_ngt_f32_e64 s15, 0xc2ce8ed0, v4
	v_cvt_i32_f32_e32 v46, v46
	v_exp_f32_e32 v27, v27
	v_fma_f32 v49, 0x3fb8aa3b, v12, -v29
	s_delay_alu instid0(TRANS32_DEP_3)
	v_ldexp_f32 v25, v25, v42
	v_rndne_f32_e32 v50, v29
	v_fma_f32 v51, 0x3fb8aa3b, v14, -v30
	v_rndne_f32_e32 v52, v30
	v_ldexp_f32 v26, v26, v44
	v_cndmask_b32_e64 v25, 0, v25, s15
	v_cmp_ngt_f32_e64 s15, 0xc2ce8ed0, v6
	v_rndne_f32_e32 v64, v36
	v_ldexp_f32 v27, v27, v46
	v_sub_f32_e32 v29, v29, v50
	v_fmac_f32_e32 v51, 0x32a5705f, v14
	v_cndmask_b32_e64 v26, 0, v26, s15
	v_cmp_ngt_f32_e64 s15, 0xc2ce8ed0, v8
	v_sub_f32_e32 v30, v30, v52
	v_fmac_f32_e32 v49, 0x32a5705f, v12
	v_exp_f32_e32 v28, v28
	v_fma_f32 v63, 0x3fb8aa3b, v20, -v36
	v_cndmask_b32_e64 v27, 0, v27, s15
	v_add_f32_e32 v30, v30, v51
	v_cmp_nlt_f32_e64 s15, 0x42b17218, v4
	v_cvt_i32_f32_e32 v48, v48
	v_sub_f32_e32 v36, v36, v64
	v_dual_mul_f32 v38, 0x3fb8aa3b, v22 :: v_dual_add_f32 v29, v29, v49
	s_delay_alu instid0(VALU_DEP_4)
	v_cndmask_b32_e64 v25, 0x7f800000, v25, s15
	v_cmp_nlt_f32_e64 s15, 0x42b17218, v6
	v_fma_f32 v53, 0x3fb8aa3b, v15, -v31
	v_fma_f32 v59, 0x3fb8aa3b, v18, -v34
	v_rndne_f32_e32 v60, v34
	v_fma_f32 v71, 0x3fb8aa3b, v24, -v40
	v_rndne_f32_e32 v72, v40
	v_exp_f32_e32 v29, v29
	v_ldexp_f32 v28, v28, v48
	v_cndmask_b32_e64 v26, 0x7f800000, v26, s15
	v_cmp_ngt_f32_e64 s15, 0xc2ce8ed0, v10
	v_rndne_f32_e32 v54, v31
	v_cvt_i32_f32_e32 v50, v50
	v_dual_fmac_f32 v53, 0x32a5705f, v15 :: v_dual_sub_f32 v40, v40, v72
	v_sub_f32_e32 v34, v34, v60
	v_fmac_f32_e32 v71, 0x32a5705f, v24
	v_fmac_f32_e32 v59, 0x32a5705f, v18
	v_cndmask_b32_e64 v28, 0, v28, s15
	v_cmp_nlt_f32_e64 s15, 0x42b17218, v8
	v_exp_f32_e32 v30, v30
	v_dual_add_f32 v40, v40, v71 :: v_dual_fmac_f32 v55, 0x32a5705f, v16
	v_dual_add_f32 v34, v34, v59 :: v_dual_sub_f32 v31, v31, v54
	v_ldexp_f32 v29, v29, v50
	v_cndmask_b32_e64 v27, 0x7f800000, v27, s15
	s_delay_alu instid0(VALU_DEP_4)
	v_add_f32_e32 v32, v32, v55
	v_cmp_ngt_f32_e64 s15, 0xc2ce8ed0, v12
	v_cvt_i32_f32_e32 v52, v52
	v_add_f32_e32 v31, v31, v53
	v_add_f32_e32 v25, v25, v26
	v_fma_f32 v57, 0x3fb8aa3b, v17, -v33
	v_cndmask_b32_e64 v26, 0, v29, s15
	v_cmp_nlt_f32_e64 s15, 0x42b17218, v10
	v_exp_f32_e32 v31, v31
	v_ldexp_f32 v30, v30, v52
	v_rndne_f32_e32 v58, v33
	v_fma_f32 v67, 0x3fb8aa3b, v22, -v38
	v_cndmask_b32_e64 v28, 0x7f800000, v28, s15
	v_cmp_ngt_f32_e64 s15, 0xc2ce8ed0, v14
	v_rndne_f32_e32 v68, v38
	v_cvt_i32_f32_e32 v54, v54
	v_add_f32_e32 v25, v25, v27
	v_fmac_f32_e32 v63, 0x32a5705f, v20
	v_cndmask_b32_e64 v27, 0, v30, s15
	v_cmp_nlt_f32_e64 s15, 0x42b17218, v12
	v_fmac_f32_e32 v57, 0x32a5705f, v17
	s_delay_alu instid0(VALU_DEP_4) | instskip(SKIP_4) | instid1(VALU_DEP_3)
	v_dual_fmac_f32 v67, 0x32a5705f, v22 :: v_dual_add_f32 v36, v36, v63
	v_dual_sub_f32 v38, v38, v68 :: v_dual_sub_f32 v33, v33, v58
	v_exp_f32_e32 v32, v32
	v_ldexp_f32 v31, v31, v54
	v_cndmask_b32_e64 v26, 0x7f800000, v26, s15
	v_add_f32_e32 v38, v38, v67
	v_cmp_ngt_f32_e64 s15, 0xc2ce8ed0, v15
	v_cvt_i32_f32_e32 v56, v56
	v_add_f32_e32 v33, v33, v57
	v_add_f32_e32 v25, v25, v28
	v_fma_f32 v61, 0x3fb8aa3b, v19, -v35
	v_cndmask_b32_e64 v28, 0, v31, s15
	v_cmp_nlt_f32_e64 s15, 0x42b17218, v14
	v_exp_f32_e32 v33, v33
	v_ldexp_f32 v32, v32, v56
	v_rndne_f32_e32 v62, v35
	v_cvt_i32_f32_e32 v58, v58
	v_cndmask_b32_e64 v27, 0x7f800000, v27, s15
	v_cmp_ngt_f32_e64 s15, 0xc2ce8ed0, v16
	v_add_f32_e32 v25, v25, v26
	v_fmac_f32_e32 v61, 0x32a5705f, v19
	v_sub_f32_e32 v35, v35, v62
	v_exp_f32_e32 v34, v34
	v_cndmask_b32_e64 v26, 0, v32, s15
	v_cmp_nlt_f32_e64 s15, 0x42b17218, v15
	v_ldexp_f32 v33, v33, v58
	v_cvt_i32_f32_e32 v60, v60
	v_add_f32_e32 v35, v35, v61
	v_add_f32_e32 v25, v25, v27
	v_cndmask_b32_e64 v28, 0x7f800000, v28, s15
	v_cmp_ngt_f32_e64 s15, 0xc2ce8ed0, v17
	v_fma_f32 v65, 0x3fb8aa3b, v21, -v37
	v_exp_f32_e32 v35, v35
	v_ldexp_f32 v34, v34, v60
	v_rndne_f32_e32 v66, v37
	v_cndmask_b32_e64 v27, 0, v33, s15
	v_cmp_nlt_f32_e64 s15, 0x42b17218, v16
	v_cvt_i32_f32_e32 v62, v62
	v_add_f32_e32 v25, v25, v28
	v_fmac_f32_e32 v65, 0x32a5705f, v21
	v_sub_f32_e32 v37, v37, v66
	v_cndmask_b32_e64 v26, 0x7f800000, v26, s15
	v_cmp_ngt_f32_e64 s15, 0xc2ce8ed0, v18
	v_exp_f32_e32 v36, v36
	v_ldexp_f32 v35, v35, v62
	v_cvt_i32_f32_e32 v64, v64
	v_add_f32_e32 v37, v37, v65
	v_cndmask_b32_e64 v28, 0, v34, s15
	v_cmp_nlt_f32_e64 s15, 0x42b17218, v17
	v_add_f32_e32 v25, v25, v26
	v_fma_f32 v69, 0x3fb8aa3b, v23, -v39
	v_exp_f32_e32 v37, v37
	v_rndne_f32_e32 v70, v39
	v_cndmask_b32_e64 v27, 0x7f800000, v27, s15
	v_cmp_ngt_f32_e64 s15, 0xc2ce8ed0, v19
	v_ldexp_f32 v36, v36, v64
	v_cvt_i32_f32_e32 v66, v66
	v_fmac_f32_e32 v69, 0x32a5705f, v23
	v_add_f32_e32 v25, v25, v27
	v_cndmask_b32_e64 v26, 0, v35, s15
	v_cmp_nlt_f32_e64 s15, 0x42b17218, v18
	v_sub_f32_e32 v39, v39, v70
	v_exp_f32_e32 v38, v38
	v_ldexp_f32 v37, v37, v66
	v_cvt_i32_f32_e32 v68, v68
	v_cndmask_b32_e64 v28, 0x7f800000, v28, s15
	v_cmp_ngt_f32_e64 s15, 0xc2ce8ed0, v20
	v_add_f32_e32 v39, v39, v69
	v_cvt_i32_f32_e32 v70, v70
	v_exp_f32_e32 v40, v40
	v_add_f32_e32 v25, v25, v28
	v_cndmask_b32_e64 v27, 0, v36, s15
	v_cmp_nlt_f32_e64 s15, 0x42b17218, v19
	v_exp_f32_e32 v39, v39
	v_ldexp_f32 v38, v38, v68
	v_cvt_i32_f32_e32 v72, v72
	s_delay_alu instid0(VALU_DEP_3) | instskip(SKIP_1) | instid1(VALU_DEP_2)
	v_cndmask_b32_e64 v26, 0x7f800000, v26, s15
	v_cmp_ngt_f32_e64 s15, 0xc2ce8ed0, v21
	v_add_f32_e32 v25, v25, v26
	s_delay_alu instid0(VALU_DEP_2) | instskip(SKIP_1) | instid1(TRANS32_DEP_1)
	v_cndmask_b32_e64 v28, 0, v37, s15
	v_cmp_nlt_f32_e64 s15, 0x42b17218, v20
	v_ldexp_f32 v39, v39, v70
	s_delay_alu instid0(VALU_DEP_2) | instskip(SKIP_1) | instid1(VALU_DEP_2)
	v_cndmask_b32_e64 v27, 0x7f800000, v27, s15
	v_cmp_ngt_f32_e64 s15, 0xc2ce8ed0, v22
	v_add_f32_e32 v25, v25, v27
	s_delay_alu instid0(VALU_DEP_2) | instskip(SKIP_1) | instid1(VALU_DEP_1)
	v_cndmask_b32_e64 v26, 0, v38, s15
	v_cmp_nlt_f32_e64 s15, 0x42b17218, v21
	v_cndmask_b32_e64 v28, 0x7f800000, v28, s15
	v_cmp_ngt_f32_e64 s15, 0xc2ce8ed0, v23
	s_delay_alu instid0(VALU_DEP_2) | instskip(NEXT) | instid1(VALU_DEP_2)
	v_add_f32_e32 v25, v25, v28
	v_cndmask_b32_e64 v27, 0, v39, s15
	v_cmp_nlt_f32_e64 s15, 0x42b17218, v22
	v_ldexp_f32 v28, v40, v72
	s_delay_alu instid0(VALU_DEP_2) | instskip(SKIP_1) | instid1(VALU_DEP_2)
	v_cndmask_b32_e64 v26, 0x7f800000, v26, s15
	v_cmp_nlt_f32_e64 s15, 0x42b17218, v23
	v_add_f32_e32 v25, v25, v26
	s_delay_alu instid0(VALU_DEP_2) | instskip(SKIP_1) | instid1(VALU_DEP_2)
	v_cndmask_b32_e64 v27, 0x7f800000, v27, s15
	v_cmp_ngt_f32_e64 s15, 0xc2ce8ed0, v24
	v_add_f32_e32 v25, v25, v27
	s_delay_alu instid0(VALU_DEP_2) | instskip(SKIP_1) | instid1(VALU_DEP_1)
	v_cndmask_b32_e64 v26, 0, v28, s15
	v_cmp_nlt_f32_e64 s15, 0x42b17218, v24
	v_cndmask_b32_e64 v26, 0x7f800000, v26, s15
	s_delay_alu instid0(VALU_DEP_1)
	v_add_f32_e32 v25, v25, v26
	ds_bpermute_b32 v2, v2, v25
	s_waitcnt lgkmcnt(0)
	v_add_f32_e32 v2, v25, v2
	ds_bpermute_b32 v3, v3, v2
	s_waitcnt lgkmcnt(0)
	v_add_f32_e32 v2, v2, v3
	ds_bpermute_b32 v3, v7, v2
	s_waitcnt lgkmcnt(0)
	v_add_f32_e32 v2, v2, v3
	ds_bpermute_b32 v3, v9, v2
	s_waitcnt lgkmcnt(0)
	v_add_f32_e32 v2, v2, v3
	ds_bpermute_b32 v3, v11, v2
	s_waitcnt lgkmcnt(0)
	v_add_f32_e32 v2, v2, v3
	ds_bpermute_b32 v3, v13, v2
	v_cmpx_lt_i32_e32 0, v5
	s_cbranch_execz .LBB90_50
; %bb.33:
	s_and_b32 exec_lo, exec_lo, s1
	s_cbranch_execz .LBB90_50
; %bb.34:
	s_waitcnt lgkmcnt(0)
	v_add_f32_e32 v2, v2, v3
	s_delay_alu instid0(VALU_DEP_1) | instskip(NEXT) | instid1(VALU_DEP_1)
	v_cmp_gt_f32_e64 s1, 0x800000, v2
	v_cndmask_b32_e64 v3, 1.0, 0x4f800000, s1
	s_delay_alu instid0(VALU_DEP_1) | instskip(NEXT) | instid1(VALU_DEP_1)
	v_mul_f32_e32 v2, v2, v3
	v_log_f32_e32 v2, v2
	s_waitcnt_depctr 0xfff
	v_mul_f32_e32 v3, 0x3f317217, v2
	v_cmp_gt_f32_e64 s15, 0x7f800000, |v2|
	s_delay_alu instid0(VALU_DEP_2) | instskip(NEXT) | instid1(VALU_DEP_1)
	v_fma_f32 v5, 0x3f317217, v2, -v3
	v_fmamk_f32 v5, v2, 0x3377d1cf, v5
	s_delay_alu instid0(VALU_DEP_1) | instskip(NEXT) | instid1(VALU_DEP_1)
	v_add_f32_e32 v3, v3, v5
	v_cndmask_b32_e64 v2, v2, v3, s15
	v_cndmask_b32_e64 v3, 0, 0x41b17218, s1
	v_add_co_u32 v0, s1, s16, v0
	s_delay_alu instid0(VALU_DEP_1) | instskip(NEXT) | instid1(VALU_DEP_3)
	v_add_co_ci_u32_e64 v1, s1, s17, v1, s1
	v_sub_f32_e32 v2, v2, v3
	s_delay_alu instid0(VALU_DEP_1) | instskip(NEXT) | instid1(VALU_DEP_1)
	v_sub_f32_e32 v3, v4, v2
	v_cvt_f16_f32_e32 v3, v3
	global_store_b16 v[0:1], v3, off
	s_and_b32 exec_lo, exec_lo, vcc_lo
	s_cbranch_execz .LBB90_50
; %bb.35:
	v_sub_f32_e32 v3, v6, v2
	s_delay_alu instid0(VALU_DEP_1)
	v_cvt_f16_f32_e32 v3, v3
	global_store_b16 v[0:1], v3, off offset:128
	s_and_b32 exec_lo, exec_lo, s0
	s_cbranch_execz .LBB90_50
; %bb.36:
	v_sub_f32_e32 v3, v8, v2
	s_delay_alu instid0(VALU_DEP_1)
	v_cvt_f16_f32_e32 v3, v3
	global_store_b16 v[0:1], v3, off offset:256
	s_and_b32 exec_lo, exec_lo, s2
	;; [unrolled: 7-line block ×14, first 2 shown]
	s_cbranch_execz .LBB90_50
; %bb.49:
	v_sub_f32_e32 v2, v24, v2
	s_delay_alu instid0(VALU_DEP_1)
	v_cvt_f16_f32_e32 v2, v2
	global_store_b16 v[0:1], v2, off offset:1920
.LBB90_50:
	s_nop 0
	s_sendmsg sendmsg(MSG_DEALLOC_VGPRS)
	s_endpgm
	.section	.rodata,"a",@progbits
	.p2align	6, 0x0
	.amdhsa_kernel _ZN12_GLOBAL__N_120softmax_warp_forwardIN3c104HalfES2_fLi10ELb1ELb0ELi64EEEvPT0_PKT_iiiPKbib
		.amdhsa_group_segment_fixed_size 0
		.amdhsa_private_segment_fixed_size 0
		.amdhsa_kernarg_size 304
		.amdhsa_user_sgpr_count 15
		.amdhsa_user_sgpr_dispatch_ptr 0
		.amdhsa_user_sgpr_queue_ptr 0
		.amdhsa_user_sgpr_kernarg_segment_ptr 1
		.amdhsa_user_sgpr_dispatch_id 0
		.amdhsa_user_sgpr_private_segment_size 0
		.amdhsa_wavefront_size32 1
		.amdhsa_uses_dynamic_stack 0
		.amdhsa_enable_private_segment 0
		.amdhsa_system_sgpr_workgroup_id_x 1
		.amdhsa_system_sgpr_workgroup_id_y 0
		.amdhsa_system_sgpr_workgroup_id_z 0
		.amdhsa_system_sgpr_workgroup_info 0
		.amdhsa_system_vgpr_workitem_id 1
		.amdhsa_next_free_vgpr 73
		.amdhsa_next_free_sgpr 24
		.amdhsa_reserve_vcc 1
		.amdhsa_float_round_mode_32 0
		.amdhsa_float_round_mode_16_64 0
		.amdhsa_float_denorm_mode_32 3
		.amdhsa_float_denorm_mode_16_64 3
		.amdhsa_dx10_clamp 1
		.amdhsa_ieee_mode 1
		.amdhsa_fp16_overflow 0
		.amdhsa_workgroup_processor_mode 1
		.amdhsa_memory_ordered 1
		.amdhsa_forward_progress 0
		.amdhsa_shared_vgpr_count 0
		.amdhsa_exception_fp_ieee_invalid_op 0
		.amdhsa_exception_fp_denorm_src 0
		.amdhsa_exception_fp_ieee_div_zero 0
		.amdhsa_exception_fp_ieee_overflow 0
		.amdhsa_exception_fp_ieee_underflow 0
		.amdhsa_exception_fp_ieee_inexact 0
		.amdhsa_exception_int_div_zero 0
	.end_amdhsa_kernel
	.section	.text._ZN12_GLOBAL__N_120softmax_warp_forwardIN3c104HalfES2_fLi10ELb1ELb0ELi64EEEvPT0_PKT_iiiPKbib,"axG",@progbits,_ZN12_GLOBAL__N_120softmax_warp_forwardIN3c104HalfES2_fLi10ELb1ELb0ELi64EEEvPT0_PKT_iiiPKbib,comdat
.Lfunc_end90:
	.size	_ZN12_GLOBAL__N_120softmax_warp_forwardIN3c104HalfES2_fLi10ELb1ELb0ELi64EEEvPT0_PKT_iiiPKbib, .Lfunc_end90-_ZN12_GLOBAL__N_120softmax_warp_forwardIN3c104HalfES2_fLi10ELb1ELb0ELi64EEEvPT0_PKT_iiiPKbib
                                        ; -- End function
	.section	.AMDGPU.csdata,"",@progbits
; Kernel info:
; codeLenInByte = 4232
; NumSgprs: 26
; NumVgprs: 73
; ScratchSize: 0
; MemoryBound: 0
; FloatMode: 240
; IeeeMode: 1
; LDSByteSize: 0 bytes/workgroup (compile time only)
; SGPRBlocks: 3
; VGPRBlocks: 9
; NumSGPRsForWavesPerEU: 26
; NumVGPRsForWavesPerEU: 73
; Occupancy: 16
; WaveLimiterHint : 0
; COMPUTE_PGM_RSRC2:SCRATCH_EN: 0
; COMPUTE_PGM_RSRC2:USER_SGPR: 15
; COMPUTE_PGM_RSRC2:TRAP_HANDLER: 0
; COMPUTE_PGM_RSRC2:TGID_X_EN: 1
; COMPUTE_PGM_RSRC2:TGID_Y_EN: 0
; COMPUTE_PGM_RSRC2:TGID_Z_EN: 0
; COMPUTE_PGM_RSRC2:TIDIG_COMP_CNT: 1
	.section	.text._ZN12_GLOBAL__N_120softmax_warp_forwardIN3c104HalfES2_fLi10ELb1ELb0ELi32EEEvPT0_PKT_iiiPKbib,"axG",@progbits,_ZN12_GLOBAL__N_120softmax_warp_forwardIN3c104HalfES2_fLi10ELb1ELb0ELi32EEEvPT0_PKT_iiiPKbib,comdat
	.globl	_ZN12_GLOBAL__N_120softmax_warp_forwardIN3c104HalfES2_fLi10ELb1ELb0ELi32EEEvPT0_PKT_iiiPKbib ; -- Begin function _ZN12_GLOBAL__N_120softmax_warp_forwardIN3c104HalfES2_fLi10ELb1ELb0ELi32EEEvPT0_PKT_iiiPKbib
	.p2align	8
	.type	_ZN12_GLOBAL__N_120softmax_warp_forwardIN3c104HalfES2_fLi10ELb1ELb0ELi32EEEvPT0_PKT_iiiPKbib,@function
_ZN12_GLOBAL__N_120softmax_warp_forwardIN3c104HalfES2_fLi10ELb1ELb0ELi32EEEvPT0_PKT_iiiPKbib: ; @_ZN12_GLOBAL__N_120softmax_warp_forwardIN3c104HalfES2_fLi10ELb1ELb0ELi32EEEvPT0_PKT_iiiPKbib
; %bb.0:
	s_clause 0x1
	s_load_b32 s2, s[0:1], 0x3c
	s_load_b256 s[36:43], s[0:1], 0x0
	v_bfe_u32 v1, v0, 10, 10
	v_mov_b32_e32 v14, 0xff800000
	v_mov_b32_e32 v20, 0xff800000
	s_waitcnt lgkmcnt(0)
	s_lshr_b32 s0, s2, 16
	s_delay_alu instid0(SALU_CYCLE_1) | instskip(SKIP_1) | instid1(VALU_DEP_1)
	v_mad_u64_u32 v[3:4], null, s15, s0, v[1:2]
	v_and_b32_e32 v2, 0x3ff, v0
	v_cmp_gt_i32_e64 s1, s42, v2
	s_delay_alu instid0(VALU_DEP_3) | instskip(SKIP_1) | instid1(VALU_DEP_1)
	v_mad_u64_u32 v[0:1], null, v3, s41, v[2:3]
	v_sub_nc_u32_e32 v5, s40, v3
	v_cmp_lt_i32_e64 s31, 0, v5
	s_delay_alu instid0(VALU_DEP_3) | instskip(NEXT) | instid1(VALU_DEP_2)
	v_ashrrev_i32_e32 v1, 31, v0
	s_and_b32 s2, s31, s1
	s_delay_alu instid0(VALU_DEP_1) | instskip(NEXT) | instid1(VALU_DEP_1)
	v_lshlrev_b64 v[0:1], 1, v[0:1]
	v_add_co_u32 v3, vcc_lo, s38, v0
	s_delay_alu instid0(VALU_DEP_2)
	v_add_co_ci_u32_e32 v4, vcc_lo, s39, v1, vcc_lo
	s_and_saveexec_b32 s0, s2
	s_cbranch_execz .LBB91_2
; %bb.1:
	global_load_u16 v6, v[3:4], off
	s_waitcnt vmcnt(0)
	v_cvt_f32_f16_e32 v20, v6
.LBB91_2:
	s_or_b32 exec_lo, exec_lo, s0
	v_add_nc_u32_e32 v6, 32, v2
	s_delay_alu instid0(VALU_DEP_1) | instskip(SKIP_1) | instid1(SALU_CYCLE_1)
	v_cmp_gt_i32_e32 vcc_lo, s42, v6
	s_and_b32 s2, s31, vcc_lo
	s_and_saveexec_b32 s0, s2
	s_cbranch_execz .LBB91_4
; %bb.3:
	global_load_u16 v6, v[3:4], off offset:64
	s_waitcnt vmcnt(0)
	v_cvt_f32_f16_e32 v14, v6
.LBB91_4:
	s_or_b32 exec_lo, exec_lo, s0
	v_dual_mov_b32 v17, 0xff800000 :: v_dual_add_nc_u32 v6, 64, v2
	v_mov_b32_e32 v23, 0xff800000
	s_delay_alu instid0(VALU_DEP_2) | instskip(NEXT) | instid1(VALU_DEP_1)
	v_cmp_gt_i32_e64 s0, s42, v6
	s_and_b32 s3, s31, s0
	s_delay_alu instid0(SALU_CYCLE_1)
	s_and_saveexec_b32 s2, s3
	s_cbranch_execz .LBB91_6
; %bb.5:
	global_load_u16 v6, v[3:4], off offset:128
	s_waitcnt vmcnt(0)
	v_cvt_f32_f16_e32 v23, v6
.LBB91_6:
	s_or_b32 exec_lo, exec_lo, s2
	v_add_nc_u32_e32 v6, 0x60, v2
	s_delay_alu instid0(VALU_DEP_1) | instskip(NEXT) | instid1(VALU_DEP_1)
	v_cmp_gt_i32_e64 s2, s42, v6
	s_and_b32 s4, s31, s2
	s_delay_alu instid0(SALU_CYCLE_1)
	s_and_saveexec_b32 s3, s4
	s_cbranch_execz .LBB91_8
; %bb.7:
	global_load_u16 v6, v[3:4], off offset:192
	s_waitcnt vmcnt(0)
	v_cvt_f32_f16_e32 v17, v6
.LBB91_8:
	s_or_b32 exec_lo, exec_lo, s3
	v_add_nc_u32_e32 v6, 0x80, v2
	v_dual_mov_b32 v22, 0xff800000 :: v_dual_mov_b32 v25, 0xff800000
	s_delay_alu instid0(VALU_DEP_2) | instskip(NEXT) | instid1(VALU_DEP_1)
	v_cmp_gt_i32_e64 s3, s42, v6
	s_and_b32 s5, s31, s3
	s_delay_alu instid0(SALU_CYCLE_1)
	s_and_saveexec_b32 s4, s5
	s_cbranch_execz .LBB91_10
; %bb.9:
	global_load_u16 v6, v[3:4], off offset:256
	s_waitcnt vmcnt(0)
	v_cvt_f32_f16_e32 v25, v6
.LBB91_10:
	s_or_b32 exec_lo, exec_lo, s4
	v_add_nc_u32_e32 v6, 0xa0, v2
	s_delay_alu instid0(VALU_DEP_1) | instskip(NEXT) | instid1(VALU_DEP_1)
	v_cmp_gt_i32_e64 s4, s42, v6
	s_and_b32 s6, s31, s4
	s_delay_alu instid0(SALU_CYCLE_1)
	s_and_saveexec_b32 s5, s6
	s_cbranch_execz .LBB91_12
; %bb.11:
	global_load_u16 v6, v[3:4], off offset:320
	s_waitcnt vmcnt(0)
	v_cvt_f32_f16_e32 v22, v6
.LBB91_12:
	s_or_b32 exec_lo, exec_lo, s5
	v_add_nc_u32_e32 v6, 0xc0, v2
	v_dual_mov_b32 v24, 0xff800000 :: v_dual_mov_b32 v27, 0xff800000
	;; [unrolled: 27-line block ×3, first 2 shown]
	s_delay_alu instid0(VALU_DEP_2) | instskip(NEXT) | instid1(VALU_DEP_1)
	v_cmp_gt_i32_e64 s7, s42, v6
	s_and_b32 s9, s31, s7
	s_delay_alu instid0(SALU_CYCLE_1)
	s_and_saveexec_b32 s8, s9
	s_cbranch_execz .LBB91_18
; %bb.17:
	global_load_u16 v6, v[3:4], off offset:512
	s_waitcnt vmcnt(0)
	v_cvt_f32_f16_e32 v29, v6
.LBB91_18:
	s_or_b32 exec_lo, exec_lo, s8
	v_add_nc_u32_e32 v6, 0x120, v2
	s_delay_alu instid0(VALU_DEP_1) | instskip(NEXT) | instid1(VALU_DEP_1)
	v_cmp_gt_i32_e64 s8, s42, v6
	s_and_b32 s10, s31, s8
	s_delay_alu instid0(SALU_CYCLE_1)
	s_and_saveexec_b32 s9, s10
	s_cbranch_execz .LBB91_20
; %bb.19:
	global_load_u16 v6, v[3:4], off offset:576
	s_waitcnt vmcnt(0)
	v_cvt_f32_f16_e32 v26, v6
.LBB91_20:
	s_or_b32 exec_lo, exec_lo, s9
	v_add_nc_u32_e32 v6, 0x140, v2
	v_mov_b32_e32 v28, 0xff800000
	v_mov_b32_e32 v32, 0xff800000
	s_delay_alu instid0(VALU_DEP_3) | instskip(NEXT) | instid1(VALU_DEP_1)
	v_cmp_gt_i32_e64 s9, s42, v6
	s_and_b32 s11, s31, s9
	s_delay_alu instid0(SALU_CYCLE_1)
	s_and_saveexec_b32 s10, s11
	s_cbranch_execz .LBB91_22
; %bb.21:
	global_load_u16 v6, v[3:4], off offset:640
	s_waitcnt vmcnt(0)
	v_cvt_f32_f16_e32 v32, v6
.LBB91_22:
	s_or_b32 exec_lo, exec_lo, s10
	v_add_nc_u32_e32 v6, 0x160, v2
	s_delay_alu instid0(VALU_DEP_1) | instskip(NEXT) | instid1(VALU_DEP_1)
	v_cmp_gt_i32_e64 s10, s42, v6
	s_and_b32 s12, s31, s10
	s_delay_alu instid0(SALU_CYCLE_1)
	s_and_saveexec_b32 s11, s12
	s_cbranch_execz .LBB91_24
; %bb.23:
	global_load_u16 v6, v[3:4], off offset:704
	s_waitcnt vmcnt(0)
	v_cvt_f32_f16_e32 v28, v6
.LBB91_24:
	s_or_b32 exec_lo, exec_lo, s11
	v_add_nc_u32_e32 v6, 0x180, v2
	v_dual_mov_b32 v31, 0xff800000 :: v_dual_mov_b32 v34, 0xff800000
	s_delay_alu instid0(VALU_DEP_2) | instskip(NEXT) | instid1(VALU_DEP_1)
	v_cmp_gt_i32_e64 s11, s42, v6
	s_and_b32 s13, s31, s11
	s_delay_alu instid0(SALU_CYCLE_1)
	s_and_saveexec_b32 s12, s13
	s_cbranch_execz .LBB91_26
; %bb.25:
	global_load_u16 v6, v[3:4], off offset:768
	s_waitcnt vmcnt(0)
	v_cvt_f32_f16_e32 v34, v6
.LBB91_26:
	s_or_b32 exec_lo, exec_lo, s12
	v_add_nc_u32_e32 v6, 0x1a0, v2
	s_delay_alu instid0(VALU_DEP_1) | instskip(NEXT) | instid1(VALU_DEP_1)
	v_cmp_gt_i32_e64 s12, s42, v6
	s_and_b32 s14, s31, s12
	s_delay_alu instid0(SALU_CYCLE_1)
	s_and_saveexec_b32 s13, s14
	s_cbranch_execz .LBB91_28
; %bb.27:
	global_load_u16 v6, v[3:4], off offset:832
	s_waitcnt vmcnt(0)
	v_cvt_f32_f16_e32 v31, v6
.LBB91_28:
	s_or_b32 exec_lo, exec_lo, s13
	v_add_nc_u32_e32 v6, 0x1c0, v2
	v_dual_mov_b32 v33, 0xff800000 :: v_dual_mov_b32 v36, 0xff800000
	s_delay_alu instid0(VALU_DEP_2) | instskip(NEXT) | instid1(VALU_DEP_1)
	;; [unrolled: 27-line block ×4, first 2 shown]
	v_cmp_gt_i32_e64 s17, s42, v6
	s_and_b32 s19, s31, s17
	s_delay_alu instid0(SALU_CYCLE_1)
	s_and_saveexec_b32 s18, s19
	s_cbranch_execz .LBB91_38
; %bb.37:
	global_load_u16 v6, v[3:4], off offset:1152
	s_waitcnt vmcnt(0)
	v_cvt_f32_f16_e32 v40, v6
.LBB91_38:
	s_or_b32 exec_lo, exec_lo, s18
	v_add_nc_u32_e32 v6, 0x260, v2
	s_delay_alu instid0(VALU_DEP_1) | instskip(NEXT) | instid1(VALU_DEP_1)
	v_cmp_gt_i32_e64 s18, s42, v6
	s_and_b32 s20, s31, s18
	s_delay_alu instid0(SALU_CYCLE_1)
	s_and_saveexec_b32 s19, s20
	s_cbranch_execz .LBB91_40
; %bb.39:
	global_load_u16 v6, v[3:4], off offset:1216
	s_waitcnt vmcnt(0)
	v_cvt_f32_f16_e32 v37, v6
.LBB91_40:
	s_or_b32 exec_lo, exec_lo, s19
	v_add_nc_u32_e32 v6, 0x280, v2
	v_mov_b32_e32 v39, 0xff800000
	v_mov_b32_e32 v41, 0xff800000
	s_delay_alu instid0(VALU_DEP_3) | instskip(NEXT) | instid1(VALU_DEP_1)
	v_cmp_gt_i32_e64 s19, s42, v6
	s_and_b32 s21, s31, s19
	s_delay_alu instid0(SALU_CYCLE_1)
	s_and_saveexec_b32 s20, s21
	s_cbranch_execz .LBB91_42
; %bb.41:
	global_load_u16 v6, v[3:4], off offset:1280
	s_waitcnt vmcnt(0)
	v_cvt_f32_f16_e32 v41, v6
.LBB91_42:
	s_or_b32 exec_lo, exec_lo, s20
	v_add_nc_u32_e32 v6, 0x2a0, v2
	s_delay_alu instid0(VALU_DEP_1) | instskip(NEXT) | instid1(VALU_DEP_1)
	v_cmp_gt_i32_e64 s20, s42, v6
	s_and_b32 s22, s31, s20
	s_delay_alu instid0(SALU_CYCLE_1)
	s_and_saveexec_b32 s21, s22
	s_cbranch_execz .LBB91_44
; %bb.43:
	global_load_u16 v6, v[3:4], off offset:1344
	s_waitcnt vmcnt(0)
	v_cvt_f32_f16_e32 v39, v6
.LBB91_44:
	s_or_b32 exec_lo, exec_lo, s21
	v_add_nc_u32_e32 v6, 0x2c0, v2
	v_mov_b32_e32 v16, 0xff800000
	v_mov_b32_e32 v42, 0xff800000
	s_delay_alu instid0(VALU_DEP_3) | instskip(NEXT) | instid1(VALU_DEP_1)
	;; [unrolled: 28-line block ×3, first 2 shown]
	v_cmp_gt_i32_e64 s23, s42, v6
	s_and_b32 s25, s31, s23
	s_delay_alu instid0(SALU_CYCLE_1)
	s_and_saveexec_b32 s24, s25
	s_cbranch_execz .LBB91_50
; %bb.49:
	global_load_u16 v6, v[3:4], off offset:1536
	s_waitcnt vmcnt(0)
	v_cvt_f32_f16_e32 v19, v6
.LBB91_50:
	s_or_b32 exec_lo, exec_lo, s24
	v_add_nc_u32_e32 v6, 0x320, v2
	s_delay_alu instid0(VALU_DEP_1) | instskip(NEXT) | instid1(VALU_DEP_1)
	v_cmp_gt_i32_e64 s24, s42, v6
	s_and_b32 s26, s31, s24
	s_delay_alu instid0(SALU_CYCLE_1)
	s_and_saveexec_b32 s25, s26
	s_cbranch_execz .LBB91_52
; %bb.51:
	global_load_u16 v6, v[3:4], off offset:1600
	s_waitcnt vmcnt(0)
	v_cvt_f32_f16_e32 v11, v6
.LBB91_52:
	s_or_b32 exec_lo, exec_lo, s25
	v_add_nc_u32_e32 v6, 0x340, v2
	v_dual_mov_b32 v10, 0xff800000 :: v_dual_mov_b32 v13, 0xff800000
	s_delay_alu instid0(VALU_DEP_2) | instskip(NEXT) | instid1(VALU_DEP_1)
	v_cmp_gt_i32_e64 s25, s42, v6
	s_and_b32 s27, s31, s25
	s_delay_alu instid0(SALU_CYCLE_1)
	s_and_saveexec_b32 s26, s27
	s_cbranch_execz .LBB91_54
; %bb.53:
	global_load_u16 v6, v[3:4], off offset:1664
	s_waitcnt vmcnt(0)
	v_cvt_f32_f16_e32 v13, v6
.LBB91_54:
	s_or_b32 exec_lo, exec_lo, s26
	v_add_nc_u32_e32 v6, 0x360, v2
	s_delay_alu instid0(VALU_DEP_1) | instskip(NEXT) | instid1(VALU_DEP_1)
	v_cmp_gt_i32_e64 s26, s42, v6
	s_and_b32 s28, s31, s26
	s_delay_alu instid0(SALU_CYCLE_1)
	s_and_saveexec_b32 s27, s28
	s_cbranch_execz .LBB91_56
; %bb.55:
	global_load_u16 v6, v[3:4], off offset:1728
	s_waitcnt vmcnt(0)
	v_cvt_f32_f16_e32 v10, v6
.LBB91_56:
	s_or_b32 exec_lo, exec_lo, s27
	v_add_nc_u32_e32 v6, 0x380, v2
	v_mov_b32_e32 v7, 0xff800000
	v_mov_b32_e32 v9, 0xff800000
	s_delay_alu instid0(VALU_DEP_3) | instskip(NEXT) | instid1(VALU_DEP_1)
	v_cmp_gt_i32_e64 s27, s42, v6
	s_and_b32 s29, s31, s27
	s_delay_alu instid0(SALU_CYCLE_1)
	s_and_saveexec_b32 s28, s29
	s_cbranch_execz .LBB91_58
; %bb.57:
	global_load_u16 v6, v[3:4], off offset:1792
	s_waitcnt vmcnt(0)
	v_cvt_f32_f16_e32 v9, v6
.LBB91_58:
	s_or_b32 exec_lo, exec_lo, s28
	v_add_nc_u32_e32 v6, 0x3a0, v2
	s_delay_alu instid0(VALU_DEP_1) | instskip(NEXT) | instid1(VALU_DEP_1)
	v_cmp_gt_i32_e64 s28, s42, v6
	s_and_b32 s30, s31, s28
	s_delay_alu instid0(SALU_CYCLE_1)
	s_and_saveexec_b32 s29, s30
	s_cbranch_execz .LBB91_60
; %bb.59:
	global_load_u16 v6, v[3:4], off offset:1856
	s_waitcnt vmcnt(0)
	v_cvt_f32_f16_e32 v7, v6
.LBB91_60:
	s_or_b32 exec_lo, exec_lo, s29
	v_add_nc_u32_e32 v6, 0x3c0, v2
	v_mov_b32_e32 v8, 0xff800000
	s_delay_alu instid0(VALU_DEP_2) | instskip(SKIP_1) | instid1(VALU_DEP_2)
	v_cmp_gt_i32_e64 s29, s42, v6
	v_mov_b32_e32 v6, 0xff800000
	s_and_b32 s33, s31, s29
	s_delay_alu instid0(SALU_CYCLE_1)
	s_and_saveexec_b32 s30, s33
	s_cbranch_execz .LBB91_62
; %bb.61:
	global_load_u16 v8, v[3:4], off offset:1920
	s_waitcnt vmcnt(0)
	v_cvt_f32_f16_e32 v8, v8
.LBB91_62:
	s_or_b32 exec_lo, exec_lo, s30
	v_add_nc_u32_e32 v2, 0x3e0, v2
	s_delay_alu instid0(VALU_DEP_1) | instskip(NEXT) | instid1(VALU_DEP_1)
	v_cmp_gt_i32_e64 s30, s42, v2
	s_and_b32 s33, s31, s30
	s_delay_alu instid0(SALU_CYCLE_1)
	s_and_saveexec_b32 s31, s33
	s_cbranch_execz .LBB91_64
; %bb.63:
	global_load_u16 v2, v[3:4], off offset:1984
	s_waitcnt vmcnt(0)
	v_cvt_f32_f16_e32 v6, v2
.LBB91_64:
	s_or_b32 exec_lo, exec_lo, s31
	v_cmp_gt_f32_e64 s31, v20, v14
	v_mbcnt_lo_u32_b32 v3, -1, 0
	s_mov_b32 s33, exec_lo
	s_delay_alu instid0(VALU_DEP_2) | instskip(NEXT) | instid1(VALU_DEP_2)
	v_cndmask_b32_e64 v2, v14, v20, s31
	v_xor_b32_e32 v4, 16, v3
	s_delay_alu instid0(VALU_DEP_2) | instskip(NEXT) | instid1(VALU_DEP_1)
	v_cmp_gt_f32_e64 s31, v2, v23
	v_cndmask_b32_e64 v2, v23, v2, s31
	s_delay_alu instid0(VALU_DEP_1) | instskip(NEXT) | instid1(VALU_DEP_1)
	v_cmp_gt_f32_e64 s31, v2, v17
	v_cndmask_b32_e64 v2, v17, v2, s31
	s_delay_alu instid0(VALU_DEP_1) | instskip(NEXT) | instid1(VALU_DEP_1)
	;; [unrolled: 3-line block ×27, first 2 shown]
	v_cmp_gt_f32_e64 s31, v2, v7
	v_cndmask_b32_e64 v2, v7, v2, s31
	v_cmp_gt_i32_e64 s31, 32, v4
	s_delay_alu instid0(VALU_DEP_1) | instskip(NEXT) | instid1(VALU_DEP_3)
	v_cndmask_b32_e64 v4, v3, v4, s31
	v_cmp_gt_f32_e64 s31, v2, v8
	s_delay_alu instid0(VALU_DEP_1) | instskip(NEXT) | instid1(VALU_DEP_3)
	v_cndmask_b32_e64 v12, v8, v2, s31
	v_lshlrev_b32_e32 v2, 2, v4
	s_delay_alu instid0(VALU_DEP_2) | instskip(NEXT) | instid1(VALU_DEP_1)
	v_cmp_gt_f32_e64 s31, v12, v6
	v_cndmask_b32_e64 v4, v6, v12, s31
	v_xor_b32_e32 v12, 8, v3
	ds_bpermute_b32 v15, v2, v4
	v_cmp_gt_i32_e64 s31, 32, v12
	s_delay_alu instid0(VALU_DEP_1) | instskip(NEXT) | instid1(VALU_DEP_1)
	v_cndmask_b32_e64 v12, v3, v12, s31
	v_lshlrev_b32_e32 v12, 2, v12
	s_waitcnt lgkmcnt(0)
	v_cmp_lt_f32_e64 s31, v4, v15
	s_delay_alu instid0(VALU_DEP_1) | instskip(SKIP_3) | instid1(VALU_DEP_1)
	v_cndmask_b32_e64 v4, v4, v15, s31
	v_xor_b32_e32 v15, 4, v3
	ds_bpermute_b32 v18, v12, v4
	v_cmp_gt_i32_e64 s31, 32, v15
	v_cndmask_b32_e64 v15, v3, v15, s31
	s_delay_alu instid0(VALU_DEP_1) | instskip(SKIP_2) | instid1(VALU_DEP_1)
	v_lshlrev_b32_e32 v15, 2, v15
	s_waitcnt lgkmcnt(0)
	v_cmp_lt_f32_e64 s31, v4, v18
	v_cndmask_b32_e64 v4, v4, v18, s31
	v_xor_b32_e32 v18, 2, v3
	ds_bpermute_b32 v21, v15, v4
	v_cmp_gt_i32_e64 s31, 32, v18
	s_delay_alu instid0(VALU_DEP_1) | instskip(NEXT) | instid1(VALU_DEP_1)
	v_cndmask_b32_e64 v18, v3, v18, s31
	v_lshlrev_b32_e32 v18, 2, v18
	s_waitcnt lgkmcnt(0)
	v_cmp_lt_f32_e64 s31, v4, v21
	s_delay_alu instid0(VALU_DEP_1) | instskip(SKIP_3) | instid1(VALU_DEP_1)
	v_cndmask_b32_e64 v4, v4, v21, s31
	v_xor_b32_e32 v21, 1, v3
	ds_bpermute_b32 v30, v18, v4
	v_cmp_gt_i32_e64 s31, 32, v21
	v_cndmask_b32_e64 v3, v3, v21, s31
	s_delay_alu instid0(VALU_DEP_1) | instskip(SKIP_2) | instid1(VALU_DEP_1)
	v_lshlrev_b32_e32 v21, 2, v3
	s_waitcnt lgkmcnt(0)
	v_cmp_lt_f32_e64 s31, v4, v30
	v_cndmask_b32_e64 v3, v4, v30, s31
	ds_bpermute_b32 v4, v21, v3
	s_waitcnt lgkmcnt(0)
	v_cmp_lt_f32_e64 s31, v3, v4
	s_delay_alu instid0(VALU_DEP_1) | instskip(NEXT) | instid1(VALU_DEP_1)
	v_cndmask_b32_e64 v30, v3, v4, s31
	v_sub_f32_e32 v4, v14, v30
	v_sub_f32_e32 v14, v23, v30
	;; [unrolled: 1-line block ×8, first 2 shown]
	v_mul_f32_e32 v43, 0x3fb8aa3b, v14
	v_dual_sub_f32 v17, v17, v30 :: v_dual_mul_f32 v42, 0x3fb8aa3b, v4
	v_dual_sub_f32 v20, v25, v30 :: v_dual_mul_f32 v47, 0x3fb8aa3b, v23
	s_delay_alu instid0(VALU_DEP_2)
	v_dual_sub_f32 v25, v29, v30 :: v_dual_mul_f32 v44, 0x3fb8aa3b, v17
	v_sub_f32_e32 v29, v34, v30
	v_mul_f32_e32 v63, 0x3fb8aa3b, v40
	v_dual_mul_f32 v59, 0x3fb8aa3b, v36 :: v_dual_sub_f32 v34, v38, v30
	v_mul_f32_e32 v55, 0x3fb8aa3b, v32
	v_rndne_f32_e32 v69, v43
	v_dual_sub_f32 v38, v41, v30 :: v_dual_mul_f32 v41, 0x3fb8aa3b, v3
	v_dual_sub_f32 v22, v22, v30 :: v_dual_mul_f32 v45, 0x3fb8aa3b, v20
	;; [unrolled: 1-line block ×3, first 2 shown]
	s_delay_alu instid0(VALU_DEP_3) | instskip(SKIP_4) | instid1(VALU_DEP_4)
	v_fma_f32 v64, 0x3fb8aa3b, v3, -v41
	v_rndne_f32_e32 v65, v41
	v_sub_f32_e32 v39, v39, v30
	v_fma_f32 v66, 0x3fb8aa3b, v4, -v42
	v_rndne_f32_e32 v67, v42
	v_dual_fmac_f32 v64, 0x32a5705f, v3 :: v_dual_sub_f32 v41, v41, v65
	v_mul_f32_e32 v46, 0x3fb8aa3b, v22
	s_delay_alu instid0(VALU_DEP_3)
	v_dual_mul_f32 v57, 0x3fb8aa3b, v34 :: v_dual_sub_f32 v42, v42, v67
	v_mul_f32_e32 v62, 0x3fb8aa3b, v39
	v_fma_f32 v68, 0x3fb8aa3b, v14, -v43
	v_fma_f32 v72, 0x3fb8aa3b, v20, -v45
	v_rndne_f32_e32 v73, v45
	v_rndne_f32_e32 v81, v49
	v_fmac_f32_e32 v66, 0x32a5705f, v4
	v_add_f32_e32 v41, v41, v64
	s_delay_alu instid0(VALU_DEP_4)
	v_dual_mul_f32 v48, 0x3fb8aa3b, v24 :: v_dual_sub_f32 v45, v45, v73
	v_dual_sub_f32 v26, v26, v30 :: v_dual_mul_f32 v51, 0x3fb8aa3b, v27
	v_rndne_f32_e32 v77, v47
	v_fma_f32 v80, 0x3fb8aa3b, v25, -v49
	v_dual_sub_f32 v43, v43, v69 :: v_dual_add_f32 v42, v42, v66
	v_dual_fmac_f32 v72, 0x32a5705f, v20 :: v_dual_sub_f32 v49, v49, v81
	v_fmac_f32_e32 v68, 0x32a5705f, v14
	v_exp_f32_e32 v41, v41
	v_fma_f32 v76, 0x3fb8aa3b, v23, -v47
	s_delay_alu instid0(VALU_DEP_3) | instskip(NEXT) | instid1(VALU_DEP_3)
	v_dual_add_f32 v45, v45, v72 :: v_dual_mul_f32 v50, 0x3fb8aa3b, v26
	v_add_f32_e32 v43, v43, v68
	v_sub_f32_e32 v47, v47, v77
	v_cvt_i32_f32_e32 v65, v65
	v_exp_f32_e32 v42, v42
	v_cvt_i32_f32_e32 v67, v67
	v_exp_f32_e32 v43, v43
	v_cmp_ngt_f32_e64 s31, 0xc2ce8ed0, v3
	v_ldexp_f32 v41, v41, v65
	v_cvt_i32_f32_e32 v69, v69
	v_dual_sub_f32 v28, v28, v30 :: v_dual_mul_f32 v53, 0x3fb8aa3b, v29
	v_fma_f32 v70, 0x3fb8aa3b, v17, -v44
	s_delay_alu instid0(VALU_DEP_4) | instskip(NEXT) | instid1(TRANS32_DEP_2)
	v_cndmask_b32_e64 v41, 0, v41, s31
	v_ldexp_f32 v42, v42, v67
	v_cmp_ngt_f32_e64 s31, 0xc2ce8ed0, v4
	s_delay_alu instid0(TRANS32_DEP_1)
	v_ldexp_f32 v43, v43, v69
	v_mul_f32_e32 v52, 0x3fb8aa3b, v28
	v_rndne_f32_e32 v71, v44
	v_rndne_f32_e32 v93, v55
	v_cndmask_b32_e64 v42, 0, v42, s31
	v_cmp_ngt_f32_e64 s31, 0xc2ce8ed0, v14
	v_fma_f32 v86, 0x3fb8aa3b, v28, -v52
	v_rndne_f32_e32 v87, v52
	v_dual_mul_f32 v61, 0x3fb8aa3b, v38 :: v_dual_sub_f32 v44, v44, v71
	s_delay_alu instid0(VALU_DEP_4)
	v_cndmask_b32_e64 v43, 0, v43, s31
	v_cmp_nlt_f32_e64 s31, 0x42b17218, v3
	v_rndne_f32_e32 v75, v46
	v_fma_f32 v84, 0x3fb8aa3b, v27, -v51
	v_rndne_f32_e32 v85, v51
	v_fma_f32 v92, 0x3fb8aa3b, v32, -v55
	v_cndmask_b32_e64 v41, 0x7f800000, v41, s31
	v_cmp_nlt_f32_e64 s31, 0x42b17218, v4
	v_dual_fmac_f32 v76, 0x32a5705f, v23 :: v_dual_sub_f32 v55, v55, v93
	v_fmac_f32_e32 v70, 0x32a5705f, v17
	v_sub_f32_e32 v52, v52, v87
	s_delay_alu instid0(VALU_DEP_4)
	v_cndmask_b32_e64 v42, 0x7f800000, v42, s31
	v_fmac_f32_e32 v86, 0x32a5705f, v28
	v_fma_f32 v74, 0x3fb8aa3b, v22, -v46
	v_dual_sub_f32 v46, v46, v75 :: v_dual_sub_f32 v51, v51, v85
	v_add_f32_e32 v47, v47, v76
	v_add_f32_e32 v41, v41, v42
	;; [unrolled: 1-line block ×3, first 2 shown]
	v_rndne_f32_e32 v86, v61
	v_fmac_f32_e32 v84, 0x32a5705f, v27
	v_add_f32_e32 v44, v44, v70
	v_fmac_f32_e32 v92, 0x32a5705f, v32
	v_cvt_i32_f32_e32 v71, v71
	s_delay_alu instid0(VALU_DEP_4) | instskip(NEXT) | instid1(VALU_DEP_4)
	v_dual_fmac_f32 v80, 0x32a5705f, v25 :: v_dual_add_f32 v51, v51, v84
	v_exp_f32_e32 v44, v44
	s_delay_alu instid0(VALU_DEP_3) | instskip(NEXT) | instid1(VALU_DEP_2)
	v_dual_add_f32 v55, v55, v92 :: v_dual_fmac_f32 v74, 0x32a5705f, v22
	v_add_f32_e32 v49, v49, v80
	v_exp_f32_e32 v45, v45
	v_cmp_ngt_f32_e64 s31, 0xc2ce8ed0, v17
	v_fma_f32 v78, 0x3fb8aa3b, v24, -v48
	v_rndne_f32_e32 v79, v48
	v_fma_f32 v88, 0x3fb8aa3b, v29, -v53
	v_rndne_f32_e32 v89, v53
	s_delay_alu instid0(TRANS32_DEP_2)
	v_ldexp_f32 v44, v44, v71
	v_add_f32_e32 v46, v46, v74
	v_cvt_i32_f32_e32 v73, v73
	v_fma_f32 v68, 0x3fb8aa3b, v34, -v57
	v_sub_f32_e32 v53, v53, v89
	v_cndmask_b32_e64 v44, 0, v44, s31
	v_cmp_nlt_f32_e64 s31, 0x42b17218, v14
	v_rndne_f32_e32 v70, v57
	v_fmac_f32_e32 v78, 0x32a5705f, v24
	v_fmac_f32_e32 v88, 0x32a5705f, v29
	v_sub_f32_e32 v48, v48, v79
	v_exp_f32_e32 v46, v46
	v_ldexp_f32 v45, v45, v73
	v_cndmask_b32_e64 v43, 0x7f800000, v43, s31
	v_add_f32_e32 v53, v53, v88
	v_cmp_ngt_f32_e64 s31, 0xc2ce8ed0, v20
	v_fma_f32 v82, 0x3fb8aa3b, v26, -v50
	v_rndne_f32_e32 v83, v50
	v_fma_f32 v76, 0x3fb8aa3b, v36, -v59
	v_cvt_i32_f32_e32 v75, v75
	v_fmac_f32_e32 v68, 0x32a5705f, v34
	v_sub_f32_e32 v57, v57, v70
	v_add_f32_e32 v48, v48, v78
	v_rndne_f32_e32 v78, v59
	v_cndmask_b32_e64 v42, 0, v45, s31
	v_cmp_nlt_f32_e64 s31, 0x42b17218, v17
	v_dual_add_f32 v57, v57, v68 :: v_dual_sub_f32 v50, v50, v83
	s_delay_alu instid0(VALU_DEP_4)
	v_dual_sub_f32 v59, v59, v78 :: v_dual_fmac_f32 v76, 0x32a5705f, v36
	v_fmac_f32_e32 v82, 0x32a5705f, v26
	v_exp_f32_e32 v47, v47
	v_ldexp_f32 v46, v46, v75
	v_cndmask_b32_e64 v44, 0x7f800000, v44, s31
	v_add_f32_e32 v59, v59, v76
	v_cmp_ngt_f32_e64 s31, 0xc2ce8ed0, v22
	v_dual_add_f32 v50, v50, v82 :: v_dual_add_f32 v41, v41, v43
	v_cvt_i32_f32_e32 v77, v77
	v_exp_f32_e32 v48, v48
	s_delay_alu instid0(VALU_DEP_3)
	v_cndmask_b32_e64 v43, 0, v46, s31
	v_cmp_nlt_f32_e64 s31, 0x42b17218, v20
	v_cvt_i32_f32_e32 v79, v79
	v_ldexp_f32 v47, v47, v77
	v_add_f32_e32 v41, v41, v44
	v_exp_f32_e32 v49, v49
	v_cndmask_b32_e64 v42, 0x7f800000, v42, s31
	v_cmp_ngt_f32_e64 s31, 0xc2ce8ed0, v23
	v_cvt_i32_f32_e32 v81, v81
	v_ldexp_f32 v48, v48, v79
	v_sub_f32_e32 v33, v33, v30
	v_add_f32_e32 v41, v41, v42
	v_cndmask_b32_e64 v44, 0, v47, s31
	v_cmp_nlt_f32_e64 s31, 0x42b17218, v22
	s_delay_alu instid0(VALU_DEP_4) | instskip(SKIP_2) | instid1(VALU_DEP_3)
	v_dual_sub_f32 v31, v31, v30 :: v_dual_mul_f32 v56, 0x3fb8aa3b, v33
	v_exp_f32_e32 v50, v50
	v_ldexp_f32 v49, v49, v81
	v_cndmask_b32_e64 v43, 0x7f800000, v43, s31
	v_cmp_ngt_f32_e64 s31, 0xc2ce8ed0, v24
	v_mul_f32_e32 v54, 0x3fb8aa3b, v31
	v_cvt_i32_f32_e32 v83, v83
	v_exp_f32_e32 v51, v51
	v_add_f32_e32 v41, v41, v43
	v_cndmask_b32_e64 v42, 0, v48, s31
	v_cmp_nlt_f32_e64 s31, 0x42b17218, v23
	v_fma_f32 v90, 0x3fb8aa3b, v31, -v54
	v_ldexp_f32 v50, v50, v83
	v_cvt_i32_f32_e32 v85, v85
	v_rndne_f32_e32 v91, v54
	v_cndmask_b32_e64 v44, 0x7f800000, v44, s31
	v_cmp_ngt_f32_e64 s31, 0xc2ce8ed0, v25
	v_fmac_f32_e32 v90, 0x32a5705f, v31
	v_exp_f32_e32 v52, v52
	v_ldexp_f32 v51, v51, v85
	v_add_f32_e32 v41, v41, v44
	v_cndmask_b32_e64 v43, 0, v49, s31
	v_cmp_nlt_f32_e64 s31, 0x42b17218, v24
	v_cvt_i32_f32_e32 v87, v87
	v_exp_f32_e32 v53, v53
	v_sub_f32_e32 v37, v37, v30
	v_sub_f32_e32 v35, v35, v30
	v_cndmask_b32_e64 v42, 0x7f800000, v42, s31
	v_cmp_ngt_f32_e64 s31, 0xc2ce8ed0, v26
	v_sub_f32_e32 v54, v54, v91
	v_ldexp_f32 v52, v52, v87
	v_cvt_i32_f32_e32 v89, v89
	v_add_f32_e32 v41, v41, v42
	v_cndmask_b32_e64 v44, 0, v50, s31
	v_cmp_nlt_f32_e64 s31, 0x42b17218, v25
	v_mul_f32_e32 v60, 0x3fb8aa3b, v37
	v_mul_f32_e32 v58, 0x3fb8aa3b, v35
	v_fma_f32 v64, 0x3fb8aa3b, v33, -v56
	v_ldexp_f32 v53, v53, v89
	v_cndmask_b32_e64 v43, 0x7f800000, v43, s31
	v_cmp_ngt_f32_e64 s31, 0xc2ce8ed0, v27
	v_add_f32_e32 v54, v54, v90
	v_rndne_f32_e32 v66, v56
	v_fma_f32 v72, 0x3fb8aa3b, v35, -v58
	v_add_f32_e32 v41, v41, v43
	v_cndmask_b32_e64 v42, 0, v51, s31
	v_cmp_nlt_f32_e64 s31, 0x42b17218, v26
	v_exp_f32_e32 v54, v54
	v_cvt_i32_f32_e32 v91, v91
	v_exp_f32_e32 v55, v55
	v_cvt_i32_f32_e32 v93, v93
	v_cndmask_b32_e64 v44, 0x7f800000, v44, s31
	v_cmp_ngt_f32_e64 s31, 0xc2ce8ed0, v28
	v_fmac_f32_e32 v64, 0x32a5705f, v33
	v_rndne_f32_e32 v74, v58
	v_exp_f32_e32 v57, v57
	v_add_f32_e32 v41, v41, v44
	v_cndmask_b32_e64 v43, 0, v52, s31
	v_cmp_nlt_f32_e64 s31, 0x42b17218, v27
	v_ldexp_f32 v54, v54, v91
	v_ldexp_f32 v55, v55, v93
	v_cvt_i32_f32_e32 v70, v70
	v_exp_f32_e32 v59, v59
	v_cndmask_b32_e64 v42, 0x7f800000, v42, s31
	v_cmp_ngt_f32_e64 s31, 0xc2ce8ed0, v29
	v_fmac_f32_e32 v72, 0x32a5705f, v35
	v_ldexp_f32 v57, v57, v70
	v_cvt_i32_f32_e32 v78, v78
	v_add_f32_e32 v41, v41, v42
	v_cndmask_b32_e64 v44, 0, v53, s31
	v_cmp_nlt_f32_e64 s31, 0x42b17218, v28
	v_fma_f32 v80, 0x3fb8aa3b, v37, -v60
	v_ldexp_f32 v59, v59, v78
	v_rndne_f32_e32 v82, v60
	v_fma_f32 v88, 0x3fb8aa3b, v39, -v62
	v_cndmask_b32_e64 v43, 0x7f800000, v43, s31
	v_sub_f32_e32 v56, v56, v66
	v_cmp_ngt_f32_e64 s31, 0xc2ce8ed0, v31
	v_cvt_i32_f32_e32 v66, v66
	s_delay_alu instid0(VALU_DEP_4) | instskip(NEXT) | instid1(VALU_DEP_4)
	v_dual_sub_f32 v10, v10, v30 :: v_dual_add_f32 v41, v41, v43
	v_add_f32_e32 v56, v56, v64
	s_delay_alu instid0(VALU_DEP_4)
	v_cndmask_b32_e64 v42, 0, v54, s31
	v_cmp_nlt_f32_e64 s31, 0x42b17218, v29
	v_fma_f32 v92, 0x3fb8aa3b, v40, -v63
	v_sub_f32_e32 v7, v7, v30
	v_exp_f32_e32 v56, v56
	v_sub_f32_e32 v9, v9, v30
	v_cndmask_b32_e64 v44, 0x7f800000, v44, s31
	v_cmp_ngt_f32_e64 s31, 0xc2ce8ed0, v32
	v_mul_f32_e32 v50, 0x3fb8aa3b, v10
	v_sub_f32_e32 v16, v16, v30
	v_dual_fmac_f32 v92, 0x32a5705f, v40 :: v_dual_sub_f32 v19, v19, v30
	s_delay_alu instid0(VALU_DEP_4) | instskip(SKIP_1) | instid1(TRANS32_DEP_1)
	v_cndmask_b32_e64 v43, 0, v55, s31
	v_cmp_nlt_f32_e64 s31, 0x42b17218, v31
	v_ldexp_f32 v56, v56, v66
	v_add_f32_e32 v41, v41, v44
	v_mul_f32_e32 v47, 0x3fb8aa3b, v16
	v_fma_f32 v84, 0x3fb8aa3b, v38, -v61
	v_cndmask_b32_e64 v42, 0x7f800000, v42, s31
	v_cmp_ngt_f32_e64 s31, 0xc2ce8ed0, v33
	v_rndne_f32_e32 v90, v62
	v_sub_f32_e32 v61, v61, v86
	v_cvt_i32_f32_e32 v86, v86
	v_add_f32_e32 v41, v41, v42
	v_cndmask_b32_e64 v44, 0, v56, s31
	v_cmp_nlt_f32_e64 s31, 0x42b17218, v32
	v_cvt_i32_f32_e32 v46, v90
	v_sub_f32_e32 v6, v6, v30
	v_sub_f32_e32 v11, v11, v30
	;; [unrolled: 1-line block ×3, first 2 shown]
	v_cndmask_b32_e64 v43, 0x7f800000, v43, s31
	v_sub_f32_e32 v58, v58, v74
	v_cmp_ngt_f32_e64 s31, 0xc2ce8ed0, v34
	v_cvt_i32_f32_e32 v74, v74
	v_mul_f32_e32 v48, 0x3fb8aa3b, v11
	s_delay_alu instid0(VALU_DEP_4) | instskip(NEXT) | instid1(VALU_DEP_4)
	v_dual_add_f32 v41, v41, v43 :: v_dual_add_f32 v58, v58, v72
	v_cndmask_b32_e64 v42, 0, v57, s31
	v_cmp_nlt_f32_e64 s31, 0x42b17218, v33
	s_delay_alu instid0(VALU_DEP_3) | instskip(NEXT) | instid1(VALU_DEP_1)
	v_exp_f32_e32 v58, v58
	v_cndmask_b32_e64 v44, 0x7f800000, v44, s31
	v_cmp_ngt_f32_e64 s31, 0xc2ce8ed0, v35
	s_delay_alu instid0(VALU_DEP_2) | instskip(SKIP_2) | instid1(VALU_DEP_1)
	v_dual_fmac_f32 v80, 0x32a5705f, v37 :: v_dual_add_f32 v41, v41, v44
	s_waitcnt_depctr 0xfff
	v_ldexp_f32 v58, v58, v74
	v_cndmask_b32_e64 v43, 0, v58, s31
	v_cmp_nlt_f32_e64 s31, 0x42b17218, v34
	s_delay_alu instid0(VALU_DEP_1) | instskip(SKIP_1) | instid1(VALU_DEP_2)
	v_cndmask_b32_e64 v42, 0x7f800000, v42, s31
	v_cmp_ngt_f32_e64 s31, 0xc2ce8ed0, v36
	v_dual_fmac_f32 v88, 0x32a5705f, v39 :: v_dual_add_f32 v41, v41, v42
	s_delay_alu instid0(VALU_DEP_2) | instskip(SKIP_1) | instid1(VALU_DEP_1)
	v_cndmask_b32_e64 v44, 0, v59, s31
	v_cmp_nlt_f32_e64 s31, 0x42b17218, v35
	v_cndmask_b32_e64 v43, 0x7f800000, v43, s31
	v_sub_f32_e32 v60, v60, v82
	v_cvt_i32_f32_e32 v82, v82
	v_cmp_ngt_f32_e64 s31, 0xc2ce8ed0, v37
	s_delay_alu instid0(VALU_DEP_3) | instskip(NEXT) | instid1(VALU_DEP_1)
	v_dual_add_f32 v41, v41, v43 :: v_dual_add_f32 v60, v60, v80
	v_exp_f32_e32 v60, v60
	s_waitcnt_depctr 0xfff
	v_ldexp_f32 v60, v60, v82
	s_delay_alu instid0(VALU_DEP_1) | instskip(SKIP_1) | instid1(VALU_DEP_1)
	v_cndmask_b32_e64 v42, 0, v60, s31
	v_cmp_nlt_f32_e64 s31, 0x42b17218, v36
	v_cndmask_b32_e64 v44, 0x7f800000, v44, s31
	v_sub_f32_e32 v62, v62, v90
	v_cmp_nlt_f32_e64 s31, 0x42b17218, v37
	s_delay_alu instid0(VALU_DEP_3) | instskip(NEXT) | instid1(VALU_DEP_3)
	v_dual_add_f32 v41, v41, v44 :: v_dual_fmac_f32 v84, 0x32a5705f, v38
	v_add_f32_e32 v43, v62, v88
	s_delay_alu instid0(VALU_DEP_3)
	v_cndmask_b32_e64 v42, 0x7f800000, v42, s31
	v_cmp_ngt_f32_e64 s31, 0xc2ce8ed0, v38
	v_rndne_f32_e32 v44, v63
	v_add_f32_e32 v61, v61, v84
	v_exp_f32_e32 v43, v43
	v_add_f32_e32 v41, v41, v42
	s_delay_alu instid0(VALU_DEP_2) | instskip(SKIP_4) | instid1(VALU_DEP_1)
	v_exp_f32_e32 v61, v61
	s_waitcnt_depctr 0xfff
	v_ldexp_f32 v43, v43, v46
	v_rndne_f32_e32 v46, v47
	v_ldexp_f32 v45, v61, v86
	v_cndmask_b32_e64 v45, 0, v45, s31
	v_cmp_nlt_f32_e64 s31, 0x42b17218, v38
	s_delay_alu instid0(VALU_DEP_1) | instskip(SKIP_1) | instid1(VALU_DEP_2)
	v_cndmask_b32_e64 v45, 0x7f800000, v45, s31
	v_cmp_ngt_f32_e64 s31, 0xc2ce8ed0, v39
	v_add_f32_e32 v41, v41, v45
	s_delay_alu instid0(VALU_DEP_2) | instskip(SKIP_3) | instid1(VALU_DEP_3)
	v_cndmask_b32_e64 v43, 0, v43, s31
	v_cmp_nlt_f32_e64 s31, 0x42b17218, v39
	v_fma_f32 v45, 0x3fb8aa3b, v16, -v47
	v_sub_f32_e32 v47, v47, v46
	v_cndmask_b32_e64 v43, 0x7f800000, v43, s31
	v_sub_f32_e32 v42, v63, v44
	v_cvt_i32_f32_e32 v44, v44
	v_cmp_ngt_f32_e64 s31, 0xc2ce8ed0, v40
	v_fmac_f32_e32 v45, 0x32a5705f, v16
	s_delay_alu instid0(VALU_DEP_4) | instskip(NEXT) | instid1(VALU_DEP_1)
	v_dual_add_f32 v41, v41, v43 :: v_dual_add_f32 v42, v42, v92
	v_exp_f32_e32 v42, v42
	s_waitcnt_depctr 0xfff
	v_ldexp_f32 v42, v42, v44
	s_delay_alu instid0(VALU_DEP_1) | instskip(SKIP_1) | instid1(VALU_DEP_1)
	v_cndmask_b32_e64 v42, 0, v42, s31
	v_cmp_nlt_f32_e64 s31, 0x42b17218, v40
	v_cndmask_b32_e64 v42, 0x7f800000, v42, s31
	v_add_f32_e32 v44, v47, v45
	v_cvt_i32_f32_e32 v45, v46
	v_cmp_ngt_f32_e64 s31, 0xc2ce8ed0, v16
	s_delay_alu instid0(VALU_DEP_4) | instskip(NEXT) | instid1(VALU_DEP_4)
	v_add_f32_e32 v41, v41, v42
	v_exp_f32_e32 v43, v44
	v_mul_f32_e32 v44, 0x3fb8aa3b, v19
	s_delay_alu instid0(VALU_DEP_1)
	v_fma_f32 v46, 0x3fb8aa3b, v19, -v44
	v_rndne_f32_e32 v47, v44
	s_waitcnt_depctr 0xfff
	v_ldexp_f32 v42, v43, v45
	v_fmac_f32_e32 v46, 0x32a5705f, v19
	v_sub_f32_e32 v43, v44, v47
	v_fma_f32 v44, 0x3fb8aa3b, v11, -v48
	v_rndne_f32_e32 v45, v48
	v_cndmask_b32_e64 v42, 0, v42, s31
	v_cmp_nlt_f32_e64 s31, 0x42b17218, v16
	s_delay_alu instid0(VALU_DEP_4) | instskip(SKIP_1) | instid1(VALU_DEP_3)
	v_dual_add_f32 v43, v43, v46 :: v_dual_fmac_f32 v44, 0x32a5705f, v11
	v_cvt_i32_f32_e32 v47, v47
	v_cndmask_b32_e64 v42, 0x7f800000, v42, s31
	s_delay_alu instid0(VALU_DEP_3) | instskip(SKIP_3) | instid1(VALU_DEP_3)
	v_exp_f32_e32 v43, v43
	v_sub_f32_e32 v46, v48, v45
	v_mul_f32_e32 v48, 0x3fb8aa3b, v13
	v_cmp_ngt_f32_e64 s31, 0xc2ce8ed0, v19
	v_dual_add_f32 v41, v41, v42 :: v_dual_add_f32 v44, v46, v44
	s_delay_alu instid0(VALU_DEP_3) | instskip(SKIP_1) | instid1(TRANS32_DEP_1)
	v_fma_f32 v46, 0x3fb8aa3b, v13, -v48
	v_rndne_f32_e32 v49, v48
	v_ldexp_f32 v42, v43, v47
	v_cvt_i32_f32_e32 v43, v45
	v_rndne_f32_e32 v47, v50
	s_delay_alu instid0(VALU_DEP_4) | instskip(NEXT) | instid1(VALU_DEP_4)
	v_sub_f32_e32 v48, v48, v49
	v_cndmask_b32_e64 v42, 0, v42, s31
	v_cmp_nlt_f32_e64 s31, 0x42b17218, v19
	s_delay_alu instid0(VALU_DEP_1) | instskip(SKIP_2) | instid1(VALU_DEP_3)
	v_cndmask_b32_e64 v42, 0x7f800000, v42, s31
	v_fmac_f32_e32 v46, 0x32a5705f, v13
	v_cmp_ngt_f32_e64 s31, 0xc2ce8ed0, v11
	v_add_f32_e32 v41, v41, v42
	s_delay_alu instid0(VALU_DEP_3)
	v_add_f32_e32 v45, v48, v46
	v_exp_f32_e32 v44, v44
	v_cvt_i32_f32_e32 v48, v49
	s_waitcnt_depctr 0xfff
	v_ldexp_f32 v43, v44, v43
	v_exp_f32_e32 v44, v45
	v_sub_f32_e32 v45, v50, v47
	s_delay_alu instid0(VALU_DEP_2) | instskip(SKIP_1) | instid1(VALU_DEP_1)
	v_cndmask_b32_e64 v43, 0, v43, s31
	v_cmp_nlt_f32_e64 s31, 0x42b17218, v11
	v_cndmask_b32_e64 v43, 0x7f800000, v43, s31
	s_waitcnt_depctr 0xfff
	v_ldexp_f32 v42, v44, v48
	v_cmp_ngt_f32_e64 s31, 0xc2ce8ed0, v13
	v_add_f32_e32 v41, v41, v43
	v_fma_f32 v46, 0x3fb8aa3b, v10, -v50
	s_delay_alu instid0(VALU_DEP_3) | instskip(SKIP_2) | instid1(VALU_DEP_4)
	v_cndmask_b32_e64 v42, 0, v42, s31
	v_cvt_i32_f32_e32 v43, v47
	v_cmp_nlt_f32_e64 s31, 0x42b17218, v13
	v_fmac_f32_e32 v46, 0x32a5705f, v10
	s_delay_alu instid0(VALU_DEP_2) | instskip(SKIP_1) | instid1(VALU_DEP_3)
	v_cndmask_b32_e64 v42, 0x7f800000, v42, s31
	v_cmp_ngt_f32_e64 s31, 0xc2ce8ed0, v10
	v_dual_add_f32 v45, v45, v46 :: v_dual_mul_f32 v46, 0x3fb8aa3b, v7
	s_delay_alu instid0(VALU_DEP_3) | instskip(NEXT) | instid1(VALU_DEP_2)
	v_add_f32_e32 v41, v41, v42
	v_exp_f32_e32 v44, v45
	v_mul_f32_e32 v45, 0x3fb8aa3b, v9
	s_delay_alu instid0(VALU_DEP_1) | instskip(SKIP_4) | instid1(VALU_DEP_3)
	v_fma_f32 v42, 0x3fb8aa3b, v9, -v45
	s_waitcnt_depctr 0xfff
	v_ldexp_f32 v43, v44, v43
	v_fmac_f32_e32 v42, 0x32a5705f, v9
	v_rndne_f32_e32 v44, v45
	v_cndmask_b32_e64 v43, 0, v43, s31
	v_cmp_nlt_f32_e64 s31, 0x42b17218, v10
	s_delay_alu instid0(VALU_DEP_3) | instskip(SKIP_1) | instid1(VALU_DEP_3)
	v_sub_f32_e32 v45, v45, v44
	v_cvt_i32_f32_e32 v44, v44
	v_cndmask_b32_e64 v43, 0x7f800000, v43, s31
	v_sub_f32_e32 v8, v8, v30
	v_cmp_ngt_f32_e64 s31, 0xc2ce8ed0, v9
	s_delay_alu instid0(VALU_DEP_3) | instskip(NEXT) | instid1(VALU_DEP_3)
	v_add_f32_e32 v41, v41, v43
	v_dual_add_f32 v42, v45, v42 :: v_dual_mul_f32 v47, 0x3fb8aa3b, v8
	v_rndne_f32_e32 v45, v46
	s_delay_alu instid0(VALU_DEP_2) | instskip(NEXT) | instid1(VALU_DEP_2)
	v_exp_f32_e32 v42, v42
	v_rndne_f32_e32 v48, v47
	s_delay_alu instid0(VALU_DEP_2) | instskip(SKIP_3) | instid1(VALU_DEP_3)
	v_sub_f32_e32 v30, v46, v45
	v_fma_f32 v43, 0x3fb8aa3b, v7, -v46
	v_fma_f32 v46, 0x3fb8aa3b, v8, -v47
	v_cvt_i32_f32_e32 v45, v45
	v_fmac_f32_e32 v43, 0x32a5705f, v7
	v_mul_f32_e32 v49, 0x3fb8aa3b, v6
	s_delay_alu instid0(TRANS32_DEP_1) | instskip(NEXT) | instid1(VALU_DEP_3)
	v_ldexp_f32 v42, v42, v44
	v_add_f32_e32 v30, v30, v43
	s_delay_alu instid0(VALU_DEP_3)
	v_rndne_f32_e32 v50, v49
	v_sub_f32_e32 v43, v47, v48
	v_fma_f32 v47, 0x3fb8aa3b, v6, -v49
	v_fmac_f32_e32 v46, 0x32a5705f, v8
	v_exp_f32_e32 v30, v30
	v_sub_f32_e32 v44, v49, v50
	v_cndmask_b32_e64 v42, 0, v42, s31
	v_fmac_f32_e32 v47, 0x32a5705f, v6
	v_add_f32_e32 v43, v43, v46
	v_cmp_nlt_f32_e64 s31, 0x42b17218, v9
	s_delay_alu instid0(VALU_DEP_3) | instskip(NEXT) | instid1(VALU_DEP_3)
	v_add_f32_e32 v44, v44, v47
	v_exp_f32_e32 v43, v43
	s_delay_alu instid0(TRANS32_DEP_2) | instskip(NEXT) | instid1(VALU_DEP_3)
	v_ldexp_f32 v30, v30, v45
	v_cndmask_b32_e64 v42, 0x7f800000, v42, s31
	v_cmp_ngt_f32_e64 s31, 0xc2ce8ed0, v7
	v_cvt_i32_f32_e32 v45, v48
	v_exp_f32_e32 v44, v44
	s_delay_alu instid0(VALU_DEP_3) | instskip(NEXT) | instid1(VALU_DEP_3)
	v_add_f32_e32 v41, v41, v42
	v_cndmask_b32_e64 v30, 0, v30, s31
	v_cmp_nlt_f32_e64 s31, 0x42b17218, v7
	s_delay_alu instid0(TRANS32_DEP_2) | instskip(SKIP_1) | instid1(VALU_DEP_3)
	v_ldexp_f32 v42, v43, v45
	v_cvt_i32_f32_e32 v43, v50
	v_cndmask_b32_e64 v30, 0x7f800000, v30, s31
	v_cmp_ngt_f32_e64 s31, 0xc2ce8ed0, v8
	s_delay_alu instid0(TRANS32_DEP_1) | instid1(VALU_DEP_3)
	v_ldexp_f32 v43, v44, v43
	s_delay_alu instid0(VALU_DEP_3) | instskip(NEXT) | instid1(VALU_DEP_3)
	v_add_f32_e32 v30, v41, v30
	v_cndmask_b32_e64 v42, 0, v42, s31
	v_cmp_nlt_f32_e64 s31, 0x42b17218, v8
	s_delay_alu instid0(VALU_DEP_1) | instskip(SKIP_1) | instid1(VALU_DEP_2)
	v_cndmask_b32_e64 v41, 0x7f800000, v42, s31
	v_cmp_ngt_f32_e64 s31, 0xc2ce8ed0, v6
	v_add_f32_e32 v30, v30, v41
	s_delay_alu instid0(VALU_DEP_2) | instskip(SKIP_1) | instid1(VALU_DEP_1)
	v_cndmask_b32_e64 v42, 0, v43, s31
	v_cmp_nlt_f32_e64 s31, 0x42b17218, v6
	v_cndmask_b32_e64 v41, 0x7f800000, v42, s31
	s_delay_alu instid0(VALU_DEP_1)
	v_add_f32_e32 v30, v30, v41
	ds_bpermute_b32 v2, v2, v30
	s_waitcnt lgkmcnt(0)
	v_add_f32_e32 v2, v30, v2
	ds_bpermute_b32 v12, v12, v2
	s_waitcnt lgkmcnt(0)
	;; [unrolled: 3-line block ×4, first 2 shown]
	v_add_f32_e32 v2, v2, v12
	ds_bpermute_b32 v12, v21, v2
	v_cmpx_lt_i32_e32 0, v5
	s_cbranch_execz .LBB91_98
; %bb.65:
	s_and_b32 exec_lo, exec_lo, s1
	s_cbranch_execz .LBB91_98
; %bb.66:
	s_waitcnt lgkmcnt(0)
	v_add_f32_e32 v2, v2, v12
	s_delay_alu instid0(VALU_DEP_1) | instskip(NEXT) | instid1(VALU_DEP_1)
	v_cmp_gt_f32_e64 s1, 0x800000, v2
	v_cndmask_b32_e64 v5, 1.0, 0x4f800000, s1
	s_delay_alu instid0(VALU_DEP_1) | instskip(NEXT) | instid1(VALU_DEP_1)
	v_mul_f32_e32 v2, v2, v5
	v_log_f32_e32 v2, v2
	s_waitcnt_depctr 0xfff
	v_mul_f32_e32 v5, 0x3f317217, v2
	v_cmp_gt_f32_e64 s31, 0x7f800000, |v2|
	s_delay_alu instid0(VALU_DEP_2) | instskip(NEXT) | instid1(VALU_DEP_1)
	v_fma_f32 v12, 0x3f317217, v2, -v5
	v_fmamk_f32 v12, v2, 0x3377d1cf, v12
	s_delay_alu instid0(VALU_DEP_1) | instskip(NEXT) | instid1(VALU_DEP_1)
	v_add_f32_e32 v5, v5, v12
	v_cndmask_b32_e64 v2, v2, v5, s31
	v_cndmask_b32_e64 v5, 0, 0x41b17218, s1
	v_add_co_u32 v0, s1, s36, v0
	s_delay_alu instid0(VALU_DEP_1) | instskip(NEXT) | instid1(VALU_DEP_3)
	v_add_co_ci_u32_e64 v1, s1, s37, v1, s1
	v_sub_f32_e32 v2, v2, v5
	s_delay_alu instid0(VALU_DEP_1) | instskip(NEXT) | instid1(VALU_DEP_1)
	v_sub_f32_e32 v3, v3, v2
	v_cvt_f16_f32_e32 v3, v3
	global_store_b16 v[0:1], v3, off
	s_and_b32 exec_lo, exec_lo, vcc_lo
	s_cbranch_execz .LBB91_98
; %bb.67:
	v_sub_f32_e32 v3, v4, v2
	s_delay_alu instid0(VALU_DEP_1)
	v_cvt_f16_f32_e32 v3, v3
	global_store_b16 v[0:1], v3, off offset:64
	s_and_b32 exec_lo, exec_lo, s0
	s_cbranch_execz .LBB91_98
; %bb.68:
	v_sub_f32_e32 v3, v14, v2
	s_delay_alu instid0(VALU_DEP_1)
	v_cvt_f16_f32_e32 v3, v3
	global_store_b16 v[0:1], v3, off offset:128
	s_and_b32 exec_lo, exec_lo, s2
	;; [unrolled: 7-line block ×30, first 2 shown]
	s_cbranch_execz .LBB91_98
; %bb.97:
	v_sub_f32_e32 v2, v6, v2
	s_delay_alu instid0(VALU_DEP_1)
	v_cvt_f16_f32_e32 v2, v2
	global_store_b16 v[0:1], v2, off offset:1984
.LBB91_98:
	s_nop 0
	s_sendmsg sendmsg(MSG_DEALLOC_VGPRS)
	s_endpgm
	.section	.rodata,"a",@progbits
	.p2align	6, 0x0
	.amdhsa_kernel _ZN12_GLOBAL__N_120softmax_warp_forwardIN3c104HalfES2_fLi10ELb1ELb0ELi32EEEvPT0_PKT_iiiPKbib
		.amdhsa_group_segment_fixed_size 0
		.amdhsa_private_segment_fixed_size 0
		.amdhsa_kernarg_size 304
		.amdhsa_user_sgpr_count 15
		.amdhsa_user_sgpr_dispatch_ptr 0
		.amdhsa_user_sgpr_queue_ptr 0
		.amdhsa_user_sgpr_kernarg_segment_ptr 1
		.amdhsa_user_sgpr_dispatch_id 0
		.amdhsa_user_sgpr_private_segment_size 0
		.amdhsa_wavefront_size32 1
		.amdhsa_uses_dynamic_stack 0
		.amdhsa_enable_private_segment 0
		.amdhsa_system_sgpr_workgroup_id_x 1
		.amdhsa_system_sgpr_workgroup_id_y 0
		.amdhsa_system_sgpr_workgroup_id_z 0
		.amdhsa_system_sgpr_workgroup_info 0
		.amdhsa_system_vgpr_workitem_id 1
		.amdhsa_next_free_vgpr 94
		.amdhsa_next_free_sgpr 44
		.amdhsa_reserve_vcc 1
		.amdhsa_float_round_mode_32 0
		.amdhsa_float_round_mode_16_64 0
		.amdhsa_float_denorm_mode_32 3
		.amdhsa_float_denorm_mode_16_64 3
		.amdhsa_dx10_clamp 1
		.amdhsa_ieee_mode 1
		.amdhsa_fp16_overflow 0
		.amdhsa_workgroup_processor_mode 1
		.amdhsa_memory_ordered 1
		.amdhsa_forward_progress 0
		.amdhsa_shared_vgpr_count 0
		.amdhsa_exception_fp_ieee_invalid_op 0
		.amdhsa_exception_fp_denorm_src 0
		.amdhsa_exception_fp_ieee_div_zero 0
		.amdhsa_exception_fp_ieee_overflow 0
		.amdhsa_exception_fp_ieee_underflow 0
		.amdhsa_exception_fp_ieee_inexact 0
		.amdhsa_exception_int_div_zero 0
	.end_amdhsa_kernel
	.section	.text._ZN12_GLOBAL__N_120softmax_warp_forwardIN3c104HalfES2_fLi10ELb1ELb0ELi32EEEvPT0_PKT_iiiPKbib,"axG",@progbits,_ZN12_GLOBAL__N_120softmax_warp_forwardIN3c104HalfES2_fLi10ELb1ELb0ELi32EEEvPT0_PKT_iiiPKbib,comdat
.Lfunc_end91:
	.size	_ZN12_GLOBAL__N_120softmax_warp_forwardIN3c104HalfES2_fLi10ELb1ELb0ELi32EEEvPT0_PKT_iiiPKbib, .Lfunc_end91-_ZN12_GLOBAL__N_120softmax_warp_forwardIN3c104HalfES2_fLi10ELb1ELb0ELi32EEEvPT0_PKT_iiiPKbib
                                        ; -- End function
	.section	.AMDGPU.csdata,"",@progbits
; Kernel info:
; codeLenInByte = 7884
; NumSgprs: 46
; NumVgprs: 94
; ScratchSize: 0
; MemoryBound: 0
; FloatMode: 240
; IeeeMode: 1
; LDSByteSize: 0 bytes/workgroup (compile time only)
; SGPRBlocks: 5
; VGPRBlocks: 11
; NumSGPRsForWavesPerEU: 46
; NumVGPRsForWavesPerEU: 94
; Occupancy: 16
; WaveLimiterHint : 0
; COMPUTE_PGM_RSRC2:SCRATCH_EN: 0
; COMPUTE_PGM_RSRC2:USER_SGPR: 15
; COMPUTE_PGM_RSRC2:TRAP_HANDLER: 0
; COMPUTE_PGM_RSRC2:TGID_X_EN: 1
; COMPUTE_PGM_RSRC2:TGID_Y_EN: 0
; COMPUTE_PGM_RSRC2:TGID_Z_EN: 0
; COMPUTE_PGM_RSRC2:TIDIG_COMP_CNT: 1
	.section	.text._ZN12_GLOBAL__N_120softmax_warp_forwardIN3c104HalfES2_fLi11ELb1ELb0ELi64EEEvPT0_PKT_iiiPKbib,"axG",@progbits,_ZN12_GLOBAL__N_120softmax_warp_forwardIN3c104HalfES2_fLi11ELb1ELb0ELi64EEEvPT0_PKT_iiiPKbib,comdat
	.globl	_ZN12_GLOBAL__N_120softmax_warp_forwardIN3c104HalfES2_fLi11ELb1ELb0ELi64EEEvPT0_PKT_iiiPKbib ; -- Begin function _ZN12_GLOBAL__N_120softmax_warp_forwardIN3c104HalfES2_fLi11ELb1ELb0ELi64EEEvPT0_PKT_iiiPKbib
	.p2align	8
	.type	_ZN12_GLOBAL__N_120softmax_warp_forwardIN3c104HalfES2_fLi11ELb1ELb0ELi64EEEvPT0_PKT_iiiPKbib,@function
_ZN12_GLOBAL__N_120softmax_warp_forwardIN3c104HalfES2_fLi11ELb1ELb0ELi64EEEvPT0_PKT_iiiPKbib: ; @_ZN12_GLOBAL__N_120softmax_warp_forwardIN3c104HalfES2_fLi11ELb1ELb0ELi64EEEvPT0_PKT_iiiPKbib
; %bb.0:
	s_clause 0x1
	s_load_b32 s2, s[0:1], 0x3c
	s_load_b256 s[36:43], s[0:1], 0x0
	v_bfe_u32 v1, v0, 10, 10
	v_mov_b32_e32 v13, 0xff800000
	v_mov_b32_e32 v15, 0xff800000
	s_waitcnt lgkmcnt(0)
	s_lshr_b32 s0, s2, 16
	s_delay_alu instid0(SALU_CYCLE_1) | instskip(SKIP_1) | instid1(VALU_DEP_1)
	v_mad_u64_u32 v[3:4], null, s15, s0, v[1:2]
	v_and_b32_e32 v2, 0x3ff, v0
	v_cmp_gt_i32_e64 s1, s42, v2
	s_delay_alu instid0(VALU_DEP_3) | instskip(SKIP_1) | instid1(VALU_DEP_1)
	v_mad_u64_u32 v[0:1], null, v3, s41, v[2:3]
	v_sub_nc_u32_e32 v5, s40, v3
	v_cmp_lt_i32_e64 s31, 0, v5
	s_delay_alu instid0(VALU_DEP_3) | instskip(NEXT) | instid1(VALU_DEP_2)
	v_ashrrev_i32_e32 v1, 31, v0
	s_and_b32 s2, s31, s1
	s_delay_alu instid0(VALU_DEP_1) | instskip(NEXT) | instid1(VALU_DEP_1)
	v_lshlrev_b64 v[0:1], 1, v[0:1]
	v_add_co_u32 v3, vcc_lo, s38, v0
	s_delay_alu instid0(VALU_DEP_2)
	v_add_co_ci_u32_e32 v4, vcc_lo, s39, v1, vcc_lo
	s_and_saveexec_b32 s0, s2
	s_cbranch_execz .LBB92_2
; %bb.1:
	global_load_u16 v6, v[3:4], off
	s_waitcnt vmcnt(0)
	v_cvt_f32_f16_e32 v15, v6
.LBB92_2:
	s_or_b32 exec_lo, exec_lo, s0
	v_add_nc_u32_e32 v6, 64, v2
	s_delay_alu instid0(VALU_DEP_1) | instskip(SKIP_1) | instid1(SALU_CYCLE_1)
	v_cmp_gt_i32_e32 vcc_lo, s42, v6
	s_and_b32 s2, s31, vcc_lo
	s_and_saveexec_b32 s0, s2
	s_cbranch_execz .LBB92_4
; %bb.3:
	global_load_u16 v6, v[3:4], off offset:128
	s_waitcnt vmcnt(0)
	v_cvt_f32_f16_e32 v13, v6
.LBB92_4:
	s_or_b32 exec_lo, exec_lo, s0
	v_add_nc_u32_e32 v6, 0x80, v2
	v_mov_b32_e32 v17, 0xff800000
	v_mov_b32_e32 v19, 0xff800000
	s_delay_alu instid0(VALU_DEP_3) | instskip(NEXT) | instid1(VALU_DEP_1)
	v_cmp_gt_i32_e64 s0, s42, v6
	s_and_b32 s3, s31, s0
	s_delay_alu instid0(SALU_CYCLE_1)
	s_and_saveexec_b32 s2, s3
	s_cbranch_execz .LBB92_6
; %bb.5:
	global_load_u16 v6, v[3:4], off offset:256
	s_waitcnt vmcnt(0)
	v_cvt_f32_f16_e32 v19, v6
.LBB92_6:
	s_or_b32 exec_lo, exec_lo, s2
	v_add_nc_u32_e32 v6, 0xc0, v2
	s_delay_alu instid0(VALU_DEP_1) | instskip(NEXT) | instid1(VALU_DEP_1)
	v_cmp_gt_i32_e64 s2, s42, v6
	s_and_b32 s4, s31, s2
	s_delay_alu instid0(SALU_CYCLE_1)
	s_and_saveexec_b32 s3, s4
	s_cbranch_execz .LBB92_8
; %bb.7:
	global_load_u16 v6, v[3:4], off offset:384
	s_waitcnt vmcnt(0)
	v_cvt_f32_f16_e32 v17, v6
.LBB92_8:
	s_or_b32 exec_lo, exec_lo, s3
	v_add_nc_u32_e32 v6, 0x100, v2
	v_dual_mov_b32 v21, 0xff800000 :: v_dual_mov_b32 v22, 0xff800000
	s_delay_alu instid0(VALU_DEP_2) | instskip(NEXT) | instid1(VALU_DEP_1)
	v_cmp_gt_i32_e64 s3, s42, v6
	s_and_b32 s5, s31, s3
	s_delay_alu instid0(SALU_CYCLE_1)
	s_and_saveexec_b32 s4, s5
	s_cbranch_execz .LBB92_10
; %bb.9:
	global_load_u16 v6, v[3:4], off offset:512
	s_waitcnt vmcnt(0)
	v_cvt_f32_f16_e32 v22, v6
.LBB92_10:
	s_or_b32 exec_lo, exec_lo, s4
	v_add_nc_u32_e32 v6, 0x140, v2
	s_delay_alu instid0(VALU_DEP_1) | instskip(NEXT) | instid1(VALU_DEP_1)
	v_cmp_gt_i32_e64 s4, s42, v6
	s_and_b32 s6, s31, s4
	s_delay_alu instid0(SALU_CYCLE_1)
	s_and_saveexec_b32 s5, s6
	s_cbranch_execz .LBB92_12
; %bb.11:
	global_load_u16 v6, v[3:4], off offset:640
	s_waitcnt vmcnt(0)
	v_cvt_f32_f16_e32 v21, v6
.LBB92_12:
	s_or_b32 exec_lo, exec_lo, s5
	v_add_nc_u32_e32 v6, 0x180, v2
	v_dual_mov_b32 v23, 0xff800000 :: v_dual_mov_b32 v24, 0xff800000
	s_delay_alu instid0(VALU_DEP_2) | instskip(NEXT) | instid1(VALU_DEP_1)
	;; [unrolled: 27-line block ×4, first 2 shown]
	v_cmp_gt_i32_e64 s9, s42, v6
	s_and_b32 s11, s31, s9
	s_delay_alu instid0(SALU_CYCLE_1)
	s_and_saveexec_b32 s10, s11
	s_cbranch_execz .LBB92_22
; %bb.21:
	global_load_u16 v6, v[3:4], off offset:1280
	s_waitcnt vmcnt(0)
	v_cvt_f32_f16_e32 v28, v6
.LBB92_22:
	s_or_b32 exec_lo, exec_lo, s10
	v_add_nc_u32_e32 v6, 0x2c0, v2
	s_delay_alu instid0(VALU_DEP_1) | instskip(NEXT) | instid1(VALU_DEP_1)
	v_cmp_gt_i32_e64 s10, s42, v6
	s_and_b32 s12, s31, s10
	s_delay_alu instid0(SALU_CYCLE_1)
	s_and_saveexec_b32 s11, s12
	s_cbranch_execz .LBB92_24
; %bb.23:
	global_load_u16 v6, v[3:4], off offset:1408
	s_waitcnt vmcnt(0)
	v_cvt_f32_f16_e32 v27, v6
.LBB92_24:
	s_or_b32 exec_lo, exec_lo, s11
	v_add_nc_u32_e32 v6, 0x300, v2
	v_mov_b32_e32 v29, 0xff800000
	v_mov_b32_e32 v31, 0xff800000
	s_delay_alu instid0(VALU_DEP_3) | instskip(NEXT) | instid1(VALU_DEP_1)
	v_cmp_gt_i32_e64 s11, s42, v6
	s_and_b32 s13, s31, s11
	s_delay_alu instid0(SALU_CYCLE_1)
	s_and_saveexec_b32 s12, s13
	s_cbranch_execz .LBB92_26
; %bb.25:
	global_load_u16 v6, v[3:4], off offset:1536
	s_waitcnt vmcnt(0)
	v_cvt_f32_f16_e32 v31, v6
.LBB92_26:
	s_or_b32 exec_lo, exec_lo, s12
	v_add_nc_u32_e32 v6, 0x340, v2
	s_delay_alu instid0(VALU_DEP_1) | instskip(NEXT) | instid1(VALU_DEP_1)
	v_cmp_gt_i32_e64 s12, s42, v6
	s_and_b32 s14, s31, s12
	s_delay_alu instid0(SALU_CYCLE_1)
	s_and_saveexec_b32 s13, s14
	s_cbranch_execz .LBB92_28
; %bb.27:
	global_load_u16 v6, v[3:4], off offset:1664
	s_waitcnt vmcnt(0)
	v_cvt_f32_f16_e32 v29, v6
.LBB92_28:
	s_or_b32 exec_lo, exec_lo, s13
	v_add_nc_u32_e32 v6, 0x380, v2
	v_dual_mov_b32 v32, 0xff800000 :: v_dual_mov_b32 v33, 0xff800000
	s_delay_alu instid0(VALU_DEP_2) | instskip(NEXT) | instid1(VALU_DEP_1)
	v_cmp_gt_i32_e64 s13, s42, v6
	s_and_b32 s15, s31, s13
	s_delay_alu instid0(SALU_CYCLE_1)
	s_and_saveexec_b32 s14, s15
	s_cbranch_execz .LBB92_30
; %bb.29:
	global_load_u16 v6, v[3:4], off offset:1792
	s_waitcnt vmcnt(0)
	v_cvt_f32_f16_e32 v33, v6
.LBB92_30:
	s_or_b32 exec_lo, exec_lo, s14
	v_add_nc_u32_e32 v6, 0x3c0, v2
	s_delay_alu instid0(VALU_DEP_1) | instskip(NEXT) | instid1(VALU_DEP_1)
	v_cmp_gt_i32_e64 s14, s42, v6
	s_and_b32 s16, s31, s14
	s_delay_alu instid0(SALU_CYCLE_1)
	s_and_saveexec_b32 s15, s16
	s_cbranch_execz .LBB92_32
; %bb.31:
	global_load_u16 v6, v[3:4], off offset:1920
	s_waitcnt vmcnt(0)
	v_cvt_f32_f16_e32 v32, v6
.LBB92_32:
	s_or_b32 exec_lo, exec_lo, s15
	v_or_b32_e32 v6, 0x400, v2
	v_dual_mov_b32 v34, 0xff800000 :: v_dual_mov_b32 v35, 0xff800000
	s_delay_alu instid0(VALU_DEP_2) | instskip(NEXT) | instid1(VALU_DEP_1)
	v_cmp_gt_i32_e64 s15, s42, v6
	s_and_b32 s17, s31, s15
	s_delay_alu instid0(SALU_CYCLE_1)
	s_and_saveexec_b32 s16, s17
	s_cbranch_execz .LBB92_34
; %bb.33:
	global_load_u16 v6, v[3:4], off offset:2048
	s_waitcnt vmcnt(0)
	v_cvt_f32_f16_e32 v35, v6
.LBB92_34:
	s_or_b32 exec_lo, exec_lo, s16
	v_add_nc_u32_e32 v6, 0x440, v2
	s_delay_alu instid0(VALU_DEP_1) | instskip(NEXT) | instid1(VALU_DEP_1)
	v_cmp_gt_i32_e64 s16, s42, v6
	s_and_b32 s18, s31, s16
	s_delay_alu instid0(SALU_CYCLE_1)
	s_and_saveexec_b32 s17, s18
	s_cbranch_execz .LBB92_36
; %bb.35:
	global_load_u16 v6, v[3:4], off offset:2176
	s_waitcnt vmcnt(0)
	v_cvt_f32_f16_e32 v34, v6
.LBB92_36:
	s_or_b32 exec_lo, exec_lo, s17
	v_add_nc_u32_e32 v6, 0x480, v2
	v_dual_mov_b32 v36, 0xff800000 :: v_dual_mov_b32 v37, 0xff800000
	s_delay_alu instid0(VALU_DEP_2) | instskip(NEXT) | instid1(VALU_DEP_1)
	v_cmp_gt_i32_e64 s17, s42, v6
	s_and_b32 s19, s31, s17
	s_delay_alu instid0(SALU_CYCLE_1)
	s_and_saveexec_b32 s18, s19
	s_cbranch_execz .LBB92_38
; %bb.37:
	global_load_u16 v6, v[3:4], off offset:2304
	s_waitcnt vmcnt(0)
	v_cvt_f32_f16_e32 v37, v6
.LBB92_38:
	s_or_b32 exec_lo, exec_lo, s18
	v_add_nc_u32_e32 v6, 0x4c0, v2
	s_delay_alu instid0(VALU_DEP_1) | instskip(NEXT) | instid1(VALU_DEP_1)
	v_cmp_gt_i32_e64 s18, s42, v6
	s_and_b32 s20, s31, s18
	s_delay_alu instid0(SALU_CYCLE_1)
	s_and_saveexec_b32 s19, s20
	s_cbranch_execz .LBB92_40
; %bb.39:
	global_load_u16 v6, v[3:4], off offset:2432
	s_waitcnt vmcnt(0)
	v_cvt_f32_f16_e32 v36, v6
.LBB92_40:
	s_or_b32 exec_lo, exec_lo, s19
	v_add_nc_u32_e32 v6, 0x500, v2
	v_dual_mov_b32 v38, 0xff800000 :: v_dual_mov_b32 v39, 0xff800000
	s_delay_alu instid0(VALU_DEP_2) | instskip(NEXT) | instid1(VALU_DEP_1)
	v_cmp_gt_i32_e64 s19, s42, v6
	s_and_b32 s21, s31, s19
	s_delay_alu instid0(SALU_CYCLE_1)
	s_and_saveexec_b32 s20, s21
	s_cbranch_execz .LBB92_42
; %bb.41:
	global_load_u16 v6, v[3:4], off offset:2560
	s_waitcnt vmcnt(0)
	v_cvt_f32_f16_e32 v39, v6
.LBB92_42:
	s_or_b32 exec_lo, exec_lo, s20
	v_add_nc_u32_e32 v6, 0x540, v2
	s_delay_alu instid0(VALU_DEP_1) | instskip(NEXT) | instid1(VALU_DEP_1)
	v_cmp_gt_i32_e64 s20, s42, v6
	s_and_b32 s22, s31, s20
	s_delay_alu instid0(SALU_CYCLE_1)
	s_and_saveexec_b32 s21, s22
	s_cbranch_execz .LBB92_44
; %bb.43:
	global_load_u16 v6, v[3:4], off offset:2688
	s_waitcnt vmcnt(0)
	v_cvt_f32_f16_e32 v38, v6
.LBB92_44:
	s_or_b32 exec_lo, exec_lo, s21
	v_add_nc_u32_e32 v6, 0x580, v2
	v_dual_mov_b32 v40, 0xff800000 :: v_dual_mov_b32 v41, 0xff800000
	s_delay_alu instid0(VALU_DEP_2) | instskip(NEXT) | instid1(VALU_DEP_1)
	v_cmp_gt_i32_e64 s21, s42, v6
	s_and_b32 s23, s31, s21
	s_delay_alu instid0(SALU_CYCLE_1)
	s_and_saveexec_b32 s22, s23
	s_cbranch_execz .LBB92_46
; %bb.45:
	global_load_u16 v6, v[3:4], off offset:2816
	s_waitcnt vmcnt(0)
	v_cvt_f32_f16_e32 v41, v6
.LBB92_46:
	s_or_b32 exec_lo, exec_lo, s22
	v_add_nc_u32_e32 v6, 0x5c0, v2
	s_delay_alu instid0(VALU_DEP_1) | instskip(NEXT) | instid1(VALU_DEP_1)
	v_cmp_gt_i32_e64 s22, s42, v6
	s_and_b32 s24, s31, s22
	s_delay_alu instid0(SALU_CYCLE_1)
	s_and_saveexec_b32 s23, s24
	s_cbranch_execz .LBB92_48
; %bb.47:
	global_load_u16 v6, v[3:4], off offset:2944
	s_waitcnt vmcnt(0)
	v_cvt_f32_f16_e32 v40, v6
.LBB92_48:
	s_or_b32 exec_lo, exec_lo, s23
	v_add_nc_u32_e32 v6, 0x600, v2
	v_dual_mov_b32 v11, 0xff800000 :: v_dual_mov_b32 v42, 0xff800000
	s_delay_alu instid0(VALU_DEP_2) | instskip(NEXT) | instid1(VALU_DEP_1)
	v_cmp_gt_i32_e64 s23, s42, v6
	s_and_b32 s25, s31, s23
	s_delay_alu instid0(SALU_CYCLE_1)
	s_and_saveexec_b32 s24, s25
	s_cbranch_execz .LBB92_50
; %bb.49:
	global_load_u16 v6, v[3:4], off offset:3072
	s_waitcnt vmcnt(0)
	v_cvt_f32_f16_e32 v42, v6
.LBB92_50:
	s_or_b32 exec_lo, exec_lo, s24
	v_add_nc_u32_e32 v6, 0x640, v2
	s_delay_alu instid0(VALU_DEP_1) | instskip(NEXT) | instid1(VALU_DEP_1)
	v_cmp_gt_i32_e64 s24, s42, v6
	s_and_b32 s26, s31, s24
	s_delay_alu instid0(SALU_CYCLE_1)
	s_and_saveexec_b32 s25, s26
	s_cbranch_execz .LBB92_52
; %bb.51:
	global_load_u16 v6, v[3:4], off offset:3200
	s_waitcnt vmcnt(0)
	v_cvt_f32_f16_e32 v11, v6
.LBB92_52:
	s_or_b32 exec_lo, exec_lo, s25
	v_add_nc_u32_e32 v6, 0x680, v2
	v_mov_b32_e32 v10, 0xff800000
	v_mov_b32_e32 v12, 0xff800000
	s_delay_alu instid0(VALU_DEP_3) | instskip(NEXT) | instid1(VALU_DEP_1)
	v_cmp_gt_i32_e64 s25, s42, v6
	s_and_b32 s27, s31, s25
	s_delay_alu instid0(SALU_CYCLE_1)
	s_and_saveexec_b32 s26, s27
	s_cbranch_execz .LBB92_54
; %bb.53:
	global_load_u16 v6, v[3:4], off offset:3328
	s_waitcnt vmcnt(0)
	v_cvt_f32_f16_e32 v12, v6
.LBB92_54:
	s_or_b32 exec_lo, exec_lo, s26
	v_add_nc_u32_e32 v6, 0x6c0, v2
	s_delay_alu instid0(VALU_DEP_1) | instskip(NEXT) | instid1(VALU_DEP_1)
	v_cmp_gt_i32_e64 s26, s42, v6
	s_and_b32 s28, s31, s26
	s_delay_alu instid0(SALU_CYCLE_1)
	s_and_saveexec_b32 s27, s28
	s_cbranch_execz .LBB92_56
; %bb.55:
	global_load_u16 v6, v[3:4], off offset:3456
	s_waitcnt vmcnt(0)
	v_cvt_f32_f16_e32 v10, v6
.LBB92_56:
	s_or_b32 exec_lo, exec_lo, s27
	v_add_nc_u32_e32 v6, 0x700, v2
	v_mov_b32_e32 v7, 0xff800000
	v_mov_b32_e32 v9, 0xff800000
	s_delay_alu instid0(VALU_DEP_3) | instskip(NEXT) | instid1(VALU_DEP_1)
	v_cmp_gt_i32_e64 s27, s42, v6
	s_and_b32 s29, s31, s27
	s_delay_alu instid0(SALU_CYCLE_1)
	s_and_saveexec_b32 s28, s29
	s_cbranch_execz .LBB92_58
; %bb.57:
	global_load_u16 v6, v[3:4], off offset:3584
	s_waitcnt vmcnt(0)
	v_cvt_f32_f16_e32 v9, v6
.LBB92_58:
	s_or_b32 exec_lo, exec_lo, s28
	v_add_nc_u32_e32 v6, 0x740, v2
	s_delay_alu instid0(VALU_DEP_1) | instskip(NEXT) | instid1(VALU_DEP_1)
	v_cmp_gt_i32_e64 s28, s42, v6
	s_and_b32 s30, s31, s28
	s_delay_alu instid0(SALU_CYCLE_1)
	s_and_saveexec_b32 s29, s30
	s_cbranch_execz .LBB92_60
; %bb.59:
	global_load_u16 v6, v[3:4], off offset:3712
	s_waitcnt vmcnt(0)
	v_cvt_f32_f16_e32 v7, v6
.LBB92_60:
	s_or_b32 exec_lo, exec_lo, s29
	v_add_nc_u32_e32 v6, 0x780, v2
	v_mov_b32_e32 v8, 0xff800000
	s_delay_alu instid0(VALU_DEP_2) | instskip(SKIP_1) | instid1(VALU_DEP_2)
	v_cmp_gt_i32_e64 s29, s42, v6
	v_mov_b32_e32 v6, 0xff800000
	s_and_b32 s33, s31, s29
	s_delay_alu instid0(SALU_CYCLE_1)
	s_and_saveexec_b32 s30, s33
	s_cbranch_execz .LBB92_62
; %bb.61:
	global_load_u16 v8, v[3:4], off offset:3840
	s_waitcnt vmcnt(0)
	v_cvt_f32_f16_e32 v8, v8
.LBB92_62:
	s_or_b32 exec_lo, exec_lo, s30
	v_add_nc_u32_e32 v2, 0x7c0, v2
	s_delay_alu instid0(VALU_DEP_1) | instskip(NEXT) | instid1(VALU_DEP_1)
	v_cmp_gt_i32_e64 s30, s42, v2
	s_and_b32 s33, s31, s30
	s_delay_alu instid0(SALU_CYCLE_1)
	s_and_saveexec_b32 s31, s33
	s_cbranch_execz .LBB92_64
; %bb.63:
	global_load_u16 v2, v[3:4], off offset:3968
	s_waitcnt vmcnt(0)
	v_cvt_f32_f16_e32 v6, v2
.LBB92_64:
	s_or_b32 exec_lo, exec_lo, s31
	v_cmp_gt_f32_e64 s31, v15, v13
	v_mbcnt_lo_u32_b32 v4, -1, 0
	s_mov_b32 s33, exec_lo
	s_delay_alu instid0(VALU_DEP_2) | instskip(NEXT) | instid1(VALU_DEP_2)
	v_cndmask_b32_e64 v2, v13, v15, s31
	v_or_b32_e32 v3, 32, v4
	s_delay_alu instid0(VALU_DEP_2) | instskip(NEXT) | instid1(VALU_DEP_1)
	v_cmp_gt_f32_e64 s31, v2, v19
	v_cndmask_b32_e64 v2, v19, v2, s31
	s_delay_alu instid0(VALU_DEP_1) | instskip(NEXT) | instid1(VALU_DEP_1)
	v_cmp_gt_f32_e64 s31, v2, v17
	v_cndmask_b32_e64 v2, v17, v2, s31
	s_delay_alu instid0(VALU_DEP_1) | instskip(NEXT) | instid1(VALU_DEP_1)
	;; [unrolled: 3-line block ×27, first 2 shown]
	v_cmp_gt_f32_e64 s31, v2, v7
	v_cndmask_b32_e64 v2, v7, v2, s31
	v_cmp_gt_i32_e64 s31, 64, v3
	s_delay_alu instid0(VALU_DEP_1) | instskip(NEXT) | instid1(VALU_DEP_3)
	v_cndmask_b32_e64 v3, v4, v3, s31
	v_cmp_gt_f32_e64 s31, v2, v8
	s_delay_alu instid0(VALU_DEP_1) | instskip(NEXT) | instid1(VALU_DEP_3)
	v_cndmask_b32_e64 v14, v8, v2, s31
	v_lshlrev_b32_e32 v2, 2, v3
	v_xor_b32_e32 v3, 16, v4
	s_delay_alu instid0(VALU_DEP_3) | instskip(NEXT) | instid1(VALU_DEP_1)
	v_cmp_gt_f32_e64 s31, v14, v6
	v_cndmask_b32_e64 v14, v6, v14, s31
	s_delay_alu instid0(VALU_DEP_3) | instskip(SKIP_2) | instid1(VALU_DEP_1)
	v_cmp_gt_i32_e64 s31, 64, v3
	ds_bpermute_b32 v16, v2, v14
	v_cndmask_b32_e64 v3, v4, v3, s31
	v_lshlrev_b32_e32 v3, 2, v3
	s_waitcnt lgkmcnt(0)
	v_cmp_lt_f32_e64 s31, v14, v16
	s_delay_alu instid0(VALU_DEP_1) | instskip(SKIP_3) | instid1(VALU_DEP_1)
	v_cndmask_b32_e64 v16, v14, v16, s31
	v_xor_b32_e32 v14, 8, v4
	ds_bpermute_b32 v18, v3, v16
	v_cmp_gt_i32_e64 s31, 64, v14
	v_cndmask_b32_e64 v14, v4, v14, s31
	s_delay_alu instid0(VALU_DEP_1) | instskip(SKIP_2) | instid1(VALU_DEP_1)
	v_lshlrev_b32_e32 v14, 2, v14
	s_waitcnt lgkmcnt(0)
	v_cmp_lt_f32_e64 s31, v16, v18
	v_cndmask_b32_e64 v18, v16, v18, s31
	v_xor_b32_e32 v16, 4, v4
	ds_bpermute_b32 v20, v14, v18
	v_cmp_gt_i32_e64 s31, 64, v16
	s_delay_alu instid0(VALU_DEP_1) | instskip(NEXT) | instid1(VALU_DEP_1)
	v_cndmask_b32_e64 v16, v4, v16, s31
	v_lshlrev_b32_e32 v16, 2, v16
	s_waitcnt lgkmcnt(0)
	v_cmp_lt_f32_e64 s31, v18, v20
	s_delay_alu instid0(VALU_DEP_1) | instskip(SKIP_3) | instid1(VALU_DEP_1)
	v_cndmask_b32_e64 v20, v18, v20, s31
	v_xor_b32_e32 v18, 2, v4
	ds_bpermute_b32 v30, v16, v20
	v_cmp_gt_i32_e64 s31, 64, v18
	v_cndmask_b32_e64 v18, v4, v18, s31
	s_delay_alu instid0(VALU_DEP_1) | instskip(SKIP_2) | instid1(VALU_DEP_1)
	v_lshlrev_b32_e32 v18, 2, v18
	s_waitcnt lgkmcnt(0)
	v_cmp_lt_f32_e64 s31, v20, v30
	v_cndmask_b32_e64 v30, v20, v30, s31
	v_xor_b32_e32 v20, 1, v4
	ds_bpermute_b32 v43, v18, v30
	v_cmp_gt_i32_e64 s31, 64, v20
	s_delay_alu instid0(VALU_DEP_1) | instskip(NEXT) | instid1(VALU_DEP_1)
	v_cndmask_b32_e64 v4, v4, v20, s31
	v_lshlrev_b32_e32 v20, 2, v4
	s_waitcnt lgkmcnt(0)
	v_cmp_lt_f32_e64 s31, v30, v43
	s_delay_alu instid0(VALU_DEP_1) | instskip(SKIP_3) | instid1(VALU_DEP_1)
	v_cndmask_b32_e64 v4, v30, v43, s31
	ds_bpermute_b32 v30, v20, v4
	s_waitcnt lgkmcnt(0)
	v_cmp_lt_f32_e64 s31, v4, v30
	v_cndmask_b32_e64 v30, v4, v30, s31
	s_delay_alu instid0(VALU_DEP_1)
	v_sub_f32_e32 v17, v17, v30
	v_sub_f32_e32 v13, v13, v30
	;; [unrolled: 1-line block ×6, first 2 shown]
	v_mul_f32_e32 v43, 0x3fb8aa3b, v13
	s_delay_alu instid0(VALU_DEP_4) | instskip(NEXT) | instid1(VALU_DEP_3)
	v_dual_mul_f32 v45, 0x3fb8aa3b, v17 :: v_dual_mul_f32 v44, 0x3fb8aa3b, v15
	v_dual_sub_f32 v22, v24, v30 :: v_dual_mul_f32 v47, 0x3fb8aa3b, v21
	v_sub_f32_e32 v24, v26, v30
	v_sub_f32_e32 v26, v28, v30
	;; [unrolled: 1-line block ×8, first 2 shown]
	v_fma_f32 v68, 0x3fb8aa3b, v13, -v43
	v_dual_sub_f32 v41, v42, v30 :: v_dual_mul_f32 v42, 0x3fb8aa3b, v4
	v_dual_sub_f32 v27, v27, v30 :: v_dual_mul_f32 v54, 0x3fb8aa3b, v28
	v_rndne_f32_e32 v69, v43
	v_sub_f32_e32 v40, v40, v30
	s_delay_alu instid0(VALU_DEP_4) | instskip(NEXT) | instid1(VALU_DEP_4)
	v_fma_f32 v66, 0x3fb8aa3b, v4, -v42
	v_mul_f32_e32 v53, 0x3fb8aa3b, v27
	v_fmac_f32_e32 v68, 0x32a5705f, v13
	v_dual_sub_f32 v43, v43, v69 :: v_dual_mul_f32 v48, 0x3fb8aa3b, v22
	s_delay_alu instid0(VALU_DEP_4) | instskip(SKIP_1) | instid1(VALU_DEP_3)
	v_fmac_f32_e32 v66, 0x32a5705f, v4
	v_mul_f32_e32 v64, 0x3fb8aa3b, v39
	v_dual_mul_f32 v62, 0x3fb8aa3b, v37 :: v_dual_add_f32 v43, v43, v68
	v_mul_f32_e32 v60, 0x3fb8aa3b, v35
	v_dual_mul_f32 v58, 0x3fb8aa3b, v33 :: v_dual_sub_f32 v29, v29, v30
	v_dual_mul_f32 v56, 0x3fb8aa3b, v31 :: v_dual_sub_f32 v23, v23, v30
	v_mul_f32_e32 v46, 0x3fb8aa3b, v19
	s_delay_alu instid0(VALU_DEP_3) | instskip(SKIP_3) | instid1(VALU_DEP_4)
	v_dual_sub_f32 v32, v32, v30 :: v_dual_mul_f32 v55, 0x3fb8aa3b, v29
	v_sub_f32_e32 v34, v34, v30
	v_rndne_f32_e32 v67, v42
	v_fma_f32 v70, 0x3fb8aa3b, v15, -v44
	v_mul_f32_e32 v57, 0x3fb8aa3b, v32
	v_fma_f32 v76, 0x3fb8aa3b, v21, -v47
	v_rndne_f32_e32 v77, v47
	v_fma_f32 v78, 0x3fb8aa3b, v22, -v48
	v_fma_f32 v88, 0x3fb8aa3b, v27, -v53
	v_rndne_f32_e32 v89, v53
	v_mul_f32_e32 v49, 0x3fb8aa3b, v23
	v_dual_sub_f32 v25, v25, v30 :: v_dual_mul_f32 v50, 0x3fb8aa3b, v24
	v_dual_mul_f32 v59, 0x3fb8aa3b, v34 :: v_dual_sub_f32 v42, v42, v67
	v_fma_f32 v72, 0x3fb8aa3b, v17, -v45
	v_rndne_f32_e32 v73, v45
	v_dual_fmac_f32 v70, 0x32a5705f, v15 :: v_dual_sub_f32 v47, v47, v77
	v_dual_fmac_f32 v78, 0x32a5705f, v22 :: v_dual_sub_f32 v53, v53, v89
	v_fmac_f32_e32 v88, 0x32a5705f, v27
	v_fmac_f32_e32 v76, 0x32a5705f, v21
	v_dual_sub_f32 v36, v36, v30 :: v_dual_mul_f32 v65, 0x3fb8aa3b, v40
	v_dual_sub_f32 v38, v38, v30 :: v_dual_mul_f32 v51, 0x3fb8aa3b, v25
	v_dual_mul_f32 v52, 0x3fb8aa3b, v26 :: v_dual_sub_f32 v45, v45, v73
	v_rndne_f32_e32 v71, v44
	v_dual_add_f32 v53, v53, v88 :: v_dual_fmac_f32 v72, 0x32a5705f, v17
	v_dual_add_f32 v47, v47, v76 :: v_dual_add_f32 v42, v42, v66
	v_mul_f32_e32 v61, 0x3fb8aa3b, v36
	s_delay_alu instid0(VALU_DEP_4) | instskip(NEXT) | instid1(VALU_DEP_4)
	v_dual_mul_f32 v63, 0x3fb8aa3b, v38 :: v_dual_sub_f32 v44, v44, v71
	v_add_f32_e32 v45, v45, v72
	s_delay_alu instid0(VALU_DEP_4)
	v_exp_f32_e32 v42, v42
	v_rndne_f32_e32 v85, v51
	v_cvt_i32_f32_e32 v67, v67
	v_add_f32_e32 v44, v44, v70
	v_exp_f32_e32 v43, v43
	v_fma_f32 v84, 0x3fb8aa3b, v25, -v51
	v_sub_f32_e32 v51, v51, v85
	v_cvt_i32_f32_e32 v69, v69
	v_exp_f32_e32 v44, v44
	v_cmp_ngt_f32_e64 s31, 0xc2ce8ed0, v4
	v_ldexp_f32 v42, v42, v67
	v_cvt_i32_f32_e32 v71, v71
	v_rndne_f32_e32 v79, v48
	v_rndne_f32_e32 v93, v55
	v_ldexp_f32 v43, v43, v69
	v_cndmask_b32_e64 v42, 0, v42, s31
	v_cmp_ngt_f32_e64 s31, 0xc2ce8ed0, v13
	v_fma_f32 v66, 0x3fb8aa3b, v31, -v56
	v_ldexp_f32 v44, v44, v71
	v_rndne_f32_e32 v68, v56
	v_fma_f32 v70, 0x3fb8aa3b, v32, -v57
	v_cndmask_b32_e64 v43, 0, v43, s31
	v_cmp_ngt_f32_e64 s31, 0xc2ce8ed0, v15
	v_rndne_f32_e32 v72, v57
	v_sub_f32_e32 v48, v48, v79
	v_fma_f32 v82, 0x3fb8aa3b, v24, -v50
	v_fma_f32 v92, 0x3fb8aa3b, v29, -v55
	v_sub_f32_e32 v55, v55, v93
	v_cndmask_b32_e64 v44, 0, v44, s31
	v_cmp_nlt_f32_e64 s31, 0x42b17218, v4
	v_dual_add_f32 v48, v48, v78 :: v_dual_sub_f32 v57, v57, v72
	v_fmac_f32_e32 v66, 0x32a5705f, v31
	v_dual_sub_f32 v56, v56, v68 :: v_dual_sub_f32 v11, v11, v30
	s_delay_alu instid0(VALU_DEP_4) | instskip(SKIP_4) | instid1(VALU_DEP_4)
	v_cndmask_b32_e64 v42, 0x7f800000, v42, s31
	v_cmp_nlt_f32_e64 s31, 0x42b17218, v13
	v_fmac_f32_e32 v70, 0x32a5705f, v32
	v_fma_f32 v90, 0x3fb8aa3b, v28, -v54
	v_dual_fmac_f32 v82, 0x32a5705f, v24 :: v_dual_sub_f32 v9, v9, v30
	v_cndmask_b32_e64 v43, 0x7f800000, v43, s31
	s_delay_alu instid0(VALU_DEP_4)
	v_add_f32_e32 v57, v57, v70
	v_add_f32_e32 v56, v56, v66
	v_fma_f32 v66, 0x3fb8aa3b, v38, -v63
	v_rndne_f32_e32 v70, v63
	v_add_f32_e32 v42, v42, v43
	v_fma_f32 v74, 0x3fb8aa3b, v19, -v46
	v_fma_f32 v80, 0x3fb8aa3b, v23, -v49
	v_rndne_f32_e32 v81, v49
	v_dual_fmac_f32 v90, 0x32a5705f, v28 :: v_dual_sub_f32 v63, v63, v70
	v_fmac_f32_e32 v66, 0x32a5705f, v38
	v_rndne_f32_e32 v75, v46
	s_delay_alu instid0(VALU_DEP_4) | instskip(NEXT) | instid1(VALU_DEP_3)
	v_dual_fmac_f32 v74, 0x32a5705f, v19 :: v_dual_sub_f32 v49, v49, v81
	v_dual_fmac_f32 v92, 0x32a5705f, v29 :: v_dual_add_f32 v63, v63, v66
	v_fmac_f32_e32 v80, 0x32a5705f, v23
	v_rndne_f32_e32 v83, v50
	v_fma_f32 v86, 0x3fb8aa3b, v26, -v52
	s_delay_alu instid0(VALU_DEP_4)
	v_add_f32_e32 v55, v55, v92
	v_rndne_f32_e32 v87, v52
	v_dual_sub_f32 v46, v46, v75 :: v_dual_add_f32 v49, v49, v80
	v_fma_f32 v78, 0x3fb8aa3b, v34, -v59
	v_rndne_f32_e32 v80, v59
	v_sub_f32_e32 v50, v50, v83
	v_fmac_f32_e32 v86, 0x32a5705f, v26
	v_rndne_f32_e32 v88, v61
	s_delay_alu instid0(VALU_DEP_4)
	v_dual_fmac_f32 v78, 0x32a5705f, v34 :: v_dual_sub_f32 v59, v59, v80
	v_sub_f32_e32 v52, v52, v87
	v_exp_f32_e32 v45, v45
	v_fmac_f32_e32 v84, 0x32a5705f, v25
	v_cvt_i32_f32_e32 v73, v73
	v_add_f32_e32 v59, v59, v78
	v_add_f32_e32 v52, v52, v86
	v_fma_f32 v86, 0x3fb8aa3b, v36, -v61
	v_dual_sub_f32 v61, v61, v88 :: v_dual_add_f32 v46, v46, v74
	v_add_f32_e32 v51, v51, v84
	v_cmp_ngt_f32_e64 s31, 0xc2ce8ed0, v17
	s_delay_alu instid0(TRANS32_DEP_1)
	v_ldexp_f32 v45, v45, v73
	v_cvt_i32_f32_e32 v75, v75
	v_exp_f32_e32 v46, v46
	v_exp_f32_e32 v47, v47
	v_cvt_i32_f32_e32 v77, v77
	v_cndmask_b32_e64 v45, 0, v45, s31
	v_cmp_nlt_f32_e64 s31, 0x42b17218, v15
	v_exp_f32_e32 v48, v48
	v_cvt_i32_f32_e32 v79, v79
	v_exp_f32_e32 v49, v49
	v_cvt_i32_f32_e32 v81, v81
	v_cndmask_b32_e64 v44, 0x7f800000, v44, s31
	v_ldexp_f32 v46, v46, v75
	v_cmp_ngt_f32_e64 s31, 0xc2ce8ed0, v19
	v_ldexp_f32 v47, v47, v77
	v_add_f32_e32 v50, v50, v82
	v_add_f32_e32 v42, v42, v44
	v_ldexp_f32 v48, v48, v79
	v_cndmask_b32_e64 v43, 0, v46, s31
	v_cmp_nlt_f32_e64 s31, 0x42b17218, v17
	v_ldexp_f32 v49, v49, v81
	v_cvt_i32_f32_e32 v83, v83
	v_exp_f32_e32 v51, v51
	v_cvt_i32_f32_e32 v85, v85
	v_cndmask_b32_e64 v45, 0x7f800000, v45, s31
	v_cmp_ngt_f32_e64 s31, 0xc2ce8ed0, v21
	v_exp_f32_e32 v52, v52
	v_rndne_f32_e32 v91, v54
	v_fma_f32 v82, 0x3fb8aa3b, v35, -v60
	v_add_f32_e32 v42, v42, v45
	v_cndmask_b32_e64 v44, 0, v47, s31
	v_cmp_nlt_f32_e64 s31, 0x42b17218, v19
	v_ldexp_f32 v51, v51, v85
	v_rndne_f32_e32 v84, v60
	v_cvt_i32_f32_e32 v87, v87
	v_sub_f32_e32 v10, v10, v30
	v_cndmask_b32_e64 v43, 0x7f800000, v43, s31
	v_cmp_ngt_f32_e64 s31, 0xc2ce8ed0, v22
	v_fmac_f32_e32 v86, 0x32a5705f, v36
	v_fmac_f32_e32 v82, 0x32a5705f, v35
	v_sub_f32_e32 v60, v60, v84
	v_add_f32_e32 v42, v42, v43
	v_cndmask_b32_e64 v45, 0, v48, s31
	v_cmp_nlt_f32_e64 s31, 0x42b17218, v21
	v_add_f32_e32 v61, v61, v86
	v_rndne_f32_e32 v86, v65
	v_sub_f32_e32 v54, v54, v91
	v_exp_f32_e32 v53, v53
	v_cndmask_b32_e64 v44, 0x7f800000, v44, s31
	v_cmp_ngt_f32_e64 s31, 0xc2ce8ed0, v23
	v_ldexp_f32 v52, v52, v87
	v_cvt_i32_f32_e32 v89, v89
	v_sub_f32_e32 v12, v12, v30
	v_add_f32_e32 v42, v42, v44
	v_cndmask_b32_e64 v43, 0, v49, s31
	v_mul_f32_e32 v49, 0x3fb8aa3b, v11
	v_exp_f32_e32 v50, v50
	v_cmp_nlt_f32_e64 s31, 0x42b17218, v22
	v_sub_f32_e32 v8, v8, v30
	v_ldexp_f32 v53, v53, v89
	v_cvt_i32_f32_e32 v91, v91
	v_exp_f32_e32 v55, v55
	v_cndmask_b32_e64 v45, 0x7f800000, v45, s31
	v_cmp_ngt_f32_e64 s31, 0xc2ce8ed0, v24
	v_cvt_i32_f32_e32 v93, v93
	v_exp_f32_e32 v56, v56
	v_ldexp_f32 v50, v50, v83
	v_add_f32_e32 v42, v42, v45
	v_fma_f32 v74, 0x3fb8aa3b, v33, -v58
	v_rndne_f32_e32 v76, v58
	v_cvt_i32_f32_e32 v68, v68
	v_cndmask_b32_e64 v44, 0, v50, s31
	v_cmp_nlt_f32_e64 s31, 0x42b17218, v23
	v_ldexp_f32 v55, v55, v93
	v_fmac_f32_e32 v74, 0x32a5705f, v33
	v_sub_f32_e32 v58, v58, v76
	v_exp_f32_e32 v57, v57
	v_cndmask_b32_e64 v43, 0x7f800000, v43, s31
	v_cmp_ngt_f32_e64 s31, 0xc2ce8ed0, v25
	v_ldexp_f32 v56, v56, v68
	v_cvt_i32_f32_e32 v72, v72
	s_delay_alu instid0(VALU_DEP_4) | instskip(NEXT) | instid1(VALU_DEP_4)
	v_dual_sub_f32 v7, v7, v30 :: v_dual_add_f32 v42, v42, v43
	v_cndmask_b32_e64 v45, 0, v51, s31
	v_cmp_nlt_f32_e64 s31, 0x42b17218, v24
	v_mul_f32_e32 v51, 0x3fb8aa3b, v10
	v_add_f32_e32 v60, v60, v82
	v_fma_f32 v82, 0x3fb8aa3b, v40, -v65
	v_sub_f32_e32 v65, v65, v86
	v_cndmask_b32_e64 v44, 0x7f800000, v44, s31
	v_cmp_ngt_f32_e64 s31, 0xc2ce8ed0, v26
	v_add_f32_e32 v54, v54, v90
	v_fma_f32 v90, 0x3fb8aa3b, v37, -v62
	v_add_f32_e32 v58, v58, v74
	v_add_f32_e32 v42, v42, v44
	v_cndmask_b32_e64 v43, 0, v52, s31
	v_cmp_nlt_f32_e64 s31, 0x42b17218, v25
	v_exp_f32_e32 v54, v54
	v_fmac_f32_e32 v90, 0x32a5705f, v37
	v_exp_f32_e32 v58, v58
	v_ldexp_f32 v57, v57, v72
	v_cndmask_b32_e64 v45, 0x7f800000, v45, s31
	v_cmp_ngt_f32_e64 s31, 0xc2ce8ed0, v27
	v_cvt_i32_f32_e32 v76, v76
	v_exp_f32_e32 v59, v59
	v_cvt_i32_f32_e32 v80, v80
	v_add_f32_e32 v42, v42, v45
	v_cndmask_b32_e64 v44, 0, v53, s31
	v_cmp_nlt_f32_e64 s31, 0x42b17218, v26
	v_ldexp_f32 v54, v54, v91
	v_ldexp_f32 v58, v58, v76
	v_exp_f32_e32 v60, v60
	v_rndne_f32_e32 v92, v62
	v_cndmask_b32_e64 v43, 0x7f800000, v43, s31
	v_cmp_ngt_f32_e64 s31, 0xc2ce8ed0, v28
	v_ldexp_f32 v59, v59, v80
	v_cvt_i32_f32_e32 v84, v84
	v_sub_f32_e32 v62, v62, v92
	v_add_f32_e32 v42, v42, v43
	v_cndmask_b32_e64 v45, 0, v54, s31
	v_cmp_nlt_f32_e64 s31, 0x42b17218, v27
	v_exp_f32_e32 v61, v61
	v_ldexp_f32 v60, v60, v84
	v_cvt_i32_f32_e32 v88, v88
	v_add_f32_e32 v62, v62, v90
	v_cndmask_b32_e64 v44, 0x7f800000, v44, s31
	v_cmp_ngt_f32_e64 s31, 0xc2ce8ed0, v29
	v_cvt_i32_f32_e32 v92, v92
	v_fma_f32 v74, 0x3fb8aa3b, v39, -v64
	v_exp_f32_e32 v62, v62
	v_add_f32_e32 v42, v42, v44
	v_cndmask_b32_e64 v43, 0, v55, s31
	v_cmp_nlt_f32_e64 s31, 0x42b17218, v28
	v_ldexp_f32 v61, v61, v88
	v_rndne_f32_e32 v78, v64
	v_exp_f32_e32 v63, v63
	v_cvt_i32_f32_e32 v70, v70
	v_cndmask_b32_e64 v45, 0x7f800000, v45, s31
	v_cmp_ngt_f32_e64 s31, 0xc2ce8ed0, v31
	v_ldexp_f32 v62, v62, v92
	v_fmac_f32_e32 v74, 0x32a5705f, v39
	v_sub_f32_e32 v64, v64, v78
	v_add_f32_e32 v42, v42, v45
	v_cndmask_b32_e64 v44, 0, v56, s31
	v_cmp_nlt_f32_e64 s31, 0x42b17218, v29
	v_ldexp_f32 v63, v63, v70
	v_add_f32_e32 v64, v64, v74
	v_cvt_i32_f32_e32 v78, v78
	v_fmac_f32_e32 v82, 0x32a5705f, v40
	v_cndmask_b32_e64 v43, 0x7f800000, v43, s31
	v_cmp_ngt_f32_e64 s31, 0xc2ce8ed0, v32
	v_exp_f32_e32 v64, v64
	v_sub_f32_e32 v6, v6, v30
	s_delay_alu instid0(VALU_DEP_3) | instskip(NEXT) | instid1(VALU_DEP_3)
	v_add_f32_e32 v42, v42, v43
	v_cndmask_b32_e64 v45, 0, v57, s31
	v_cmp_nlt_f32_e64 s31, 0x42b17218, v31
	s_delay_alu instid0(VALU_DEP_1) | instskip(SKIP_1) | instid1(TRANS32_DEP_1)
	v_cndmask_b32_e64 v44, 0x7f800000, v44, s31
	v_cmp_ngt_f32_e64 s31, 0xc2ce8ed0, v33
	v_ldexp_f32 v46, v64, v78
	s_delay_alu instid0(VALU_DEP_3) | instskip(NEXT) | instid1(VALU_DEP_3)
	v_add_f32_e32 v42, v42, v44
	v_cndmask_b32_e64 v43, 0, v58, s31
	v_cmp_nlt_f32_e64 s31, 0x42b17218, v32
	s_delay_alu instid0(VALU_DEP_1) | instskip(SKIP_1) | instid1(VALU_DEP_2)
	v_cndmask_b32_e64 v45, 0x7f800000, v45, s31
	v_cmp_ngt_f32_e64 s31, 0xc2ce8ed0, v34
	v_add_f32_e32 v42, v42, v45
	s_delay_alu instid0(VALU_DEP_2) | instskip(SKIP_1) | instid1(VALU_DEP_1)
	v_cndmask_b32_e64 v44, 0, v59, s31
	v_cmp_nlt_f32_e64 s31, 0x42b17218, v33
	v_cndmask_b32_e64 v43, 0x7f800000, v43, s31
	v_cmp_ngt_f32_e64 s31, 0xc2ce8ed0, v35
	s_delay_alu instid0(VALU_DEP_2) | instskip(NEXT) | instid1(VALU_DEP_2)
	v_add_f32_e32 v42, v42, v43
	v_cndmask_b32_e64 v45, 0, v60, s31
	v_cmp_nlt_f32_e64 s31, 0x42b17218, v34
	s_delay_alu instid0(VALU_DEP_1) | instskip(SKIP_1) | instid1(VALU_DEP_2)
	v_cndmask_b32_e64 v44, 0x7f800000, v44, s31
	v_cmp_ngt_f32_e64 s31, 0xc2ce8ed0, v36
	v_add_f32_e32 v42, v42, v44
	s_delay_alu instid0(VALU_DEP_2) | instskip(SKIP_1) | instid1(VALU_DEP_1)
	v_cndmask_b32_e64 v43, 0, v61, s31
	v_cmp_nlt_f32_e64 s31, 0x42b17218, v35
	v_cndmask_b32_e64 v45, 0x7f800000, v45, s31
	v_cmp_ngt_f32_e64 s31, 0xc2ce8ed0, v37
	s_delay_alu instid0(VALU_DEP_2) | instskip(NEXT) | instid1(VALU_DEP_2)
	v_add_f32_e32 v42, v42, v45
	v_cndmask_b32_e64 v44, 0, v62, s31
	v_cmp_nlt_f32_e64 s31, 0x42b17218, v36
	s_delay_alu instid0(VALU_DEP_1) | instskip(SKIP_1) | instid1(VALU_DEP_2)
	v_cndmask_b32_e64 v43, 0x7f800000, v43, s31
	v_cmp_ngt_f32_e64 s31, 0xc2ce8ed0, v38
	v_add_f32_e32 v42, v42, v43
	s_delay_alu instid0(VALU_DEP_2) | instskip(SKIP_2) | instid1(VALU_DEP_2)
	v_cndmask_b32_e64 v45, 0, v63, s31
	v_cmp_nlt_f32_e64 s31, 0x42b17218, v37
	v_add_f32_e32 v43, v65, v82
	v_cndmask_b32_e64 v44, 0x7f800000, v44, s31
	v_cmp_nlt_f32_e64 s31, 0x42b17218, v38
	s_delay_alu instid0(VALU_DEP_3) | instskip(NEXT) | instid1(VALU_DEP_2)
	v_exp_f32_e32 v43, v43
	v_add_f32_e32 v42, v42, v44
	s_delay_alu instid0(VALU_DEP_2) | instskip(SKIP_2) | instid1(VALU_DEP_3)
	v_cndmask_b32_e64 v45, 0x7f800000, v45, s31
	v_mul_f32_e32 v44, 0x3fb8aa3b, v41
	v_cmp_ngt_f32_e64 s31, 0xc2ce8ed0, v39
	v_add_f32_e32 v42, v42, v45
	s_delay_alu instid0(VALU_DEP_3) | instskip(NEXT) | instid1(VALU_DEP_3)
	v_fma_f32 v47, 0x3fb8aa3b, v41, -v44
	v_cndmask_b32_e64 v46, 0, v46, s31
	v_cmp_nlt_f32_e64 s31, 0x42b17218, v39
	v_rndne_f32_e32 v48, v44
	s_delay_alu instid0(VALU_DEP_4) | instskip(NEXT) | instid1(VALU_DEP_3)
	v_fmac_f32_e32 v47, 0x32a5705f, v41
	v_cndmask_b32_e64 v45, 0x7f800000, v46, s31
	v_cvt_i32_f32_e32 v46, v86
	s_delay_alu instid0(VALU_DEP_4)
	v_sub_f32_e32 v44, v44, v48
	v_cmp_ngt_f32_e64 s31, 0xc2ce8ed0, v40
	v_cvt_i32_f32_e32 v48, v48
	v_add_f32_e32 v42, v42, v45
	v_ldexp_f32 v43, v43, v46
	v_fma_f32 v45, 0x3fb8aa3b, v11, -v49
	v_rndne_f32_e32 v46, v49
	v_add_f32_e32 v44, v44, v47
	s_delay_alu instid0(VALU_DEP_4) | instskip(NEXT) | instid1(VALU_DEP_4)
	v_cndmask_b32_e64 v43, 0, v43, s31
	v_fmac_f32_e32 v45, 0x32a5705f, v11
	s_delay_alu instid0(VALU_DEP_4) | instskip(SKIP_3) | instid1(VALU_DEP_3)
	v_sub_f32_e32 v47, v49, v46
	v_mul_f32_e32 v49, 0x3fb8aa3b, v12
	v_cmp_nlt_f32_e64 s31, 0x42b17218, v40
	v_exp_f32_e32 v44, v44
	v_add_f32_e32 v45, v47, v45
	s_delay_alu instid0(VALU_DEP_3) | instskip(NEXT) | instid1(VALU_DEP_3)
	v_fma_f32 v47, 0x3fb8aa3b, v12, -v49
	v_cndmask_b32_e64 v43, 0x7f800000, v43, s31
	v_rndne_f32_e32 v50, v49
	v_cmp_ngt_f32_e64 s31, 0xc2ce8ed0, v41
	v_exp_f32_e32 v45, v45
	s_delay_alu instid0(VALU_DEP_3) | instskip(NEXT) | instid1(VALU_DEP_3)
	v_dual_fmac_f32 v47, 0x32a5705f, v12 :: v_dual_add_f32 v42, v42, v43
	v_sub_f32_e32 v49, v49, v50
	s_delay_alu instid0(TRANS32_DEP_2) | instskip(SKIP_2) | instid1(VALU_DEP_4)
	v_ldexp_f32 v43, v44, v48
	v_cvt_i32_f32_e32 v44, v46
	v_rndne_f32_e32 v48, v51
	v_add_f32_e32 v46, v49, v47
	v_fma_f32 v47, 0x3fb8aa3b, v10, -v51
	v_cndmask_b32_e64 v43, 0, v43, s31
	v_cmp_nlt_f32_e64 s31, 0x42b17218, v41
	v_ldexp_f32 v44, v45, v44
	v_exp_f32_e32 v45, v46
	v_dual_fmac_f32 v47, 0x32a5705f, v10 :: v_dual_sub_f32 v46, v51, v48
	s_delay_alu instid0(VALU_DEP_3)
	v_cndmask_b32_e64 v43, 0x7f800000, v43, s31
	v_cmp_ngt_f32_e64 s31, 0xc2ce8ed0, v11
	v_cvt_i32_f32_e32 v49, v50
	v_mul_f32_e32 v50, 0x3fb8aa3b, v6
	v_add_f32_e32 v46, v46, v47
	v_add_f32_e32 v42, v42, v43
	v_cndmask_b32_e64 v44, 0, v44, s31
	v_cmp_nlt_f32_e64 s31, 0x42b17218, v11
	v_ldexp_f32 v43, v45, v49
	v_exp_f32_e32 v45, v46
	v_dual_mul_f32 v46, 0x3fb8aa3b, v9 :: v_dual_mul_f32 v47, 0x3fb8aa3b, v7
	s_delay_alu instid0(VALU_DEP_3) | instskip(SKIP_2) | instid1(VALU_DEP_3)
	v_cndmask_b32_e64 v44, 0x7f800000, v44, s31
	v_cmp_ngt_f32_e64 s31, 0xc2ce8ed0, v12
	v_rndne_f32_e32 v51, v50
	v_add_f32_e32 v42, v42, v44
	s_delay_alu instid0(VALU_DEP_3) | instskip(SKIP_3) | instid1(VALU_DEP_3)
	v_cndmask_b32_e64 v43, 0, v43, s31
	v_cvt_i32_f32_e32 v44, v48
	v_cmp_nlt_f32_e64 s31, 0x42b17218, v12
	v_mul_f32_e32 v48, 0x3fb8aa3b, v8
	v_ldexp_f32 v44, v45, v44
	s_delay_alu instid0(VALU_DEP_3) | instskip(SKIP_3) | instid1(VALU_DEP_4)
	v_cndmask_b32_e64 v43, 0x7f800000, v43, s31
	v_cmp_ngt_f32_e64 s31, 0xc2ce8ed0, v10
	v_rndne_f32_e32 v45, v46
	v_rndne_f32_e32 v49, v48
	v_add_f32_e32 v42, v42, v43
	v_fma_f32 v43, 0x3fb8aa3b, v9, -v46
	v_cndmask_b32_e64 v44, 0, v44, s31
	v_cmp_nlt_f32_e64 s31, 0x42b17218, v10
	v_sub_f32_e32 v46, v46, v45
	v_cvt_i32_f32_e32 v45, v45
	v_fmac_f32_e32 v43, 0x32a5705f, v9
	s_delay_alu instid0(VALU_DEP_4) | instskip(SKIP_1) | instid1(VALU_DEP_3)
	v_cndmask_b32_e64 v44, 0x7f800000, v44, s31
	v_cmp_ngt_f32_e64 s31, 0xc2ce8ed0, v9
	v_add_f32_e32 v43, v46, v43
	v_rndne_f32_e32 v46, v47
	s_delay_alu instid0(VALU_DEP_4) | instskip(SKIP_1) | instid1(VALU_DEP_4)
	v_add_f32_e32 v42, v42, v44
	v_fma_f32 v44, 0x3fb8aa3b, v7, -v47
	v_exp_f32_e32 v43, v43
	s_delay_alu instid0(VALU_DEP_3) | instskip(SKIP_1) | instid1(VALU_DEP_3)
	v_sub_f32_e32 v30, v47, v46
	v_fma_f32 v47, 0x3fb8aa3b, v8, -v48
	v_fmac_f32_e32 v44, 0x32a5705f, v7
	v_cvt_i32_f32_e32 v46, v46
	s_delay_alu instid0(VALU_DEP_3) | instskip(NEXT) | instid1(VALU_DEP_3)
	v_fmac_f32_e32 v47, 0x32a5705f, v8
	v_add_f32_e32 v30, v30, v44
	v_sub_f32_e32 v44, v48, v49
	s_delay_alu instid0(TRANS32_DEP_1)
	v_ldexp_f32 v43, v43, v45
	v_fma_f32 v48, 0x3fb8aa3b, v6, -v50
	v_sub_f32_e32 v45, v50, v51
	v_exp_f32_e32 v30, v30
	v_add_f32_e32 v44, v44, v47
	v_cndmask_b32_e64 v43, 0, v43, s31
	v_cmp_nlt_f32_e64 s31, 0x42b17218, v9
	v_fmac_f32_e32 v48, 0x32a5705f, v6
	s_delay_alu instid0(VALU_DEP_4) | instskip(NEXT) | instid1(VALU_DEP_2)
	v_exp_f32_e32 v44, v44
	v_cndmask_b32_e64 v43, 0x7f800000, v43, s31
	s_delay_alu instid0(VALU_DEP_2) | instskip(NEXT) | instid1(TRANS32_DEP_2)
	v_add_f32_e32 v45, v45, v48
	v_ldexp_f32 v30, v30, v46
	v_cmp_ngt_f32_e64 s31, 0xc2ce8ed0, v7
	v_cvt_i32_f32_e32 v46, v49
	v_add_f32_e32 v42, v42, v43
	v_exp_f32_e32 v45, v45
	s_delay_alu instid0(VALU_DEP_3) | instskip(SKIP_3) | instid1(VALU_DEP_3)
	v_cndmask_b32_e64 v30, 0, v30, s31
	v_cmp_nlt_f32_e64 s31, 0x42b17218, v7
	v_ldexp_f32 v43, v44, v46
	v_cvt_i32_f32_e32 v44, v51
	v_cndmask_b32_e64 v30, 0x7f800000, v30, s31
	v_cmp_ngt_f32_e64 s31, 0xc2ce8ed0, v8
	s_delay_alu instid0(TRANS32_DEP_1) | instid1(VALU_DEP_3)
	v_ldexp_f32 v44, v45, v44
	s_delay_alu instid0(VALU_DEP_3) | instskip(NEXT) | instid1(VALU_DEP_3)
	v_add_f32_e32 v30, v42, v30
	v_cndmask_b32_e64 v43, 0, v43, s31
	v_cmp_nlt_f32_e64 s31, 0x42b17218, v8
	s_delay_alu instid0(VALU_DEP_1) | instskip(SKIP_1) | instid1(VALU_DEP_2)
	v_cndmask_b32_e64 v42, 0x7f800000, v43, s31
	v_cmp_ngt_f32_e64 s31, 0xc2ce8ed0, v6
	v_add_f32_e32 v30, v30, v42
	s_delay_alu instid0(VALU_DEP_2) | instskip(SKIP_1) | instid1(VALU_DEP_1)
	v_cndmask_b32_e64 v43, 0, v44, s31
	v_cmp_nlt_f32_e64 s31, 0x42b17218, v6
	v_cndmask_b32_e64 v42, 0x7f800000, v43, s31
	s_delay_alu instid0(VALU_DEP_1)
	v_add_f32_e32 v30, v30, v42
	ds_bpermute_b32 v2, v2, v30
	s_waitcnt lgkmcnt(0)
	v_add_f32_e32 v2, v30, v2
	ds_bpermute_b32 v3, v3, v2
	s_waitcnt lgkmcnt(0)
	v_add_f32_e32 v2, v2, v3
	ds_bpermute_b32 v3, v14, v2
	s_waitcnt lgkmcnt(0)
	v_add_f32_e32 v2, v2, v3
	ds_bpermute_b32 v3, v16, v2
	s_waitcnt lgkmcnt(0)
	v_add_f32_e32 v2, v2, v3
	ds_bpermute_b32 v3, v18, v2
	s_waitcnt lgkmcnt(0)
	v_add_f32_e32 v2, v2, v3
	ds_bpermute_b32 v3, v20, v2
	v_cmpx_lt_i32_e32 0, v5
	s_cbranch_execz .LBB92_98
; %bb.65:
	s_and_b32 exec_lo, exec_lo, s1
	s_cbranch_execz .LBB92_98
; %bb.66:
	s_waitcnt lgkmcnt(0)
	v_add_f32_e32 v2, v2, v3
	s_delay_alu instid0(VALU_DEP_1) | instskip(NEXT) | instid1(VALU_DEP_1)
	v_cmp_gt_f32_e64 s1, 0x800000, v2
	v_cndmask_b32_e64 v3, 1.0, 0x4f800000, s1
	s_delay_alu instid0(VALU_DEP_1) | instskip(NEXT) | instid1(VALU_DEP_1)
	v_mul_f32_e32 v2, v2, v3
	v_log_f32_e32 v2, v2
	s_waitcnt_depctr 0xfff
	v_mul_f32_e32 v3, 0x3f317217, v2
	v_cmp_gt_f32_e64 s31, 0x7f800000, |v2|
	s_delay_alu instid0(VALU_DEP_2) | instskip(NEXT) | instid1(VALU_DEP_1)
	v_fma_f32 v5, 0x3f317217, v2, -v3
	v_fmamk_f32 v5, v2, 0x3377d1cf, v5
	s_delay_alu instid0(VALU_DEP_1) | instskip(NEXT) | instid1(VALU_DEP_1)
	v_add_f32_e32 v3, v3, v5
	v_cndmask_b32_e64 v2, v2, v3, s31
	v_cndmask_b32_e64 v3, 0, 0x41b17218, s1
	v_add_co_u32 v0, s1, s36, v0
	s_delay_alu instid0(VALU_DEP_1) | instskip(NEXT) | instid1(VALU_DEP_3)
	v_add_co_ci_u32_e64 v1, s1, s37, v1, s1
	v_sub_f32_e32 v2, v2, v3
	s_delay_alu instid0(VALU_DEP_1) | instskip(NEXT) | instid1(VALU_DEP_1)
	v_sub_f32_e32 v3, v4, v2
	v_cvt_f16_f32_e32 v3, v3
	global_store_b16 v[0:1], v3, off
	s_and_b32 exec_lo, exec_lo, vcc_lo
	s_cbranch_execz .LBB92_98
; %bb.67:
	v_sub_f32_e32 v3, v13, v2
	s_delay_alu instid0(VALU_DEP_1)
	v_cvt_f16_f32_e32 v3, v3
	global_store_b16 v[0:1], v3, off offset:128
	s_and_b32 exec_lo, exec_lo, s0
	s_cbranch_execz .LBB92_98
; %bb.68:
	v_sub_f32_e32 v3, v15, v2
	s_delay_alu instid0(VALU_DEP_1)
	v_cvt_f16_f32_e32 v3, v3
	global_store_b16 v[0:1], v3, off offset:256
	s_and_b32 exec_lo, exec_lo, s2
	;; [unrolled: 7-line block ×30, first 2 shown]
	s_cbranch_execz .LBB92_98
; %bb.97:
	v_sub_f32_e32 v2, v6, v2
	s_delay_alu instid0(VALU_DEP_1)
	v_cvt_f16_f32_e32 v2, v2
	global_store_b16 v[0:1], v2, off offset:3968
.LBB92_98:
	s_nop 0
	s_sendmsg sendmsg(MSG_DEALLOC_VGPRS)
	s_endpgm
	.section	.rodata,"a",@progbits
	.p2align	6, 0x0
	.amdhsa_kernel _ZN12_GLOBAL__N_120softmax_warp_forwardIN3c104HalfES2_fLi11ELb1ELb0ELi64EEEvPT0_PKT_iiiPKbib
		.amdhsa_group_segment_fixed_size 0
		.amdhsa_private_segment_fixed_size 0
		.amdhsa_kernarg_size 304
		.amdhsa_user_sgpr_count 15
		.amdhsa_user_sgpr_dispatch_ptr 0
		.amdhsa_user_sgpr_queue_ptr 0
		.amdhsa_user_sgpr_kernarg_segment_ptr 1
		.amdhsa_user_sgpr_dispatch_id 0
		.amdhsa_user_sgpr_private_segment_size 0
		.amdhsa_wavefront_size32 1
		.amdhsa_uses_dynamic_stack 0
		.amdhsa_enable_private_segment 0
		.amdhsa_system_sgpr_workgroup_id_x 1
		.amdhsa_system_sgpr_workgroup_id_y 0
		.amdhsa_system_sgpr_workgroup_id_z 0
		.amdhsa_system_sgpr_workgroup_info 0
		.amdhsa_system_vgpr_workitem_id 1
		.amdhsa_next_free_vgpr 94
		.amdhsa_next_free_sgpr 44
		.amdhsa_reserve_vcc 1
		.amdhsa_float_round_mode_32 0
		.amdhsa_float_round_mode_16_64 0
		.amdhsa_float_denorm_mode_32 3
		.amdhsa_float_denorm_mode_16_64 3
		.amdhsa_dx10_clamp 1
		.amdhsa_ieee_mode 1
		.amdhsa_fp16_overflow 0
		.amdhsa_workgroup_processor_mode 1
		.amdhsa_memory_ordered 1
		.amdhsa_forward_progress 0
		.amdhsa_shared_vgpr_count 0
		.amdhsa_exception_fp_ieee_invalid_op 0
		.amdhsa_exception_fp_denorm_src 0
		.amdhsa_exception_fp_ieee_div_zero 0
		.amdhsa_exception_fp_ieee_overflow 0
		.amdhsa_exception_fp_ieee_underflow 0
		.amdhsa_exception_fp_ieee_inexact 0
		.amdhsa_exception_int_div_zero 0
	.end_amdhsa_kernel
	.section	.text._ZN12_GLOBAL__N_120softmax_warp_forwardIN3c104HalfES2_fLi11ELb1ELb0ELi64EEEvPT0_PKT_iiiPKbib,"axG",@progbits,_ZN12_GLOBAL__N_120softmax_warp_forwardIN3c104HalfES2_fLi11ELb1ELb0ELi64EEEvPT0_PKT_iiiPKbib,comdat
.Lfunc_end92:
	.size	_ZN12_GLOBAL__N_120softmax_warp_forwardIN3c104HalfES2_fLi11ELb1ELb0ELi64EEEvPT0_PKT_iiiPKbib, .Lfunc_end92-_ZN12_GLOBAL__N_120softmax_warp_forwardIN3c104HalfES2_fLi11ELb1ELb0ELi64EEEvPT0_PKT_iiiPKbib
                                        ; -- End function
	.section	.AMDGPU.csdata,"",@progbits
; Kernel info:
; codeLenInByte = 7880
; NumSgprs: 46
; NumVgprs: 94
; ScratchSize: 0
; MemoryBound: 0
; FloatMode: 240
; IeeeMode: 1
; LDSByteSize: 0 bytes/workgroup (compile time only)
; SGPRBlocks: 5
; VGPRBlocks: 11
; NumSGPRsForWavesPerEU: 46
; NumVGPRsForWavesPerEU: 94
; Occupancy: 16
; WaveLimiterHint : 0
; COMPUTE_PGM_RSRC2:SCRATCH_EN: 0
; COMPUTE_PGM_RSRC2:USER_SGPR: 15
; COMPUTE_PGM_RSRC2:TRAP_HANDLER: 0
; COMPUTE_PGM_RSRC2:TGID_X_EN: 1
; COMPUTE_PGM_RSRC2:TGID_Y_EN: 0
; COMPUTE_PGM_RSRC2:TGID_Z_EN: 0
; COMPUTE_PGM_RSRC2:TIDIG_COMP_CNT: 1
	.section	.text._ZN12_GLOBAL__N_120softmax_warp_forwardIN3c104HalfES2_fLi11ELb1ELb0ELi32EEEvPT0_PKT_iiiPKbib,"axG",@progbits,_ZN12_GLOBAL__N_120softmax_warp_forwardIN3c104HalfES2_fLi11ELb1ELb0ELi32EEEvPT0_PKT_iiiPKbib,comdat
	.globl	_ZN12_GLOBAL__N_120softmax_warp_forwardIN3c104HalfES2_fLi11ELb1ELb0ELi32EEEvPT0_PKT_iiiPKbib ; -- Begin function _ZN12_GLOBAL__N_120softmax_warp_forwardIN3c104HalfES2_fLi11ELb1ELb0ELi32EEEvPT0_PKT_iiiPKbib
	.p2align	8
	.type	_ZN12_GLOBAL__N_120softmax_warp_forwardIN3c104HalfES2_fLi11ELb1ELb0ELi32EEEvPT0_PKT_iiiPKbib,@function
_ZN12_GLOBAL__N_120softmax_warp_forwardIN3c104HalfES2_fLi11ELb1ELb0ELi32EEEvPT0_PKT_iiiPKbib: ; @_ZN12_GLOBAL__N_120softmax_warp_forwardIN3c104HalfES2_fLi11ELb1ELb0ELi32EEEvPT0_PKT_iiiPKbib
; %bb.0:
	s_clause 0x1
	s_load_b32 s2, s[0:1], 0x3c
	s_load_b256 s[68:75], s[0:1], 0x0
	v_bfe_u32 v1, v0, 10, 10
	v_mov_b32_e32 v15, 0xff800000
	v_mov_b32_e32 v73, 0xff800000
	s_waitcnt lgkmcnt(0)
	s_lshr_b32 s0, s2, 16
	s_delay_alu instid0(SALU_CYCLE_1) | instskip(SKIP_1) | instid1(VALU_DEP_1)
	v_mad_u64_u32 v[3:4], null, s15, s0, v[1:2]
	v_and_b32_e32 v2, 0x3ff, v0
	v_cmp_gt_i32_e64 s1, s74, v2
	s_delay_alu instid0(VALU_DEP_3) | instskip(SKIP_1) | instid1(VALU_DEP_1)
	v_mad_u64_u32 v[0:1], null, v3, s73, v[2:3]
	v_sub_nc_u32_e32 v5, s72, v3
	v_cmp_lt_i32_e64 s64, 0, v5
	s_delay_alu instid0(VALU_DEP_3) | instskip(NEXT) | instid1(VALU_DEP_2)
	v_ashrrev_i32_e32 v1, 31, v0
	s_and_b32 s2, s64, s1
	s_delay_alu instid0(VALU_DEP_1) | instskip(NEXT) | instid1(VALU_DEP_1)
	v_lshlrev_b64 v[0:1], 1, v[0:1]
	v_add_co_u32 v3, vcc_lo, s70, v0
	s_delay_alu instid0(VALU_DEP_2)
	v_add_co_ci_u32_e32 v4, vcc_lo, s71, v1, vcc_lo
	s_and_saveexec_b32 s0, s2
	s_cbranch_execz .LBB93_2
; %bb.1:
	global_load_u16 v6, v[3:4], off
	s_waitcnt vmcnt(0)
	v_cvt_f32_f16_e32 v73, v6
.LBB93_2:
	s_or_b32 exec_lo, exec_lo, s0
	v_add_nc_u32_e32 v6, 32, v2
	s_delay_alu instid0(VALU_DEP_1) | instskip(SKIP_1) | instid1(SALU_CYCLE_1)
	v_cmp_gt_i32_e32 vcc_lo, s74, v6
	s_and_b32 s2, s64, vcc_lo
	s_and_saveexec_b32 s0, s2
	s_cbranch_execz .LBB93_4
; %bb.3:
	global_load_u16 v6, v[3:4], off offset:64
	s_waitcnt vmcnt(0)
	v_cvt_f32_f16_e32 v15, v6
.LBB93_4:
	s_or_b32 exec_lo, exec_lo, s0
	v_dual_mov_b32 v19, 0xff800000 :: v_dual_add_nc_u32 v6, 64, v2
	v_mov_b32_e32 v20, 0xff800000
	s_delay_alu instid0(VALU_DEP_2) | instskip(NEXT) | instid1(VALU_DEP_1)
	v_cmp_gt_i32_e64 s0, s74, v6
	s_and_b32 s3, s64, s0
	s_delay_alu instid0(SALU_CYCLE_1)
	s_and_saveexec_b32 s2, s3
	s_cbranch_execz .LBB93_6
; %bb.5:
	global_load_u16 v6, v[3:4], off offset:128
	s_waitcnt vmcnt(0)
	v_cvt_f32_f16_e32 v19, v6
.LBB93_6:
	s_or_b32 exec_lo, exec_lo, s2
	v_add_nc_u32_e32 v6, 0x60, v2
	s_delay_alu instid0(VALU_DEP_1) | instskip(NEXT) | instid1(VALU_DEP_1)
	v_cmp_gt_i32_e64 s2, s74, v6
	s_and_b32 s4, s64, s2
	s_delay_alu instid0(SALU_CYCLE_1)
	s_and_saveexec_b32 s3, s4
	s_cbranch_execz .LBB93_8
; %bb.7:
	global_load_u16 v6, v[3:4], off offset:192
	s_waitcnt vmcnt(0)
	v_cvt_f32_f16_e32 v20, v6
.LBB93_8:
	s_or_b32 exec_lo, exec_lo, s3
	v_add_nc_u32_e32 v6, 0x80, v2
	v_dual_mov_b32 v26, 0xff800000 :: v_dual_mov_b32 v23, 0xff800000
	s_delay_alu instid0(VALU_DEP_2) | instskip(NEXT) | instid1(VALU_DEP_1)
	v_cmp_gt_i32_e64 s3, s74, v6
	s_and_b32 s5, s64, s3
	s_delay_alu instid0(SALU_CYCLE_1)
	s_and_saveexec_b32 s4, s5
	s_cbranch_execz .LBB93_10
; %bb.9:
	global_load_u16 v6, v[3:4], off offset:256
	s_waitcnt vmcnt(0)
	v_cvt_f32_f16_e32 v23, v6
.LBB93_10:
	s_or_b32 exec_lo, exec_lo, s4
	v_add_nc_u32_e32 v6, 0xa0, v2
	s_delay_alu instid0(VALU_DEP_1) | instskip(NEXT) | instid1(VALU_DEP_1)
	v_cmp_gt_i32_e64 s4, s74, v6
	s_and_b32 s6, s64, s4
	s_delay_alu instid0(SALU_CYCLE_1)
	s_and_saveexec_b32 s5, s6
	s_cbranch_execz .LBB93_12
; %bb.11:
	global_load_u16 v6, v[3:4], off offset:320
	s_waitcnt vmcnt(0)
	v_cvt_f32_f16_e32 v26, v6
.LBB93_12:
	s_or_b32 exec_lo, exec_lo, s5
	v_add_nc_u32_e32 v6, 0xc0, v2
	v_dual_mov_b32 v31, 0xff800000 :: v_dual_mov_b32 v28, 0xff800000
	;; [unrolled: 27-line block ×13, first 2 shown]
	s_delay_alu instid0(VALU_DEP_2) | instskip(NEXT) | instid1(VALU_DEP_1)
	v_cmp_gt_i32_e64 s27, s74, v6
	s_and_b32 s29, s64, s27
	s_delay_alu instid0(SALU_CYCLE_1)
	s_and_saveexec_b32 s28, s29
	s_cbranch_execz .LBB93_58
; %bb.57:
	global_load_u16 v6, v[3:4], off offset:1792
	s_waitcnt vmcnt(0)
	v_cvt_f32_f16_e32 v68, v6
.LBB93_58:
	s_or_b32 exec_lo, exec_lo, s28
	v_add_nc_u32_e32 v6, 0x3a0, v2
	s_delay_alu instid0(VALU_DEP_1) | instskip(NEXT) | instid1(VALU_DEP_1)
	v_cmp_gt_i32_e64 s28, s74, v6
	s_and_b32 s30, s64, s28
	s_delay_alu instid0(SALU_CYCLE_1)
	s_and_saveexec_b32 s29, s30
	s_cbranch_execz .LBB93_60
; %bb.59:
	global_load_u16 v6, v[3:4], off offset:1856
	s_waitcnt vmcnt(0)
	v_cvt_f32_f16_e32 v69, v6
.LBB93_60:
	s_or_b32 exec_lo, exec_lo, s29
	v_add_nc_u32_e32 v6, 0x3c0, v2
	v_mov_b32_e32 v72, 0xff800000
	v_mov_b32_e32 v70, 0xff800000
	s_delay_alu instid0(VALU_DEP_3) | instskip(NEXT) | instid1(VALU_DEP_1)
	v_cmp_gt_i32_e64 s29, s74, v6
	s_and_b32 s31, s64, s29
	s_delay_alu instid0(SALU_CYCLE_1)
	s_and_saveexec_b32 s30, s31
	s_cbranch_execz .LBB93_62
; %bb.61:
	global_load_u16 v6, v[3:4], off offset:1920
	s_waitcnt vmcnt(0)
	v_cvt_f32_f16_e32 v70, v6
.LBB93_62:
	s_or_b32 exec_lo, exec_lo, s30
	v_add_nc_u32_e32 v6, 0x3e0, v2
	s_delay_alu instid0(VALU_DEP_1) | instskip(NEXT) | instid1(VALU_DEP_1)
	v_cmp_gt_i32_e64 s30, s74, v6
	s_and_b32 s33, s64, s30
	s_delay_alu instid0(SALU_CYCLE_1)
	s_and_saveexec_b32 s31, s33
	s_cbranch_execz .LBB93_64
; %bb.63:
	global_load_u16 v6, v[3:4], off offset:1984
	s_waitcnt vmcnt(0)
	v_cvt_f32_f16_e32 v72, v6
.LBB93_64:
	s_or_b32 exec_lo, exec_lo, s31
	v_or_b32_e32 v6, 0x400, v2
	v_mov_b32_e32 v63, 0xff800000
	v_mov_b32_e32 v71, 0xff800000
	s_delay_alu instid0(VALU_DEP_3) | instskip(NEXT) | instid1(VALU_DEP_1)
	v_cmp_gt_i32_e64 s31, s74, v6
	s_and_b32 s34, s64, s31
	s_delay_alu instid0(SALU_CYCLE_1)
	s_and_saveexec_b32 s33, s34
	s_cbranch_execz .LBB93_66
; %bb.65:
	global_load_u16 v6, v[3:4], off offset:2048
	s_waitcnt vmcnt(0)
	v_cvt_f32_f16_e32 v71, v6
.LBB93_66:
	s_or_b32 exec_lo, exec_lo, s33
	v_add_nc_u32_e32 v6, 0x420, v2
	s_delay_alu instid0(VALU_DEP_1) | instskip(NEXT) | instid1(VALU_DEP_1)
	v_cmp_gt_i32_e64 s33, s74, v6
	s_and_b32 s35, s64, s33
	s_delay_alu instid0(SALU_CYCLE_1)
	s_and_saveexec_b32 s34, s35
	s_cbranch_execz .LBB93_68
; %bb.67:
	global_load_u16 v6, v[3:4], off offset:2112
	s_waitcnt vmcnt(0)
	v_cvt_f32_f16_e32 v63, v6
.LBB93_68:
	s_or_b32 exec_lo, exec_lo, s34
	v_add_nc_u32_e32 v6, 0x440, v2
	v_dual_mov_b32 v57, 0xff800000 :: v_dual_mov_b32 v62, 0xff800000
	s_delay_alu instid0(VALU_DEP_2) | instskip(NEXT) | instid1(VALU_DEP_1)
	v_cmp_gt_i32_e64 s34, s74, v6
	s_and_b32 s36, s64, s34
	s_delay_alu instid0(SALU_CYCLE_1)
	s_and_saveexec_b32 s35, s36
	s_cbranch_execz .LBB93_70
; %bb.69:
	global_load_u16 v6, v[3:4], off offset:2176
	s_waitcnt vmcnt(0)
	v_cvt_f32_f16_e32 v62, v6
.LBB93_70:
	s_or_b32 exec_lo, exec_lo, s35
	v_add_nc_u32_e32 v6, 0x460, v2
	s_delay_alu instid0(VALU_DEP_1) | instskip(NEXT) | instid1(VALU_DEP_1)
	v_cmp_gt_i32_e64 s35, s74, v6
	s_and_b32 s37, s64, s35
	s_delay_alu instid0(SALU_CYCLE_1)
	s_and_saveexec_b32 s36, s37
	s_cbranch_execz .LBB93_72
; %bb.71:
	global_load_u16 v6, v[3:4], off offset:2240
	s_waitcnt vmcnt(0)
	v_cvt_f32_f16_e32 v57, v6
.LBB93_72:
	s_or_b32 exec_lo, exec_lo, s36
	v_add_nc_u32_e32 v6, 0x480, v2
	v_dual_mov_b32 v53, 0xff800000 :: v_dual_mov_b32 v58, 0xff800000
	s_delay_alu instid0(VALU_DEP_2) | instskip(NEXT) | instid1(VALU_DEP_1)
	;; [unrolled: 27-line block ×4, first 2 shown]
	v_cmp_gt_i32_e64 s40, s74, v6
	s_and_b32 s42, s64, s40
	s_delay_alu instid0(SALU_CYCLE_1)
	s_and_saveexec_b32 s41, s42
	s_cbranch_execz .LBB93_82
; %bb.81:
	global_load_u16 v6, v[3:4], off offset:2560
	s_waitcnt vmcnt(0)
	v_cvt_f32_f16_e32 v48, v6
.LBB93_82:
	s_or_b32 exec_lo, exec_lo, s41
	v_add_nc_u32_e32 v6, 0x520, v2
	s_delay_alu instid0(VALU_DEP_1) | instskip(NEXT) | instid1(VALU_DEP_1)
	v_cmp_gt_i32_e64 s41, s74, v6
	s_and_b32 s43, s64, s41
	s_delay_alu instid0(SALU_CYCLE_1)
	s_and_saveexec_b32 s42, s43
	s_cbranch_execz .LBB93_84
; %bb.83:
	global_load_u16 v6, v[3:4], off offset:2624
	s_waitcnt vmcnt(0)
	v_cvt_f32_f16_e32 v43, v6
.LBB93_84:
	s_or_b32 exec_lo, exec_lo, s42
	v_add_nc_u32_e32 v6, 0x540, v2
	v_mov_b32_e32 v40, 0xff800000
	v_mov_b32_e32 v44, 0xff800000
	s_delay_alu instid0(VALU_DEP_3) | instskip(NEXT) | instid1(VALU_DEP_1)
	v_cmp_gt_i32_e64 s42, s74, v6
	s_and_b32 s44, s64, s42
	s_delay_alu instid0(SALU_CYCLE_1)
	s_and_saveexec_b32 s43, s44
	s_cbranch_execz .LBB93_86
; %bb.85:
	global_load_u16 v6, v[3:4], off offset:2688
	s_waitcnt vmcnt(0)
	v_cvt_f32_f16_e32 v44, v6
.LBB93_86:
	s_or_b32 exec_lo, exec_lo, s43
	v_add_nc_u32_e32 v6, 0x560, v2
	s_delay_alu instid0(VALU_DEP_1) | instskip(NEXT) | instid1(VALU_DEP_1)
	v_cmp_gt_i32_e64 s43, s74, v6
	s_and_b32 s45, s64, s43
	s_delay_alu instid0(SALU_CYCLE_1)
	s_and_saveexec_b32 s44, s45
	s_cbranch_execz .LBB93_88
; %bb.87:
	global_load_u16 v6, v[3:4], off offset:2752
	s_waitcnt vmcnt(0)
	v_cvt_f32_f16_e32 v40, v6
.LBB93_88:
	s_or_b32 exec_lo, exec_lo, s44
	v_add_nc_u32_e32 v6, 0x580, v2
	v_mov_b32_e32 v37, 0xff800000
	v_mov_b32_e32 v39, 0xff800000
	s_delay_alu instid0(VALU_DEP_3) | instskip(NEXT) | instid1(VALU_DEP_1)
	v_cmp_gt_i32_e64 s44, s74, v6
	s_and_b32 s46, s64, s44
	s_delay_alu instid0(SALU_CYCLE_1)
	s_and_saveexec_b32 s45, s46
	s_cbranch_execz .LBB93_90
; %bb.89:
	global_load_u16 v6, v[3:4], off offset:2816
	s_waitcnt vmcnt(0)
	v_cvt_f32_f16_e32 v39, v6
.LBB93_90:
	s_or_b32 exec_lo, exec_lo, s45
	v_add_nc_u32_e32 v6, 0x5a0, v2
	s_delay_alu instid0(VALU_DEP_1) | instskip(NEXT) | instid1(VALU_DEP_1)
	v_cmp_gt_i32_e64 s45, s74, v6
	s_and_b32 s47, s64, s45
	s_delay_alu instid0(SALU_CYCLE_1)
	s_and_saveexec_b32 s46, s47
	s_cbranch_execz .LBB93_92
; %bb.91:
	global_load_u16 v6, v[3:4], off offset:2880
	s_waitcnt vmcnt(0)
	v_cvt_f32_f16_e32 v37, v6
.LBB93_92:
	s_or_b32 exec_lo, exec_lo, s46
	v_add_nc_u32_e32 v6, 0x5c0, v2
	v_dual_mov_b32 v33, 0xff800000 :: v_dual_mov_b32 v36, 0xff800000
	s_delay_alu instid0(VALU_DEP_2) | instskip(NEXT) | instid1(VALU_DEP_1)
	v_cmp_gt_i32_e64 s46, s74, v6
	s_and_b32 s48, s64, s46
	s_delay_alu instid0(SALU_CYCLE_1)
	s_and_saveexec_b32 s47, s48
	s_cbranch_execz .LBB93_94
; %bb.93:
	global_load_u16 v6, v[3:4], off offset:2944
	s_waitcnt vmcnt(0)
	v_cvt_f32_f16_e32 v36, v6
.LBB93_94:
	s_or_b32 exec_lo, exec_lo, s47
	v_add_nc_u32_e32 v6, 0x5e0, v2
	s_delay_alu instid0(VALU_DEP_1) | instskip(NEXT) | instid1(VALU_DEP_1)
	v_cmp_gt_i32_e64 s47, s74, v6
	s_and_b32 s49, s64, s47
	s_delay_alu instid0(SALU_CYCLE_1)
	s_and_saveexec_b32 s48, s49
	s_cbranch_execz .LBB93_96
; %bb.95:
	global_load_u16 v6, v[3:4], off offset:3008
	s_waitcnt vmcnt(0)
	v_cvt_f32_f16_e32 v33, v6
.LBB93_96:
	s_or_b32 exec_lo, exec_lo, s48
	v_add_nc_u32_e32 v6, 0x600, v2
	v_mov_b32_e32 v30, 0xff800000
	v_mov_b32_e32 v34, 0xff800000
	s_delay_alu instid0(VALU_DEP_3) | instskip(NEXT) | instid1(VALU_DEP_1)
	v_cmp_gt_i32_e64 s48, s74, v6
	s_and_b32 s50, s64, s48
	s_delay_alu instid0(SALU_CYCLE_1)
	s_and_saveexec_b32 s49, s50
	s_cbranch_execz .LBB93_98
; %bb.97:
	global_load_u16 v6, v[3:4], off offset:3072
	s_waitcnt vmcnt(0)
	v_cvt_f32_f16_e32 v34, v6
.LBB93_98:
	s_or_b32 exec_lo, exec_lo, s49
	v_add_nc_u32_e32 v6, 0x620, v2
	s_delay_alu instid0(VALU_DEP_1) | instskip(NEXT) | instid1(VALU_DEP_1)
	v_cmp_gt_i32_e64 s49, s74, v6
	s_and_b32 s51, s64, s49
	s_delay_alu instid0(SALU_CYCLE_1)
	s_and_saveexec_b32 s50, s51
	s_cbranch_execz .LBB93_100
; %bb.99:
	global_load_u16 v6, v[3:4], off offset:3136
	s_waitcnt vmcnt(0)
	v_cvt_f32_f16_e32 v30, v6
.LBB93_100:
	s_or_b32 exec_lo, exec_lo, s50
	v_add_nc_u32_e32 v6, 0x640, v2
	v_mov_b32_e32 v27, 0xff800000
	v_mov_b32_e32 v29, 0xff800000
	s_delay_alu instid0(VALU_DEP_3) | instskip(NEXT) | instid1(VALU_DEP_1)
	v_cmp_gt_i32_e64 s50, s74, v6
	s_and_b32 s52, s64, s50
	s_delay_alu instid0(SALU_CYCLE_1)
	s_and_saveexec_b32 s51, s52
	s_cbranch_execz .LBB93_102
; %bb.101:
	global_load_u16 v6, v[3:4], off offset:3200
	s_waitcnt vmcnt(0)
	v_cvt_f32_f16_e32 v29, v6
.LBB93_102:
	s_or_b32 exec_lo, exec_lo, s51
	v_add_nc_u32_e32 v6, 0x660, v2
	s_delay_alu instid0(VALU_DEP_1) | instskip(NEXT) | instid1(VALU_DEP_1)
	v_cmp_gt_i32_e64 s51, s74, v6
	s_and_b32 s53, s64, s51
	s_delay_alu instid0(SALU_CYCLE_1)
	s_and_saveexec_b32 s52, s53
	s_cbranch_execz .LBB93_104
; %bb.103:
	global_load_u16 v6, v[3:4], off offset:3264
	s_waitcnt vmcnt(0)
	v_cvt_f32_f16_e32 v27, v6
.LBB93_104:
	s_or_b32 exec_lo, exec_lo, s52
	v_add_nc_u32_e32 v6, 0x680, v2
	v_mov_b32_e32 v21, 0xff800000
	v_mov_b32_e32 v25, 0xff800000
	s_delay_alu instid0(VALU_DEP_3) | instskip(NEXT) | instid1(VALU_DEP_1)
	v_cmp_gt_i32_e64 s52, s74, v6
	s_and_b32 s54, s64, s52
	s_delay_alu instid0(SALU_CYCLE_1)
	s_and_saveexec_b32 s53, s54
	s_cbranch_execz .LBB93_106
; %bb.105:
	global_load_u16 v6, v[3:4], off offset:3328
	s_waitcnt vmcnt(0)
	v_cvt_f32_f16_e32 v25, v6
.LBB93_106:
	s_or_b32 exec_lo, exec_lo, s53
	v_add_nc_u32_e32 v6, 0x6a0, v2
	s_delay_alu instid0(VALU_DEP_1) | instskip(NEXT) | instid1(VALU_DEP_1)
	v_cmp_gt_i32_e64 s53, s74, v6
	s_and_b32 s55, s64, s53
	s_delay_alu instid0(SALU_CYCLE_1)
	s_and_saveexec_b32 s54, s55
	s_cbranch_execz .LBB93_108
; %bb.107:
	global_load_u16 v6, v[3:4], off offset:3392
	s_waitcnt vmcnt(0)
	v_cvt_f32_f16_e32 v21, v6
.LBB93_108:
	s_or_b32 exec_lo, exec_lo, s54
	v_add_nc_u32_e32 v6, 0x6c0, v2
	v_dual_mov_b32 v17, 0xff800000 :: v_dual_mov_b32 v22, 0xff800000
	s_delay_alu instid0(VALU_DEP_2) | instskip(NEXT) | instid1(VALU_DEP_1)
	v_cmp_gt_i32_e64 s54, s74, v6
	s_and_b32 s56, s64, s54
	s_delay_alu instid0(SALU_CYCLE_1)
	s_and_saveexec_b32 s55, s56
	s_cbranch_execz .LBB93_110
; %bb.109:
	global_load_u16 v6, v[3:4], off offset:3456
	s_waitcnt vmcnt(0)
	v_cvt_f32_f16_e32 v22, v6
.LBB93_110:
	s_or_b32 exec_lo, exec_lo, s55
	v_add_nc_u32_e32 v6, 0x6e0, v2
	s_delay_alu instid0(VALU_DEP_1) | instskip(NEXT) | instid1(VALU_DEP_1)
	v_cmp_gt_i32_e64 s55, s74, v6
	s_and_b32 s57, s64, s55
	s_delay_alu instid0(SALU_CYCLE_1)
	s_and_saveexec_b32 s56, s57
	s_cbranch_execz .LBB93_112
; %bb.111:
	global_load_u16 v6, v[3:4], off offset:3520
	s_waitcnt vmcnt(0)
	v_cvt_f32_f16_e32 v17, v6
.LBB93_112:
	s_or_b32 exec_lo, exec_lo, s56
	v_add_nc_u32_e32 v6, 0x700, v2
	v_mov_b32_e32 v12, 0xff800000
	v_mov_b32_e32 v16, 0xff800000
	s_delay_alu instid0(VALU_DEP_3) | instskip(NEXT) | instid1(VALU_DEP_1)
	v_cmp_gt_i32_e64 s56, s74, v6
	s_and_b32 s58, s64, s56
	s_delay_alu instid0(SALU_CYCLE_1)
	s_and_saveexec_b32 s57, s58
	s_cbranch_execz .LBB93_114
; %bb.113:
	global_load_u16 v6, v[3:4], off offset:3584
	s_waitcnt vmcnt(0)
	v_cvt_f32_f16_e32 v16, v6
.LBB93_114:
	s_or_b32 exec_lo, exec_lo, s57
	v_add_nc_u32_e32 v6, 0x720, v2
	s_delay_alu instid0(VALU_DEP_1) | instskip(NEXT) | instid1(VALU_DEP_1)
	v_cmp_gt_i32_e64 s57, s74, v6
	s_and_b32 s59, s64, s57
	s_delay_alu instid0(SALU_CYCLE_1)
	s_and_saveexec_b32 s58, s59
	s_cbranch_execz .LBB93_116
; %bb.115:
	global_load_u16 v6, v[3:4], off offset:3648
	s_waitcnt vmcnt(0)
	v_cvt_f32_f16_e32 v12, v6
.LBB93_116:
	s_or_b32 exec_lo, exec_lo, s58
	v_add_nc_u32_e32 v6, 0x740, v2
	v_dual_mov_b32 v10, 0xff800000 :: v_dual_mov_b32 v11, 0xff800000
	s_delay_alu instid0(VALU_DEP_2) | instskip(NEXT) | instid1(VALU_DEP_1)
	v_cmp_gt_i32_e64 s58, s74, v6
	s_and_b32 s60, s64, s58
	s_delay_alu instid0(SALU_CYCLE_1)
	s_and_saveexec_b32 s59, s60
	s_cbranch_execz .LBB93_118
; %bb.117:
	global_load_u16 v6, v[3:4], off offset:3712
	s_waitcnt vmcnt(0)
	v_cvt_f32_f16_e32 v11, v6
.LBB93_118:
	s_or_b32 exec_lo, exec_lo, s59
	v_add_nc_u32_e32 v6, 0x760, v2
	s_delay_alu instid0(VALU_DEP_1) | instskip(NEXT) | instid1(VALU_DEP_1)
	v_cmp_gt_i32_e64 s59, s74, v6
	s_and_b32 s61, s64, s59
	s_delay_alu instid0(SALU_CYCLE_1)
	s_and_saveexec_b32 s60, s61
	s_cbranch_execz .LBB93_120
; %bb.119:
	global_load_u16 v6, v[3:4], off offset:3776
	s_waitcnt vmcnt(0)
	v_cvt_f32_f16_e32 v10, v6
.LBB93_120:
	s_or_b32 exec_lo, exec_lo, s60
	v_add_nc_u32_e32 v6, 0x780, v2
	v_mov_b32_e32 v7, 0xff800000
	v_mov_b32_e32 v9, 0xff800000
	s_delay_alu instid0(VALU_DEP_3) | instskip(NEXT) | instid1(VALU_DEP_1)
	v_cmp_gt_i32_e64 s60, s74, v6
	s_and_b32 s62, s64, s60
	s_delay_alu instid0(SALU_CYCLE_1)
	s_and_saveexec_b32 s61, s62
	s_cbranch_execz .LBB93_122
; %bb.121:
	global_load_u16 v6, v[3:4], off offset:3840
	s_waitcnt vmcnt(0)
	v_cvt_f32_f16_e32 v9, v6
.LBB93_122:
	s_or_b32 exec_lo, exec_lo, s61
	v_add_nc_u32_e32 v6, 0x7a0, v2
	s_delay_alu instid0(VALU_DEP_1) | instskip(NEXT) | instid1(VALU_DEP_1)
	v_cmp_gt_i32_e64 s61, s74, v6
	s_and_b32 s63, s64, s61
	s_delay_alu instid0(SALU_CYCLE_1)
	s_and_saveexec_b32 s62, s63
	s_cbranch_execz .LBB93_124
; %bb.123:
	global_load_u16 v6, v[3:4], off offset:3904
	s_waitcnt vmcnt(0)
	v_cvt_f32_f16_e32 v7, v6
.LBB93_124:
	s_or_b32 exec_lo, exec_lo, s62
	v_add_nc_u32_e32 v6, 0x7c0, v2
	v_mov_b32_e32 v8, 0xff800000
	s_delay_alu instid0(VALU_DEP_2) | instskip(SKIP_1) | instid1(VALU_DEP_2)
	v_cmp_gt_i32_e64 s62, s74, v6
	v_mov_b32_e32 v6, 0xff800000
	s_and_b32 s65, s64, s62
	s_delay_alu instid0(SALU_CYCLE_1)
	s_and_saveexec_b32 s63, s65
	s_cbranch_execz .LBB93_126
; %bb.125:
	global_load_u16 v8, v[3:4], off offset:3968
	s_waitcnt vmcnt(0)
	v_cvt_f32_f16_e32 v8, v8
.LBB93_126:
	s_or_b32 exec_lo, exec_lo, s63
	v_add_nc_u32_e32 v2, 0x7e0, v2
	s_delay_alu instid0(VALU_DEP_1) | instskip(NEXT) | instid1(VALU_DEP_1)
	v_cmp_gt_i32_e64 s63, s74, v2
	s_and_b32 s65, s64, s63
	s_delay_alu instid0(SALU_CYCLE_1)
	s_and_saveexec_b32 s64, s65
	s_cbranch_execz .LBB93_128
; %bb.127:
	global_load_u16 v2, v[3:4], off offset:4032
	s_waitcnt vmcnt(0)
	v_cvt_f32_f16_e32 v6, v2
.LBB93_128:
	s_or_b32 exec_lo, exec_lo, s64
	v_cmp_gt_f32_e64 s64, v73, v15
	v_mbcnt_lo_u32_b32 v4, -1, 0
	s_mov_b32 s65, exec_lo
	s_delay_alu instid0(VALU_DEP_2) | instskip(NEXT) | instid1(VALU_DEP_1)
	v_cndmask_b32_e64 v2, v15, v73, s64
	v_cmp_gt_f32_e64 s64, v2, v19
	s_delay_alu instid0(VALU_DEP_1) | instskip(NEXT) | instid1(VALU_DEP_1)
	v_cndmask_b32_e64 v2, v19, v2, s64
	v_cmp_gt_f32_e64 s64, v2, v20
	s_delay_alu instid0(VALU_DEP_1) | instskip(NEXT) | instid1(VALU_DEP_1)
	;; [unrolled: 3-line block ×61, first 2 shown]
	v_cndmask_b32_e64 v2, v8, v2, s64
	v_cmp_gt_f32_e64 s64, v2, v6
	s_delay_alu instid0(VALU_DEP_1) | instskip(SKIP_1) | instid1(VALU_DEP_1)
	v_cndmask_b32_e64 v3, v6, v2, s64
	v_xor_b32_e32 v2, 16, v4
	v_cmp_gt_i32_e64 s64, 32, v2
	s_delay_alu instid0(VALU_DEP_1) | instskip(NEXT) | instid1(VALU_DEP_1)
	v_cndmask_b32_e64 v2, v4, v2, s64
	v_lshlrev_b32_e32 v2, 2, v2
	ds_bpermute_b32 v13, v2, v3
	s_waitcnt lgkmcnt(0)
	v_cmp_lt_f32_e64 s64, v3, v13
	s_delay_alu instid0(VALU_DEP_1) | instskip(SKIP_1) | instid1(VALU_DEP_1)
	v_cndmask_b32_e64 v13, v3, v13, s64
	v_xor_b32_e32 v3, 8, v4
	v_cmp_gt_i32_e64 s64, 32, v3
	s_delay_alu instid0(VALU_DEP_1) | instskip(NEXT) | instid1(VALU_DEP_1)
	v_cndmask_b32_e64 v3, v4, v3, s64
	v_lshlrev_b32_e32 v3, 2, v3
	ds_bpermute_b32 v14, v3, v13
	s_waitcnt lgkmcnt(0)
	v_cmp_lt_f32_e64 s64, v13, v14
	;; [unrolled: 10-line block ×5, first 2 shown]
	s_delay_alu instid0(VALU_DEP_1) | instskip(NEXT) | instid1(VALU_DEP_1)
	v_cndmask_b32_e64 v24, v24, v4, s64
	v_sub_f32_e32 v4, v73, v24
	v_sub_f32_e32 v15, v15, v24
	;; [unrolled: 1-line block ×5, first 2 shown]
	v_mul_f32_e32 v73, 0x3fb8aa3b, v4
	v_cmp_ngt_f32_e64 s64, 0xc2ce8ed0, v4
	v_sub_f32_e32 v28, v28, v24
	v_sub_f32_e32 v32, v32, v24
	;; [unrolled: 1-line block ×3, first 2 shown]
	v_fma_f32 v74, 0x3fb8aa3b, v4, -v73
	v_rndne_f32_e32 v75, v73
	v_sub_f32_e32 v42, v42, v24
	v_sub_f32_e32 v46, v46, v24
	;; [unrolled: 1-line block ×3, first 2 shown]
	s_delay_alu instid0(VALU_DEP_4) | instskip(SKIP_3) | instid1(VALU_DEP_4)
	v_dual_fmac_f32 v74, 0x32a5705f, v4 :: v_dual_sub_f32 v73, v73, v75
	v_sub_f32_e32 v54, v54, v24
	v_sub_f32_e32 v56, v56, v24
	;; [unrolled: 1-line block ×3, first 2 shown]
	v_dual_sub_f32 v64, v64, v24 :: v_dual_add_f32 v73, v73, v74
	v_cvt_i32_f32_e32 v74, v75
	v_sub_f32_e32 v66, v66, v24
	v_sub_f32_e32 v68, v68, v24
	;; [unrolled: 1-line block ×3, first 2 shown]
	v_exp_f32_e32 v73, v73
	v_sub_f32_e32 v72, v72, v24
	v_sub_f32_e32 v62, v62, v24
	;; [unrolled: 1-line block ×9, first 2 shown]
	v_ldexp_f32 v73, v73, v74
	v_mul_f32_e32 v74, 0x3fb8aa3b, v15
	v_sub_f32_e32 v34, v34, v24
	v_sub_f32_e32 v30, v30, v24
	;; [unrolled: 1-line block ×3, first 2 shown]
	v_cndmask_b32_e64 v73, 0, v73, s64
	v_fma_f32 v75, 0x3fb8aa3b, v15, -v74
	v_rndne_f32_e32 v76, v74
	v_cmp_nlt_f32_e64 s64, 0x42b17218, v4
	v_sub_f32_e32 v22, v22, v24
	s_delay_alu instid0(VALU_DEP_4) | instskip(NEXT) | instid1(VALU_DEP_4)
	v_dual_sub_f32 v16, v16, v24 :: v_dual_fmac_f32 v75, 0x32a5705f, v15
	v_sub_f32_e32 v74, v74, v76
	s_delay_alu instid0(VALU_DEP_4)
	v_cndmask_b32_e64 v73, 0x7f800000, v73, s64
	v_sub_f32_e32 v12, v12, v24
	v_sub_f32_e32 v10, v10, v24
	;; [unrolled: 1-line block ×3, first 2 shown]
	v_add_f32_e32 v74, v74, v75
	v_cvt_i32_f32_e32 v75, v76
	v_cmp_ngt_f32_e64 s64, 0xc2ce8ed0, v15
	v_sub_f32_e32 v6, v6, v24
	v_sub_f32_e32 v31, v31, v24
	v_exp_f32_e32 v74, v74
	v_sub_f32_e32 v35, v35, v24
	v_sub_f32_e32 v41, v41, v24
	;; [unrolled: 1-line block ×9, first 2 shown]
	v_ldexp_f32 v74, v74, v75
	v_sub_f32_e32 v67, v67, v24
	v_sub_f32_e32 v69, v69, v24
	v_sub_f32_e32 v71, v71, v24
	v_sub_f32_e32 v63, v63, v24
	v_cndmask_b32_e64 v74, 0, v74, s64
	v_cmp_nlt_f32_e64 s64, 0x42b17218, v15
	v_sub_f32_e32 v57, v57, v24
	v_sub_f32_e32 v53, v53, v24
	;; [unrolled: 1-line block ×4, first 2 shown]
	v_cndmask_b32_e64 v74, 0x7f800000, v74, s64
	v_cmp_ngt_f32_e64 s64, 0xc2ce8ed0, v19
	v_sub_f32_e32 v39, v39, v24
	v_sub_f32_e32 v37, v37, v24
	;; [unrolled: 1-line block ×3, first 2 shown]
	v_dual_add_f32 v73, v73, v74 :: v_dual_mul_f32 v74, 0x3fb8aa3b, v19
	v_sub_f32_e32 v29, v29, v24
	v_sub_f32_e32 v27, v27, v24
	;; [unrolled: 1-line block ×4, first 2 shown]
	v_fma_f32 v75, 0x3fb8aa3b, v19, -v74
	v_rndne_f32_e32 v76, v74
	v_sub_f32_e32 v11, v11, v24
	v_sub_f32_e32 v9, v9, v24
	;; [unrolled: 1-line block ×3, first 2 shown]
	s_delay_alu instid0(VALU_DEP_4) | instskip(SKIP_1) | instid1(VALU_DEP_2)
	v_dual_fmac_f32 v75, 0x32a5705f, v19 :: v_dual_sub_f32 v74, v74, v76
	v_mul_f32_e32 v24, 0x3fb8aa3b, v6
	v_add_f32_e32 v74, v74, v75
	v_cvt_i32_f32_e32 v75, v76
	s_delay_alu instid0(VALU_DEP_2) | instskip(SKIP_2) | instid1(VALU_DEP_1)
	v_exp_f32_e32 v74, v74
	s_waitcnt_depctr 0xfff
	v_ldexp_f32 v74, v74, v75
	v_cndmask_b32_e64 v74, 0, v74, s64
	v_cmp_nlt_f32_e64 s64, 0x42b17218, v19
	s_delay_alu instid0(VALU_DEP_1) | instskip(SKIP_1) | instid1(VALU_DEP_2)
	v_cndmask_b32_e64 v74, 0x7f800000, v74, s64
	v_cmp_ngt_f32_e64 s64, 0xc2ce8ed0, v20
	v_dual_add_f32 v73, v73, v74 :: v_dual_mul_f32 v74, 0x3fb8aa3b, v20
	s_delay_alu instid0(VALU_DEP_1) | instskip(SKIP_1) | instid1(VALU_DEP_2)
	v_fma_f32 v75, 0x3fb8aa3b, v20, -v74
	v_rndne_f32_e32 v76, v74
	v_fmac_f32_e32 v75, 0x32a5705f, v20
	s_delay_alu instid0(VALU_DEP_2) | instskip(NEXT) | instid1(VALU_DEP_1)
	v_sub_f32_e32 v74, v74, v76
	v_add_f32_e32 v74, v74, v75
	v_cvt_i32_f32_e32 v75, v76
	s_delay_alu instid0(VALU_DEP_2) | instskip(SKIP_2) | instid1(VALU_DEP_1)
	v_exp_f32_e32 v74, v74
	s_waitcnt_depctr 0xfff
	v_ldexp_f32 v74, v74, v75
	v_cndmask_b32_e64 v74, 0, v74, s64
	v_cmp_nlt_f32_e64 s64, 0x42b17218, v20
	s_delay_alu instid0(VALU_DEP_1) | instskip(NEXT) | instid1(VALU_DEP_1)
	v_cndmask_b32_e64 v74, 0x7f800000, v74, s64
	v_dual_add_f32 v73, v73, v74 :: v_dual_mul_f32 v74, 0x3fb8aa3b, v23
	s_delay_alu instid0(VALU_DEP_1) | instskip(SKIP_1) | instid1(VALU_DEP_1)
	v_fma_f32 v75, 0x3fb8aa3b, v23, -v74
	v_rndne_f32_e32 v76, v74
	v_dual_fmac_f32 v75, 0x32a5705f, v23 :: v_dual_sub_f32 v74, v74, v76
	s_delay_alu instid0(VALU_DEP_1) | instskip(SKIP_2) | instid1(VALU_DEP_3)
	v_add_f32_e32 v74, v74, v75
	v_cvt_i32_f32_e32 v75, v76
	v_cmp_ngt_f32_e64 s64, 0xc2ce8ed0, v23
	v_exp_f32_e32 v74, v74
	s_waitcnt_depctr 0xfff
	v_ldexp_f32 v74, v74, v75
	s_delay_alu instid0(VALU_DEP_1) | instskip(SKIP_1) | instid1(VALU_DEP_1)
	v_cndmask_b32_e64 v74, 0, v74, s64
	v_cmp_nlt_f32_e64 s64, 0x42b17218, v23
	v_cndmask_b32_e64 v74, 0x7f800000, v74, s64
	v_cmp_ngt_f32_e64 s64, 0xc2ce8ed0, v26
	s_delay_alu instid0(VALU_DEP_2) | instskip(SKIP_1) | instid1(VALU_DEP_1)
	v_add_f32_e32 v73, v73, v74
	v_mul_f32_e32 v74, 0x3fb8aa3b, v26
	v_fma_f32 v75, 0x3fb8aa3b, v26, -v74
	v_rndne_f32_e32 v76, v74
	s_delay_alu instid0(VALU_DEP_1) | instskip(NEXT) | instid1(VALU_DEP_1)
	v_dual_fmac_f32 v75, 0x32a5705f, v26 :: v_dual_sub_f32 v74, v74, v76
	v_add_f32_e32 v74, v74, v75
	v_cvt_i32_f32_e32 v75, v76
	s_delay_alu instid0(VALU_DEP_2) | instskip(SKIP_2) | instid1(VALU_DEP_1)
	v_exp_f32_e32 v74, v74
	s_waitcnt_depctr 0xfff
	v_ldexp_f32 v74, v74, v75
	v_cndmask_b32_e64 v74, 0, v74, s64
	v_cmp_nlt_f32_e64 s64, 0x42b17218, v26
	s_delay_alu instid0(VALU_DEP_1) | instskip(SKIP_1) | instid1(VALU_DEP_2)
	v_cndmask_b32_e64 v74, 0x7f800000, v74, s64
	v_cmp_ngt_f32_e64 s64, 0xc2ce8ed0, v28
	v_dual_add_f32 v73, v73, v74 :: v_dual_mul_f32 v74, 0x3fb8aa3b, v28
	s_delay_alu instid0(VALU_DEP_1) | instskip(SKIP_1) | instid1(VALU_DEP_2)
	v_fma_f32 v75, 0x3fb8aa3b, v28, -v74
	v_rndne_f32_e32 v76, v74
	v_fmac_f32_e32 v75, 0x32a5705f, v28
	s_delay_alu instid0(VALU_DEP_2) | instskip(NEXT) | instid1(VALU_DEP_1)
	v_sub_f32_e32 v74, v74, v76
	v_add_f32_e32 v74, v74, v75
	v_cvt_i32_f32_e32 v75, v76
	s_delay_alu instid0(VALU_DEP_2) | instskip(SKIP_2) | instid1(VALU_DEP_1)
	v_exp_f32_e32 v74, v74
	s_waitcnt_depctr 0xfff
	v_ldexp_f32 v74, v74, v75
	v_cndmask_b32_e64 v74, 0, v74, s64
	v_cmp_nlt_f32_e64 s64, 0x42b17218, v28
	s_delay_alu instid0(VALU_DEP_1) | instskip(SKIP_1) | instid1(VALU_DEP_2)
	v_cndmask_b32_e64 v74, 0x7f800000, v74, s64
	v_cmp_ngt_f32_e64 s64, 0xc2ce8ed0, v31
	v_dual_add_f32 v73, v73, v74 :: v_dual_mul_f32 v74, 0x3fb8aa3b, v31
	s_delay_alu instid0(VALU_DEP_1) | instskip(SKIP_1) | instid1(VALU_DEP_1)
	v_fma_f32 v75, 0x3fb8aa3b, v31, -v74
	v_rndne_f32_e32 v76, v74
	v_dual_fmac_f32 v75, 0x32a5705f, v31 :: v_dual_sub_f32 v74, v74, v76
	s_delay_alu instid0(VALU_DEP_1) | instskip(SKIP_1) | instid1(VALU_DEP_2)
	v_add_f32_e32 v74, v74, v75
	v_cvt_i32_f32_e32 v75, v76
	v_exp_f32_e32 v74, v74
	s_waitcnt_depctr 0xfff
	v_ldexp_f32 v74, v74, v75
	s_delay_alu instid0(VALU_DEP_1) | instskip(SKIP_1) | instid1(VALU_DEP_1)
	v_cndmask_b32_e64 v74, 0, v74, s64
	v_cmp_nlt_f32_e64 s64, 0x42b17218, v31
	v_cndmask_b32_e64 v74, 0x7f800000, v74, s64
	v_cmp_ngt_f32_e64 s64, 0xc2ce8ed0, v32
	s_delay_alu instid0(VALU_DEP_2) | instskip(NEXT) | instid1(VALU_DEP_1)
	v_dual_add_f32 v73, v73, v74 :: v_dual_mul_f32 v74, 0x3fb8aa3b, v32
	v_fma_f32 v75, 0x3fb8aa3b, v32, -v74
	v_rndne_f32_e32 v76, v74
	s_delay_alu instid0(VALU_DEP_2) | instskip(NEXT) | instid1(VALU_DEP_2)
	v_fmac_f32_e32 v75, 0x32a5705f, v32
	v_sub_f32_e32 v74, v74, v76
	s_delay_alu instid0(VALU_DEP_1) | instskip(SKIP_1) | instid1(VALU_DEP_2)
	v_add_f32_e32 v74, v74, v75
	v_cvt_i32_f32_e32 v75, v76
	v_exp_f32_e32 v74, v74
	s_waitcnt_depctr 0xfff
	v_ldexp_f32 v74, v74, v75
	s_delay_alu instid0(VALU_DEP_1) | instskip(SKIP_1) | instid1(VALU_DEP_1)
	v_cndmask_b32_e64 v74, 0, v74, s64
	v_cmp_nlt_f32_e64 s64, 0x42b17218, v32
	v_cndmask_b32_e64 v74, 0x7f800000, v74, s64
	v_cmp_ngt_f32_e64 s64, 0xc2ce8ed0, v35
	s_delay_alu instid0(VALU_DEP_2) | instskip(NEXT) | instid1(VALU_DEP_1)
	v_dual_add_f32 v73, v73, v74 :: v_dual_mul_f32 v74, 0x3fb8aa3b, v35
	v_fma_f32 v75, 0x3fb8aa3b, v35, -v74
	v_rndne_f32_e32 v76, v74
	s_delay_alu instid0(VALU_DEP_1) | instskip(NEXT) | instid1(VALU_DEP_1)
	v_dual_fmac_f32 v75, 0x32a5705f, v35 :: v_dual_sub_f32 v74, v74, v76
	v_add_f32_e32 v74, v74, v75
	v_cvt_i32_f32_e32 v75, v76
	s_delay_alu instid0(VALU_DEP_2) | instskip(SKIP_2) | instid1(VALU_DEP_1)
	v_exp_f32_e32 v74, v74
	s_waitcnt_depctr 0xfff
	v_ldexp_f32 v74, v74, v75
	v_cndmask_b32_e64 v74, 0, v74, s64
	v_cmp_nlt_f32_e64 s64, 0x42b17218, v35
	s_delay_alu instid0(VALU_DEP_1) | instskip(SKIP_1) | instid1(VALU_DEP_2)
	v_cndmask_b32_e64 v74, 0x7f800000, v74, s64
	v_cmp_ngt_f32_e64 s64, 0xc2ce8ed0, v38
	v_add_f32_e32 v73, v73, v74
	v_mul_f32_e32 v74, 0x3fb8aa3b, v38
	s_delay_alu instid0(VALU_DEP_1) | instskip(SKIP_1) | instid1(VALU_DEP_1)
	v_fma_f32 v75, 0x3fb8aa3b, v38, -v74
	v_rndne_f32_e32 v76, v74
	v_dual_fmac_f32 v75, 0x32a5705f, v38 :: v_dual_sub_f32 v74, v74, v76
	s_delay_alu instid0(VALU_DEP_1) | instskip(SKIP_1) | instid1(VALU_DEP_2)
	v_add_f32_e32 v74, v74, v75
	v_cvt_i32_f32_e32 v75, v76
	v_exp_f32_e32 v74, v74
	s_waitcnt_depctr 0xfff
	v_ldexp_f32 v74, v74, v75
	s_delay_alu instid0(VALU_DEP_1) | instskip(SKIP_1) | instid1(VALU_DEP_1)
	v_cndmask_b32_e64 v74, 0, v74, s64
	v_cmp_nlt_f32_e64 s64, 0x42b17218, v38
	v_cndmask_b32_e64 v74, 0x7f800000, v74, s64
	v_cmp_ngt_f32_e64 s64, 0xc2ce8ed0, v41
	s_delay_alu instid0(VALU_DEP_2) | instskip(NEXT) | instid1(VALU_DEP_1)
	v_dual_add_f32 v73, v73, v74 :: v_dual_mul_f32 v74, 0x3fb8aa3b, v41
	v_fma_f32 v75, 0x3fb8aa3b, v41, -v74
	v_rndne_f32_e32 v76, v74
	s_delay_alu instid0(VALU_DEP_1) | instskip(NEXT) | instid1(VALU_DEP_1)
	v_dual_fmac_f32 v75, 0x32a5705f, v41 :: v_dual_sub_f32 v74, v74, v76
	v_add_f32_e32 v74, v74, v75
	v_cvt_i32_f32_e32 v75, v76
	s_delay_alu instid0(VALU_DEP_2) | instskip(SKIP_2) | instid1(VALU_DEP_1)
	v_exp_f32_e32 v74, v74
	s_waitcnt_depctr 0xfff
	v_ldexp_f32 v74, v74, v75
	v_cndmask_b32_e64 v74, 0, v74, s64
	v_cmp_nlt_f32_e64 s64, 0x42b17218, v41
	s_delay_alu instid0(VALU_DEP_1) | instskip(SKIP_1) | instid1(VALU_DEP_2)
	v_cndmask_b32_e64 v74, 0x7f800000, v74, s64
	v_cmp_ngt_f32_e64 s64, 0xc2ce8ed0, v42
	v_add_f32_e32 v73, v73, v74
	v_mul_f32_e32 v74, 0x3fb8aa3b, v42
	s_delay_alu instid0(VALU_DEP_1) | instskip(SKIP_1) | instid1(VALU_DEP_1)
	v_fma_f32 v75, 0x3fb8aa3b, v42, -v74
	v_rndne_f32_e32 v76, v74
	v_dual_fmac_f32 v75, 0x32a5705f, v42 :: v_dual_sub_f32 v74, v74, v76
	;; [unrolled: 34-line block ×5, first 2 shown]
	s_delay_alu instid0(VALU_DEP_1) | instskip(SKIP_1) | instid1(VALU_DEP_2)
	v_add_f32_e32 v74, v74, v75
	v_cvt_i32_f32_e32 v75, v76
	v_exp_f32_e32 v74, v74
	s_waitcnt_depctr 0xfff
	v_ldexp_f32 v74, v74, v75
	s_delay_alu instid0(VALU_DEP_1) | instskip(SKIP_1) | instid1(VALU_DEP_1)
	v_cndmask_b32_e64 v74, 0, v74, s64
	v_cmp_nlt_f32_e64 s64, 0x42b17218, v54
	v_cndmask_b32_e64 v74, 0x7f800000, v74, s64
	v_cmp_ngt_f32_e64 s64, 0xc2ce8ed0, v55
	s_delay_alu instid0(VALU_DEP_2) | instskip(NEXT) | instid1(VALU_DEP_1)
	v_dual_add_f32 v73, v73, v74 :: v_dual_mul_f32 v74, 0x3fb8aa3b, v55
	v_fma_f32 v75, 0x3fb8aa3b, v55, -v74
	v_rndne_f32_e32 v76, v74
	s_delay_alu instid0(VALU_DEP_1) | instskip(NEXT) | instid1(VALU_DEP_1)
	v_dual_fmac_f32 v75, 0x32a5705f, v55 :: v_dual_sub_f32 v74, v74, v76
	v_add_f32_e32 v74, v74, v75
	v_cvt_i32_f32_e32 v75, v76
	s_delay_alu instid0(VALU_DEP_2) | instskip(SKIP_2) | instid1(VALU_DEP_1)
	v_exp_f32_e32 v74, v74
	s_waitcnt_depctr 0xfff
	v_ldexp_f32 v74, v74, v75
	v_cndmask_b32_e64 v74, 0, v74, s64
	v_cmp_nlt_f32_e64 s64, 0x42b17218, v55
	s_delay_alu instid0(VALU_DEP_1) | instskip(SKIP_1) | instid1(VALU_DEP_2)
	v_cndmask_b32_e64 v74, 0x7f800000, v74, s64
	v_cmp_ngt_f32_e64 s64, 0xc2ce8ed0, v56
	v_dual_add_f32 v73, v73, v74 :: v_dual_mul_f32 v74, 0x3fb8aa3b, v56
	s_delay_alu instid0(VALU_DEP_1) | instskip(SKIP_1) | instid1(VALU_DEP_2)
	v_fma_f32 v75, 0x3fb8aa3b, v56, -v74
	v_rndne_f32_e32 v76, v74
	v_fmac_f32_e32 v75, 0x32a5705f, v56
	s_delay_alu instid0(VALU_DEP_2) | instskip(NEXT) | instid1(VALU_DEP_1)
	v_sub_f32_e32 v74, v74, v76
	v_add_f32_e32 v74, v74, v75
	v_cvt_i32_f32_e32 v75, v76
	s_delay_alu instid0(VALU_DEP_2) | instskip(SKIP_2) | instid1(VALU_DEP_1)
	v_exp_f32_e32 v74, v74
	s_waitcnt_depctr 0xfff
	v_ldexp_f32 v74, v74, v75
	v_cndmask_b32_e64 v74, 0, v74, s64
	v_cmp_nlt_f32_e64 s64, 0x42b17218, v56
	s_delay_alu instid0(VALU_DEP_1) | instskip(SKIP_1) | instid1(VALU_DEP_2)
	v_cndmask_b32_e64 v74, 0x7f800000, v74, s64
	v_cmp_ngt_f32_e64 s64, 0xc2ce8ed0, v59
	v_dual_add_f32 v73, v73, v74 :: v_dual_mul_f32 v74, 0x3fb8aa3b, v59
	s_delay_alu instid0(VALU_DEP_1) | instskip(SKIP_1) | instid1(VALU_DEP_1)
	v_fma_f32 v75, 0x3fb8aa3b, v59, -v74
	v_rndne_f32_e32 v76, v74
	v_dual_fmac_f32 v75, 0x32a5705f, v59 :: v_dual_sub_f32 v74, v74, v76
	s_delay_alu instid0(VALU_DEP_1) | instskip(SKIP_1) | instid1(VALU_DEP_2)
	v_add_f32_e32 v74, v74, v75
	v_cvt_i32_f32_e32 v75, v76
	v_exp_f32_e32 v74, v74
	s_waitcnt_depctr 0xfff
	v_ldexp_f32 v74, v74, v75
	s_delay_alu instid0(VALU_DEP_1) | instskip(SKIP_1) | instid1(VALU_DEP_1)
	v_cndmask_b32_e64 v74, 0, v74, s64
	v_cmp_nlt_f32_e64 s64, 0x42b17218, v59
	v_cndmask_b32_e64 v74, 0x7f800000, v74, s64
	v_cmp_ngt_f32_e64 s64, 0xc2ce8ed0, v60
	s_delay_alu instid0(VALU_DEP_2) | instskip(NEXT) | instid1(VALU_DEP_1)
	v_dual_add_f32 v73, v73, v74 :: v_dual_mul_f32 v74, 0x3fb8aa3b, v60
	v_fma_f32 v75, 0x3fb8aa3b, v60, -v74
	v_rndne_f32_e32 v76, v74
	s_delay_alu instid0(VALU_DEP_2) | instskip(NEXT) | instid1(VALU_DEP_2)
	v_fmac_f32_e32 v75, 0x32a5705f, v60
	v_sub_f32_e32 v74, v74, v76
	s_delay_alu instid0(VALU_DEP_1) | instskip(SKIP_1) | instid1(VALU_DEP_2)
	v_add_f32_e32 v74, v74, v75
	v_cvt_i32_f32_e32 v75, v76
	v_exp_f32_e32 v74, v74
	s_waitcnt_depctr 0xfff
	v_ldexp_f32 v74, v74, v75
	s_delay_alu instid0(VALU_DEP_1) | instskip(SKIP_1) | instid1(VALU_DEP_1)
	v_cndmask_b32_e64 v74, 0, v74, s64
	v_cmp_nlt_f32_e64 s64, 0x42b17218, v60
	v_cndmask_b32_e64 v74, 0x7f800000, v74, s64
	v_cmp_ngt_f32_e64 s64, 0xc2ce8ed0, v61
	s_delay_alu instid0(VALU_DEP_2) | instskip(NEXT) | instid1(VALU_DEP_1)
	v_dual_add_f32 v73, v73, v74 :: v_dual_mul_f32 v74, 0x3fb8aa3b, v61
	v_fma_f32 v75, 0x3fb8aa3b, v61, -v74
	v_rndne_f32_e32 v76, v74
	s_delay_alu instid0(VALU_DEP_1) | instskip(NEXT) | instid1(VALU_DEP_1)
	v_dual_fmac_f32 v75, 0x32a5705f, v61 :: v_dual_sub_f32 v74, v74, v76
	v_add_f32_e32 v74, v74, v75
	v_cvt_i32_f32_e32 v75, v76
	s_delay_alu instid0(VALU_DEP_2) | instskip(SKIP_2) | instid1(VALU_DEP_1)
	v_exp_f32_e32 v74, v74
	s_waitcnt_depctr 0xfff
	v_ldexp_f32 v74, v74, v75
	v_cndmask_b32_e64 v74, 0, v74, s64
	v_cmp_nlt_f32_e64 s64, 0x42b17218, v61
	s_delay_alu instid0(VALU_DEP_1) | instskip(SKIP_1) | instid1(VALU_DEP_2)
	v_cndmask_b32_e64 v74, 0x7f800000, v74, s64
	v_cmp_ngt_f32_e64 s64, 0xc2ce8ed0, v64
	v_dual_add_f32 v73, v73, v74 :: v_dual_mul_f32 v74, 0x3fb8aa3b, v64
	s_delay_alu instid0(VALU_DEP_1) | instskip(SKIP_1) | instid1(VALU_DEP_2)
	v_fma_f32 v75, 0x3fb8aa3b, v64, -v74
	v_rndne_f32_e32 v76, v74
	v_fmac_f32_e32 v75, 0x32a5705f, v64
	s_delay_alu instid0(VALU_DEP_2) | instskip(NEXT) | instid1(VALU_DEP_1)
	v_sub_f32_e32 v74, v74, v76
	v_add_f32_e32 v74, v74, v75
	v_cvt_i32_f32_e32 v75, v76
	s_delay_alu instid0(VALU_DEP_2) | instskip(SKIP_2) | instid1(VALU_DEP_1)
	v_exp_f32_e32 v74, v74
	s_waitcnt_depctr 0xfff
	v_ldexp_f32 v74, v74, v75
	v_cndmask_b32_e64 v74, 0, v74, s64
	v_cmp_nlt_f32_e64 s64, 0x42b17218, v64
	s_delay_alu instid0(VALU_DEP_1) | instskip(SKIP_1) | instid1(VALU_DEP_2)
	v_cndmask_b32_e64 v74, 0x7f800000, v74, s64
	v_cmp_ngt_f32_e64 s64, 0xc2ce8ed0, v65
	v_dual_add_f32 v73, v73, v74 :: v_dual_mul_f32 v74, 0x3fb8aa3b, v65
	s_delay_alu instid0(VALU_DEP_1) | instskip(SKIP_1) | instid1(VALU_DEP_1)
	v_fma_f32 v75, 0x3fb8aa3b, v65, -v74
	v_rndne_f32_e32 v76, v74
	v_dual_fmac_f32 v75, 0x32a5705f, v65 :: v_dual_sub_f32 v74, v74, v76
	s_delay_alu instid0(VALU_DEP_1) | instskip(SKIP_1) | instid1(VALU_DEP_2)
	v_add_f32_e32 v74, v74, v75
	v_cvt_i32_f32_e32 v75, v76
	v_exp_f32_e32 v74, v74
	s_waitcnt_depctr 0xfff
	v_ldexp_f32 v74, v74, v75
	s_delay_alu instid0(VALU_DEP_1) | instskip(SKIP_1) | instid1(VALU_DEP_1)
	v_cndmask_b32_e64 v74, 0, v74, s64
	v_cmp_nlt_f32_e64 s64, 0x42b17218, v65
	v_cndmask_b32_e64 v74, 0x7f800000, v74, s64
	v_cmp_ngt_f32_e64 s64, 0xc2ce8ed0, v66
	s_delay_alu instid0(VALU_DEP_2) | instskip(SKIP_1) | instid1(VALU_DEP_1)
	v_add_f32_e32 v73, v73, v74
	v_mul_f32_e32 v74, 0x3fb8aa3b, v66
	v_fma_f32 v75, 0x3fb8aa3b, v66, -v74
	v_rndne_f32_e32 v76, v74
	s_delay_alu instid0(VALU_DEP_1) | instskip(NEXT) | instid1(VALU_DEP_1)
	v_dual_fmac_f32 v75, 0x32a5705f, v66 :: v_dual_sub_f32 v74, v74, v76
	v_add_f32_e32 v74, v74, v75
	v_cvt_i32_f32_e32 v75, v76
	s_delay_alu instid0(VALU_DEP_2) | instskip(SKIP_2) | instid1(VALU_DEP_1)
	v_exp_f32_e32 v74, v74
	s_waitcnt_depctr 0xfff
	v_ldexp_f32 v74, v74, v75
	v_cndmask_b32_e64 v74, 0, v74, s64
	v_cmp_nlt_f32_e64 s64, 0x42b17218, v66
	s_delay_alu instid0(VALU_DEP_1) | instskip(SKIP_1) | instid1(VALU_DEP_2)
	v_cndmask_b32_e64 v74, 0x7f800000, v74, s64
	v_cmp_ngt_f32_e64 s64, 0xc2ce8ed0, v67
	v_dual_add_f32 v73, v73, v74 :: v_dual_mul_f32 v74, 0x3fb8aa3b, v67
	s_delay_alu instid0(VALU_DEP_1) | instskip(SKIP_1) | instid1(VALU_DEP_1)
	v_fma_f32 v75, 0x3fb8aa3b, v67, -v74
	v_rndne_f32_e32 v76, v74
	v_dual_fmac_f32 v75, 0x32a5705f, v67 :: v_dual_sub_f32 v74, v74, v76
	s_delay_alu instid0(VALU_DEP_1) | instskip(SKIP_1) | instid1(VALU_DEP_2)
	v_add_f32_e32 v74, v74, v75
	v_cvt_i32_f32_e32 v75, v76
	v_exp_f32_e32 v74, v74
	s_waitcnt_depctr 0xfff
	v_ldexp_f32 v74, v74, v75
	s_delay_alu instid0(VALU_DEP_1) | instskip(SKIP_1) | instid1(VALU_DEP_1)
	v_cndmask_b32_e64 v74, 0, v74, s64
	v_cmp_nlt_f32_e64 s64, 0x42b17218, v67
	v_cndmask_b32_e64 v74, 0x7f800000, v74, s64
	v_cmp_ngt_f32_e64 s64, 0xc2ce8ed0, v68
	s_delay_alu instid0(VALU_DEP_2) | instskip(NEXT) | instid1(VALU_DEP_1)
	v_dual_add_f32 v73, v73, v74 :: v_dual_mul_f32 v74, 0x3fb8aa3b, v68
	v_fma_f32 v75, 0x3fb8aa3b, v68, -v74
	v_rndne_f32_e32 v76, v74
	s_delay_alu instid0(VALU_DEP_2) | instskip(NEXT) | instid1(VALU_DEP_2)
	v_fmac_f32_e32 v75, 0x32a5705f, v68
	v_sub_f32_e32 v74, v74, v76
	s_delay_alu instid0(VALU_DEP_1) | instskip(SKIP_1) | instid1(VALU_DEP_2)
	v_add_f32_e32 v74, v74, v75
	v_cvt_i32_f32_e32 v75, v76
	v_exp_f32_e32 v74, v74
	s_waitcnt_depctr 0xfff
	v_ldexp_f32 v74, v74, v75
	s_delay_alu instid0(VALU_DEP_1) | instskip(SKIP_1) | instid1(VALU_DEP_1)
	v_cndmask_b32_e64 v74, 0, v74, s64
	v_cmp_nlt_f32_e64 s64, 0x42b17218, v68
	v_cndmask_b32_e64 v74, 0x7f800000, v74, s64
	v_cmp_ngt_f32_e64 s64, 0xc2ce8ed0, v69
	s_delay_alu instid0(VALU_DEP_2) | instskip(NEXT) | instid1(VALU_DEP_1)
	v_dual_add_f32 v73, v73, v74 :: v_dual_mul_f32 v74, 0x3fb8aa3b, v69
	v_fma_f32 v75, 0x3fb8aa3b, v69, -v74
	v_rndne_f32_e32 v76, v74
	s_delay_alu instid0(VALU_DEP_1) | instskip(NEXT) | instid1(VALU_DEP_1)
	v_dual_fmac_f32 v75, 0x32a5705f, v69 :: v_dual_sub_f32 v74, v74, v76
	v_add_f32_e32 v74, v74, v75
	v_cvt_i32_f32_e32 v75, v76
	s_delay_alu instid0(VALU_DEP_2) | instskip(SKIP_2) | instid1(VALU_DEP_1)
	v_exp_f32_e32 v74, v74
	s_waitcnt_depctr 0xfff
	v_ldexp_f32 v74, v74, v75
	v_cndmask_b32_e64 v74, 0, v74, s64
	v_cmp_nlt_f32_e64 s64, 0x42b17218, v69
	s_delay_alu instid0(VALU_DEP_1) | instskip(SKIP_1) | instid1(VALU_DEP_2)
	v_cndmask_b32_e64 v74, 0x7f800000, v74, s64
	v_cmp_ngt_f32_e64 s64, 0xc2ce8ed0, v70
	v_add_f32_e32 v73, v73, v74
	v_mul_f32_e32 v74, 0x3fb8aa3b, v70
	s_delay_alu instid0(VALU_DEP_1) | instskip(SKIP_1) | instid1(VALU_DEP_1)
	v_fma_f32 v75, 0x3fb8aa3b, v70, -v74
	v_rndne_f32_e32 v76, v74
	v_dual_fmac_f32 v75, 0x32a5705f, v70 :: v_dual_sub_f32 v74, v74, v76
	s_delay_alu instid0(VALU_DEP_1) | instskip(SKIP_1) | instid1(VALU_DEP_2)
	v_add_f32_e32 v74, v74, v75
	v_cvt_i32_f32_e32 v75, v76
	v_exp_f32_e32 v74, v74
	s_waitcnt_depctr 0xfff
	v_ldexp_f32 v74, v74, v75
	s_delay_alu instid0(VALU_DEP_1) | instskip(SKIP_1) | instid1(VALU_DEP_1)
	v_cndmask_b32_e64 v74, 0, v74, s64
	v_cmp_nlt_f32_e64 s64, 0x42b17218, v70
	v_cndmask_b32_e64 v74, 0x7f800000, v74, s64
	v_cmp_ngt_f32_e64 s64, 0xc2ce8ed0, v72
	s_delay_alu instid0(VALU_DEP_2) | instskip(NEXT) | instid1(VALU_DEP_1)
	v_dual_add_f32 v73, v73, v74 :: v_dual_mul_f32 v74, 0x3fb8aa3b, v72
	v_fma_f32 v75, 0x3fb8aa3b, v72, -v74
	v_rndne_f32_e32 v76, v74
	s_delay_alu instid0(VALU_DEP_2) | instskip(NEXT) | instid1(VALU_DEP_2)
	v_fmac_f32_e32 v75, 0x32a5705f, v72
	v_sub_f32_e32 v74, v74, v76
	s_delay_alu instid0(VALU_DEP_1) | instskip(SKIP_1) | instid1(VALU_DEP_2)
	v_add_f32_e32 v74, v74, v75
	v_cvt_i32_f32_e32 v75, v76
	v_exp_f32_e32 v74, v74
	s_waitcnt_depctr 0xfff
	v_ldexp_f32 v74, v74, v75
	s_delay_alu instid0(VALU_DEP_1) | instskip(SKIP_1) | instid1(VALU_DEP_1)
	v_cndmask_b32_e64 v74, 0, v74, s64
	v_cmp_nlt_f32_e64 s64, 0x42b17218, v72
	v_cndmask_b32_e64 v74, 0x7f800000, v74, s64
	v_cmp_ngt_f32_e64 s64, 0xc2ce8ed0, v71
	s_delay_alu instid0(VALU_DEP_2) | instskip(NEXT) | instid1(VALU_DEP_1)
	v_dual_add_f32 v73, v73, v74 :: v_dual_mul_f32 v74, 0x3fb8aa3b, v71
	v_fma_f32 v75, 0x3fb8aa3b, v71, -v74
	v_rndne_f32_e32 v76, v74
	s_delay_alu instid0(VALU_DEP_1) | instskip(NEXT) | instid1(VALU_DEP_1)
	v_dual_fmac_f32 v75, 0x32a5705f, v71 :: v_dual_sub_f32 v74, v74, v76
	v_add_f32_e32 v74, v74, v75
	v_cvt_i32_f32_e32 v75, v76
	s_delay_alu instid0(VALU_DEP_2) | instskip(SKIP_2) | instid1(VALU_DEP_1)
	v_exp_f32_e32 v74, v74
	s_waitcnt_depctr 0xfff
	v_ldexp_f32 v74, v74, v75
	v_cndmask_b32_e64 v74, 0, v74, s64
	v_cmp_nlt_f32_e64 s64, 0x42b17218, v71
	s_delay_alu instid0(VALU_DEP_1) | instskip(SKIP_1) | instid1(VALU_DEP_2)
	v_cndmask_b32_e64 v74, 0x7f800000, v74, s64
	v_cmp_ngt_f32_e64 s64, 0xc2ce8ed0, v63
	v_dual_add_f32 v73, v73, v74 :: v_dual_mul_f32 v74, 0x3fb8aa3b, v63
	s_delay_alu instid0(VALU_DEP_1) | instskip(SKIP_1) | instid1(VALU_DEP_1)
	v_fma_f32 v75, 0x3fb8aa3b, v63, -v74
	v_rndne_f32_e32 v76, v74
	v_dual_fmac_f32 v75, 0x32a5705f, v63 :: v_dual_sub_f32 v74, v74, v76
	s_delay_alu instid0(VALU_DEP_1) | instskip(SKIP_1) | instid1(VALU_DEP_2)
	v_add_f32_e32 v74, v74, v75
	v_cvt_i32_f32_e32 v75, v76
	v_exp_f32_e32 v74, v74
	s_waitcnt_depctr 0xfff
	v_ldexp_f32 v74, v74, v75
	s_delay_alu instid0(VALU_DEP_1) | instskip(SKIP_1) | instid1(VALU_DEP_1)
	v_cndmask_b32_e64 v74, 0, v74, s64
	v_cmp_nlt_f32_e64 s64, 0x42b17218, v63
	v_cndmask_b32_e64 v74, 0x7f800000, v74, s64
	v_cmp_ngt_f32_e64 s64, 0xc2ce8ed0, v62
	s_delay_alu instid0(VALU_DEP_2) | instskip(SKIP_1) | instid1(VALU_DEP_1)
	v_add_f32_e32 v73, v73, v74
	v_mul_f32_e32 v74, 0x3fb8aa3b, v62
	v_fma_f32 v75, 0x3fb8aa3b, v62, -v74
	v_rndne_f32_e32 v76, v74
	s_delay_alu instid0(VALU_DEP_1) | instskip(NEXT) | instid1(VALU_DEP_1)
	v_dual_fmac_f32 v75, 0x32a5705f, v62 :: v_dual_sub_f32 v74, v74, v76
	v_add_f32_e32 v74, v74, v75
	v_cvt_i32_f32_e32 v75, v76
	s_delay_alu instid0(VALU_DEP_2) | instskip(SKIP_2) | instid1(VALU_DEP_1)
	v_exp_f32_e32 v74, v74
	s_waitcnt_depctr 0xfff
	v_ldexp_f32 v74, v74, v75
	v_cndmask_b32_e64 v74, 0, v74, s64
	v_cmp_nlt_f32_e64 s64, 0x42b17218, v62
	s_delay_alu instid0(VALU_DEP_1) | instskip(SKIP_1) | instid1(VALU_DEP_2)
	v_cndmask_b32_e64 v74, 0x7f800000, v74, s64
	v_cmp_ngt_f32_e64 s64, 0xc2ce8ed0, v57
	v_dual_add_f32 v73, v73, v74 :: v_dual_mul_f32 v74, 0x3fb8aa3b, v57
	s_delay_alu instid0(VALU_DEP_1) | instskip(SKIP_1) | instid1(VALU_DEP_1)
	v_fma_f32 v75, 0x3fb8aa3b, v57, -v74
	v_rndne_f32_e32 v76, v74
	v_dual_fmac_f32 v75, 0x32a5705f, v57 :: v_dual_sub_f32 v74, v74, v76
	s_delay_alu instid0(VALU_DEP_1) | instskip(SKIP_1) | instid1(VALU_DEP_2)
	v_add_f32_e32 v74, v74, v75
	v_cvt_i32_f32_e32 v75, v76
	v_exp_f32_e32 v74, v74
	s_waitcnt_depctr 0xfff
	v_ldexp_f32 v74, v74, v75
	s_delay_alu instid0(VALU_DEP_1) | instskip(SKIP_1) | instid1(VALU_DEP_1)
	v_cndmask_b32_e64 v74, 0, v74, s64
	v_cmp_nlt_f32_e64 s64, 0x42b17218, v57
	v_cndmask_b32_e64 v74, 0x7f800000, v74, s64
	v_cmp_ngt_f32_e64 s64, 0xc2ce8ed0, v58
	s_delay_alu instid0(VALU_DEP_2) | instskip(SKIP_1) | instid1(VALU_DEP_1)
	v_add_f32_e32 v73, v73, v74
	v_mul_f32_e32 v74, 0x3fb8aa3b, v58
	v_fma_f32 v75, 0x3fb8aa3b, v58, -v74
	v_rndne_f32_e32 v76, v74
	s_delay_alu instid0(VALU_DEP_1) | instskip(NEXT) | instid1(VALU_DEP_1)
	v_dual_fmac_f32 v75, 0x32a5705f, v58 :: v_dual_sub_f32 v74, v74, v76
	v_add_f32_e32 v74, v74, v75
	v_cvt_i32_f32_e32 v75, v76
	s_delay_alu instid0(VALU_DEP_2) | instskip(SKIP_2) | instid1(VALU_DEP_1)
	v_exp_f32_e32 v74, v74
	s_waitcnt_depctr 0xfff
	v_ldexp_f32 v74, v74, v75
	v_cndmask_b32_e64 v74, 0, v74, s64
	v_cmp_nlt_f32_e64 s64, 0x42b17218, v58
	s_delay_alu instid0(VALU_DEP_1) | instskip(SKIP_1) | instid1(VALU_DEP_2)
	v_cndmask_b32_e64 v74, 0x7f800000, v74, s64
	v_cmp_ngt_f32_e64 s64, 0xc2ce8ed0, v53
	v_dual_add_f32 v73, v73, v74 :: v_dual_mul_f32 v74, 0x3fb8aa3b, v53
	s_delay_alu instid0(VALU_DEP_1) | instskip(SKIP_1) | instid1(VALU_DEP_1)
	v_fma_f32 v75, 0x3fb8aa3b, v53, -v74
	v_rndne_f32_e32 v76, v74
	v_dual_fmac_f32 v75, 0x32a5705f, v53 :: v_dual_sub_f32 v74, v74, v76
	s_delay_alu instid0(VALU_DEP_1) | instskip(SKIP_1) | instid1(VALU_DEP_2)
	v_add_f32_e32 v74, v74, v75
	v_cvt_i32_f32_e32 v75, v76
	v_exp_f32_e32 v74, v74
	s_waitcnt_depctr 0xfff
	v_ldexp_f32 v74, v74, v75
	s_delay_alu instid0(VALU_DEP_1) | instskip(SKIP_1) | instid1(VALU_DEP_1)
	v_cndmask_b32_e64 v74, 0, v74, s64
	v_cmp_nlt_f32_e64 s64, 0x42b17218, v53
	v_cndmask_b32_e64 v74, 0x7f800000, v74, s64
	v_cmp_ngt_f32_e64 s64, 0xc2ce8ed0, v52
	s_delay_alu instid0(VALU_DEP_2) | instskip(NEXT) | instid1(VALU_DEP_1)
	v_dual_add_f32 v73, v73, v74 :: v_dual_mul_f32 v74, 0x3fb8aa3b, v52
	v_fma_f32 v75, 0x3fb8aa3b, v52, -v74
	v_rndne_f32_e32 v76, v74
	s_delay_alu instid0(VALU_DEP_2) | instskip(NEXT) | instid1(VALU_DEP_2)
	v_fmac_f32_e32 v75, 0x32a5705f, v52
	v_sub_f32_e32 v74, v74, v76
	s_delay_alu instid0(VALU_DEP_1) | instskip(SKIP_1) | instid1(VALU_DEP_2)
	v_add_f32_e32 v74, v74, v75
	v_cvt_i32_f32_e32 v75, v76
	v_exp_f32_e32 v74, v74
	s_waitcnt_depctr 0xfff
	v_ldexp_f32 v74, v74, v75
	s_delay_alu instid0(VALU_DEP_1) | instskip(SKIP_1) | instid1(VALU_DEP_1)
	v_cndmask_b32_e64 v74, 0, v74, s64
	v_cmp_nlt_f32_e64 s64, 0x42b17218, v52
	v_cndmask_b32_e64 v74, 0x7f800000, v74, s64
	v_cmp_ngt_f32_e64 s64, 0xc2ce8ed0, v49
	s_delay_alu instid0(VALU_DEP_2) | instskip(NEXT) | instid1(VALU_DEP_1)
	v_dual_add_f32 v73, v73, v74 :: v_dual_mul_f32 v74, 0x3fb8aa3b, v49
	v_fma_f32 v75, 0x3fb8aa3b, v49, -v74
	v_rndne_f32_e32 v76, v74
	s_delay_alu instid0(VALU_DEP_1) | instskip(NEXT) | instid1(VALU_DEP_1)
	v_dual_fmac_f32 v75, 0x32a5705f, v49 :: v_dual_sub_f32 v74, v74, v76
	v_add_f32_e32 v74, v74, v75
	v_cvt_i32_f32_e32 v75, v76
	s_delay_alu instid0(VALU_DEP_2) | instskip(SKIP_2) | instid1(VALU_DEP_1)
	v_exp_f32_e32 v74, v74
	s_waitcnt_depctr 0xfff
	v_ldexp_f32 v74, v74, v75
	v_cndmask_b32_e64 v74, 0, v74, s64
	v_cmp_nlt_f32_e64 s64, 0x42b17218, v49
	s_delay_alu instid0(VALU_DEP_1) | instskip(SKIP_1) | instid1(VALU_DEP_2)
	v_cndmask_b32_e64 v74, 0x7f800000, v74, s64
	v_cmp_ngt_f32_e64 s64, 0xc2ce8ed0, v48
	v_dual_add_f32 v73, v73, v74 :: v_dual_mul_f32 v74, 0x3fb8aa3b, v48
	s_delay_alu instid0(VALU_DEP_1) | instskip(SKIP_1) | instid1(VALU_DEP_2)
	v_fma_f32 v75, 0x3fb8aa3b, v48, -v74
	v_rndne_f32_e32 v76, v74
	v_fmac_f32_e32 v75, 0x32a5705f, v48
	s_delay_alu instid0(VALU_DEP_2) | instskip(NEXT) | instid1(VALU_DEP_1)
	v_sub_f32_e32 v74, v74, v76
	v_add_f32_e32 v74, v74, v75
	v_cvt_i32_f32_e32 v75, v76
	s_delay_alu instid0(VALU_DEP_2) | instskip(SKIP_2) | instid1(VALU_DEP_1)
	v_exp_f32_e32 v74, v74
	s_waitcnt_depctr 0xfff
	v_ldexp_f32 v74, v74, v75
	v_cndmask_b32_e64 v74, 0, v74, s64
	v_cmp_nlt_f32_e64 s64, 0x42b17218, v48
	s_delay_alu instid0(VALU_DEP_1) | instskip(SKIP_1) | instid1(VALU_DEP_2)
	v_cndmask_b32_e64 v74, 0x7f800000, v74, s64
	v_cmp_ngt_f32_e64 s64, 0xc2ce8ed0, v43
	v_dual_add_f32 v73, v73, v74 :: v_dual_mul_f32 v74, 0x3fb8aa3b, v43
	s_delay_alu instid0(VALU_DEP_1) | instskip(SKIP_1) | instid1(VALU_DEP_1)
	v_fma_f32 v75, 0x3fb8aa3b, v43, -v74
	v_rndne_f32_e32 v76, v74
	v_dual_fmac_f32 v75, 0x32a5705f, v43 :: v_dual_sub_f32 v74, v74, v76
	s_delay_alu instid0(VALU_DEP_1) | instskip(SKIP_1) | instid1(VALU_DEP_2)
	v_add_f32_e32 v74, v74, v75
	v_cvt_i32_f32_e32 v75, v76
	v_exp_f32_e32 v74, v74
	s_waitcnt_depctr 0xfff
	v_ldexp_f32 v74, v74, v75
	s_delay_alu instid0(VALU_DEP_1) | instskip(SKIP_1) | instid1(VALU_DEP_1)
	v_cndmask_b32_e64 v74, 0, v74, s64
	v_cmp_nlt_f32_e64 s64, 0x42b17218, v43
	v_cndmask_b32_e64 v74, 0x7f800000, v74, s64
	v_cmp_ngt_f32_e64 s64, 0xc2ce8ed0, v44
	s_delay_alu instid0(VALU_DEP_2) | instskip(NEXT) | instid1(VALU_DEP_1)
	v_dual_add_f32 v73, v73, v74 :: v_dual_mul_f32 v74, 0x3fb8aa3b, v44
	v_fma_f32 v75, 0x3fb8aa3b, v44, -v74
	v_rndne_f32_e32 v76, v74
	s_delay_alu instid0(VALU_DEP_2) | instskip(NEXT) | instid1(VALU_DEP_2)
	v_fmac_f32_e32 v75, 0x32a5705f, v44
	v_sub_f32_e32 v74, v74, v76
	s_delay_alu instid0(VALU_DEP_1) | instskip(SKIP_1) | instid1(VALU_DEP_2)
	v_add_f32_e32 v74, v74, v75
	v_cvt_i32_f32_e32 v75, v76
	v_exp_f32_e32 v74, v74
	s_waitcnt_depctr 0xfff
	v_ldexp_f32 v74, v74, v75
	s_delay_alu instid0(VALU_DEP_1) | instskip(SKIP_1) | instid1(VALU_DEP_1)
	v_cndmask_b32_e64 v74, 0, v74, s64
	v_cmp_nlt_f32_e64 s64, 0x42b17218, v44
	v_cndmask_b32_e64 v74, 0x7f800000, v74, s64
	v_cmp_ngt_f32_e64 s64, 0xc2ce8ed0, v40
	s_delay_alu instid0(VALU_DEP_2) | instskip(NEXT) | instid1(VALU_DEP_1)
	v_dual_add_f32 v73, v73, v74 :: v_dual_mul_f32 v74, 0x3fb8aa3b, v40
	v_fma_f32 v75, 0x3fb8aa3b, v40, -v74
	v_rndne_f32_e32 v76, v74
	s_delay_alu instid0(VALU_DEP_2) | instskip(NEXT) | instid1(VALU_DEP_2)
	v_fmac_f32_e32 v75, 0x32a5705f, v40
	v_sub_f32_e32 v74, v74, v76
	s_delay_alu instid0(VALU_DEP_1) | instskip(SKIP_1) | instid1(VALU_DEP_2)
	v_add_f32_e32 v74, v74, v75
	v_cvt_i32_f32_e32 v75, v76
	v_exp_f32_e32 v74, v74
	s_waitcnt_depctr 0xfff
	v_ldexp_f32 v74, v74, v75
	s_delay_alu instid0(VALU_DEP_1) | instskip(SKIP_1) | instid1(VALU_DEP_1)
	v_cndmask_b32_e64 v74, 0, v74, s64
	v_cmp_nlt_f32_e64 s64, 0x42b17218, v40
	v_cndmask_b32_e64 v74, 0x7f800000, v74, s64
	v_cmp_ngt_f32_e64 s64, 0xc2ce8ed0, v39
	s_delay_alu instid0(VALU_DEP_2) | instskip(NEXT) | instid1(VALU_DEP_1)
	v_dual_add_f32 v73, v73, v74 :: v_dual_mul_f32 v74, 0x3fb8aa3b, v39
	v_fma_f32 v75, 0x3fb8aa3b, v39, -v74
	v_rndne_f32_e32 v76, v74
	s_delay_alu instid0(VALU_DEP_1) | instskip(NEXT) | instid1(VALU_DEP_1)
	v_dual_fmac_f32 v75, 0x32a5705f, v39 :: v_dual_sub_f32 v74, v74, v76
	v_add_f32_e32 v74, v74, v75
	v_cvt_i32_f32_e32 v75, v76
	s_delay_alu instid0(VALU_DEP_2) | instskip(SKIP_2) | instid1(VALU_DEP_1)
	v_exp_f32_e32 v74, v74
	s_waitcnt_depctr 0xfff
	v_ldexp_f32 v74, v74, v75
	v_cndmask_b32_e64 v74, 0, v74, s64
	v_cmp_nlt_f32_e64 s64, 0x42b17218, v39
	s_delay_alu instid0(VALU_DEP_1) | instskip(SKIP_1) | instid1(VALU_DEP_2)
	v_cndmask_b32_e64 v74, 0x7f800000, v74, s64
	v_cmp_ngt_f32_e64 s64, 0xc2ce8ed0, v37
	v_dual_add_f32 v73, v73, v74 :: v_dual_mul_f32 v74, 0x3fb8aa3b, v37
	s_delay_alu instid0(VALU_DEP_1) | instskip(SKIP_1) | instid1(VALU_DEP_1)
	v_fma_f32 v75, 0x3fb8aa3b, v37, -v74
	v_rndne_f32_e32 v76, v74
	v_dual_fmac_f32 v75, 0x32a5705f, v37 :: v_dual_sub_f32 v74, v74, v76
	s_delay_alu instid0(VALU_DEP_1) | instskip(SKIP_1) | instid1(VALU_DEP_2)
	v_add_f32_e32 v74, v74, v75
	v_cvt_i32_f32_e32 v75, v76
	v_exp_f32_e32 v74, v74
	s_waitcnt_depctr 0xfff
	v_ldexp_f32 v74, v74, v75
	s_delay_alu instid0(VALU_DEP_1) | instskip(SKIP_1) | instid1(VALU_DEP_1)
	v_cndmask_b32_e64 v74, 0, v74, s64
	v_cmp_nlt_f32_e64 s64, 0x42b17218, v37
	v_cndmask_b32_e64 v74, 0x7f800000, v74, s64
	v_cmp_ngt_f32_e64 s64, 0xc2ce8ed0, v36
	s_delay_alu instid0(VALU_DEP_2) | instskip(NEXT) | instid1(VALU_DEP_1)
	v_dual_add_f32 v73, v73, v74 :: v_dual_mul_f32 v74, 0x3fb8aa3b, v36
	v_fma_f32 v75, 0x3fb8aa3b, v36, -v74
	v_rndne_f32_e32 v76, v74
	s_delay_alu instid0(VALU_DEP_2) | instskip(NEXT) | instid1(VALU_DEP_2)
	v_fmac_f32_e32 v75, 0x32a5705f, v36
	v_sub_f32_e32 v74, v74, v76
	s_delay_alu instid0(VALU_DEP_1) | instskip(SKIP_1) | instid1(VALU_DEP_2)
	v_add_f32_e32 v74, v74, v75
	v_cvt_i32_f32_e32 v75, v76
	v_exp_f32_e32 v74, v74
	s_waitcnt_depctr 0xfff
	v_ldexp_f32 v74, v74, v75
	s_delay_alu instid0(VALU_DEP_1) | instskip(SKIP_1) | instid1(VALU_DEP_1)
	v_cndmask_b32_e64 v74, 0, v74, s64
	v_cmp_nlt_f32_e64 s64, 0x42b17218, v36
	v_cndmask_b32_e64 v74, 0x7f800000, v74, s64
	v_cmp_ngt_f32_e64 s64, 0xc2ce8ed0, v33
	s_delay_alu instid0(VALU_DEP_2) | instskip(NEXT) | instid1(VALU_DEP_1)
	v_dual_add_f32 v73, v73, v74 :: v_dual_mul_f32 v74, 0x3fb8aa3b, v33
	v_fma_f32 v75, 0x3fb8aa3b, v33, -v74
	v_rndne_f32_e32 v76, v74
	s_delay_alu instid0(VALU_DEP_1) | instskip(NEXT) | instid1(VALU_DEP_1)
	v_dual_fmac_f32 v75, 0x32a5705f, v33 :: v_dual_sub_f32 v74, v74, v76
	v_add_f32_e32 v74, v74, v75
	v_cvt_i32_f32_e32 v75, v76
	s_delay_alu instid0(VALU_DEP_2) | instskip(SKIP_2) | instid1(VALU_DEP_1)
	v_exp_f32_e32 v74, v74
	s_waitcnt_depctr 0xfff
	v_ldexp_f32 v74, v74, v75
	v_cndmask_b32_e64 v74, 0, v74, s64
	v_cmp_nlt_f32_e64 s64, 0x42b17218, v33
	s_delay_alu instid0(VALU_DEP_1) | instskip(SKIP_1) | instid1(VALU_DEP_2)
	v_cndmask_b32_e64 v74, 0x7f800000, v74, s64
	v_cmp_ngt_f32_e64 s64, 0xc2ce8ed0, v34
	v_add_f32_e32 v73, v73, v74
	v_mul_f32_e32 v74, 0x3fb8aa3b, v34
	s_delay_alu instid0(VALU_DEP_1) | instskip(SKIP_1) | instid1(VALU_DEP_1)
	v_fma_f32 v75, 0x3fb8aa3b, v34, -v74
	v_rndne_f32_e32 v76, v74
	v_dual_fmac_f32 v75, 0x32a5705f, v34 :: v_dual_sub_f32 v74, v74, v76
	s_delay_alu instid0(VALU_DEP_1) | instskip(SKIP_1) | instid1(VALU_DEP_2)
	v_add_f32_e32 v74, v74, v75
	v_cvt_i32_f32_e32 v75, v76
	v_exp_f32_e32 v74, v74
	s_waitcnt_depctr 0xfff
	v_ldexp_f32 v74, v74, v75
	s_delay_alu instid0(VALU_DEP_1) | instskip(SKIP_1) | instid1(VALU_DEP_1)
	v_cndmask_b32_e64 v74, 0, v74, s64
	v_cmp_nlt_f32_e64 s64, 0x42b17218, v34
	v_cndmask_b32_e64 v74, 0x7f800000, v74, s64
	v_cmp_ngt_f32_e64 s64, 0xc2ce8ed0, v30
	s_delay_alu instid0(VALU_DEP_2) | instskip(SKIP_1) | instid1(VALU_DEP_1)
	v_add_f32_e32 v73, v73, v74
	v_mul_f32_e32 v74, 0x3fb8aa3b, v30
	v_fma_f32 v75, 0x3fb8aa3b, v30, -v74
	v_rndne_f32_e32 v76, v74
	s_delay_alu instid0(VALU_DEP_1) | instskip(NEXT) | instid1(VALU_DEP_1)
	v_dual_fmac_f32 v75, 0x32a5705f, v30 :: v_dual_sub_f32 v74, v74, v76
	v_add_f32_e32 v74, v74, v75
	v_cvt_i32_f32_e32 v75, v76
	s_delay_alu instid0(VALU_DEP_2) | instskip(SKIP_2) | instid1(VALU_DEP_1)
	v_exp_f32_e32 v74, v74
	s_waitcnt_depctr 0xfff
	v_ldexp_f32 v74, v74, v75
	v_cndmask_b32_e64 v74, 0, v74, s64
	v_cmp_nlt_f32_e64 s64, 0x42b17218, v30
	s_delay_alu instid0(VALU_DEP_1) | instskip(SKIP_1) | instid1(VALU_DEP_2)
	v_cndmask_b32_e64 v74, 0x7f800000, v74, s64
	v_cmp_ngt_f32_e64 s64, 0xc2ce8ed0, v29
	v_dual_add_f32 v73, v73, v74 :: v_dual_mul_f32 v74, 0x3fb8aa3b, v29
	s_delay_alu instid0(VALU_DEP_1) | instskip(SKIP_1) | instid1(VALU_DEP_1)
	v_fma_f32 v75, 0x3fb8aa3b, v29, -v74
	v_rndne_f32_e32 v76, v74
	v_dual_fmac_f32 v75, 0x32a5705f, v29 :: v_dual_sub_f32 v74, v74, v76
	s_delay_alu instid0(VALU_DEP_1) | instskip(SKIP_1) | instid1(VALU_DEP_2)
	v_add_f32_e32 v74, v74, v75
	v_cvt_i32_f32_e32 v75, v76
	v_exp_f32_e32 v74, v74
	s_waitcnt_depctr 0xfff
	v_ldexp_f32 v74, v74, v75
	s_delay_alu instid0(VALU_DEP_1) | instskip(SKIP_1) | instid1(VALU_DEP_1)
	v_cndmask_b32_e64 v74, 0, v74, s64
	v_cmp_nlt_f32_e64 s64, 0x42b17218, v29
	v_cndmask_b32_e64 v74, 0x7f800000, v74, s64
	v_cmp_ngt_f32_e64 s64, 0xc2ce8ed0, v27
	s_delay_alu instid0(VALU_DEP_2) | instskip(NEXT) | instid1(VALU_DEP_1)
	v_dual_add_f32 v73, v73, v74 :: v_dual_mul_f32 v74, 0x3fb8aa3b, v27
	v_fma_f32 v75, 0x3fb8aa3b, v27, -v74
	v_rndne_f32_e32 v76, v74
	s_delay_alu instid0(VALU_DEP_1) | instskip(NEXT) | instid1(VALU_DEP_1)
	v_dual_fmac_f32 v75, 0x32a5705f, v27 :: v_dual_sub_f32 v74, v74, v76
	v_add_f32_e32 v74, v74, v75
	v_cvt_i32_f32_e32 v75, v76
	s_delay_alu instid0(VALU_DEP_2) | instskip(SKIP_2) | instid1(VALU_DEP_1)
	v_exp_f32_e32 v74, v74
	s_waitcnt_depctr 0xfff
	v_ldexp_f32 v74, v74, v75
	v_cndmask_b32_e64 v74, 0, v74, s64
	v_cmp_nlt_f32_e64 s64, 0x42b17218, v27
	s_delay_alu instid0(VALU_DEP_1) | instskip(SKIP_1) | instid1(VALU_DEP_2)
	v_cndmask_b32_e64 v74, 0x7f800000, v74, s64
	v_cmp_ngt_f32_e64 s64, 0xc2ce8ed0, v25
	v_dual_add_f32 v73, v73, v74 :: v_dual_mul_f32 v74, 0x3fb8aa3b, v25
	s_delay_alu instid0(VALU_DEP_1) | instskip(SKIP_1) | instid1(VALU_DEP_1)
	v_fma_f32 v75, 0x3fb8aa3b, v25, -v74
	v_rndne_f32_e32 v76, v74
	v_dual_fmac_f32 v75, 0x32a5705f, v25 :: v_dual_sub_f32 v74, v74, v76
	s_delay_alu instid0(VALU_DEP_1) | instskip(SKIP_1) | instid1(VALU_DEP_2)
	v_add_f32_e32 v74, v74, v75
	v_cvt_i32_f32_e32 v75, v76
	v_exp_f32_e32 v74, v74
	s_waitcnt_depctr 0xfff
	v_ldexp_f32 v74, v74, v75
	s_delay_alu instid0(VALU_DEP_1) | instskip(SKIP_1) | instid1(VALU_DEP_1)
	v_cndmask_b32_e64 v74, 0, v74, s64
	v_cmp_nlt_f32_e64 s64, 0x42b17218, v25
	v_cndmask_b32_e64 v74, 0x7f800000, v74, s64
	s_delay_alu instid0(VALU_DEP_1) | instskip(NEXT) | instid1(VALU_DEP_1)
	v_dual_add_f32 v73, v73, v74 :: v_dual_mul_f32 v74, 0x3fb8aa3b, v21
	v_fma_f32 v75, 0x3fb8aa3b, v21, -v74
	v_rndne_f32_e32 v76, v74
	s_delay_alu instid0(VALU_DEP_1) | instskip(NEXT) | instid1(VALU_DEP_1)
	v_dual_fmac_f32 v75, 0x32a5705f, v21 :: v_dual_sub_f32 v74, v74, v76
	v_add_f32_e32 v74, v74, v75
	v_cvt_i32_f32_e32 v75, v76
	v_cmp_ngt_f32_e64 s64, 0xc2ce8ed0, v21
	s_delay_alu instid0(VALU_DEP_3) | instskip(SKIP_2) | instid1(VALU_DEP_1)
	v_exp_f32_e32 v74, v74
	s_waitcnt_depctr 0xfff
	v_ldexp_f32 v74, v74, v75
	v_cndmask_b32_e64 v74, 0, v74, s64
	v_cmp_nlt_f32_e64 s64, 0x42b17218, v21
	s_delay_alu instid0(VALU_DEP_1) | instskip(SKIP_1) | instid1(VALU_DEP_2)
	v_cndmask_b32_e64 v74, 0x7f800000, v74, s64
	v_cmp_ngt_f32_e64 s64, 0xc2ce8ed0, v22
	v_add_f32_e32 v73, v73, v74
	v_mul_f32_e32 v74, 0x3fb8aa3b, v22
	s_delay_alu instid0(VALU_DEP_1) | instskip(SKIP_1) | instid1(VALU_DEP_1)
	v_fma_f32 v75, 0x3fb8aa3b, v22, -v74
	v_rndne_f32_e32 v76, v74
	v_dual_fmac_f32 v75, 0x32a5705f, v22 :: v_dual_sub_f32 v74, v74, v76
	s_delay_alu instid0(VALU_DEP_1) | instskip(SKIP_1) | instid1(VALU_DEP_2)
	v_add_f32_e32 v74, v74, v75
	v_cvt_i32_f32_e32 v75, v76
	v_exp_f32_e32 v74, v74
	s_waitcnt_depctr 0xfff
	v_ldexp_f32 v74, v74, v75
	s_delay_alu instid0(VALU_DEP_1) | instskip(SKIP_1) | instid1(VALU_DEP_1)
	v_cndmask_b32_e64 v74, 0, v74, s64
	v_cmp_nlt_f32_e64 s64, 0x42b17218, v22
	v_cndmask_b32_e64 v74, 0x7f800000, v74, s64
	v_cmp_ngt_f32_e64 s64, 0xc2ce8ed0, v17
	s_delay_alu instid0(VALU_DEP_2) | instskip(NEXT) | instid1(VALU_DEP_1)
	v_dual_add_f32 v73, v73, v74 :: v_dual_mul_f32 v74, 0x3fb8aa3b, v17
	v_fma_f32 v75, 0x3fb8aa3b, v17, -v74
	v_rndne_f32_e32 v76, v74
	s_delay_alu instid0(VALU_DEP_1) | instskip(NEXT) | instid1(VALU_DEP_1)
	v_dual_fmac_f32 v75, 0x32a5705f, v17 :: v_dual_sub_f32 v74, v74, v76
	v_add_f32_e32 v74, v74, v75
	v_cvt_i32_f32_e32 v75, v76
	s_delay_alu instid0(VALU_DEP_2) | instskip(SKIP_2) | instid1(VALU_DEP_1)
	v_exp_f32_e32 v74, v74
	s_waitcnt_depctr 0xfff
	v_ldexp_f32 v74, v74, v75
	v_cndmask_b32_e64 v74, 0, v74, s64
	v_cmp_nlt_f32_e64 s64, 0x42b17218, v17
	s_delay_alu instid0(VALU_DEP_1) | instskip(SKIP_1) | instid1(VALU_DEP_2)
	v_cndmask_b32_e64 v74, 0x7f800000, v74, s64
	v_cmp_ngt_f32_e64 s64, 0xc2ce8ed0, v16
	v_dual_add_f32 v73, v73, v74 :: v_dual_mul_f32 v74, 0x3fb8aa3b, v16
	s_delay_alu instid0(VALU_DEP_1) | instskip(SKIP_1) | instid1(VALU_DEP_2)
	v_fma_f32 v75, 0x3fb8aa3b, v16, -v74
	v_rndne_f32_e32 v76, v74
	v_fmac_f32_e32 v75, 0x32a5705f, v16
	s_delay_alu instid0(VALU_DEP_2) | instskip(NEXT) | instid1(VALU_DEP_1)
	v_sub_f32_e32 v74, v74, v76
	v_add_f32_e32 v74, v74, v75
	v_cvt_i32_f32_e32 v75, v76
	s_delay_alu instid0(VALU_DEP_2) | instskip(SKIP_2) | instid1(VALU_DEP_1)
	v_exp_f32_e32 v74, v74
	s_waitcnt_depctr 0xfff
	v_ldexp_f32 v74, v74, v75
	v_cndmask_b32_e64 v74, 0, v74, s64
	v_cmp_nlt_f32_e64 s64, 0x42b17218, v16
	s_delay_alu instid0(VALU_DEP_1) | instskip(SKIP_1) | instid1(VALU_DEP_2)
	v_cndmask_b32_e64 v74, 0x7f800000, v74, s64
	v_cmp_ngt_f32_e64 s64, 0xc2ce8ed0, v12
	v_dual_add_f32 v73, v73, v74 :: v_dual_mul_f32 v74, 0x3fb8aa3b, v12
	s_delay_alu instid0(VALU_DEP_1) | instskip(SKIP_1) | instid1(VALU_DEP_2)
	v_fma_f32 v75, 0x3fb8aa3b, v12, -v74
	v_rndne_f32_e32 v76, v74
	v_fmac_f32_e32 v75, 0x32a5705f, v12
	s_delay_alu instid0(VALU_DEP_2) | instskip(NEXT) | instid1(VALU_DEP_1)
	v_sub_f32_e32 v74, v74, v76
	v_add_f32_e32 v74, v74, v75
	v_cvt_i32_f32_e32 v75, v76
	s_delay_alu instid0(VALU_DEP_2) | instskip(SKIP_2) | instid1(VALU_DEP_1)
	v_exp_f32_e32 v74, v74
	s_waitcnt_depctr 0xfff
	v_ldexp_f32 v74, v74, v75
	v_cndmask_b32_e64 v74, 0, v74, s64
	v_cmp_nlt_f32_e64 s64, 0x42b17218, v12
	s_delay_alu instid0(VALU_DEP_1) | instskip(SKIP_1) | instid1(VALU_DEP_2)
	v_cndmask_b32_e64 v74, 0x7f800000, v74, s64
	v_cmp_ngt_f32_e64 s64, 0xc2ce8ed0, v11
	v_dual_add_f32 v73, v73, v74 :: v_dual_mul_f32 v74, 0x3fb8aa3b, v11
	s_delay_alu instid0(VALU_DEP_1) | instskip(SKIP_1) | instid1(VALU_DEP_1)
	v_fma_f32 v75, 0x3fb8aa3b, v11, -v74
	v_rndne_f32_e32 v76, v74
	v_dual_fmac_f32 v75, 0x32a5705f, v11 :: v_dual_sub_f32 v74, v74, v76
	s_delay_alu instid0(VALU_DEP_1) | instskip(SKIP_1) | instid1(VALU_DEP_2)
	v_add_f32_e32 v74, v74, v75
	v_cvt_i32_f32_e32 v75, v76
	v_exp_f32_e32 v74, v74
	s_waitcnt_depctr 0xfff
	v_ldexp_f32 v74, v74, v75
	s_delay_alu instid0(VALU_DEP_1) | instskip(SKIP_1) | instid1(VALU_DEP_1)
	v_cndmask_b32_e64 v74, 0, v74, s64
	v_cmp_nlt_f32_e64 s64, 0x42b17218, v11
	v_cndmask_b32_e64 v74, 0x7f800000, v74, s64
	v_cmp_ngt_f32_e64 s64, 0xc2ce8ed0, v10
	s_delay_alu instid0(VALU_DEP_2) | instskip(SKIP_1) | instid1(VALU_DEP_1)
	v_add_f32_e32 v73, v73, v74
	v_mul_f32_e32 v74, 0x3fb8aa3b, v10
	v_fma_f32 v75, 0x3fb8aa3b, v10, -v74
	v_rndne_f32_e32 v76, v74
	s_delay_alu instid0(VALU_DEP_1) | instskip(NEXT) | instid1(VALU_DEP_1)
	v_dual_fmac_f32 v75, 0x32a5705f, v10 :: v_dual_sub_f32 v74, v74, v76
	v_add_f32_e32 v74, v74, v75
	v_cvt_i32_f32_e32 v75, v76
	s_delay_alu instid0(VALU_DEP_2) | instskip(SKIP_2) | instid1(VALU_DEP_1)
	v_exp_f32_e32 v74, v74
	s_waitcnt_depctr 0xfff
	v_ldexp_f32 v74, v74, v75
	v_cndmask_b32_e64 v74, 0, v74, s64
	v_cmp_nlt_f32_e64 s64, 0x42b17218, v10
	s_delay_alu instid0(VALU_DEP_1) | instskip(SKIP_1) | instid1(VALU_DEP_2)
	v_cndmask_b32_e64 v74, 0x7f800000, v74, s64
	v_cmp_ngt_f32_e64 s64, 0xc2ce8ed0, v9
	v_dual_add_f32 v73, v73, v74 :: v_dual_mul_f32 v74, 0x3fb8aa3b, v9
	s_delay_alu instid0(VALU_DEP_1) | instskip(SKIP_1) | instid1(VALU_DEP_1)
	v_fma_f32 v75, 0x3fb8aa3b, v9, -v74
	v_rndne_f32_e32 v76, v74
	v_dual_fmac_f32 v75, 0x32a5705f, v9 :: v_dual_sub_f32 v74, v74, v76
	s_delay_alu instid0(VALU_DEP_1) | instskip(SKIP_1) | instid1(VALU_DEP_2)
	v_add_f32_e32 v74, v74, v75
	v_cvt_i32_f32_e32 v75, v76
	v_exp_f32_e32 v74, v74
	s_waitcnt_depctr 0xfff
	v_ldexp_f32 v74, v74, v75
	s_delay_alu instid0(VALU_DEP_1) | instskip(SKIP_1) | instid1(VALU_DEP_1)
	v_cndmask_b32_e64 v74, 0, v74, s64
	v_cmp_nlt_f32_e64 s64, 0x42b17218, v9
	v_cndmask_b32_e64 v74, 0x7f800000, v74, s64
	v_cmp_ngt_f32_e64 s64, 0xc2ce8ed0, v7
	s_delay_alu instid0(VALU_DEP_2) | instskip(NEXT) | instid1(VALU_DEP_1)
	v_dual_add_f32 v73, v73, v74 :: v_dual_mul_f32 v74, 0x3fb8aa3b, v7
	v_fma_f32 v75, 0x3fb8aa3b, v7, -v74
	v_rndne_f32_e32 v76, v74
	s_delay_alu instid0(VALU_DEP_1) | instskip(NEXT) | instid1(VALU_DEP_1)
	v_dual_fmac_f32 v75, 0x32a5705f, v7 :: v_dual_sub_f32 v74, v74, v76
	v_add_f32_e32 v74, v74, v75
	v_cvt_i32_f32_e32 v75, v76
	s_delay_alu instid0(VALU_DEP_2) | instskip(SKIP_2) | instid1(VALU_DEP_1)
	v_exp_f32_e32 v74, v74
	s_waitcnt_depctr 0xfff
	v_ldexp_f32 v74, v74, v75
	v_cndmask_b32_e64 v74, 0, v74, s64
	v_cmp_nlt_f32_e64 s64, 0x42b17218, v7
	s_delay_alu instid0(VALU_DEP_1) | instskip(SKIP_1) | instid1(VALU_DEP_2)
	v_cndmask_b32_e64 v74, 0x7f800000, v74, s64
	v_cmp_ngt_f32_e64 s64, 0xc2ce8ed0, v8
	v_dual_add_f32 v73, v73, v74 :: v_dual_mul_f32 v74, 0x3fb8aa3b, v8
	s_delay_alu instid0(VALU_DEP_1) | instskip(SKIP_1) | instid1(VALU_DEP_2)
	v_fma_f32 v75, 0x3fb8aa3b, v8, -v74
	v_rndne_f32_e32 v76, v74
	v_fmac_f32_e32 v75, 0x32a5705f, v8
	s_delay_alu instid0(VALU_DEP_2) | instskip(NEXT) | instid1(VALU_DEP_1)
	v_sub_f32_e32 v74, v74, v76
	v_add_f32_e32 v74, v74, v75
	v_cvt_i32_f32_e32 v75, v76
	s_delay_alu instid0(VALU_DEP_2) | instskip(SKIP_3) | instid1(VALU_DEP_2)
	v_exp_f32_e32 v74, v74
	s_waitcnt_depctr 0xfff
	v_ldexp_f32 v74, v74, v75
	v_rndne_f32_e32 v75, v24
	v_cndmask_b32_e64 v74, 0, v74, s64
	v_cmp_nlt_f32_e64 s64, 0x42b17218, v8
	s_delay_alu instid0(VALU_DEP_1) | instskip(SKIP_1) | instid1(VALU_DEP_2)
	v_cndmask_b32_e64 v74, 0x7f800000, v74, s64
	v_cmp_ngt_f32_e64 s64, 0xc2ce8ed0, v6
	v_add_f32_e32 v73, v73, v74
	v_fma_f32 v74, 0x3fb8aa3b, v6, -v24
	v_sub_f32_e32 v24, v24, v75
	s_delay_alu instid0(VALU_DEP_2) | instskip(NEXT) | instid1(VALU_DEP_1)
	v_fmac_f32_e32 v74, 0x32a5705f, v6
	v_add_f32_e32 v24, v24, v74
	v_cvt_i32_f32_e32 v74, v75
	s_delay_alu instid0(VALU_DEP_2) | instskip(SKIP_2) | instid1(VALU_DEP_1)
	v_exp_f32_e32 v24, v24
	s_waitcnt_depctr 0xfff
	v_ldexp_f32 v24, v24, v74
	v_cndmask_b32_e64 v24, 0, v24, s64
	v_cmp_nlt_f32_e64 s64, 0x42b17218, v6
	s_delay_alu instid0(VALU_DEP_1) | instskip(NEXT) | instid1(VALU_DEP_1)
	v_cndmask_b32_e64 v24, 0x7f800000, v24, s64
	v_add_f32_e32 v24, v73, v24
	ds_bpermute_b32 v2, v2, v24
	s_waitcnt lgkmcnt(0)
	v_add_f32_e32 v2, v24, v2
	ds_bpermute_b32 v3, v3, v2
	s_waitcnt lgkmcnt(0)
	;; [unrolled: 3-line block ×4, first 2 shown]
	v_add_f32_e32 v2, v2, v3
	ds_bpermute_b32 v3, v18, v2
	v_cmpx_lt_i32_e32 0, v5
	s_cbranch_execz .LBB93_194
; %bb.129:
	s_and_b32 exec_lo, exec_lo, s1
	s_cbranch_execz .LBB93_194
; %bb.130:
	s_waitcnt lgkmcnt(0)
	v_add_f32_e32 v2, v2, v3
	s_delay_alu instid0(VALU_DEP_1) | instskip(NEXT) | instid1(VALU_DEP_1)
	v_cmp_gt_f32_e64 s1, 0x800000, v2
	v_cndmask_b32_e64 v3, 1.0, 0x4f800000, s1
	s_delay_alu instid0(VALU_DEP_1) | instskip(NEXT) | instid1(VALU_DEP_1)
	v_mul_f32_e32 v2, v2, v3
	v_log_f32_e32 v2, v2
	s_waitcnt_depctr 0xfff
	v_mul_f32_e32 v3, 0x3f317217, v2
	v_cmp_gt_f32_e64 s64, 0x7f800000, |v2|
	s_delay_alu instid0(VALU_DEP_2) | instskip(NEXT) | instid1(VALU_DEP_1)
	v_fma_f32 v5, 0x3f317217, v2, -v3
	v_fmamk_f32 v5, v2, 0x3377d1cf, v5
	s_delay_alu instid0(VALU_DEP_1) | instskip(NEXT) | instid1(VALU_DEP_1)
	v_add_f32_e32 v3, v3, v5
	v_cndmask_b32_e64 v2, v2, v3, s64
	v_cndmask_b32_e64 v3, 0, 0x41b17218, s1
	v_add_co_u32 v0, s1, s68, v0
	s_delay_alu instid0(VALU_DEP_1) | instskip(NEXT) | instid1(VALU_DEP_3)
	v_add_co_ci_u32_e64 v1, s1, s69, v1, s1
	v_sub_f32_e32 v2, v2, v3
	s_delay_alu instid0(VALU_DEP_1) | instskip(NEXT) | instid1(VALU_DEP_1)
	v_sub_f32_e32 v3, v4, v2
	v_cvt_f16_f32_e32 v3, v3
	global_store_b16 v[0:1], v3, off
	s_and_b32 exec_lo, exec_lo, vcc_lo
	s_cbranch_execz .LBB93_194
; %bb.131:
	v_sub_f32_e32 v3, v15, v2
	s_delay_alu instid0(VALU_DEP_1)
	v_cvt_f16_f32_e32 v3, v3
	global_store_b16 v[0:1], v3, off offset:64
	s_and_b32 exec_lo, exec_lo, s0
	s_cbranch_execz .LBB93_194
; %bb.132:
	v_sub_f32_e32 v3, v19, v2
	s_delay_alu instid0(VALU_DEP_1)
	v_cvt_f16_f32_e32 v3, v3
	global_store_b16 v[0:1], v3, off offset:128
	s_and_b32 exec_lo, exec_lo, s2
	;; [unrolled: 7-line block ×62, first 2 shown]
	s_cbranch_execz .LBB93_194
; %bb.193:
	v_sub_f32_e32 v2, v6, v2
	s_delay_alu instid0(VALU_DEP_1)
	v_cvt_f16_f32_e32 v2, v2
	global_store_b16 v[0:1], v2, off offset:4032
.LBB93_194:
	s_nop 0
	s_sendmsg sendmsg(MSG_DEALLOC_VGPRS)
	s_endpgm
	.section	.rodata,"a",@progbits
	.p2align	6, 0x0
	.amdhsa_kernel _ZN12_GLOBAL__N_120softmax_warp_forwardIN3c104HalfES2_fLi11ELb1ELb0ELi32EEEvPT0_PKT_iiiPKbib
		.amdhsa_group_segment_fixed_size 0
		.amdhsa_private_segment_fixed_size 0
		.amdhsa_kernarg_size 304
		.amdhsa_user_sgpr_count 15
		.amdhsa_user_sgpr_dispatch_ptr 0
		.amdhsa_user_sgpr_queue_ptr 0
		.amdhsa_user_sgpr_kernarg_segment_ptr 1
		.amdhsa_user_sgpr_dispatch_id 0
		.amdhsa_user_sgpr_private_segment_size 0
		.amdhsa_wavefront_size32 1
		.amdhsa_uses_dynamic_stack 0
		.amdhsa_enable_private_segment 0
		.amdhsa_system_sgpr_workgroup_id_x 1
		.amdhsa_system_sgpr_workgroup_id_y 0
		.amdhsa_system_sgpr_workgroup_id_z 0
		.amdhsa_system_sgpr_workgroup_info 0
		.amdhsa_system_vgpr_workitem_id 1
		.amdhsa_next_free_vgpr 77
		.amdhsa_next_free_sgpr 76
		.amdhsa_reserve_vcc 1
		.amdhsa_float_round_mode_32 0
		.amdhsa_float_round_mode_16_64 0
		.amdhsa_float_denorm_mode_32 3
		.amdhsa_float_denorm_mode_16_64 3
		.amdhsa_dx10_clamp 1
		.amdhsa_ieee_mode 1
		.amdhsa_fp16_overflow 0
		.amdhsa_workgroup_processor_mode 1
		.amdhsa_memory_ordered 1
		.amdhsa_forward_progress 0
		.amdhsa_shared_vgpr_count 0
		.amdhsa_exception_fp_ieee_invalid_op 0
		.amdhsa_exception_fp_denorm_src 0
		.amdhsa_exception_fp_ieee_div_zero 0
		.amdhsa_exception_fp_ieee_overflow 0
		.amdhsa_exception_fp_ieee_underflow 0
		.amdhsa_exception_fp_ieee_inexact 0
		.amdhsa_exception_int_div_zero 0
	.end_amdhsa_kernel
	.section	.text._ZN12_GLOBAL__N_120softmax_warp_forwardIN3c104HalfES2_fLi11ELb1ELb0ELi32EEEvPT0_PKT_iiiPKbib,"axG",@progbits,_ZN12_GLOBAL__N_120softmax_warp_forwardIN3c104HalfES2_fLi11ELb1ELb0ELi32EEEvPT0_PKT_iiiPKbib,comdat
.Lfunc_end93:
	.size	_ZN12_GLOBAL__N_120softmax_warp_forwardIN3c104HalfES2_fLi11ELb1ELb0ELi32EEEvPT0_PKT_iiiPKbib, .Lfunc_end93-_ZN12_GLOBAL__N_120softmax_warp_forwardIN3c104HalfES2_fLi11ELb1ELb0ELi32EEEvPT0_PKT_iiiPKbib
                                        ; -- End function
	.section	.AMDGPU.csdata,"",@progbits
; Kernel info:
; codeLenInByte = 15768
; NumSgprs: 78
; NumVgprs: 77
; ScratchSize: 0
; MemoryBound: 0
; FloatMode: 240
; IeeeMode: 1
; LDSByteSize: 0 bytes/workgroup (compile time only)
; SGPRBlocks: 9
; VGPRBlocks: 9
; NumSGPRsForWavesPerEU: 78
; NumVGPRsForWavesPerEU: 77
; Occupancy: 16
; WaveLimiterHint : 0
; COMPUTE_PGM_RSRC2:SCRATCH_EN: 0
; COMPUTE_PGM_RSRC2:USER_SGPR: 15
; COMPUTE_PGM_RSRC2:TRAP_HANDLER: 0
; COMPUTE_PGM_RSRC2:TGID_X_EN: 1
; COMPUTE_PGM_RSRC2:TGID_Y_EN: 0
; COMPUTE_PGM_RSRC2:TGID_Z_EN: 0
; COMPUTE_PGM_RSRC2:TIDIG_COMP_CNT: 1
	.section	.text._ZN2at6native12_GLOBAL__N_122cunn_SoftMaxForwardRegIN3c104HalfEfS4_NS1_25LogSoftMaxForwardEpilogueElLi1EEEvPT1_PKT_T3_,"axG",@progbits,_ZN2at6native12_GLOBAL__N_122cunn_SoftMaxForwardRegIN3c104HalfEfS4_NS1_25LogSoftMaxForwardEpilogueElLi1EEEvPT1_PKT_T3_,comdat
	.globl	_ZN2at6native12_GLOBAL__N_122cunn_SoftMaxForwardRegIN3c104HalfEfS4_NS1_25LogSoftMaxForwardEpilogueElLi1EEEvPT1_PKT_T3_ ; -- Begin function _ZN2at6native12_GLOBAL__N_122cunn_SoftMaxForwardRegIN3c104HalfEfS4_NS1_25LogSoftMaxForwardEpilogueElLi1EEEvPT1_PKT_T3_
	.p2align	8
	.type	_ZN2at6native12_GLOBAL__N_122cunn_SoftMaxForwardRegIN3c104HalfEfS4_NS1_25LogSoftMaxForwardEpilogueElLi1EEEvPT1_PKT_T3_,@function
_ZN2at6native12_GLOBAL__N_122cunn_SoftMaxForwardRegIN3c104HalfEfS4_NS1_25LogSoftMaxForwardEpilogueElLi1EEEvPT1_PKT_T3_: ; @_ZN2at6native12_GLOBAL__N_122cunn_SoftMaxForwardRegIN3c104HalfEfS4_NS1_25LogSoftMaxForwardEpilogueElLi1EEEvPT1_PKT_T3_
; %bb.0:
	s_clause 0x1
	s_load_b64 s[2:3], s[0:1], 0x10
	s_load_b128 s[8:11], s[0:1], 0x0
	v_dual_mov_b32 v1, 0 :: v_dual_mov_b32 v4, 0xff7fffff
                                        ; implicit-def: $vgpr7
	s_waitcnt lgkmcnt(0)
	s_delay_alu instid0(VALU_DEP_1)
	v_cmp_gt_i64_e32 vcc_lo, s[2:3], v[0:1]
	v_lshlrev_b32_e32 v1, 1, v0
	s_mul_i32 s4, s15, s3
	s_mul_hi_u32 s5, s15, s2
	s_mul_i32 s6, s15, s2
	s_add_i32 s7, s5, s4
	s_and_saveexec_b32 s2, vcc_lo
	s_cbranch_execz .LBB94_2
; %bb.1:
	s_lshl_b64 s[4:5], s[6:7], 1
	s_delay_alu instid0(SALU_CYCLE_1) | instskip(SKIP_4) | instid1(VALU_DEP_1)
	s_add_u32 s4, s10, s4
	s_addc_u32 s5, s11, s5
	global_load_u16 v2, v1, s[4:5]
	s_waitcnt vmcnt(0)
	v_cvt_f32_f16_e32 v7, v2
	v_max_f32_e32 v4, 0xff7fffff, v7
.LBB94_2:
	s_or_b32 exec_lo, exec_lo, s2
	v_mbcnt_lo_u32_b32 v6, -1, 0
	s_barrier
	buffer_gl0_inv
	v_cmp_gt_u32_e64 s2, 16, v6
	s_delay_alu instid0(VALU_DEP_1) | instskip(SKIP_1) | instid1(VALU_DEP_2)
	v_cndmask_b32_e64 v2, 0, 1, s2
	v_cmp_gt_u32_e64 s2, 24, v6
	v_lshlrev_b32_e32 v2, 4, v2
	s_delay_alu instid0(VALU_DEP_2) | instskip(NEXT) | instid1(VALU_DEP_2)
	v_cndmask_b32_e64 v3, 0, 1, s2
	v_add_lshl_u32 v2, v2, v6, 2
	s_delay_alu instid0(VALU_DEP_2) | instskip(SKIP_4) | instid1(VALU_DEP_1)
	v_lshlrev_b32_e32 v3, 3, v3
	ds_bpermute_b32 v5, v2, v4
	v_add_lshl_u32 v3, v3, v6, 2
	s_waitcnt lgkmcnt(0)
	v_cmp_lt_f32_e64 s2, v4, v5
	v_cndmask_b32_e64 v5, v4, v5, s2
	v_cmp_gt_u32_e64 s2, 28, v6
	ds_bpermute_b32 v8, v3, v5
	v_cndmask_b32_e64 v4, 0, 1, s2
	s_delay_alu instid0(VALU_DEP_1) | instskip(NEXT) | instid1(VALU_DEP_1)
	v_lshlrev_b32_e32 v4, 2, v4
	v_add_lshl_u32 v4, v4, v6, 2
	s_waitcnt lgkmcnt(0)
	v_cmp_lt_f32_e64 s2, v5, v8
	s_delay_alu instid0(VALU_DEP_1) | instskip(SKIP_3) | instid1(VALU_DEP_1)
	v_cndmask_b32_e64 v8, v5, v8, s2
	v_cmp_gt_u32_e64 s2, 30, v6
	ds_bpermute_b32 v9, v4, v8
	v_cndmask_b32_e64 v5, 0, 1, s2
	v_lshlrev_b32_e32 v5, 1, v5
	s_delay_alu instid0(VALU_DEP_1) | instskip(SKIP_2) | instid1(VALU_DEP_1)
	v_add_lshl_u32 v5, v5, v6, 2
	s_waitcnt lgkmcnt(0)
	v_cmp_lt_f32_e64 s2, v8, v9
	v_cndmask_b32_e64 v8, v8, v9, s2
	v_cmp_ne_u32_e64 s2, 31, v6
	ds_bpermute_b32 v9, v5, v8
	v_add_co_ci_u32_e64 v6, s2, 0, v6, s2
	s_delay_alu instid0(VALU_DEP_1) | instskip(SKIP_2) | instid1(VALU_DEP_1)
	v_lshlrev_b32_e32 v6, 2, v6
	s_waitcnt lgkmcnt(0)
	v_cmp_lt_f32_e64 s2, v8, v9
	v_cndmask_b32_e64 v10, v8, v9, s2
	v_and_b32_e32 v9, 31, v0
	v_lshrrev_b32_e32 v8, 3, v0
	ds_bpermute_b32 v11, v6, v10
	v_cmp_eq_u32_e64 s2, 0, v9
	s_delay_alu instid0(VALU_DEP_1) | instskip(NEXT) | instid1(SALU_CYCLE_1)
	s_and_saveexec_b32 s3, s2
	s_xor_b32 s4, exec_lo, s3
	s_cbranch_execz .LBB94_4
; %bb.3:
	s_waitcnt lgkmcnt(0)
	v_cmp_lt_f32_e64 s3, v10, v11
	v_add_nc_u32_e32 v12, 0, v8
	s_delay_alu instid0(VALU_DEP_2)
	v_cndmask_b32_e64 v10, v10, v11, s3
	ds_store_b32 v12, v10
.LBB94_4:
	s_or_b32 exec_lo, exec_lo, s4
	s_waitcnt lgkmcnt(0)
	s_barrier
	buffer_gl0_inv
	s_load_b32 s0, s[0:1], 0x24
	v_mov_b32_e32 v10, 0xff7fffff
	v_lshl_add_u32 v9, v9, 2, 0
	s_waitcnt lgkmcnt(0)
	s_bfe_u32 s0, s0, 0xb0005
	s_delay_alu instid0(SALU_CYCLE_1) | instskip(NEXT) | instid1(VALU_DEP_1)
	v_cmp_gt_u32_e64 s0, s0, v0
	s_and_saveexec_b32 s1, s0
	s_cbranch_execnz .LBB94_17
; %bb.5:
	s_or_b32 exec_lo, exec_lo, s1
	v_cmp_gt_u32_e64 s1, 32, v0
	s_delay_alu instid0(VALU_DEP_1)
	s_and_saveexec_b32 s4, s1
	s_cbranch_execnz .LBB94_18
.LBB94_6:
	s_or_b32 exec_lo, exec_lo, s4
	v_cmp_eq_u32_e64 s3, 0, v0
	s_delay_alu instid0(VALU_DEP_1)
	s_and_saveexec_b32 s4, s3
	s_cbranch_execz .LBB94_8
.LBB94_7:
	v_mov_b32_e32 v0, 0
	s_waitcnt lgkmcnt(0)
	ds_store_b32 v0, v10
.LBB94_8:
	s_or_b32 exec_lo, exec_lo, s4
	s_waitcnt lgkmcnt(0)
	v_mov_b32_e32 v10, 0
	s_barrier
	buffer_gl0_inv
	ds_load_b32 v0, v10
	s_waitcnt lgkmcnt(0)
	s_barrier
	buffer_gl0_inv
	v_sub_f32_e32 v0, v7, v0
	s_delay_alu instid0(VALU_DEP_1) | instskip(SKIP_1) | instid1(VALU_DEP_2)
	v_mul_f32_e32 v7, 0x3fb8aa3b, v0
	v_cmp_ngt_f32_e64 s4, 0xc2ce8ed0, v0
	v_fma_f32 v11, 0x3fb8aa3b, v0, -v7
	v_rndne_f32_e32 v12, v7
	s_delay_alu instid0(VALU_DEP_2) | instskip(NEXT) | instid1(VALU_DEP_2)
	v_fmamk_f32 v11, v0, 0x32a5705f, v11
	v_sub_f32_e32 v7, v7, v12
	s_delay_alu instid0(VALU_DEP_1) | instskip(SKIP_1) | instid1(VALU_DEP_2)
	v_add_f32_e32 v7, v7, v11
	v_cvt_i32_f32_e32 v11, v12
	v_exp_f32_e32 v7, v7
	s_waitcnt_depctr 0xfff
	v_ldexp_f32 v7, v7, v11
	s_delay_alu instid0(VALU_DEP_1) | instskip(SKIP_1) | instid1(VALU_DEP_1)
	v_cndmask_b32_e64 v7, 0, v7, s4
	v_cmp_nlt_f32_e64 s4, 0x42b17218, v0
	v_cndmask_b32_e64 v7, 0x7f800000, v7, s4
	s_delay_alu instid0(VALU_DEP_1)
	v_cndmask_b32_e32 v7, 0, v7, vcc_lo
	ds_bpermute_b32 v11, v2, v7
	s_waitcnt lgkmcnt(0)
	v_add_f32_e32 v7, v7, v11
	ds_bpermute_b32 v11, v3, v7
	s_waitcnt lgkmcnt(0)
	v_add_f32_e32 v7, v7, v11
	;; [unrolled: 3-line block ×4, first 2 shown]
	ds_bpermute_b32 v11, v6, v7
	s_and_saveexec_b32 s4, s2
	s_cbranch_execz .LBB94_10
; %bb.9:
	s_waitcnt lgkmcnt(0)
	v_dual_add_f32 v7, v7, v11 :: v_dual_add_nc_u32 v8, 0, v8
	ds_store_b32 v8, v7
.LBB94_10:
	s_or_b32 exec_lo, exec_lo, s4
	s_waitcnt lgkmcnt(0)
	s_barrier
	buffer_gl0_inv
	s_and_saveexec_b32 s2, s0
	s_cbranch_execnz .LBB94_19
; %bb.11:
	s_or_b32 exec_lo, exec_lo, s2
	s_and_saveexec_b32 s0, s1
	s_cbranch_execnz .LBB94_20
.LBB94_12:
	s_or_b32 exec_lo, exec_lo, s0
	s_and_saveexec_b32 s0, s3
	s_cbranch_execz .LBB94_14
.LBB94_13:
	v_mov_b32_e32 v2, 0
	s_waitcnt lgkmcnt(0)
	ds_store_b32 v2, v10
.LBB94_14:
	s_or_b32 exec_lo, exec_lo, s0
	s_waitcnt lgkmcnt(0)
	s_barrier
	buffer_gl0_inv
	s_and_saveexec_b32 s0, vcc_lo
	s_cbranch_execz .LBB94_16
; %bb.15:
	v_mov_b32_e32 v2, 0
	ds_load_b32 v2, v2
	s_waitcnt lgkmcnt(0)
	v_cmp_gt_f32_e32 vcc_lo, 0x800000, v2
	v_cndmask_b32_e64 v3, 1.0, 0x4f800000, vcc_lo
	s_delay_alu instid0(VALU_DEP_1) | instskip(NEXT) | instid1(VALU_DEP_1)
	v_mul_f32_e32 v2, v2, v3
	v_log_f32_e32 v2, v2
	s_waitcnt_depctr 0xfff
	v_mul_f32_e32 v3, 0x3f317217, v2
	v_cmp_gt_f32_e64 s0, 0x7f800000, |v2|
	s_delay_alu instid0(VALU_DEP_2) | instskip(NEXT) | instid1(VALU_DEP_1)
	v_fma_f32 v4, 0x3f317217, v2, -v3
	v_fmamk_f32 v4, v2, 0x3377d1cf, v4
	s_delay_alu instid0(VALU_DEP_1) | instskip(NEXT) | instid1(VALU_DEP_1)
	v_add_f32_e32 v3, v3, v4
	v_cndmask_b32_e64 v2, v2, v3, s0
	v_cndmask_b32_e64 v3, 0, 0x41b17218, vcc_lo
	s_lshl_b64 s[0:1], s[6:7], 1
	s_delay_alu instid0(SALU_CYCLE_1) | instskip(SKIP_1) | instid1(VALU_DEP_1)
	s_add_u32 s0, s8, s0
	s_addc_u32 s1, s9, s1
	v_sub_f32_e32 v2, v2, v3
	s_delay_alu instid0(VALU_DEP_1) | instskip(NEXT) | instid1(VALU_DEP_1)
	v_sub_f32_e32 v0, v0, v2
	v_cvt_f16_f32_e32 v0, v0
	global_store_b16 v1, v0, s[0:1]
.LBB94_16:
	s_nop 0
	s_sendmsg sendmsg(MSG_DEALLOC_VGPRS)
	s_endpgm
.LBB94_17:
	ds_load_b32 v10, v9
	s_or_b32 exec_lo, exec_lo, s1
	v_cmp_gt_u32_e64 s1, 32, v0
	s_delay_alu instid0(VALU_DEP_1)
	s_and_saveexec_b32 s4, s1
	s_cbranch_execz .LBB94_6
.LBB94_18:
	s_waitcnt lgkmcnt(0)
	ds_bpermute_b32 v11, v2, v10
	s_waitcnt lgkmcnt(0)
	v_cmp_lt_f32_e64 s3, v10, v11
	s_delay_alu instid0(VALU_DEP_1) | instskip(SKIP_3) | instid1(VALU_DEP_1)
	v_cndmask_b32_e64 v10, v10, v11, s3
	ds_bpermute_b32 v11, v3, v10
	s_waitcnt lgkmcnt(0)
	v_cmp_lt_f32_e64 s3, v10, v11
	v_cndmask_b32_e64 v10, v10, v11, s3
	ds_bpermute_b32 v11, v4, v10
	s_waitcnt lgkmcnt(0)
	v_cmp_lt_f32_e64 s3, v10, v11
	s_delay_alu instid0(VALU_DEP_1) | instskip(SKIP_3) | instid1(VALU_DEP_1)
	v_cndmask_b32_e64 v10, v10, v11, s3
	ds_bpermute_b32 v11, v5, v10
	s_waitcnt lgkmcnt(0)
	v_cmp_lt_f32_e64 s3, v10, v11
	v_cndmask_b32_e64 v10, v10, v11, s3
	ds_bpermute_b32 v11, v6, v10
	s_waitcnt lgkmcnt(0)
	v_cmp_lt_f32_e64 s3, v10, v11
	s_delay_alu instid0(VALU_DEP_1) | instskip(SKIP_2) | instid1(VALU_DEP_1)
	v_cndmask_b32_e64 v10, v10, v11, s3
	s_or_b32 exec_lo, exec_lo, s4
	v_cmp_eq_u32_e64 s3, 0, v0
	s_and_saveexec_b32 s4, s3
	s_cbranch_execnz .LBB94_7
	s_branch .LBB94_8
.LBB94_19:
	ds_load_b32 v10, v9
	s_or_b32 exec_lo, exec_lo, s2
	s_and_saveexec_b32 s0, s1
	s_cbranch_execz .LBB94_12
.LBB94_20:
	s_waitcnt lgkmcnt(0)
	ds_bpermute_b32 v2, v2, v10
	s_waitcnt lgkmcnt(0)
	v_add_f32_e32 v2, v10, v2
	ds_bpermute_b32 v3, v3, v2
	s_waitcnt lgkmcnt(0)
	v_add_f32_e32 v2, v2, v3
	ds_bpermute_b32 v3, v4, v2
	s_waitcnt lgkmcnt(0)
	v_add_f32_e32 v2, v2, v3
	ds_bpermute_b32 v3, v5, v2
	s_waitcnt lgkmcnt(0)
	v_add_f32_e32 v2, v2, v3
	ds_bpermute_b32 v3, v6, v2
	s_waitcnt lgkmcnt(0)
	v_add_f32_e32 v10, v2, v3
	s_or_b32 exec_lo, exec_lo, s0
	s_and_saveexec_b32 s0, s3
	s_cbranch_execnz .LBB94_13
	s_branch .LBB94_14
	.section	.rodata,"a",@progbits
	.p2align	6, 0x0
	.amdhsa_kernel _ZN2at6native12_GLOBAL__N_122cunn_SoftMaxForwardRegIN3c104HalfEfS4_NS1_25LogSoftMaxForwardEpilogueElLi1EEEvPT1_PKT_T3_
		.amdhsa_group_segment_fixed_size 0
		.amdhsa_private_segment_fixed_size 0
		.amdhsa_kernarg_size 280
		.amdhsa_user_sgpr_count 15
		.amdhsa_user_sgpr_dispatch_ptr 0
		.amdhsa_user_sgpr_queue_ptr 0
		.amdhsa_user_sgpr_kernarg_segment_ptr 1
		.amdhsa_user_sgpr_dispatch_id 0
		.amdhsa_user_sgpr_private_segment_size 0
		.amdhsa_wavefront_size32 1
		.amdhsa_uses_dynamic_stack 0
		.amdhsa_enable_private_segment 0
		.amdhsa_system_sgpr_workgroup_id_x 1
		.amdhsa_system_sgpr_workgroup_id_y 0
		.amdhsa_system_sgpr_workgroup_id_z 0
		.amdhsa_system_sgpr_workgroup_info 0
		.amdhsa_system_vgpr_workitem_id 0
		.amdhsa_next_free_vgpr 13
		.amdhsa_next_free_sgpr 16
		.amdhsa_reserve_vcc 1
		.amdhsa_float_round_mode_32 0
		.amdhsa_float_round_mode_16_64 0
		.amdhsa_float_denorm_mode_32 3
		.amdhsa_float_denorm_mode_16_64 3
		.amdhsa_dx10_clamp 1
		.amdhsa_ieee_mode 1
		.amdhsa_fp16_overflow 0
		.amdhsa_workgroup_processor_mode 1
		.amdhsa_memory_ordered 1
		.amdhsa_forward_progress 0
		.amdhsa_shared_vgpr_count 0
		.amdhsa_exception_fp_ieee_invalid_op 0
		.amdhsa_exception_fp_denorm_src 0
		.amdhsa_exception_fp_ieee_div_zero 0
		.amdhsa_exception_fp_ieee_overflow 0
		.amdhsa_exception_fp_ieee_underflow 0
		.amdhsa_exception_fp_ieee_inexact 0
		.amdhsa_exception_int_div_zero 0
	.end_amdhsa_kernel
	.section	.text._ZN2at6native12_GLOBAL__N_122cunn_SoftMaxForwardRegIN3c104HalfEfS4_NS1_25LogSoftMaxForwardEpilogueElLi1EEEvPT1_PKT_T3_,"axG",@progbits,_ZN2at6native12_GLOBAL__N_122cunn_SoftMaxForwardRegIN3c104HalfEfS4_NS1_25LogSoftMaxForwardEpilogueElLi1EEEvPT1_PKT_T3_,comdat
.Lfunc_end94:
	.size	_ZN2at6native12_GLOBAL__N_122cunn_SoftMaxForwardRegIN3c104HalfEfS4_NS1_25LogSoftMaxForwardEpilogueElLi1EEEvPT1_PKT_T3_, .Lfunc_end94-_ZN2at6native12_GLOBAL__N_122cunn_SoftMaxForwardRegIN3c104HalfEfS4_NS1_25LogSoftMaxForwardEpilogueElLi1EEEvPT1_PKT_T3_
                                        ; -- End function
	.section	.AMDGPU.csdata,"",@progbits
; Kernel info:
; codeLenInByte = 1508
; NumSgprs: 18
; NumVgprs: 13
; ScratchSize: 0
; MemoryBound: 0
; FloatMode: 240
; IeeeMode: 1
; LDSByteSize: 0 bytes/workgroup (compile time only)
; SGPRBlocks: 2
; VGPRBlocks: 1
; NumSGPRsForWavesPerEU: 18
; NumVGPRsForWavesPerEU: 13
; Occupancy: 16
; WaveLimiterHint : 0
; COMPUTE_PGM_RSRC2:SCRATCH_EN: 0
; COMPUTE_PGM_RSRC2:USER_SGPR: 15
; COMPUTE_PGM_RSRC2:TRAP_HANDLER: 0
; COMPUTE_PGM_RSRC2:TGID_X_EN: 1
; COMPUTE_PGM_RSRC2:TGID_Y_EN: 0
; COMPUTE_PGM_RSRC2:TGID_Z_EN: 0
; COMPUTE_PGM_RSRC2:TIDIG_COMP_CNT: 0
	.section	.text._ZN2at6native12_GLOBAL__N_122cunn_SoftMaxForwardRegIN3c104HalfEfS4_NS1_25LogSoftMaxForwardEpilogueElLi2EEEvPT1_PKT_T3_,"axG",@progbits,_ZN2at6native12_GLOBAL__N_122cunn_SoftMaxForwardRegIN3c104HalfEfS4_NS1_25LogSoftMaxForwardEpilogueElLi2EEEvPT1_PKT_T3_,comdat
	.globl	_ZN2at6native12_GLOBAL__N_122cunn_SoftMaxForwardRegIN3c104HalfEfS4_NS1_25LogSoftMaxForwardEpilogueElLi2EEEvPT1_PKT_T3_ ; -- Begin function _ZN2at6native12_GLOBAL__N_122cunn_SoftMaxForwardRegIN3c104HalfEfS4_NS1_25LogSoftMaxForwardEpilogueElLi2EEEvPT1_PKT_T3_
	.p2align	8
	.type	_ZN2at6native12_GLOBAL__N_122cunn_SoftMaxForwardRegIN3c104HalfEfS4_NS1_25LogSoftMaxForwardEpilogueElLi2EEEvPT1_PKT_T3_,@function
_ZN2at6native12_GLOBAL__N_122cunn_SoftMaxForwardRegIN3c104HalfEfS4_NS1_25LogSoftMaxForwardEpilogueElLi2EEEvPT1_PKT_T3_: ; @_ZN2at6native12_GLOBAL__N_122cunn_SoftMaxForwardRegIN3c104HalfEfS4_NS1_25LogSoftMaxForwardEpilogueElLi2EEEvPT1_PKT_T3_
; %bb.0:
	s_clause 0x2
	s_load_b64 s[2:3], s[0:1], 0x10
	s_load_b128 s[8:11], s[0:1], 0x0
	s_load_b32 s0, s[0:1], 0x24
	v_dual_mov_b32 v1, 0 :: v_dual_lshlrev_b32 v2, 1, v0
	v_mov_b32_e32 v5, 0xff7fffff
                                        ; implicit-def: $vgpr8
	s_waitcnt lgkmcnt(0)
	s_mul_i32 s1, s15, s3
	s_mul_hi_u32 s5, s15, s2
	s_mul_i32 s4, s15, s2
	s_add_i32 s5, s5, s1
	v_cmp_gt_i64_e32 vcc_lo, s[2:3], v[0:1]
	s_lshl_b64 s[6:7], s[4:5], 1
	s_delay_alu instid0(SALU_CYCLE_1)
	s_add_u32 s4, s10, s6
	s_addc_u32 s5, s11, s7
	s_and_saveexec_b32 s1, vcc_lo
	s_cbranch_execz .LBB95_2
; %bb.1:
	global_load_u16 v3, v2, s[4:5]
	s_waitcnt vmcnt(0)
	v_cvt_f32_f16_e32 v8, v3
	s_delay_alu instid0(VALU_DEP_1)
	v_max_f32_e32 v5, 0xff7fffff, v8
.LBB95_2:
	s_or_b32 exec_lo, exec_lo, s1
	s_and_b32 s10, 0xffff, s0
                                        ; implicit-def: $vgpr9
	s_delay_alu instid0(SALU_CYCLE_1) | instskip(NEXT) | instid1(VALU_DEP_1)
	v_dual_mov_b32 v4, v1 :: v_dual_add_nc_u32 v3, s10, v0
	v_cmp_gt_i64_e64 s0, s[2:3], v[3:4]
	v_lshlrev_b32_e32 v1, 1, v3
	s_delay_alu instid0(VALU_DEP_2)
	s_and_saveexec_b32 s1, s0
	s_cbranch_execz .LBB95_4
; %bb.3:
	global_load_u16 v3, v1, s[4:5]
	s_waitcnt vmcnt(0)
	v_cvt_f32_f16_e32 v9, v3
	v_max_f32_e32 v3, v5, v5
	s_delay_alu instid0(VALU_DEP_1)
	v_max_f32_e32 v5, v3, v9
.LBB95_4:
	s_or_b32 exec_lo, exec_lo, s1
	v_mbcnt_lo_u32_b32 v7, -1, 0
	s_barrier
	buffer_gl0_inv
	v_cmp_gt_u32_e64 s1, 16, v7
	s_delay_alu instid0(VALU_DEP_1) | instskip(SKIP_1) | instid1(VALU_DEP_2)
	v_cndmask_b32_e64 v3, 0, 1, s1
	v_cmp_gt_u32_e64 s1, 24, v7
	v_lshlrev_b32_e32 v3, 4, v3
	s_delay_alu instid0(VALU_DEP_2) | instskip(NEXT) | instid1(VALU_DEP_2)
	v_cndmask_b32_e64 v4, 0, 1, s1
	v_add_lshl_u32 v3, v3, v7, 2
	s_delay_alu instid0(VALU_DEP_2) | instskip(SKIP_4) | instid1(VALU_DEP_1)
	v_lshlrev_b32_e32 v4, 3, v4
	ds_bpermute_b32 v6, v3, v5
	v_add_lshl_u32 v4, v4, v7, 2
	s_waitcnt lgkmcnt(0)
	v_cmp_lt_f32_e64 s1, v5, v6
	v_cndmask_b32_e64 v6, v5, v6, s1
	v_cmp_gt_u32_e64 s1, 28, v7
	ds_bpermute_b32 v10, v4, v6
	v_cndmask_b32_e64 v5, 0, 1, s1
	s_delay_alu instid0(VALU_DEP_1) | instskip(NEXT) | instid1(VALU_DEP_1)
	v_lshlrev_b32_e32 v5, 2, v5
	v_add_lshl_u32 v5, v5, v7, 2
	s_waitcnt lgkmcnt(0)
	v_cmp_lt_f32_e64 s1, v6, v10
	s_delay_alu instid0(VALU_DEP_1) | instskip(SKIP_3) | instid1(VALU_DEP_1)
	v_cndmask_b32_e64 v10, v6, v10, s1
	v_cmp_gt_u32_e64 s1, 30, v7
	ds_bpermute_b32 v11, v5, v10
	v_cndmask_b32_e64 v6, 0, 1, s1
	v_lshlrev_b32_e32 v6, 1, v6
	s_delay_alu instid0(VALU_DEP_1) | instskip(SKIP_2) | instid1(VALU_DEP_1)
	v_add_lshl_u32 v6, v6, v7, 2
	s_waitcnt lgkmcnt(0)
	v_cmp_lt_f32_e64 s1, v10, v11
	v_cndmask_b32_e64 v10, v10, v11, s1
	v_cmp_ne_u32_e64 s1, 31, v7
	ds_bpermute_b32 v11, v6, v10
	v_add_co_ci_u32_e64 v7, s1, 0, v7, s1
	s_delay_alu instid0(VALU_DEP_1) | instskip(SKIP_2) | instid1(VALU_DEP_1)
	v_lshlrev_b32_e32 v7, 2, v7
	s_waitcnt lgkmcnt(0)
	v_cmp_lt_f32_e64 s1, v10, v11
	v_cndmask_b32_e64 v12, v10, v11, s1
	v_and_b32_e32 v11, 31, v0
	v_lshrrev_b32_e32 v10, 3, v0
	ds_bpermute_b32 v13, v7, v12
	v_cmp_eq_u32_e64 s1, 0, v11
	s_delay_alu instid0(VALU_DEP_1) | instskip(NEXT) | instid1(SALU_CYCLE_1)
	s_and_saveexec_b32 s2, s1
	s_xor_b32 s3, exec_lo, s2
	s_cbranch_execz .LBB95_6
; %bb.5:
	s_waitcnt lgkmcnt(0)
	v_cmp_lt_f32_e64 s2, v12, v13
	v_add_nc_u32_e32 v14, 0, v10
	s_delay_alu instid0(VALU_DEP_2)
	v_cndmask_b32_e64 v12, v12, v13, s2
	ds_store_b32 v14, v12
.LBB95_6:
	s_or_b32 exec_lo, exec_lo, s3
	s_lshr_b32 s2, s10, 5
	v_mov_b32_e32 v12, 0xff7fffff
	v_cmp_gt_u32_e64 s2, s2, v0
	v_lshl_add_u32 v11, v11, 2, 0
	s_waitcnt lgkmcnt(0)
	s_barrier
	buffer_gl0_inv
	s_and_saveexec_b32 s3, s2
	s_cbranch_execnz .LBB95_19
; %bb.7:
	s_or_b32 exec_lo, exec_lo, s3
	v_cmp_gt_u32_e64 s3, 32, v0
	s_delay_alu instid0(VALU_DEP_1)
	s_and_saveexec_b32 s5, s3
	s_cbranch_execnz .LBB95_20
.LBB95_8:
	s_or_b32 exec_lo, exec_lo, s5
	v_cmp_eq_u32_e64 s4, 0, v0
	s_delay_alu instid0(VALU_DEP_1)
	s_and_saveexec_b32 s5, s4
	s_cbranch_execz .LBB95_10
.LBB95_9:
	v_mov_b32_e32 v0, 0
	s_waitcnt lgkmcnt(0)
	ds_store_b32 v0, v12
.LBB95_10:
	s_or_b32 exec_lo, exec_lo, s5
	s_waitcnt lgkmcnt(0)
	v_mov_b32_e32 v12, 0
	s_barrier
	buffer_gl0_inv
	ds_load_b32 v13, v12
	s_waitcnt lgkmcnt(0)
	s_barrier
	buffer_gl0_inv
	v_sub_f32_e32 v0, v8, v13
	v_sub_f32_e32 v8, v9, v13
	s_delay_alu instid0(VALU_DEP_2) | instskip(SKIP_1) | instid1(VALU_DEP_2)
	v_mul_f32_e32 v14, 0x3fb8aa3b, v0
	v_cmp_ngt_f32_e64 s5, 0xc2ce8ed0, v0
	v_fma_f32 v9, 0x3fb8aa3b, v0, -v14
	v_rndne_f32_e32 v13, v14
	s_delay_alu instid0(VALU_DEP_2) | instskip(NEXT) | instid1(VALU_DEP_2)
	v_fmac_f32_e32 v9, 0x32a5705f, v0
	v_dual_mul_f32 v15, 0x3fb8aa3b, v8 :: v_dual_sub_f32 v14, v14, v13
	v_cvt_i32_f32_e32 v13, v13
	s_delay_alu instid0(VALU_DEP_2) | instskip(NEXT) | instid1(VALU_DEP_3)
	v_fma_f32 v16, 0x3fb8aa3b, v8, -v15
	v_add_f32_e32 v9, v14, v9
	v_rndne_f32_e32 v17, v15
	s_delay_alu instid0(VALU_DEP_3) | instskip(NEXT) | instid1(VALU_DEP_3)
	v_fmac_f32_e32 v16, 0x32a5705f, v8
	v_exp_f32_e32 v9, v9
	s_delay_alu instid0(VALU_DEP_2) | instskip(SKIP_3) | instid1(VALU_DEP_2)
	v_sub_f32_e32 v14, v15, v17
	s_waitcnt_depctr 0xfff
	v_ldexp_f32 v9, v9, v13
	v_cvt_i32_f32_e32 v13, v17
	v_cndmask_b32_e64 v9, 0, v9, s5
	v_cmp_nlt_f32_e64 s5, 0x42b17218, v0
	s_delay_alu instid0(VALU_DEP_1) | instskip(SKIP_1) | instid1(VALU_DEP_2)
	v_cndmask_b32_e64 v9, 0x7f800000, v9, s5
	v_cmp_ngt_f32_e64 s5, 0xc2ce8ed0, v8
	v_dual_cndmask_b32 v9, 0, v9 :: v_dual_add_f32 v14, v14, v16
	s_delay_alu instid0(VALU_DEP_1) | instskip(SKIP_2) | instid1(VALU_DEP_1)
	v_exp_f32_e32 v14, v14
	s_waitcnt_depctr 0xfff
	v_ldexp_f32 v13, v14, v13
	v_cndmask_b32_e64 v13, 0, v13, s5
	v_cmp_nlt_f32_e64 s5, 0x42b17218, v8
	s_delay_alu instid0(VALU_DEP_1) | instskip(NEXT) | instid1(VALU_DEP_1)
	v_cndmask_b32_e64 v13, 0x7f800000, v13, s5
	v_add_f32_e32 v13, v9, v13
	s_delay_alu instid0(VALU_DEP_1)
	v_cndmask_b32_e64 v9, v9, v13, s0
	ds_bpermute_b32 v13, v3, v9
	s_waitcnt lgkmcnt(0)
	v_add_f32_e32 v9, v9, v13
	ds_bpermute_b32 v13, v4, v9
	s_waitcnt lgkmcnt(0)
	v_add_f32_e32 v9, v9, v13
	;; [unrolled: 3-line block ×4, first 2 shown]
	ds_bpermute_b32 v13, v7, v9
	s_and_saveexec_b32 s5, s1
	s_cbranch_execz .LBB95_12
; %bb.11:
	s_waitcnt lgkmcnt(0)
	v_dual_add_f32 v9, v9, v13 :: v_dual_add_nc_u32 v10, 0, v10
	ds_store_b32 v10, v9
.LBB95_12:
	s_or_b32 exec_lo, exec_lo, s5
	s_waitcnt lgkmcnt(0)
	s_barrier
	buffer_gl0_inv
	s_and_saveexec_b32 s1, s2
	s_cbranch_execnz .LBB95_21
; %bb.13:
	s_or_b32 exec_lo, exec_lo, s1
	s_and_saveexec_b32 s1, s3
	s_cbranch_execnz .LBB95_22
.LBB95_14:
	s_or_b32 exec_lo, exec_lo, s1
	s_and_saveexec_b32 s1, s4
	s_cbranch_execz .LBB95_16
.LBB95_15:
	v_mov_b32_e32 v3, 0
	s_waitcnt lgkmcnt(0)
	ds_store_b32 v3, v12
.LBB95_16:
	s_or_b32 exec_lo, exec_lo, s1
	v_mov_b32_e32 v3, 0
	s_waitcnt lgkmcnt(0)
	s_barrier
	buffer_gl0_inv
	ds_load_b32 v3, v3
	s_waitcnt lgkmcnt(0)
	v_cmp_gt_f32_e64 s1, 0x800000, v3
	s_delay_alu instid0(VALU_DEP_1) | instskip(NEXT) | instid1(VALU_DEP_1)
	v_cndmask_b32_e64 v4, 1.0, 0x4f800000, s1
	v_mul_f32_e32 v3, v3, v4
	s_delay_alu instid0(VALU_DEP_1) | instskip(SKIP_3) | instid1(VALU_DEP_2)
	v_log_f32_e32 v3, v3
	s_waitcnt_depctr 0xfff
	v_mul_f32_e32 v4, 0x3f317217, v3
	v_cmp_gt_f32_e64 s2, 0x7f800000, |v3|
	v_fma_f32 v5, 0x3f317217, v3, -v4
	s_delay_alu instid0(VALU_DEP_1) | instskip(NEXT) | instid1(VALU_DEP_1)
	v_fmamk_f32 v5, v3, 0x3377d1cf, v5
	v_add_f32_e32 v4, v4, v5
	s_delay_alu instid0(VALU_DEP_1) | instskip(SKIP_3) | instid1(VALU_DEP_1)
	v_cndmask_b32_e64 v3, v3, v4, s2
	v_cndmask_b32_e64 v4, 0, 0x41b17218, s1
	s_add_u32 s2, s8, s6
	s_addc_u32 s3, s9, s7
	v_sub_f32_e32 v3, v3, v4
	s_and_saveexec_b32 s1, vcc_lo
	s_cbranch_execnz .LBB95_23
; %bb.17:
	s_or_b32 exec_lo, exec_lo, s1
	s_and_saveexec_b32 s1, s0
	s_cbranch_execnz .LBB95_24
.LBB95_18:
	s_nop 0
	s_sendmsg sendmsg(MSG_DEALLOC_VGPRS)
	s_endpgm
.LBB95_19:
	ds_load_b32 v12, v11
	s_or_b32 exec_lo, exec_lo, s3
	v_cmp_gt_u32_e64 s3, 32, v0
	s_delay_alu instid0(VALU_DEP_1)
	s_and_saveexec_b32 s5, s3
	s_cbranch_execz .LBB95_8
.LBB95_20:
	s_waitcnt lgkmcnt(0)
	ds_bpermute_b32 v13, v3, v12
	s_waitcnt lgkmcnt(0)
	v_cmp_lt_f32_e64 s4, v12, v13
	s_delay_alu instid0(VALU_DEP_1) | instskip(SKIP_3) | instid1(VALU_DEP_1)
	v_cndmask_b32_e64 v12, v12, v13, s4
	ds_bpermute_b32 v13, v4, v12
	s_waitcnt lgkmcnt(0)
	v_cmp_lt_f32_e64 s4, v12, v13
	v_cndmask_b32_e64 v12, v12, v13, s4
	ds_bpermute_b32 v13, v5, v12
	s_waitcnt lgkmcnt(0)
	v_cmp_lt_f32_e64 s4, v12, v13
	s_delay_alu instid0(VALU_DEP_1) | instskip(SKIP_3) | instid1(VALU_DEP_1)
	v_cndmask_b32_e64 v12, v12, v13, s4
	ds_bpermute_b32 v13, v6, v12
	s_waitcnt lgkmcnt(0)
	v_cmp_lt_f32_e64 s4, v12, v13
	v_cndmask_b32_e64 v12, v12, v13, s4
	ds_bpermute_b32 v13, v7, v12
	s_waitcnt lgkmcnt(0)
	v_cmp_lt_f32_e64 s4, v12, v13
	s_delay_alu instid0(VALU_DEP_1) | instskip(SKIP_2) | instid1(VALU_DEP_1)
	v_cndmask_b32_e64 v12, v12, v13, s4
	s_or_b32 exec_lo, exec_lo, s5
	v_cmp_eq_u32_e64 s4, 0, v0
	s_and_saveexec_b32 s5, s4
	s_cbranch_execnz .LBB95_9
	s_branch .LBB95_10
.LBB95_21:
	ds_load_b32 v12, v11
	s_or_b32 exec_lo, exec_lo, s1
	s_and_saveexec_b32 s1, s3
	s_cbranch_execz .LBB95_14
.LBB95_22:
	s_waitcnt lgkmcnt(0)
	ds_bpermute_b32 v3, v3, v12
	s_waitcnt lgkmcnt(0)
	v_add_f32_e32 v3, v12, v3
	ds_bpermute_b32 v4, v4, v3
	s_waitcnt lgkmcnt(0)
	v_add_f32_e32 v3, v3, v4
	;; [unrolled: 3-line block ×5, first 2 shown]
	s_or_b32 exec_lo, exec_lo, s1
	s_and_saveexec_b32 s1, s4
	s_cbranch_execnz .LBB95_15
	s_branch .LBB95_16
.LBB95_23:
	s_delay_alu instid0(VALU_DEP_1) | instskip(NEXT) | instid1(VALU_DEP_1)
	v_sub_f32_e32 v0, v0, v3
	v_cvt_f16_f32_e32 v0, v0
	global_store_b16 v2, v0, s[2:3]
	s_or_b32 exec_lo, exec_lo, s1
	s_and_saveexec_b32 s1, s0
	s_cbranch_execz .LBB95_18
.LBB95_24:
	v_sub_f32_e32 v0, v8, v3
	s_delay_alu instid0(VALU_DEP_1)
	v_cvt_f16_f32_e32 v0, v0
	global_store_b16 v1, v0, s[2:3]
	s_nop 0
	s_sendmsg sendmsg(MSG_DEALLOC_VGPRS)
	s_endpgm
	.section	.rodata,"a",@progbits
	.p2align	6, 0x0
	.amdhsa_kernel _ZN2at6native12_GLOBAL__N_122cunn_SoftMaxForwardRegIN3c104HalfEfS4_NS1_25LogSoftMaxForwardEpilogueElLi2EEEvPT1_PKT_T3_
		.amdhsa_group_segment_fixed_size 0
		.amdhsa_private_segment_fixed_size 0
		.amdhsa_kernarg_size 280
		.amdhsa_user_sgpr_count 15
		.amdhsa_user_sgpr_dispatch_ptr 0
		.amdhsa_user_sgpr_queue_ptr 0
		.amdhsa_user_sgpr_kernarg_segment_ptr 1
		.amdhsa_user_sgpr_dispatch_id 0
		.amdhsa_user_sgpr_private_segment_size 0
		.amdhsa_wavefront_size32 1
		.amdhsa_uses_dynamic_stack 0
		.amdhsa_enable_private_segment 0
		.amdhsa_system_sgpr_workgroup_id_x 1
		.amdhsa_system_sgpr_workgroup_id_y 0
		.amdhsa_system_sgpr_workgroup_id_z 0
		.amdhsa_system_sgpr_workgroup_info 0
		.amdhsa_system_vgpr_workitem_id 0
		.amdhsa_next_free_vgpr 18
		.amdhsa_next_free_sgpr 16
		.amdhsa_reserve_vcc 1
		.amdhsa_float_round_mode_32 0
		.amdhsa_float_round_mode_16_64 0
		.amdhsa_float_denorm_mode_32 3
		.amdhsa_float_denorm_mode_16_64 3
		.amdhsa_dx10_clamp 1
		.amdhsa_ieee_mode 1
		.amdhsa_fp16_overflow 0
		.amdhsa_workgroup_processor_mode 1
		.amdhsa_memory_ordered 1
		.amdhsa_forward_progress 0
		.amdhsa_shared_vgpr_count 0
		.amdhsa_exception_fp_ieee_invalid_op 0
		.amdhsa_exception_fp_denorm_src 0
		.amdhsa_exception_fp_ieee_div_zero 0
		.amdhsa_exception_fp_ieee_overflow 0
		.amdhsa_exception_fp_ieee_underflow 0
		.amdhsa_exception_fp_ieee_inexact 0
		.amdhsa_exception_int_div_zero 0
	.end_amdhsa_kernel
	.section	.text._ZN2at6native12_GLOBAL__N_122cunn_SoftMaxForwardRegIN3c104HalfEfS4_NS1_25LogSoftMaxForwardEpilogueElLi2EEEvPT1_PKT_T3_,"axG",@progbits,_ZN2at6native12_GLOBAL__N_122cunn_SoftMaxForwardRegIN3c104HalfEfS4_NS1_25LogSoftMaxForwardEpilogueElLi2EEEvPT1_PKT_T3_,comdat
.Lfunc_end95:
	.size	_ZN2at6native12_GLOBAL__N_122cunn_SoftMaxForwardRegIN3c104HalfEfS4_NS1_25LogSoftMaxForwardEpilogueElLi2EEEvPT1_PKT_T3_, .Lfunc_end95-_ZN2at6native12_GLOBAL__N_122cunn_SoftMaxForwardRegIN3c104HalfEfS4_NS1_25LogSoftMaxForwardEpilogueElLi2EEEvPT1_PKT_T3_
                                        ; -- End function
	.section	.AMDGPU.csdata,"",@progbits
; Kernel info:
; codeLenInByte = 1764
; NumSgprs: 18
; NumVgprs: 18
; ScratchSize: 0
; MemoryBound: 0
; FloatMode: 240
; IeeeMode: 1
; LDSByteSize: 0 bytes/workgroup (compile time only)
; SGPRBlocks: 2
; VGPRBlocks: 2
; NumSGPRsForWavesPerEU: 18
; NumVGPRsForWavesPerEU: 18
; Occupancy: 16
; WaveLimiterHint : 0
; COMPUTE_PGM_RSRC2:SCRATCH_EN: 0
; COMPUTE_PGM_RSRC2:USER_SGPR: 15
; COMPUTE_PGM_RSRC2:TRAP_HANDLER: 0
; COMPUTE_PGM_RSRC2:TGID_X_EN: 1
; COMPUTE_PGM_RSRC2:TGID_Y_EN: 0
; COMPUTE_PGM_RSRC2:TGID_Z_EN: 0
; COMPUTE_PGM_RSRC2:TIDIG_COMP_CNT: 0
	.section	.text._ZN2at6native12_GLOBAL__N_122cunn_SoftMaxForwardRegIN3c104HalfEfS4_NS1_25LogSoftMaxForwardEpilogueElLi3EEEvPT1_PKT_T3_,"axG",@progbits,_ZN2at6native12_GLOBAL__N_122cunn_SoftMaxForwardRegIN3c104HalfEfS4_NS1_25LogSoftMaxForwardEpilogueElLi3EEEvPT1_PKT_T3_,comdat
	.globl	_ZN2at6native12_GLOBAL__N_122cunn_SoftMaxForwardRegIN3c104HalfEfS4_NS1_25LogSoftMaxForwardEpilogueElLi3EEEvPT1_PKT_T3_ ; -- Begin function _ZN2at6native12_GLOBAL__N_122cunn_SoftMaxForwardRegIN3c104HalfEfS4_NS1_25LogSoftMaxForwardEpilogueElLi3EEEvPT1_PKT_T3_
	.p2align	8
	.type	_ZN2at6native12_GLOBAL__N_122cunn_SoftMaxForwardRegIN3c104HalfEfS4_NS1_25LogSoftMaxForwardEpilogueElLi3EEEvPT1_PKT_T3_,@function
_ZN2at6native12_GLOBAL__N_122cunn_SoftMaxForwardRegIN3c104HalfEfS4_NS1_25LogSoftMaxForwardEpilogueElLi3EEEvPT1_PKT_T3_: ; @_ZN2at6native12_GLOBAL__N_122cunn_SoftMaxForwardRegIN3c104HalfEfS4_NS1_25LogSoftMaxForwardEpilogueElLi3EEEvPT1_PKT_T3_
; %bb.0:
	s_clause 0x2
	s_load_b64 s[2:3], s[0:1], 0x10
	s_load_b128 s[8:11], s[0:1], 0x0
	s_load_b32 s0, s[0:1], 0x24
	v_dual_mov_b32 v2, 0 :: v_dual_lshlrev_b32 v3, 1, v0
	v_mov_b32_e32 v6, 0xff7fffff
                                        ; implicit-def: $vgpr9
	s_delay_alu instid0(VALU_DEP_2)
	v_mov_b32_e32 v1, v2
	s_waitcnt lgkmcnt(0)
	s_mul_i32 s1, s15, s3
	s_mul_hi_u32 s5, s15, s2
	s_mul_i32 s4, s15, s2
	s_add_i32 s5, s5, s1
	v_cmp_gt_i64_e32 vcc_lo, s[2:3], v[0:1]
	s_lshl_b64 s[12:13], s[4:5], 1
	s_delay_alu instid0(SALU_CYCLE_1)
	s_add_u32 s4, s10, s12
	s_addc_u32 s5, s11, s13
	s_and_saveexec_b32 s1, vcc_lo
	s_cbranch_execz .LBB96_2
; %bb.1:
	global_load_u16 v1, v3, s[4:5]
	s_waitcnt vmcnt(0)
	v_cvt_f32_f16_e32 v9, v1
	s_delay_alu instid0(VALU_DEP_1)
	v_max_f32_e32 v6, 0xff7fffff, v9
.LBB96_2:
	s_or_b32 exec_lo, exec_lo, s1
	s_and_b32 s6, 0xffff, s0
                                        ; implicit-def: $vgpr10
	s_delay_alu instid0(SALU_CYCLE_1) | instskip(NEXT) | instid1(VALU_DEP_1)
	v_add_nc_u32_e32 v1, s6, v0
	v_cmp_gt_i64_e64 s0, s[2:3], v[1:2]
	v_lshlrev_b32_e32 v2, 1, v1
	s_delay_alu instid0(VALU_DEP_2)
	s_and_saveexec_b32 s1, s0
	s_cbranch_execz .LBB96_4
; %bb.3:
	global_load_u16 v4, v2, s[4:5]
	s_waitcnt vmcnt(0)
	v_cvt_f32_f16_e32 v10, v4
	v_max_f32_e32 v4, v6, v6
	s_delay_alu instid0(VALU_DEP_1)
	v_max_f32_e32 v6, v4, v10
.LBB96_4:
	s_or_b32 exec_lo, exec_lo, s1
	v_dual_mov_b32 v5, 0 :: v_dual_add_nc_u32 v4, s6, v1
                                        ; implicit-def: $vgpr11
	s_delay_alu instid0(VALU_DEP_1) | instskip(NEXT) | instid1(VALU_DEP_2)
	v_lshlrev_b32_e32 v1, 1, v4
	v_cmp_gt_i64_e64 s1, s[2:3], v[4:5]
	s_delay_alu instid0(VALU_DEP_1)
	s_and_saveexec_b32 s2, s1
	s_cbranch_execz .LBB96_6
; %bb.5:
	global_load_u16 v4, v1, s[4:5]
	s_waitcnt vmcnt(0)
	v_cvt_f32_f16_e32 v11, v4
	v_max_f32_e32 v4, v6, v6
	s_delay_alu instid0(VALU_DEP_1)
	v_max_f32_e32 v6, v4, v11
.LBB96_6:
	s_or_b32 exec_lo, exec_lo, s2
	v_mbcnt_lo_u32_b32 v8, -1, 0
	s_barrier
	buffer_gl0_inv
	v_cmp_gt_u32_e64 s2, 16, v8
	s_delay_alu instid0(VALU_DEP_1) | instskip(SKIP_1) | instid1(VALU_DEP_2)
	v_cndmask_b32_e64 v4, 0, 1, s2
	v_cmp_gt_u32_e64 s2, 24, v8
	v_lshlrev_b32_e32 v4, 4, v4
	s_delay_alu instid0(VALU_DEP_2) | instskip(NEXT) | instid1(VALU_DEP_2)
	v_cndmask_b32_e64 v5, 0, 1, s2
	v_add_lshl_u32 v4, v4, v8, 2
	s_delay_alu instid0(VALU_DEP_2) | instskip(SKIP_4) | instid1(VALU_DEP_1)
	v_lshlrev_b32_e32 v5, 3, v5
	ds_bpermute_b32 v7, v4, v6
	v_add_lshl_u32 v5, v5, v8, 2
	s_waitcnt lgkmcnt(0)
	v_cmp_lt_f32_e64 s2, v6, v7
	v_cndmask_b32_e64 v7, v6, v7, s2
	v_cmp_gt_u32_e64 s2, 28, v8
	ds_bpermute_b32 v12, v5, v7
	v_cndmask_b32_e64 v6, 0, 1, s2
	s_delay_alu instid0(VALU_DEP_1) | instskip(NEXT) | instid1(VALU_DEP_1)
	v_lshlrev_b32_e32 v6, 2, v6
	v_add_lshl_u32 v6, v6, v8, 2
	s_waitcnt lgkmcnt(0)
	v_cmp_lt_f32_e64 s2, v7, v12
	s_delay_alu instid0(VALU_DEP_1) | instskip(SKIP_3) | instid1(VALU_DEP_1)
	v_cndmask_b32_e64 v12, v7, v12, s2
	v_cmp_gt_u32_e64 s2, 30, v8
	ds_bpermute_b32 v13, v6, v12
	v_cndmask_b32_e64 v7, 0, 1, s2
	v_lshlrev_b32_e32 v7, 1, v7
	s_delay_alu instid0(VALU_DEP_1) | instskip(SKIP_2) | instid1(VALU_DEP_1)
	v_add_lshl_u32 v7, v7, v8, 2
	s_waitcnt lgkmcnt(0)
	v_cmp_lt_f32_e64 s2, v12, v13
	v_cndmask_b32_e64 v12, v12, v13, s2
	v_cmp_ne_u32_e64 s2, 31, v8
	ds_bpermute_b32 v13, v7, v12
	v_add_co_ci_u32_e64 v8, s2, 0, v8, s2
	s_delay_alu instid0(VALU_DEP_1) | instskip(SKIP_2) | instid1(VALU_DEP_1)
	v_lshlrev_b32_e32 v8, 2, v8
	s_waitcnt lgkmcnt(0)
	v_cmp_lt_f32_e64 s2, v12, v13
	v_cndmask_b32_e64 v14, v12, v13, s2
	v_and_b32_e32 v13, 31, v0
	v_lshrrev_b32_e32 v12, 3, v0
	ds_bpermute_b32 v15, v8, v14
	v_cmp_eq_u32_e64 s2, 0, v13
	s_delay_alu instid0(VALU_DEP_1) | instskip(NEXT) | instid1(SALU_CYCLE_1)
	s_and_saveexec_b32 s3, s2
	s_xor_b32 s4, exec_lo, s3
	s_cbranch_execz .LBB96_8
; %bb.7:
	s_waitcnt lgkmcnt(0)
	v_cmp_lt_f32_e64 s3, v14, v15
	v_add_nc_u32_e32 v16, 0, v12
	s_delay_alu instid0(VALU_DEP_2)
	v_cndmask_b32_e64 v14, v14, v15, s3
	ds_store_b32 v16, v14
.LBB96_8:
	s_or_b32 exec_lo, exec_lo, s4
	s_lshr_b32 s3, s6, 5
	v_mov_b32_e32 v14, 0xff7fffff
	v_cmp_gt_u32_e64 s3, s3, v0
	v_lshl_add_u32 v13, v13, 2, 0
	s_waitcnt lgkmcnt(0)
	s_barrier
	buffer_gl0_inv
	s_and_saveexec_b32 s4, s3
	s_cbranch_execnz .LBB96_22
; %bb.9:
	s_or_b32 exec_lo, exec_lo, s4
	v_cmp_gt_u32_e64 s4, 32, v0
	s_delay_alu instid0(VALU_DEP_1)
	s_and_saveexec_b32 s6, s4
	s_cbranch_execnz .LBB96_23
.LBB96_10:
	s_or_b32 exec_lo, exec_lo, s6
	v_cmp_eq_u32_e64 s5, 0, v0
	s_delay_alu instid0(VALU_DEP_1)
	s_and_saveexec_b32 s6, s5
	s_cbranch_execz .LBB96_12
.LBB96_11:
	v_mov_b32_e32 v0, 0
	s_waitcnt lgkmcnt(0)
	ds_store_b32 v0, v14
.LBB96_12:
	s_or_b32 exec_lo, exec_lo, s6
	s_waitcnt lgkmcnt(0)
	v_mov_b32_e32 v14, 0
	s_barrier
	buffer_gl0_inv
	ds_load_b32 v15, v14
	s_waitcnt lgkmcnt(0)
	s_barrier
	buffer_gl0_inv
	v_sub_f32_e32 v0, v9, v15
	v_sub_f32_e32 v9, v10, v15
	s_delay_alu instid0(VALU_DEP_1) | instskip(NEXT) | instid1(VALU_DEP_3)
	v_dual_sub_f32 v10, v11, v15 :: v_dual_mul_f32 v17, 0x3fb8aa3b, v9
	v_cmp_ngt_f32_e64 s6, 0xc2ce8ed0, v0
	s_delay_alu instid0(VALU_DEP_2) | instskip(SKIP_2) | instid1(VALU_DEP_3)
	v_fma_f32 v11, 0x3fb8aa3b, v9, -v17
	v_rndne_f32_e32 v15, v17
	v_mul_f32_e32 v16, 0x3fb8aa3b, v0
	v_fmac_f32_e32 v11, 0x32a5705f, v9
	s_delay_alu instid0(VALU_DEP_3) | instskip(NEXT) | instid1(VALU_DEP_3)
	v_sub_f32_e32 v17, v17, v15
	v_fma_f32 v18, 0x3fb8aa3b, v0, -v16
	v_rndne_f32_e32 v19, v16
	v_mul_f32_e32 v20, 0x3fb8aa3b, v10
	v_cvt_i32_f32_e32 v15, v15
	s_delay_alu instid0(VALU_DEP_4) | instskip(NEXT) | instid1(VALU_DEP_3)
	v_dual_add_f32 v11, v17, v11 :: v_dual_fmac_f32 v18, 0x32a5705f, v0
	v_fma_f32 v17, 0x3fb8aa3b, v10, -v20
	v_sub_f32_e32 v16, v16, v19
	s_delay_alu instid0(VALU_DEP_3) | instskip(SKIP_1) | instid1(VALU_DEP_3)
	v_exp_f32_e32 v11, v11
	v_cvt_i32_f32_e32 v19, v19
	v_fmac_f32_e32 v17, 0x32a5705f, v10
	s_delay_alu instid0(VALU_DEP_3) | instskip(NEXT) | instid1(VALU_DEP_1)
	v_add_f32_e32 v16, v16, v18
	v_exp_f32_e32 v16, v16
	s_waitcnt_depctr 0xfff
	v_ldexp_f32 v11, v11, v15
	v_ldexp_f32 v16, v16, v19
	s_delay_alu instid0(VALU_DEP_1) | instskip(SKIP_1) | instid1(VALU_DEP_1)
	v_cndmask_b32_e64 v15, 0, v16, s6
	v_cmp_ngt_f32_e64 s6, 0xc2ce8ed0, v9
	v_cndmask_b32_e64 v11, 0, v11, s6
	v_cmp_nlt_f32_e64 s6, 0x42b17218, v0
	s_delay_alu instid0(VALU_DEP_1) | instskip(SKIP_1) | instid1(VALU_DEP_2)
	v_cndmask_b32_e64 v15, 0x7f800000, v15, s6
	v_cmp_nlt_f32_e64 s6, 0x42b17218, v9
	v_cndmask_b32_e32 v15, 0, v15, vcc_lo
	s_delay_alu instid0(VALU_DEP_2) | instskip(SKIP_2) | instid1(VALU_DEP_3)
	v_cndmask_b32_e64 v11, 0x7f800000, v11, s6
	v_rndne_f32_e32 v18, v20
	v_cmp_ngt_f32_e64 s6, 0xc2ce8ed0, v10
	v_add_f32_e32 v11, v15, v11
	s_delay_alu instid0(VALU_DEP_1) | instskip(NEXT) | instid1(VALU_DEP_4)
	v_cndmask_b32_e64 v11, v15, v11, s0
	v_sub_f32_e32 v20, v20, v18
	s_delay_alu instid0(VALU_DEP_1) | instskip(NEXT) | instid1(VALU_DEP_1)
	v_add_f32_e32 v17, v20, v17
	v_exp_f32_e32 v16, v17
	v_cvt_i32_f32_e32 v17, v18
	s_waitcnt_depctr 0xfff
	v_ldexp_f32 v16, v16, v17
	s_delay_alu instid0(VALU_DEP_1) | instskip(SKIP_1) | instid1(VALU_DEP_1)
	v_cndmask_b32_e64 v16, 0, v16, s6
	v_cmp_nlt_f32_e64 s6, 0x42b17218, v10
	v_cndmask_b32_e64 v15, 0x7f800000, v16, s6
	s_delay_alu instid0(VALU_DEP_1) | instskip(NEXT) | instid1(VALU_DEP_1)
	v_add_f32_e32 v15, v11, v15
	v_cndmask_b32_e64 v11, v11, v15, s1
	ds_bpermute_b32 v15, v4, v11
	s_waitcnt lgkmcnt(0)
	v_add_f32_e32 v11, v11, v15
	ds_bpermute_b32 v15, v5, v11
	s_waitcnt lgkmcnt(0)
	v_add_f32_e32 v11, v11, v15
	;; [unrolled: 3-line block ×4, first 2 shown]
	ds_bpermute_b32 v15, v8, v11
	s_and_saveexec_b32 s6, s2
	s_cbranch_execz .LBB96_14
; %bb.13:
	s_waitcnt lgkmcnt(0)
	v_dual_add_f32 v11, v11, v15 :: v_dual_add_nc_u32 v12, 0, v12
	ds_store_b32 v12, v11
.LBB96_14:
	s_or_b32 exec_lo, exec_lo, s6
	s_waitcnt lgkmcnt(0)
	s_barrier
	buffer_gl0_inv
	s_and_saveexec_b32 s2, s3
	s_cbranch_execnz .LBB96_24
; %bb.15:
	s_or_b32 exec_lo, exec_lo, s2
	s_and_saveexec_b32 s2, s4
	s_cbranch_execnz .LBB96_25
.LBB96_16:
	s_or_b32 exec_lo, exec_lo, s2
	s_and_saveexec_b32 s2, s5
	s_cbranch_execz .LBB96_18
.LBB96_17:
	v_mov_b32_e32 v4, 0
	s_waitcnt lgkmcnt(0)
	ds_store_b32 v4, v14
.LBB96_18:
	s_or_b32 exec_lo, exec_lo, s2
	v_mov_b32_e32 v4, 0
	s_waitcnt lgkmcnt(0)
	s_barrier
	buffer_gl0_inv
	ds_load_b32 v4, v4
	s_waitcnt lgkmcnt(0)
	v_cmp_gt_f32_e64 s2, 0x800000, v4
	s_delay_alu instid0(VALU_DEP_1) | instskip(NEXT) | instid1(VALU_DEP_1)
	v_cndmask_b32_e64 v5, 1.0, 0x4f800000, s2
	v_mul_f32_e32 v4, v4, v5
	s_delay_alu instid0(VALU_DEP_1) | instskip(SKIP_3) | instid1(VALU_DEP_2)
	v_log_f32_e32 v4, v4
	s_waitcnt_depctr 0xfff
	v_mul_f32_e32 v5, 0x3f317217, v4
	v_cmp_gt_f32_e64 s3, 0x7f800000, |v4|
	v_fma_f32 v6, 0x3f317217, v4, -v5
	s_delay_alu instid0(VALU_DEP_1) | instskip(NEXT) | instid1(VALU_DEP_1)
	v_fmamk_f32 v6, v4, 0x3377d1cf, v6
	v_add_f32_e32 v5, v5, v6
	s_delay_alu instid0(VALU_DEP_1) | instskip(SKIP_3) | instid1(VALU_DEP_1)
	v_cndmask_b32_e64 v4, v4, v5, s3
	v_cndmask_b32_e64 v5, 0, 0x41b17218, s2
	s_add_u32 s2, s8, s12
	s_addc_u32 s3, s9, s13
	v_sub_f32_e32 v4, v4, v5
	s_and_saveexec_b32 s4, vcc_lo
	s_cbranch_execnz .LBB96_26
; %bb.19:
	s_or_b32 exec_lo, exec_lo, s4
	s_and_saveexec_b32 s4, s0
	s_cbranch_execnz .LBB96_27
.LBB96_20:
	s_or_b32 exec_lo, exec_lo, s4
	s_and_saveexec_b32 s0, s1
	s_cbranch_execnz .LBB96_28
.LBB96_21:
	s_nop 0
	s_sendmsg sendmsg(MSG_DEALLOC_VGPRS)
	s_endpgm
.LBB96_22:
	ds_load_b32 v14, v13
	s_or_b32 exec_lo, exec_lo, s4
	v_cmp_gt_u32_e64 s4, 32, v0
	s_delay_alu instid0(VALU_DEP_1)
	s_and_saveexec_b32 s6, s4
	s_cbranch_execz .LBB96_10
.LBB96_23:
	s_waitcnt lgkmcnt(0)
	ds_bpermute_b32 v15, v4, v14
	s_waitcnt lgkmcnt(0)
	v_cmp_lt_f32_e64 s5, v14, v15
	s_delay_alu instid0(VALU_DEP_1) | instskip(SKIP_3) | instid1(VALU_DEP_1)
	v_cndmask_b32_e64 v14, v14, v15, s5
	ds_bpermute_b32 v15, v5, v14
	s_waitcnt lgkmcnt(0)
	v_cmp_lt_f32_e64 s5, v14, v15
	v_cndmask_b32_e64 v14, v14, v15, s5
	ds_bpermute_b32 v15, v6, v14
	s_waitcnt lgkmcnt(0)
	v_cmp_lt_f32_e64 s5, v14, v15
	s_delay_alu instid0(VALU_DEP_1) | instskip(SKIP_3) | instid1(VALU_DEP_1)
	v_cndmask_b32_e64 v14, v14, v15, s5
	ds_bpermute_b32 v15, v7, v14
	s_waitcnt lgkmcnt(0)
	v_cmp_lt_f32_e64 s5, v14, v15
	v_cndmask_b32_e64 v14, v14, v15, s5
	ds_bpermute_b32 v15, v8, v14
	s_waitcnt lgkmcnt(0)
	v_cmp_lt_f32_e64 s5, v14, v15
	s_delay_alu instid0(VALU_DEP_1) | instskip(SKIP_2) | instid1(VALU_DEP_1)
	v_cndmask_b32_e64 v14, v14, v15, s5
	s_or_b32 exec_lo, exec_lo, s6
	v_cmp_eq_u32_e64 s5, 0, v0
	s_and_saveexec_b32 s6, s5
	s_cbranch_execnz .LBB96_11
	s_branch .LBB96_12
.LBB96_24:
	ds_load_b32 v14, v13
	s_or_b32 exec_lo, exec_lo, s2
	s_and_saveexec_b32 s2, s4
	s_cbranch_execz .LBB96_16
.LBB96_25:
	s_waitcnt lgkmcnt(0)
	ds_bpermute_b32 v4, v4, v14
	s_waitcnt lgkmcnt(0)
	v_add_f32_e32 v4, v14, v4
	ds_bpermute_b32 v5, v5, v4
	s_waitcnt lgkmcnt(0)
	v_add_f32_e32 v4, v4, v5
	;; [unrolled: 3-line block ×5, first 2 shown]
	s_or_b32 exec_lo, exec_lo, s2
	s_and_saveexec_b32 s2, s5
	s_cbranch_execnz .LBB96_17
	s_branch .LBB96_18
.LBB96_26:
	s_delay_alu instid0(VALU_DEP_1) | instskip(NEXT) | instid1(VALU_DEP_1)
	v_sub_f32_e32 v0, v0, v4
	v_cvt_f16_f32_e32 v0, v0
	global_store_b16 v3, v0, s[2:3]
	s_or_b32 exec_lo, exec_lo, s4
	s_and_saveexec_b32 s4, s0
	s_cbranch_execz .LBB96_20
.LBB96_27:
	v_sub_f32_e32 v0, v9, v4
	s_delay_alu instid0(VALU_DEP_1)
	v_cvt_f16_f32_e32 v0, v0
	global_store_b16 v2, v0, s[2:3]
	s_or_b32 exec_lo, exec_lo, s4
	s_and_saveexec_b32 s0, s1
	s_cbranch_execz .LBB96_21
.LBB96_28:
	v_sub_f32_e32 v0, v10, v4
	s_delay_alu instid0(VALU_DEP_1)
	v_cvt_f16_f32_e32 v0, v0
	global_store_b16 v1, v0, s[2:3]
	s_nop 0
	s_sendmsg sendmsg(MSG_DEALLOC_VGPRS)
	s_endpgm
	.section	.rodata,"a",@progbits
	.p2align	6, 0x0
	.amdhsa_kernel _ZN2at6native12_GLOBAL__N_122cunn_SoftMaxForwardRegIN3c104HalfEfS4_NS1_25LogSoftMaxForwardEpilogueElLi3EEEvPT1_PKT_T3_
		.amdhsa_group_segment_fixed_size 0
		.amdhsa_private_segment_fixed_size 0
		.amdhsa_kernarg_size 280
		.amdhsa_user_sgpr_count 15
		.amdhsa_user_sgpr_dispatch_ptr 0
		.amdhsa_user_sgpr_queue_ptr 0
		.amdhsa_user_sgpr_kernarg_segment_ptr 1
		.amdhsa_user_sgpr_dispatch_id 0
		.amdhsa_user_sgpr_private_segment_size 0
		.amdhsa_wavefront_size32 1
		.amdhsa_uses_dynamic_stack 0
		.amdhsa_enable_private_segment 0
		.amdhsa_system_sgpr_workgroup_id_x 1
		.amdhsa_system_sgpr_workgroup_id_y 0
		.amdhsa_system_sgpr_workgroup_id_z 0
		.amdhsa_system_sgpr_workgroup_info 0
		.amdhsa_system_vgpr_workitem_id 0
		.amdhsa_next_free_vgpr 21
		.amdhsa_next_free_sgpr 16
		.amdhsa_reserve_vcc 1
		.amdhsa_float_round_mode_32 0
		.amdhsa_float_round_mode_16_64 0
		.amdhsa_float_denorm_mode_32 3
		.amdhsa_float_denorm_mode_16_64 3
		.amdhsa_dx10_clamp 1
		.amdhsa_ieee_mode 1
		.amdhsa_fp16_overflow 0
		.amdhsa_workgroup_processor_mode 1
		.amdhsa_memory_ordered 1
		.amdhsa_forward_progress 0
		.amdhsa_shared_vgpr_count 0
		.amdhsa_exception_fp_ieee_invalid_op 0
		.amdhsa_exception_fp_denorm_src 0
		.amdhsa_exception_fp_ieee_div_zero 0
		.amdhsa_exception_fp_ieee_overflow 0
		.amdhsa_exception_fp_ieee_underflow 0
		.amdhsa_exception_fp_ieee_inexact 0
		.amdhsa_exception_int_div_zero 0
	.end_amdhsa_kernel
	.section	.text._ZN2at6native12_GLOBAL__N_122cunn_SoftMaxForwardRegIN3c104HalfEfS4_NS1_25LogSoftMaxForwardEpilogueElLi3EEEvPT1_PKT_T3_,"axG",@progbits,_ZN2at6native12_GLOBAL__N_122cunn_SoftMaxForwardRegIN3c104HalfEfS4_NS1_25LogSoftMaxForwardEpilogueElLi3EEEvPT1_PKT_T3_,comdat
.Lfunc_end96:
	.size	_ZN2at6native12_GLOBAL__N_122cunn_SoftMaxForwardRegIN3c104HalfEfS4_NS1_25LogSoftMaxForwardEpilogueElLi3EEEvPT1_PKT_T3_, .Lfunc_end96-_ZN2at6native12_GLOBAL__N_122cunn_SoftMaxForwardRegIN3c104HalfEfS4_NS1_25LogSoftMaxForwardEpilogueElLi3EEEvPT1_PKT_T3_
                                        ; -- End function
	.section	.AMDGPU.csdata,"",@progbits
; Kernel info:
; codeLenInByte = 2012
; NumSgprs: 18
; NumVgprs: 21
; ScratchSize: 0
; MemoryBound: 0
; FloatMode: 240
; IeeeMode: 1
; LDSByteSize: 0 bytes/workgroup (compile time only)
; SGPRBlocks: 2
; VGPRBlocks: 2
; NumSGPRsForWavesPerEU: 18
; NumVGPRsForWavesPerEU: 21
; Occupancy: 16
; WaveLimiterHint : 0
; COMPUTE_PGM_RSRC2:SCRATCH_EN: 0
; COMPUTE_PGM_RSRC2:USER_SGPR: 15
; COMPUTE_PGM_RSRC2:TRAP_HANDLER: 0
; COMPUTE_PGM_RSRC2:TGID_X_EN: 1
; COMPUTE_PGM_RSRC2:TGID_Y_EN: 0
; COMPUTE_PGM_RSRC2:TGID_Z_EN: 0
; COMPUTE_PGM_RSRC2:TIDIG_COMP_CNT: 0
	.section	.text._ZN2at6native12_GLOBAL__N_122cunn_SoftMaxForwardRegIN3c104HalfEfS4_NS1_25LogSoftMaxForwardEpilogueElLi4EEEvPT1_PKT_T3_,"axG",@progbits,_ZN2at6native12_GLOBAL__N_122cunn_SoftMaxForwardRegIN3c104HalfEfS4_NS1_25LogSoftMaxForwardEpilogueElLi4EEEvPT1_PKT_T3_,comdat
	.globl	_ZN2at6native12_GLOBAL__N_122cunn_SoftMaxForwardRegIN3c104HalfEfS4_NS1_25LogSoftMaxForwardEpilogueElLi4EEEvPT1_PKT_T3_ ; -- Begin function _ZN2at6native12_GLOBAL__N_122cunn_SoftMaxForwardRegIN3c104HalfEfS4_NS1_25LogSoftMaxForwardEpilogueElLi4EEEvPT1_PKT_T3_
	.p2align	8
	.type	_ZN2at6native12_GLOBAL__N_122cunn_SoftMaxForwardRegIN3c104HalfEfS4_NS1_25LogSoftMaxForwardEpilogueElLi4EEEvPT1_PKT_T3_,@function
_ZN2at6native12_GLOBAL__N_122cunn_SoftMaxForwardRegIN3c104HalfEfS4_NS1_25LogSoftMaxForwardEpilogueElLi4EEEvPT1_PKT_T3_: ; @_ZN2at6native12_GLOBAL__N_122cunn_SoftMaxForwardRegIN3c104HalfEfS4_NS1_25LogSoftMaxForwardEpilogueElLi4EEEvPT1_PKT_T3_
; %bb.0:
	s_clause 0x2
	s_load_b64 s[2:3], s[0:1], 0x10
	s_load_b128 s[8:11], s[0:1], 0x0
	s_load_b32 s0, s[0:1], 0x24
	v_dual_mov_b32 v2, 0 :: v_dual_mov_b32 v7, 0xff7fffff
	v_lshlrev_b32_e32 v3, 1, v0
                                        ; implicit-def: $vgpr13
	s_delay_alu instid0(VALU_DEP_2)
	v_mov_b32_e32 v1, v2
	s_waitcnt lgkmcnt(0)
	s_mul_i32 s1, s15, s3
	s_mul_hi_u32 s5, s15, s2
	s_mul_i32 s4, s15, s2
	s_add_i32 s5, s5, s1
	v_cmp_gt_i64_e32 vcc_lo, s[2:3], v[0:1]
	s_lshl_b64 s[12:13], s[4:5], 1
	s_delay_alu instid0(SALU_CYCLE_1)
	s_add_u32 s4, s10, s12
	s_addc_u32 s5, s11, s13
	s_and_saveexec_b32 s1, vcc_lo
	s_cbranch_execz .LBB97_2
; %bb.1:
	global_load_u16 v13, v3, s[4:5]
	s_waitcnt vmcnt(0)
	v_cvt_f32_f16_e32 v1, v13
	s_delay_alu instid0(VALU_DEP_1)
	v_max_f32_e32 v7, 0xff7fffff, v1
.LBB97_2:
	s_or_b32 exec_lo, exec_lo, s1
	s_and_b32 s6, 0xffff, s0
                                        ; implicit-def: $vgpr12
	s_delay_alu instid0(SALU_CYCLE_1) | instskip(NEXT) | instid1(VALU_DEP_1)
	v_add_nc_u32_e32 v1, s6, v0
	v_cmp_gt_i64_e64 s0, s[2:3], v[1:2]
	v_lshlrev_b32_e32 v4, 1, v1
	s_delay_alu instid0(VALU_DEP_2)
	s_and_saveexec_b32 s1, s0
	s_cbranch_execz .LBB97_4
; %bb.3:
	global_load_u16 v12, v4, s[4:5]
	v_max_f32_e32 v5, v7, v7
	s_waitcnt vmcnt(0)
	v_cvt_f32_f16_e32 v2, v12
	s_delay_alu instid0(VALU_DEP_1)
	v_max_f32_e32 v7, v5, v2
.LBB97_4:
	s_or_b32 exec_lo, exec_lo, s1
	v_dual_mov_b32 v2, 0 :: v_dual_add_nc_u32 v1, s6, v1
                                        ; implicit-def: $vgpr11
	s_delay_alu instid0(VALU_DEP_1) | instskip(NEXT) | instid1(VALU_DEP_2)
	v_lshlrev_b32_e32 v5, 1, v1
	v_cmp_gt_i64_e64 s1, s[2:3], v[1:2]
	s_delay_alu instid0(VALU_DEP_1)
	s_and_saveexec_b32 s7, s1
	s_cbranch_execz .LBB97_6
; %bb.5:
	global_load_u16 v11, v5, s[4:5]
	v_max_f32_e32 v7, v7, v7
	s_waitcnt vmcnt(0)
	v_cvt_f32_f16_e32 v6, v11
	s_delay_alu instid0(VALU_DEP_1)
	v_max_f32_e32 v7, v7, v6
.LBB97_6:
	s_or_b32 exec_lo, exec_lo, s7
	v_add_nc_u32_e32 v1, s6, v1
                                        ; implicit-def: $vgpr10
	s_delay_alu instid0(VALU_DEP_1) | instskip(SKIP_1) | instid1(VALU_DEP_2)
	v_cmp_gt_i64_e64 s2, s[2:3], v[1:2]
	v_lshlrev_b32_e32 v1, 1, v1
	s_and_saveexec_b32 s3, s2
	s_cbranch_execz .LBB97_8
; %bb.7:
	global_load_u16 v10, v1, s[4:5]
	v_max_f32_e32 v6, v7, v7
	s_waitcnt vmcnt(0)
	v_cvt_f32_f16_e32 v2, v10
	s_delay_alu instid0(VALU_DEP_1)
	v_max_f32_e32 v7, v6, v2
.LBB97_8:
	s_or_b32 exec_lo, exec_lo, s3
	v_mbcnt_lo_u32_b32 v9, -1, 0
	s_barrier
	buffer_gl0_inv
	v_cmp_gt_u32_e64 s3, 16, v9
	s_delay_alu instid0(VALU_DEP_1) | instskip(SKIP_1) | instid1(VALU_DEP_2)
	v_cndmask_b32_e64 v2, 0, 1, s3
	v_cmp_gt_u32_e64 s3, 24, v9
	v_lshlrev_b32_e32 v2, 4, v2
	s_delay_alu instid0(VALU_DEP_2) | instskip(NEXT) | instid1(VALU_DEP_2)
	v_cndmask_b32_e64 v6, 0, 1, s3
	v_add_lshl_u32 v2, v2, v9, 2
	s_delay_alu instid0(VALU_DEP_2) | instskip(SKIP_4) | instid1(VALU_DEP_1)
	v_lshlrev_b32_e32 v6, 3, v6
	ds_bpermute_b32 v8, v2, v7
	v_add_lshl_u32 v6, v6, v9, 2
	s_waitcnt lgkmcnt(0)
	v_cmp_lt_f32_e64 s3, v7, v8
	v_cndmask_b32_e64 v8, v7, v8, s3
	v_cmp_gt_u32_e64 s3, 28, v9
	ds_bpermute_b32 v14, v6, v8
	v_cndmask_b32_e64 v7, 0, 1, s3
	s_delay_alu instid0(VALU_DEP_1) | instskip(NEXT) | instid1(VALU_DEP_1)
	v_lshlrev_b32_e32 v7, 2, v7
	v_add_lshl_u32 v7, v7, v9, 2
	s_waitcnt lgkmcnt(0)
	v_cmp_lt_f32_e64 s3, v8, v14
	s_delay_alu instid0(VALU_DEP_1) | instskip(SKIP_3) | instid1(VALU_DEP_1)
	v_cndmask_b32_e64 v14, v8, v14, s3
	v_cmp_gt_u32_e64 s3, 30, v9
	ds_bpermute_b32 v15, v7, v14
	v_cndmask_b32_e64 v8, 0, 1, s3
	v_lshlrev_b32_e32 v8, 1, v8
	s_delay_alu instid0(VALU_DEP_1) | instskip(SKIP_2) | instid1(VALU_DEP_1)
	v_add_lshl_u32 v8, v8, v9, 2
	s_waitcnt lgkmcnt(0)
	v_cmp_lt_f32_e64 s3, v14, v15
	v_cndmask_b32_e64 v14, v14, v15, s3
	v_cmp_ne_u32_e64 s3, 31, v9
	ds_bpermute_b32 v15, v8, v14
	v_add_co_ci_u32_e64 v9, s3, 0, v9, s3
	s_delay_alu instid0(VALU_DEP_1) | instskip(SKIP_2) | instid1(VALU_DEP_1)
	v_lshlrev_b32_e32 v9, 2, v9
	s_waitcnt lgkmcnt(0)
	v_cmp_lt_f32_e64 s3, v14, v15
	v_cndmask_b32_e64 v16, v14, v15, s3
	v_and_b32_e32 v15, 31, v0
	v_lshrrev_b32_e32 v14, 3, v0
	ds_bpermute_b32 v17, v9, v16
	v_cmp_eq_u32_e64 s3, 0, v15
	s_delay_alu instid0(VALU_DEP_1) | instskip(NEXT) | instid1(SALU_CYCLE_1)
	s_and_saveexec_b32 s4, s3
	s_xor_b32 s5, exec_lo, s4
	s_cbranch_execz .LBB97_10
; %bb.9:
	s_waitcnt lgkmcnt(0)
	v_cmp_lt_f32_e64 s4, v16, v17
	v_add_nc_u32_e32 v18, 0, v14
	s_delay_alu instid0(VALU_DEP_2)
	v_cndmask_b32_e64 v16, v16, v17, s4
	ds_store_b32 v18, v16
.LBB97_10:
	s_or_b32 exec_lo, exec_lo, s5
	s_lshr_b32 s4, s6, 5
	v_mov_b32_e32 v16, 0xff7fffff
	v_cmp_gt_u32_e64 s4, s4, v0
	v_lshl_add_u32 v15, v15, 2, 0
	s_waitcnt lgkmcnt(0)
	s_barrier
	buffer_gl0_inv
	s_and_saveexec_b32 s5, s4
	s_cbranch_execnz .LBB97_33
; %bb.11:
	s_or_b32 exec_lo, exec_lo, s5
	v_cmp_gt_u32_e64 s5, 32, v0
	s_delay_alu instid0(VALU_DEP_1)
	s_and_saveexec_b32 s7, s5
	s_cbranch_execnz .LBB97_34
.LBB97_12:
	s_or_b32 exec_lo, exec_lo, s7
	v_cmp_eq_u32_e64 s6, 0, v0
	s_delay_alu instid0(VALU_DEP_1)
	s_and_saveexec_b32 s7, s6
	s_cbranch_execz .LBB97_14
.LBB97_13:
	v_mov_b32_e32 v0, 0
	s_waitcnt lgkmcnt(0)
	ds_store_b32 v0, v16
.LBB97_14:
	s_or_b32 exec_lo, exec_lo, s7
	s_waitcnt lgkmcnt(0)
	v_mov_b32_e32 v16, 0
	s_barrier
	buffer_gl0_inv
	v_cvt_f32_f16_e32 v0, v13
	ds_load_b32 v17, v16
	s_waitcnt lgkmcnt(0)
	v_sub_f32_e32 v0, v0, v17
	s_and_saveexec_b32 s10, vcc_lo
	s_cbranch_execz .LBB97_16
; %bb.15:
	s_delay_alu instid0(VALU_DEP_1) | instskip(SKIP_1) | instid1(VALU_DEP_2)
	v_mul_f32_e32 v13, 0x3fb8aa3b, v0
	v_cmp_ngt_f32_e64 s7, 0xc2ce8ed0, v0
	v_fma_f32 v16, 0x3fb8aa3b, v0, -v13
	v_rndne_f32_e32 v18, v13
	s_delay_alu instid0(VALU_DEP_1) | instskip(NEXT) | instid1(VALU_DEP_1)
	v_dual_fmamk_f32 v16, v0, 0x32a5705f, v16 :: v_dual_sub_f32 v13, v13, v18
	v_add_f32_e32 v13, v13, v16
	v_cvt_i32_f32_e32 v16, v18
	s_delay_alu instid0(VALU_DEP_2) | instskip(SKIP_2) | instid1(VALU_DEP_1)
	v_exp_f32_e32 v13, v13
	s_waitcnt_depctr 0xfff
	v_ldexp_f32 v13, v13, v16
	v_cndmask_b32_e64 v13, 0, v13, s7
	v_cmp_nlt_f32_e64 s7, 0x42b17218, v0
	s_delay_alu instid0(VALU_DEP_1)
	v_cndmask_b32_e64 v16, 0x7f800000, v13, s7
.LBB97_16:
	s_or_b32 exec_lo, exec_lo, s10
	v_cvt_f32_f16_e32 v12, v12
	s_delay_alu instid0(VALU_DEP_1)
	v_sub_f32_e32 v12, v12, v17
	s_and_saveexec_b32 s10, s0
	s_cbranch_execz .LBB97_18
; %bb.17:
	s_delay_alu instid0(VALU_DEP_1) | instskip(SKIP_1) | instid1(VALU_DEP_2)
	v_mul_f32_e32 v13, 0x3fb8aa3b, v12
	v_cmp_ngt_f32_e64 s7, 0xc2ce8ed0, v12
	v_fma_f32 v18, 0x3fb8aa3b, v12, -v13
	v_rndne_f32_e32 v19, v13
	s_delay_alu instid0(VALU_DEP_1) | instskip(NEXT) | instid1(VALU_DEP_1)
	v_dual_fmamk_f32 v18, v12, 0x32a5705f, v18 :: v_dual_sub_f32 v13, v13, v19
	v_add_f32_e32 v13, v13, v18
	v_cvt_i32_f32_e32 v18, v19
	s_delay_alu instid0(VALU_DEP_2) | instskip(SKIP_2) | instid1(VALU_DEP_1)
	v_exp_f32_e32 v13, v13
	s_waitcnt_depctr 0xfff
	v_ldexp_f32 v13, v13, v18
	v_cndmask_b32_e64 v13, 0, v13, s7
	v_cmp_nlt_f32_e64 s7, 0x42b17218, v12
	s_delay_alu instid0(VALU_DEP_1) | instskip(NEXT) | instid1(VALU_DEP_1)
	v_cndmask_b32_e64 v13, 0x7f800000, v13, s7
	v_add_f32_e32 v16, v16, v13
.LBB97_18:
	s_or_b32 exec_lo, exec_lo, s10
	v_cvt_f32_f16_e32 v11, v11
	s_delay_alu instid0(VALU_DEP_1)
	v_sub_f32_e32 v11, v11, v17
	s_and_saveexec_b32 s10, s1
	s_cbranch_execz .LBB97_20
; %bb.19:
	s_delay_alu instid0(VALU_DEP_1) | instskip(SKIP_1) | instid1(VALU_DEP_2)
	v_mul_f32_e32 v13, 0x3fb8aa3b, v11
	v_cmp_ngt_f32_e64 s7, 0xc2ce8ed0, v11
	v_fma_f32 v18, 0x3fb8aa3b, v11, -v13
	v_rndne_f32_e32 v19, v13
	s_delay_alu instid0(VALU_DEP_1) | instskip(NEXT) | instid1(VALU_DEP_1)
	v_dual_fmamk_f32 v18, v11, 0x32a5705f, v18 :: v_dual_sub_f32 v13, v13, v19
	v_add_f32_e32 v13, v13, v18
	v_cvt_i32_f32_e32 v18, v19
	s_delay_alu instid0(VALU_DEP_2) | instskip(SKIP_2) | instid1(VALU_DEP_1)
	v_exp_f32_e32 v13, v13
	s_waitcnt_depctr 0xfff
	v_ldexp_f32 v13, v13, v18
	v_cndmask_b32_e64 v13, 0, v13, s7
	v_cmp_nlt_f32_e64 s7, 0x42b17218, v11
	s_delay_alu instid0(VALU_DEP_1) | instskip(NEXT) | instid1(VALU_DEP_1)
	v_cndmask_b32_e64 v13, 0x7f800000, v13, s7
	v_add_f32_e32 v16, v16, v13
.LBB97_20:
	s_or_b32 exec_lo, exec_lo, s10
	v_cvt_f32_f16_e32 v10, v10
	s_delay_alu instid0(VALU_DEP_1)
	v_sub_f32_e32 v10, v10, v17
	s_and_saveexec_b32 s10, s2
	s_cbranch_execz .LBB97_22
; %bb.21:
	s_delay_alu instid0(VALU_DEP_1) | instskip(SKIP_1) | instid1(VALU_DEP_2)
	v_mul_f32_e32 v13, 0x3fb8aa3b, v10
	v_cmp_ngt_f32_e64 s7, 0xc2ce8ed0, v10
	v_fma_f32 v17, 0x3fb8aa3b, v10, -v13
	v_rndne_f32_e32 v18, v13
	s_delay_alu instid0(VALU_DEP_2) | instskip(NEXT) | instid1(VALU_DEP_2)
	v_fmamk_f32 v17, v10, 0x32a5705f, v17
	v_sub_f32_e32 v13, v13, v18
	s_delay_alu instid0(VALU_DEP_1) | instskip(SKIP_1) | instid1(VALU_DEP_2)
	v_add_f32_e32 v13, v13, v17
	v_cvt_i32_f32_e32 v17, v18
	v_exp_f32_e32 v13, v13
	s_waitcnt_depctr 0xfff
	v_ldexp_f32 v13, v13, v17
	s_delay_alu instid0(VALU_DEP_1) | instskip(SKIP_1) | instid1(VALU_DEP_1)
	v_cndmask_b32_e64 v13, 0, v13, s7
	v_cmp_nlt_f32_e64 s7, 0x42b17218, v10
	v_cndmask_b32_e64 v13, 0x7f800000, v13, s7
	s_delay_alu instid0(VALU_DEP_1)
	v_add_f32_e32 v16, v16, v13
.LBB97_22:
	s_or_b32 exec_lo, exec_lo, s10
	ds_bpermute_b32 v13, v2, v16
	s_waitcnt lgkmcnt(0)
	s_barrier
	buffer_gl0_inv
	v_add_f32_e32 v13, v16, v13
	ds_bpermute_b32 v16, v6, v13
	s_waitcnt lgkmcnt(0)
	v_add_f32_e32 v13, v13, v16
	ds_bpermute_b32 v16, v7, v13
	s_waitcnt lgkmcnt(0)
	;; [unrolled: 3-line block ×3, first 2 shown]
	v_add_f32_e32 v13, v13, v16
	ds_bpermute_b32 v16, v9, v13
	s_and_saveexec_b32 s7, s3
	s_delay_alu instid0(SALU_CYCLE_1)
	s_xor_b32 s3, exec_lo, s7
	s_cbranch_execz .LBB97_24
; %bb.23:
	s_waitcnt lgkmcnt(0)
	v_dual_add_f32 v13, v13, v16 :: v_dual_add_nc_u32 v14, 0, v14
	ds_store_b32 v14, v13
.LBB97_24:
	s_or_b32 exec_lo, exec_lo, s3
	v_mov_b32_e32 v13, 0
	s_waitcnt lgkmcnt(0)
	s_barrier
	buffer_gl0_inv
	s_and_saveexec_b32 s3, s4
	s_cbranch_execnz .LBB97_35
; %bb.25:
	s_or_b32 exec_lo, exec_lo, s3
	s_and_saveexec_b32 s3, s5
	s_cbranch_execnz .LBB97_36
.LBB97_26:
	s_or_b32 exec_lo, exec_lo, s3
	s_and_saveexec_b32 s3, s6
	s_cbranch_execz .LBB97_28
.LBB97_27:
	v_mov_b32_e32 v2, 0
	s_waitcnt lgkmcnt(0)
	ds_store_b32 v2, v13
.LBB97_28:
	s_or_b32 exec_lo, exec_lo, s3
	v_mov_b32_e32 v2, 0
	s_waitcnt lgkmcnt(0)
	s_barrier
	buffer_gl0_inv
	ds_load_b32 v2, v2
	s_waitcnt lgkmcnt(0)
	v_cmp_gt_f32_e64 s3, 0x800000, v2
	s_delay_alu instid0(VALU_DEP_1) | instskip(NEXT) | instid1(VALU_DEP_1)
	v_cndmask_b32_e64 v6, 1.0, 0x4f800000, s3
	v_mul_f32_e32 v2, v2, v6
	s_delay_alu instid0(VALU_DEP_1) | instskip(SKIP_3) | instid1(VALU_DEP_2)
	v_log_f32_e32 v2, v2
	s_waitcnt_depctr 0xfff
	v_mul_f32_e32 v6, 0x3f317217, v2
	v_cmp_gt_f32_e64 s4, 0x7f800000, |v2|
	v_fma_f32 v7, 0x3f317217, v2, -v6
	s_delay_alu instid0(VALU_DEP_1) | instskip(NEXT) | instid1(VALU_DEP_1)
	v_fmamk_f32 v7, v2, 0x3377d1cf, v7
	v_add_f32_e32 v6, v6, v7
	s_delay_alu instid0(VALU_DEP_1) | instskip(SKIP_3) | instid1(VALU_DEP_1)
	v_cndmask_b32_e64 v2, v2, v6, s4
	v_cndmask_b32_e64 v6, 0, 0x41b17218, s3
	s_add_u32 s4, s8, s12
	s_addc_u32 s5, s9, s13
	v_sub_f32_e32 v2, v2, v6
	s_and_saveexec_b32 s3, vcc_lo
	s_cbranch_execnz .LBB97_37
; %bb.29:
	s_or_b32 exec_lo, exec_lo, s3
	s_and_saveexec_b32 s3, s0
	s_cbranch_execnz .LBB97_38
.LBB97_30:
	s_or_b32 exec_lo, exec_lo, s3
	s_and_saveexec_b32 s0, s1
	s_cbranch_execnz .LBB97_39
.LBB97_31:
	s_or_b32 exec_lo, exec_lo, s0
	s_and_saveexec_b32 s0, s2
	s_cbranch_execnz .LBB97_40
.LBB97_32:
	s_nop 0
	s_sendmsg sendmsg(MSG_DEALLOC_VGPRS)
	s_endpgm
.LBB97_33:
	ds_load_b32 v16, v15
	s_or_b32 exec_lo, exec_lo, s5
	v_cmp_gt_u32_e64 s5, 32, v0
	s_delay_alu instid0(VALU_DEP_1)
	s_and_saveexec_b32 s7, s5
	s_cbranch_execz .LBB97_12
.LBB97_34:
	s_waitcnt lgkmcnt(0)
	ds_bpermute_b32 v17, v2, v16
	s_waitcnt lgkmcnt(0)
	v_cmp_lt_f32_e64 s6, v16, v17
	s_delay_alu instid0(VALU_DEP_1) | instskip(SKIP_3) | instid1(VALU_DEP_1)
	v_cndmask_b32_e64 v16, v16, v17, s6
	ds_bpermute_b32 v17, v6, v16
	s_waitcnt lgkmcnt(0)
	v_cmp_lt_f32_e64 s6, v16, v17
	v_cndmask_b32_e64 v16, v16, v17, s6
	ds_bpermute_b32 v17, v7, v16
	s_waitcnt lgkmcnt(0)
	v_cmp_lt_f32_e64 s6, v16, v17
	s_delay_alu instid0(VALU_DEP_1) | instskip(SKIP_3) | instid1(VALU_DEP_1)
	v_cndmask_b32_e64 v16, v16, v17, s6
	ds_bpermute_b32 v17, v8, v16
	s_waitcnt lgkmcnt(0)
	v_cmp_lt_f32_e64 s6, v16, v17
	v_cndmask_b32_e64 v16, v16, v17, s6
	ds_bpermute_b32 v17, v9, v16
	s_waitcnt lgkmcnt(0)
	v_cmp_lt_f32_e64 s6, v16, v17
	s_delay_alu instid0(VALU_DEP_1) | instskip(SKIP_2) | instid1(VALU_DEP_1)
	v_cndmask_b32_e64 v16, v16, v17, s6
	s_or_b32 exec_lo, exec_lo, s7
	v_cmp_eq_u32_e64 s6, 0, v0
	s_and_saveexec_b32 s7, s6
	s_cbranch_execnz .LBB97_13
	s_branch .LBB97_14
.LBB97_35:
	ds_load_b32 v13, v15
	s_or_b32 exec_lo, exec_lo, s3
	s_and_saveexec_b32 s3, s5
	s_cbranch_execz .LBB97_26
.LBB97_36:
	s_waitcnt lgkmcnt(0)
	ds_bpermute_b32 v2, v2, v13
	s_waitcnt lgkmcnt(0)
	v_add_f32_e32 v2, v13, v2
	ds_bpermute_b32 v6, v6, v2
	s_waitcnt lgkmcnt(0)
	v_add_f32_e32 v2, v2, v6
	;; [unrolled: 3-line block ×5, first 2 shown]
	s_or_b32 exec_lo, exec_lo, s3
	s_and_saveexec_b32 s3, s6
	s_cbranch_execnz .LBB97_27
	s_branch .LBB97_28
.LBB97_37:
	s_delay_alu instid0(VALU_DEP_1) | instskip(NEXT) | instid1(VALU_DEP_1)
	v_sub_f32_e32 v0, v0, v2
	v_cvt_f16_f32_e32 v0, v0
	global_store_b16 v3, v0, s[4:5]
	s_or_b32 exec_lo, exec_lo, s3
	s_and_saveexec_b32 s3, s0
	s_cbranch_execz .LBB97_30
.LBB97_38:
	v_sub_f32_e32 v0, v12, v2
	s_delay_alu instid0(VALU_DEP_1)
	v_cvt_f16_f32_e32 v0, v0
	global_store_b16 v4, v0, s[4:5]
	s_or_b32 exec_lo, exec_lo, s3
	s_and_saveexec_b32 s0, s1
	s_cbranch_execz .LBB97_31
.LBB97_39:
	v_sub_f32_e32 v0, v11, v2
	s_delay_alu instid0(VALU_DEP_1)
	v_cvt_f16_f32_e32 v0, v0
	global_store_b16 v5, v0, s[4:5]
	s_or_b32 exec_lo, exec_lo, s0
	s_and_saveexec_b32 s0, s2
	s_cbranch_execz .LBB97_32
.LBB97_40:
	v_sub_f32_e32 v0, v10, v2
	s_delay_alu instid0(VALU_DEP_1)
	v_cvt_f16_f32_e32 v0, v0
	global_store_b16 v1, v0, s[4:5]
	s_nop 0
	s_sendmsg sendmsg(MSG_DEALLOC_VGPRS)
	s_endpgm
	.section	.rodata,"a",@progbits
	.p2align	6, 0x0
	.amdhsa_kernel _ZN2at6native12_GLOBAL__N_122cunn_SoftMaxForwardRegIN3c104HalfEfS4_NS1_25LogSoftMaxForwardEpilogueElLi4EEEvPT1_PKT_T3_
		.amdhsa_group_segment_fixed_size 0
		.amdhsa_private_segment_fixed_size 0
		.amdhsa_kernarg_size 280
		.amdhsa_user_sgpr_count 15
		.amdhsa_user_sgpr_dispatch_ptr 0
		.amdhsa_user_sgpr_queue_ptr 0
		.amdhsa_user_sgpr_kernarg_segment_ptr 1
		.amdhsa_user_sgpr_dispatch_id 0
		.amdhsa_user_sgpr_private_segment_size 0
		.amdhsa_wavefront_size32 1
		.amdhsa_uses_dynamic_stack 0
		.amdhsa_enable_private_segment 0
		.amdhsa_system_sgpr_workgroup_id_x 1
		.amdhsa_system_sgpr_workgroup_id_y 0
		.amdhsa_system_sgpr_workgroup_id_z 0
		.amdhsa_system_sgpr_workgroup_info 0
		.amdhsa_system_vgpr_workitem_id 0
		.amdhsa_next_free_vgpr 20
		.amdhsa_next_free_sgpr 16
		.amdhsa_reserve_vcc 1
		.amdhsa_float_round_mode_32 0
		.amdhsa_float_round_mode_16_64 0
		.amdhsa_float_denorm_mode_32 3
		.amdhsa_float_denorm_mode_16_64 3
		.amdhsa_dx10_clamp 1
		.amdhsa_ieee_mode 1
		.amdhsa_fp16_overflow 0
		.amdhsa_workgroup_processor_mode 1
		.amdhsa_memory_ordered 1
		.amdhsa_forward_progress 0
		.amdhsa_shared_vgpr_count 0
		.amdhsa_exception_fp_ieee_invalid_op 0
		.amdhsa_exception_fp_denorm_src 0
		.amdhsa_exception_fp_ieee_div_zero 0
		.amdhsa_exception_fp_ieee_overflow 0
		.amdhsa_exception_fp_ieee_underflow 0
		.amdhsa_exception_fp_ieee_inexact 0
		.amdhsa_exception_int_div_zero 0
	.end_amdhsa_kernel
	.section	.text._ZN2at6native12_GLOBAL__N_122cunn_SoftMaxForwardRegIN3c104HalfEfS4_NS1_25LogSoftMaxForwardEpilogueElLi4EEEvPT1_PKT_T3_,"axG",@progbits,_ZN2at6native12_GLOBAL__N_122cunn_SoftMaxForwardRegIN3c104HalfEfS4_NS1_25LogSoftMaxForwardEpilogueElLi4EEEvPT1_PKT_T3_,comdat
.Lfunc_end97:
	.size	_ZN2at6native12_GLOBAL__N_122cunn_SoftMaxForwardRegIN3c104HalfEfS4_NS1_25LogSoftMaxForwardEpilogueElLi4EEEvPT1_PKT_T3_, .Lfunc_end97-_ZN2at6native12_GLOBAL__N_122cunn_SoftMaxForwardRegIN3c104HalfEfS4_NS1_25LogSoftMaxForwardEpilogueElLi4EEEvPT1_PKT_T3_
                                        ; -- End function
	.section	.AMDGPU.csdata,"",@progbits
; Kernel info:
; codeLenInByte = 2316
; NumSgprs: 18
; NumVgprs: 20
; ScratchSize: 0
; MemoryBound: 0
; FloatMode: 240
; IeeeMode: 1
; LDSByteSize: 0 bytes/workgroup (compile time only)
; SGPRBlocks: 2
; VGPRBlocks: 2
; NumSGPRsForWavesPerEU: 18
; NumVGPRsForWavesPerEU: 20
; Occupancy: 16
; WaveLimiterHint : 0
; COMPUTE_PGM_RSRC2:SCRATCH_EN: 0
; COMPUTE_PGM_RSRC2:USER_SGPR: 15
; COMPUTE_PGM_RSRC2:TRAP_HANDLER: 0
; COMPUTE_PGM_RSRC2:TGID_X_EN: 1
; COMPUTE_PGM_RSRC2:TGID_Y_EN: 0
; COMPUTE_PGM_RSRC2:TGID_Z_EN: 0
; COMPUTE_PGM_RSRC2:TIDIG_COMP_CNT: 0
	.section	.text._ZN2at6native12_GLOBAL__N_122cunn_SoftMaxForwardRegIN3c104HalfEfS4_NS1_25LogSoftMaxForwardEpilogueElLi5EEEvPT1_PKT_T3_,"axG",@progbits,_ZN2at6native12_GLOBAL__N_122cunn_SoftMaxForwardRegIN3c104HalfEfS4_NS1_25LogSoftMaxForwardEpilogueElLi5EEEvPT1_PKT_T3_,comdat
	.globl	_ZN2at6native12_GLOBAL__N_122cunn_SoftMaxForwardRegIN3c104HalfEfS4_NS1_25LogSoftMaxForwardEpilogueElLi5EEEvPT1_PKT_T3_ ; -- Begin function _ZN2at6native12_GLOBAL__N_122cunn_SoftMaxForwardRegIN3c104HalfEfS4_NS1_25LogSoftMaxForwardEpilogueElLi5EEEvPT1_PKT_T3_
	.p2align	8
	.type	_ZN2at6native12_GLOBAL__N_122cunn_SoftMaxForwardRegIN3c104HalfEfS4_NS1_25LogSoftMaxForwardEpilogueElLi5EEEvPT1_PKT_T3_,@function
_ZN2at6native12_GLOBAL__N_122cunn_SoftMaxForwardRegIN3c104HalfEfS4_NS1_25LogSoftMaxForwardEpilogueElLi5EEEvPT1_PKT_T3_: ; @_ZN2at6native12_GLOBAL__N_122cunn_SoftMaxForwardRegIN3c104HalfEfS4_NS1_25LogSoftMaxForwardEpilogueElLi5EEEvPT1_PKT_T3_
; %bb.0:
	s_clause 0x2
	s_load_b64 s[4:5], s[0:1], 0x10
	s_load_b128 s[16:19], s[0:1], 0x0
	s_load_b32 s0, s[0:1], 0x24
	v_dual_mov_b32 v2, 0 :: v_dual_lshlrev_b32 v3, 1, v0
	v_mov_b32_e32 v8, 0xff7fffff
                                        ; implicit-def: $vgpr15
	s_delay_alu instid0(VALU_DEP_2)
	v_mov_b32_e32 v1, v2
	s_waitcnt lgkmcnt(0)
	s_mul_i32 s1, s15, s5
	s_mul_hi_u32 s3, s15, s4
	s_mul_i32 s2, s15, s4
	s_add_i32 s3, s3, s1
	v_cmp_gt_i64_e32 vcc_lo, s[4:5], v[0:1]
	s_lshl_b64 s[10:11], s[2:3], 1
	s_delay_alu instid0(SALU_CYCLE_1)
	s_add_u32 s6, s18, s10
	s_addc_u32 s7, s19, s11
	s_and_saveexec_b32 s1, vcc_lo
	s_cbranch_execz .LBB98_2
; %bb.1:
	global_load_u16 v15, v3, s[6:7]
	s_waitcnt vmcnt(0)
	v_cvt_f32_f16_e32 v1, v15
	s_delay_alu instid0(VALU_DEP_1)
	v_max_f32_e32 v8, 0xff7fffff, v1
.LBB98_2:
	s_or_b32 exec_lo, exec_lo, s1
	s_and_b32 s8, 0xffff, s0
                                        ; implicit-def: $vgpr14
	s_delay_alu instid0(SALU_CYCLE_1) | instskip(NEXT) | instid1(VALU_DEP_1)
	v_add_nc_u32_e32 v1, s8, v0
	v_cmp_gt_i64_e64 s0, s[4:5], v[1:2]
	v_lshlrev_b32_e32 v4, 1, v1
	s_delay_alu instid0(VALU_DEP_2)
	s_and_saveexec_b32 s1, s0
	s_cbranch_execz .LBB98_4
; %bb.3:
	global_load_u16 v14, v4, s[6:7]
	v_max_f32_e32 v5, v8, v8
	s_waitcnt vmcnt(0)
	v_cvt_f32_f16_e32 v2, v14
	s_delay_alu instid0(VALU_DEP_1)
	v_max_f32_e32 v8, v5, v2
.LBB98_4:
	s_or_b32 exec_lo, exec_lo, s1
	v_dual_mov_b32 v2, 0 :: v_dual_add_nc_u32 v1, s8, v1
                                        ; implicit-def: $vgpr13
	s_delay_alu instid0(VALU_DEP_1) | instskip(NEXT) | instid1(VALU_DEP_2)
	v_lshlrev_b32_e32 v5, 1, v1
	v_cmp_gt_i64_e64 s1, s[4:5], v[1:2]
	s_delay_alu instid0(VALU_DEP_1)
	s_and_saveexec_b32 s2, s1
	s_cbranch_execz .LBB98_6
; %bb.5:
	global_load_u16 v13, v5, s[6:7]
	v_max_f32_e32 v7, v8, v8
	s_waitcnt vmcnt(0)
	v_cvt_f32_f16_e32 v6, v13
	s_delay_alu instid0(VALU_DEP_1)
	v_max_f32_e32 v8, v7, v6
.LBB98_6:
	s_or_b32 exec_lo, exec_lo, s2
	v_add_nc_u32_e32 v1, s8, v1
                                        ; implicit-def: $vgpr12
	s_delay_alu instid0(VALU_DEP_1) | instskip(SKIP_1) | instid1(VALU_DEP_2)
	v_cmp_gt_i64_e64 s2, s[4:5], v[1:2]
	v_lshlrev_b32_e32 v2, 1, v1
	s_and_saveexec_b32 s3, s2
	s_cbranch_execz .LBB98_8
; %bb.7:
	global_load_u16 v12, v2, s[6:7]
	v_max_f32_e32 v7, v8, v8
	s_waitcnt vmcnt(0)
	v_cvt_f32_f16_e32 v6, v12
	s_delay_alu instid0(VALU_DEP_1)
	v_max_f32_e32 v8, v7, v6
.LBB98_8:
	s_or_b32 exec_lo, exec_lo, s3
	v_dual_mov_b32 v7, 0 :: v_dual_add_nc_u32 v6, s8, v1
                                        ; implicit-def: $vgpr11
	s_delay_alu instid0(VALU_DEP_1) | instskip(NEXT) | instid1(VALU_DEP_2)
	v_lshlrev_b32_e32 v1, 1, v6
	v_cmp_gt_i64_e64 s3, s[4:5], v[6:7]
	s_delay_alu instid0(VALU_DEP_1)
	s_and_saveexec_b32 s4, s3
	s_cbranch_execz .LBB98_10
; %bb.9:
	global_load_u16 v11, v1, s[6:7]
	v_max_f32_e32 v7, v8, v8
	s_waitcnt vmcnt(0)
	v_cvt_f32_f16_e32 v6, v11
	s_delay_alu instid0(VALU_DEP_1)
	v_max_f32_e32 v8, v7, v6
.LBB98_10:
	s_or_b32 exec_lo, exec_lo, s4
	v_mbcnt_lo_u32_b32 v10, -1, 0
	s_barrier
	buffer_gl0_inv
	v_cmp_gt_u32_e64 s4, 16, v10
	s_delay_alu instid0(VALU_DEP_1) | instskip(SKIP_1) | instid1(VALU_DEP_2)
	v_cndmask_b32_e64 v6, 0, 1, s4
	v_cmp_gt_u32_e64 s4, 24, v10
	v_lshlrev_b32_e32 v6, 4, v6
	s_delay_alu instid0(VALU_DEP_2) | instskip(NEXT) | instid1(VALU_DEP_2)
	v_cndmask_b32_e64 v7, 0, 1, s4
	v_add_lshl_u32 v6, v6, v10, 2
	s_delay_alu instid0(VALU_DEP_2) | instskip(SKIP_4) | instid1(VALU_DEP_1)
	v_lshlrev_b32_e32 v7, 3, v7
	ds_bpermute_b32 v9, v6, v8
	v_add_lshl_u32 v7, v7, v10, 2
	s_waitcnt lgkmcnt(0)
	v_cmp_lt_f32_e64 s4, v8, v9
	v_cndmask_b32_e64 v9, v8, v9, s4
	v_cmp_gt_u32_e64 s4, 28, v10
	ds_bpermute_b32 v16, v7, v9
	v_cndmask_b32_e64 v8, 0, 1, s4
	s_delay_alu instid0(VALU_DEP_1) | instskip(NEXT) | instid1(VALU_DEP_1)
	v_lshlrev_b32_e32 v8, 2, v8
	v_add_lshl_u32 v8, v8, v10, 2
	s_waitcnt lgkmcnt(0)
	v_cmp_lt_f32_e64 s4, v9, v16
	s_delay_alu instid0(VALU_DEP_1) | instskip(SKIP_3) | instid1(VALU_DEP_1)
	v_cndmask_b32_e64 v16, v9, v16, s4
	v_cmp_gt_u32_e64 s4, 30, v10
	ds_bpermute_b32 v17, v8, v16
	v_cndmask_b32_e64 v9, 0, 1, s4
	v_lshlrev_b32_e32 v9, 1, v9
	s_delay_alu instid0(VALU_DEP_1) | instskip(SKIP_2) | instid1(VALU_DEP_1)
	v_add_lshl_u32 v9, v9, v10, 2
	s_waitcnt lgkmcnt(0)
	v_cmp_lt_f32_e64 s4, v16, v17
	v_cndmask_b32_e64 v16, v16, v17, s4
	v_cmp_ne_u32_e64 s4, 31, v10
	ds_bpermute_b32 v17, v9, v16
	v_add_co_ci_u32_e64 v10, s4, 0, v10, s4
	s_delay_alu instid0(VALU_DEP_1) | instskip(SKIP_2) | instid1(VALU_DEP_1)
	v_lshlrev_b32_e32 v10, 2, v10
	s_waitcnt lgkmcnt(0)
	v_cmp_lt_f32_e64 s4, v16, v17
	v_cndmask_b32_e64 v18, v16, v17, s4
	v_and_b32_e32 v17, 31, v0
	v_lshrrev_b32_e32 v16, 3, v0
	ds_bpermute_b32 v19, v10, v18
	v_cmp_eq_u32_e64 s4, 0, v17
	s_delay_alu instid0(VALU_DEP_1) | instskip(NEXT) | instid1(SALU_CYCLE_1)
	s_and_saveexec_b32 s5, s4
	s_xor_b32 s6, exec_lo, s5
	s_cbranch_execz .LBB98_12
; %bb.11:
	s_waitcnt lgkmcnt(0)
	v_cmp_lt_f32_e64 s5, v18, v19
	v_add_nc_u32_e32 v20, 0, v16
	s_delay_alu instid0(VALU_DEP_2)
	v_cndmask_b32_e64 v18, v18, v19, s5
	ds_store_b32 v20, v18
.LBB98_12:
	s_or_b32 exec_lo, exec_lo, s6
	s_lshr_b32 s5, s8, 5
	v_mov_b32_e32 v18, 0xff7fffff
	v_cmp_gt_u32_e64 s5, s5, v0
	v_lshl_add_u32 v17, v17, 2, 0
	s_waitcnt lgkmcnt(0)
	s_barrier
	buffer_gl0_inv
	s_and_saveexec_b32 s6, s5
	s_cbranch_execnz .LBB98_38
; %bb.13:
	s_or_b32 exec_lo, exec_lo, s6
	v_cmp_gt_u32_e64 s6, 32, v0
	s_delay_alu instid0(VALU_DEP_1)
	s_and_saveexec_b32 s8, s6
	s_cbranch_execnz .LBB98_39
.LBB98_14:
	s_or_b32 exec_lo, exec_lo, s8
	v_cmp_eq_u32_e64 s7, 0, v0
	s_delay_alu instid0(VALU_DEP_1)
	s_and_saveexec_b32 s8, s7
	s_cbranch_execz .LBB98_16
.LBB98_15:
	v_mov_b32_e32 v0, 0
	s_waitcnt lgkmcnt(0)
	ds_store_b32 v0, v18
.LBB98_16:
	s_or_b32 exec_lo, exec_lo, s8
	s_waitcnt lgkmcnt(0)
	v_mov_b32_e32 v18, 0
	s_barrier
	buffer_gl0_inv
	v_cvt_f32_f16_e32 v0, v15
	ds_load_b32 v19, v18
	s_waitcnt lgkmcnt(0)
	v_sub_f32_e32 v0, v0, v19
	s_and_saveexec_b32 s9, vcc_lo
	s_cbranch_execz .LBB98_18
; %bb.17:
	s_delay_alu instid0(VALU_DEP_1) | instskip(SKIP_1) | instid1(VALU_DEP_2)
	v_mul_f32_e32 v15, 0x3fb8aa3b, v0
	v_cmp_ngt_f32_e64 s8, 0xc2ce8ed0, v0
	v_fma_f32 v18, 0x3fb8aa3b, v0, -v15
	v_rndne_f32_e32 v20, v15
	s_delay_alu instid0(VALU_DEP_1) | instskip(NEXT) | instid1(VALU_DEP_1)
	v_dual_fmamk_f32 v18, v0, 0x32a5705f, v18 :: v_dual_sub_f32 v15, v15, v20
	v_add_f32_e32 v15, v15, v18
	v_cvt_i32_f32_e32 v18, v20
	s_delay_alu instid0(VALU_DEP_2) | instskip(SKIP_2) | instid1(VALU_DEP_1)
	v_exp_f32_e32 v15, v15
	s_waitcnt_depctr 0xfff
	v_ldexp_f32 v15, v15, v18
	v_cndmask_b32_e64 v15, 0, v15, s8
	v_cmp_nlt_f32_e64 s8, 0x42b17218, v0
	s_delay_alu instid0(VALU_DEP_1)
	v_cndmask_b32_e64 v18, 0x7f800000, v15, s8
.LBB98_18:
	s_or_b32 exec_lo, exec_lo, s9
	v_cvt_f32_f16_e32 v14, v14
	s_delay_alu instid0(VALU_DEP_1)
	v_sub_f32_e32 v14, v14, v19
	s_and_saveexec_b32 s9, s0
	s_cbranch_execz .LBB98_20
; %bb.19:
	s_delay_alu instid0(VALU_DEP_1) | instskip(SKIP_1) | instid1(VALU_DEP_2)
	v_mul_f32_e32 v15, 0x3fb8aa3b, v14
	v_cmp_ngt_f32_e64 s8, 0xc2ce8ed0, v14
	v_fma_f32 v20, 0x3fb8aa3b, v14, -v15
	v_rndne_f32_e32 v21, v15
	s_delay_alu instid0(VALU_DEP_1) | instskip(NEXT) | instid1(VALU_DEP_1)
	v_dual_fmamk_f32 v20, v14, 0x32a5705f, v20 :: v_dual_sub_f32 v15, v15, v21
	v_add_f32_e32 v15, v15, v20
	v_cvt_i32_f32_e32 v20, v21
	s_delay_alu instid0(VALU_DEP_2) | instskip(SKIP_2) | instid1(VALU_DEP_1)
	v_exp_f32_e32 v15, v15
	s_waitcnt_depctr 0xfff
	v_ldexp_f32 v15, v15, v20
	v_cndmask_b32_e64 v15, 0, v15, s8
	v_cmp_nlt_f32_e64 s8, 0x42b17218, v14
	s_delay_alu instid0(VALU_DEP_1) | instskip(NEXT) | instid1(VALU_DEP_1)
	v_cndmask_b32_e64 v15, 0x7f800000, v15, s8
	v_add_f32_e32 v18, v18, v15
.LBB98_20:
	s_or_b32 exec_lo, exec_lo, s9
	v_cvt_f32_f16_e32 v13, v13
	s_delay_alu instid0(VALU_DEP_1)
	v_sub_f32_e32 v13, v13, v19
	s_and_saveexec_b32 s9, s1
	s_cbranch_execz .LBB98_22
; %bb.21:
	s_delay_alu instid0(VALU_DEP_1) | instskip(SKIP_1) | instid1(VALU_DEP_2)
	v_mul_f32_e32 v15, 0x3fb8aa3b, v13
	v_cmp_ngt_f32_e64 s8, 0xc2ce8ed0, v13
	v_fma_f32 v20, 0x3fb8aa3b, v13, -v15
	v_rndne_f32_e32 v21, v15
	s_delay_alu instid0(VALU_DEP_1) | instskip(NEXT) | instid1(VALU_DEP_1)
	v_dual_fmamk_f32 v20, v13, 0x32a5705f, v20 :: v_dual_sub_f32 v15, v15, v21
	v_add_f32_e32 v15, v15, v20
	v_cvt_i32_f32_e32 v20, v21
	s_delay_alu instid0(VALU_DEP_2) | instskip(SKIP_2) | instid1(VALU_DEP_1)
	v_exp_f32_e32 v15, v15
	s_waitcnt_depctr 0xfff
	v_ldexp_f32 v15, v15, v20
	v_cndmask_b32_e64 v15, 0, v15, s8
	v_cmp_nlt_f32_e64 s8, 0x42b17218, v13
	s_delay_alu instid0(VALU_DEP_1) | instskip(NEXT) | instid1(VALU_DEP_1)
	v_cndmask_b32_e64 v15, 0x7f800000, v15, s8
	v_add_f32_e32 v18, v18, v15
.LBB98_22:
	;; [unrolled: 26-line block ×3, first 2 shown]
	s_or_b32 exec_lo, exec_lo, s9
	v_cvt_f32_f16_e32 v11, v11
	s_delay_alu instid0(VALU_DEP_1)
	v_sub_f32_e32 v11, v11, v19
	s_and_saveexec_b32 s9, s3
	s_cbranch_execz .LBB98_26
; %bb.25:
	s_delay_alu instid0(VALU_DEP_1) | instskip(SKIP_1) | instid1(VALU_DEP_2)
	v_mul_f32_e32 v15, 0x3fb8aa3b, v11
	v_cmp_ngt_f32_e64 s8, 0xc2ce8ed0, v11
	v_fma_f32 v19, 0x3fb8aa3b, v11, -v15
	v_rndne_f32_e32 v20, v15
	s_delay_alu instid0(VALU_DEP_2) | instskip(NEXT) | instid1(VALU_DEP_2)
	v_fmamk_f32 v19, v11, 0x32a5705f, v19
	v_sub_f32_e32 v15, v15, v20
	s_delay_alu instid0(VALU_DEP_1) | instskip(SKIP_1) | instid1(VALU_DEP_2)
	v_add_f32_e32 v15, v15, v19
	v_cvt_i32_f32_e32 v19, v20
	v_exp_f32_e32 v15, v15
	s_waitcnt_depctr 0xfff
	v_ldexp_f32 v15, v15, v19
	s_delay_alu instid0(VALU_DEP_1) | instskip(SKIP_1) | instid1(VALU_DEP_1)
	v_cndmask_b32_e64 v15, 0, v15, s8
	v_cmp_nlt_f32_e64 s8, 0x42b17218, v11
	v_cndmask_b32_e64 v15, 0x7f800000, v15, s8
	s_delay_alu instid0(VALU_DEP_1)
	v_add_f32_e32 v18, v18, v15
.LBB98_26:
	s_or_b32 exec_lo, exec_lo, s9
	ds_bpermute_b32 v15, v6, v18
	s_waitcnt lgkmcnt(0)
	s_barrier
	buffer_gl0_inv
	v_add_f32_e32 v15, v18, v15
	ds_bpermute_b32 v18, v7, v15
	s_waitcnt lgkmcnt(0)
	v_add_f32_e32 v15, v15, v18
	ds_bpermute_b32 v18, v8, v15
	s_waitcnt lgkmcnt(0)
	;; [unrolled: 3-line block ×3, first 2 shown]
	v_add_f32_e32 v15, v15, v18
	ds_bpermute_b32 v18, v10, v15
	s_and_saveexec_b32 s8, s4
	s_delay_alu instid0(SALU_CYCLE_1)
	s_xor_b32 s4, exec_lo, s8
	s_cbranch_execz .LBB98_28
; %bb.27:
	s_waitcnt lgkmcnt(0)
	v_dual_add_f32 v15, v15, v18 :: v_dual_add_nc_u32 v16, 0, v16
	ds_store_b32 v16, v15
.LBB98_28:
	s_or_b32 exec_lo, exec_lo, s4
	v_mov_b32_e32 v15, 0
	s_waitcnt lgkmcnt(0)
	s_barrier
	buffer_gl0_inv
	s_and_saveexec_b32 s4, s5
	s_cbranch_execnz .LBB98_40
; %bb.29:
	s_or_b32 exec_lo, exec_lo, s4
	s_and_saveexec_b32 s4, s6
	s_cbranch_execnz .LBB98_41
.LBB98_30:
	s_or_b32 exec_lo, exec_lo, s4
	s_and_saveexec_b32 s4, s7
	s_cbranch_execz .LBB98_32
.LBB98_31:
	v_mov_b32_e32 v6, 0
	s_waitcnt lgkmcnt(0)
	ds_store_b32 v6, v15
.LBB98_32:
	s_or_b32 exec_lo, exec_lo, s4
	v_mov_b32_e32 v6, 0
	s_waitcnt lgkmcnt(0)
	s_barrier
	buffer_gl0_inv
	ds_load_b32 v6, v6
	s_waitcnt lgkmcnt(0)
	v_cmp_gt_f32_e64 s4, 0x800000, v6
	s_delay_alu instid0(VALU_DEP_1) | instskip(NEXT) | instid1(VALU_DEP_1)
	v_cndmask_b32_e64 v7, 1.0, 0x4f800000, s4
	v_mul_f32_e32 v6, v6, v7
	s_delay_alu instid0(VALU_DEP_1) | instskip(SKIP_3) | instid1(VALU_DEP_2)
	v_log_f32_e32 v6, v6
	s_waitcnt_depctr 0xfff
	v_mul_f32_e32 v7, 0x3f317217, v6
	v_cmp_gt_f32_e64 s5, 0x7f800000, |v6|
	v_fma_f32 v8, 0x3f317217, v6, -v7
	s_delay_alu instid0(VALU_DEP_1) | instskip(NEXT) | instid1(VALU_DEP_1)
	v_fmamk_f32 v8, v6, 0x3377d1cf, v8
	v_add_f32_e32 v7, v7, v8
	s_delay_alu instid0(VALU_DEP_1) | instskip(SKIP_3) | instid1(VALU_DEP_1)
	v_cndmask_b32_e64 v6, v6, v7, s5
	v_cndmask_b32_e64 v7, 0, 0x41b17218, s4
	s_add_u32 s4, s16, s10
	s_addc_u32 s5, s17, s11
	v_sub_f32_e32 v6, v6, v7
	s_and_saveexec_b32 s6, vcc_lo
	s_cbranch_execnz .LBB98_42
; %bb.33:
	s_or_b32 exec_lo, exec_lo, s6
	s_and_saveexec_b32 s6, s0
	s_cbranch_execnz .LBB98_43
.LBB98_34:
	s_or_b32 exec_lo, exec_lo, s6
	s_and_saveexec_b32 s0, s1
	s_cbranch_execnz .LBB98_44
.LBB98_35:
	s_or_b32 exec_lo, exec_lo, s0
	s_and_saveexec_b32 s0, s2
	s_cbranch_execnz .LBB98_45
.LBB98_36:
	s_or_b32 exec_lo, exec_lo, s0
	s_and_saveexec_b32 s0, s3
	s_cbranch_execnz .LBB98_46
.LBB98_37:
	s_nop 0
	s_sendmsg sendmsg(MSG_DEALLOC_VGPRS)
	s_endpgm
.LBB98_38:
	ds_load_b32 v18, v17
	s_or_b32 exec_lo, exec_lo, s6
	v_cmp_gt_u32_e64 s6, 32, v0
	s_delay_alu instid0(VALU_DEP_1)
	s_and_saveexec_b32 s8, s6
	s_cbranch_execz .LBB98_14
.LBB98_39:
	s_waitcnt lgkmcnt(0)
	ds_bpermute_b32 v19, v6, v18
	s_waitcnt lgkmcnt(0)
	v_cmp_lt_f32_e64 s7, v18, v19
	s_delay_alu instid0(VALU_DEP_1) | instskip(SKIP_3) | instid1(VALU_DEP_1)
	v_cndmask_b32_e64 v18, v18, v19, s7
	ds_bpermute_b32 v19, v7, v18
	s_waitcnt lgkmcnt(0)
	v_cmp_lt_f32_e64 s7, v18, v19
	v_cndmask_b32_e64 v18, v18, v19, s7
	ds_bpermute_b32 v19, v8, v18
	s_waitcnt lgkmcnt(0)
	v_cmp_lt_f32_e64 s7, v18, v19
	s_delay_alu instid0(VALU_DEP_1) | instskip(SKIP_3) | instid1(VALU_DEP_1)
	v_cndmask_b32_e64 v18, v18, v19, s7
	ds_bpermute_b32 v19, v9, v18
	s_waitcnt lgkmcnt(0)
	v_cmp_lt_f32_e64 s7, v18, v19
	v_cndmask_b32_e64 v18, v18, v19, s7
	ds_bpermute_b32 v19, v10, v18
	s_waitcnt lgkmcnt(0)
	v_cmp_lt_f32_e64 s7, v18, v19
	s_delay_alu instid0(VALU_DEP_1) | instskip(SKIP_2) | instid1(VALU_DEP_1)
	v_cndmask_b32_e64 v18, v18, v19, s7
	s_or_b32 exec_lo, exec_lo, s8
	v_cmp_eq_u32_e64 s7, 0, v0
	s_and_saveexec_b32 s8, s7
	s_cbranch_execnz .LBB98_15
	s_branch .LBB98_16
.LBB98_40:
	ds_load_b32 v15, v17
	s_or_b32 exec_lo, exec_lo, s4
	s_and_saveexec_b32 s4, s6
	s_cbranch_execz .LBB98_30
.LBB98_41:
	s_waitcnt lgkmcnt(0)
	ds_bpermute_b32 v6, v6, v15
	s_waitcnt lgkmcnt(0)
	v_add_f32_e32 v6, v15, v6
	ds_bpermute_b32 v7, v7, v6
	s_waitcnt lgkmcnt(0)
	v_add_f32_e32 v6, v6, v7
	;; [unrolled: 3-line block ×5, first 2 shown]
	s_or_b32 exec_lo, exec_lo, s4
	s_and_saveexec_b32 s4, s7
	s_cbranch_execnz .LBB98_31
	s_branch .LBB98_32
.LBB98_42:
	s_delay_alu instid0(VALU_DEP_1) | instskip(NEXT) | instid1(VALU_DEP_1)
	v_sub_f32_e32 v0, v0, v6
	v_cvt_f16_f32_e32 v0, v0
	global_store_b16 v3, v0, s[4:5]
	s_or_b32 exec_lo, exec_lo, s6
	s_and_saveexec_b32 s6, s0
	s_cbranch_execz .LBB98_34
.LBB98_43:
	v_sub_f32_e32 v0, v14, v6
	s_delay_alu instid0(VALU_DEP_1)
	v_cvt_f16_f32_e32 v0, v0
	global_store_b16 v4, v0, s[4:5]
	s_or_b32 exec_lo, exec_lo, s6
	s_and_saveexec_b32 s0, s1
	s_cbranch_execz .LBB98_35
.LBB98_44:
	v_sub_f32_e32 v0, v13, v6
	s_delay_alu instid0(VALU_DEP_1)
	v_cvt_f16_f32_e32 v0, v0
	global_store_b16 v5, v0, s[4:5]
	s_or_b32 exec_lo, exec_lo, s0
	s_and_saveexec_b32 s0, s2
	s_cbranch_execz .LBB98_36
.LBB98_45:
	v_sub_f32_e32 v0, v12, v6
	s_delay_alu instid0(VALU_DEP_1)
	v_cvt_f16_f32_e32 v0, v0
	global_store_b16 v2, v0, s[4:5]
	s_or_b32 exec_lo, exec_lo, s0
	s_and_saveexec_b32 s0, s3
	s_cbranch_execz .LBB98_37
.LBB98_46:
	v_sub_f32_e32 v0, v11, v6
	s_delay_alu instid0(VALU_DEP_1)
	v_cvt_f16_f32_e32 v0, v0
	global_store_b16 v1, v0, s[4:5]
	s_nop 0
	s_sendmsg sendmsg(MSG_DEALLOC_VGPRS)
	s_endpgm
	.section	.rodata,"a",@progbits
	.p2align	6, 0x0
	.amdhsa_kernel _ZN2at6native12_GLOBAL__N_122cunn_SoftMaxForwardRegIN3c104HalfEfS4_NS1_25LogSoftMaxForwardEpilogueElLi5EEEvPT1_PKT_T3_
		.amdhsa_group_segment_fixed_size 0
		.amdhsa_private_segment_fixed_size 0
		.amdhsa_kernarg_size 280
		.amdhsa_user_sgpr_count 15
		.amdhsa_user_sgpr_dispatch_ptr 0
		.amdhsa_user_sgpr_queue_ptr 0
		.amdhsa_user_sgpr_kernarg_segment_ptr 1
		.amdhsa_user_sgpr_dispatch_id 0
		.amdhsa_user_sgpr_private_segment_size 0
		.amdhsa_wavefront_size32 1
		.amdhsa_uses_dynamic_stack 0
		.amdhsa_enable_private_segment 0
		.amdhsa_system_sgpr_workgroup_id_x 1
		.amdhsa_system_sgpr_workgroup_id_y 0
		.amdhsa_system_sgpr_workgroup_id_z 0
		.amdhsa_system_sgpr_workgroup_info 0
		.amdhsa_system_vgpr_workitem_id 0
		.amdhsa_next_free_vgpr 22
		.amdhsa_next_free_sgpr 20
		.amdhsa_reserve_vcc 1
		.amdhsa_float_round_mode_32 0
		.amdhsa_float_round_mode_16_64 0
		.amdhsa_float_denorm_mode_32 3
		.amdhsa_float_denorm_mode_16_64 3
		.amdhsa_dx10_clamp 1
		.amdhsa_ieee_mode 1
		.amdhsa_fp16_overflow 0
		.amdhsa_workgroup_processor_mode 1
		.amdhsa_memory_ordered 1
		.amdhsa_forward_progress 0
		.amdhsa_shared_vgpr_count 0
		.amdhsa_exception_fp_ieee_invalid_op 0
		.amdhsa_exception_fp_denorm_src 0
		.amdhsa_exception_fp_ieee_div_zero 0
		.amdhsa_exception_fp_ieee_overflow 0
		.amdhsa_exception_fp_ieee_underflow 0
		.amdhsa_exception_fp_ieee_inexact 0
		.amdhsa_exception_int_div_zero 0
	.end_amdhsa_kernel
	.section	.text._ZN2at6native12_GLOBAL__N_122cunn_SoftMaxForwardRegIN3c104HalfEfS4_NS1_25LogSoftMaxForwardEpilogueElLi5EEEvPT1_PKT_T3_,"axG",@progbits,_ZN2at6native12_GLOBAL__N_122cunn_SoftMaxForwardRegIN3c104HalfEfS4_NS1_25LogSoftMaxForwardEpilogueElLi5EEEvPT1_PKT_T3_,comdat
.Lfunc_end98:
	.size	_ZN2at6native12_GLOBAL__N_122cunn_SoftMaxForwardRegIN3c104HalfEfS4_NS1_25LogSoftMaxForwardEpilogueElLi5EEEvPT1_PKT_T3_, .Lfunc_end98-_ZN2at6native12_GLOBAL__N_122cunn_SoftMaxForwardRegIN3c104HalfEfS4_NS1_25LogSoftMaxForwardEpilogueElLi5EEEvPT1_PKT_T3_
                                        ; -- End function
	.section	.AMDGPU.csdata,"",@progbits
; Kernel info:
; codeLenInByte = 2576
; NumSgprs: 22
; NumVgprs: 22
; ScratchSize: 0
; MemoryBound: 0
; FloatMode: 240
; IeeeMode: 1
; LDSByteSize: 0 bytes/workgroup (compile time only)
; SGPRBlocks: 2
; VGPRBlocks: 2
; NumSGPRsForWavesPerEU: 22
; NumVGPRsForWavesPerEU: 22
; Occupancy: 16
; WaveLimiterHint : 0
; COMPUTE_PGM_RSRC2:SCRATCH_EN: 0
; COMPUTE_PGM_RSRC2:USER_SGPR: 15
; COMPUTE_PGM_RSRC2:TRAP_HANDLER: 0
; COMPUTE_PGM_RSRC2:TGID_X_EN: 1
; COMPUTE_PGM_RSRC2:TGID_Y_EN: 0
; COMPUTE_PGM_RSRC2:TGID_Z_EN: 0
; COMPUTE_PGM_RSRC2:TIDIG_COMP_CNT: 0
	.section	.text._ZN2at6native12_GLOBAL__N_122cunn_SoftMaxForwardRegIN3c104HalfEfS4_NS1_25LogSoftMaxForwardEpilogueElLi6EEEvPT1_PKT_T3_,"axG",@progbits,_ZN2at6native12_GLOBAL__N_122cunn_SoftMaxForwardRegIN3c104HalfEfS4_NS1_25LogSoftMaxForwardEpilogueElLi6EEEvPT1_PKT_T3_,comdat
	.globl	_ZN2at6native12_GLOBAL__N_122cunn_SoftMaxForwardRegIN3c104HalfEfS4_NS1_25LogSoftMaxForwardEpilogueElLi6EEEvPT1_PKT_T3_ ; -- Begin function _ZN2at6native12_GLOBAL__N_122cunn_SoftMaxForwardRegIN3c104HalfEfS4_NS1_25LogSoftMaxForwardEpilogueElLi6EEEvPT1_PKT_T3_
	.p2align	8
	.type	_ZN2at6native12_GLOBAL__N_122cunn_SoftMaxForwardRegIN3c104HalfEfS4_NS1_25LogSoftMaxForwardEpilogueElLi6EEEvPT1_PKT_T3_,@function
_ZN2at6native12_GLOBAL__N_122cunn_SoftMaxForwardRegIN3c104HalfEfS4_NS1_25LogSoftMaxForwardEpilogueElLi6EEEvPT1_PKT_T3_: ; @_ZN2at6native12_GLOBAL__N_122cunn_SoftMaxForwardRegIN3c104HalfEfS4_NS1_25LogSoftMaxForwardEpilogueElLi6EEEvPT1_PKT_T3_
; %bb.0:
	s_clause 0x2
	s_load_b64 s[4:5], s[0:1], 0x10
	s_load_b128 s[16:19], s[0:1], 0x0
	s_load_b32 s0, s[0:1], 0x24
	v_dual_mov_b32 v2, 0 :: v_dual_mov_b32 v9, 0xff7fffff
	v_lshlrev_b32_e32 v3, 1, v0
                                        ; implicit-def: $vgpr18
	s_delay_alu instid0(VALU_DEP_2)
	v_mov_b32_e32 v1, v2
	s_waitcnt lgkmcnt(0)
	s_mul_i32 s1, s15, s5
	s_mul_hi_u32 s3, s15, s4
	s_mul_i32 s2, s15, s4
	s_add_i32 s3, s3, s1
	v_cmp_gt_i64_e32 vcc_lo, s[4:5], v[0:1]
	s_lshl_b64 s[10:11], s[2:3], 1
	s_delay_alu instid0(SALU_CYCLE_1)
	s_add_u32 s6, s18, s10
	s_addc_u32 s7, s19, s11
	s_and_saveexec_b32 s1, vcc_lo
	s_cbranch_execz .LBB99_2
; %bb.1:
	global_load_u16 v18, v3, s[6:7]
	s_waitcnt vmcnt(0)
	v_cvt_f32_f16_e32 v1, v18
	s_delay_alu instid0(VALU_DEP_1)
	v_max_f32_e32 v9, 0xff7fffff, v1
.LBB99_2:
	s_or_b32 exec_lo, exec_lo, s1
	s_and_b32 s8, 0xffff, s0
                                        ; implicit-def: $vgpr16
	s_delay_alu instid0(SALU_CYCLE_1) | instskip(NEXT) | instid1(VALU_DEP_1)
	v_add_nc_u32_e32 v1, s8, v0
	v_cmp_gt_i64_e64 s0, s[4:5], v[1:2]
	v_lshlrev_b32_e32 v4, 1, v1
	s_delay_alu instid0(VALU_DEP_2)
	s_and_saveexec_b32 s1, s0
	s_cbranch_execz .LBB99_4
; %bb.3:
	global_load_u16 v16, v4, s[6:7]
	v_max_f32_e32 v5, v9, v9
	s_waitcnt vmcnt(0)
	v_cvt_f32_f16_e32 v2, v16
	s_delay_alu instid0(VALU_DEP_1)
	v_max_f32_e32 v9, v5, v2
.LBB99_4:
	s_or_b32 exec_lo, exec_lo, s1
	v_dual_mov_b32 v2, 0 :: v_dual_add_nc_u32 v1, s8, v1
                                        ; implicit-def: $vgpr15
	s_delay_alu instid0(VALU_DEP_1) | instskip(NEXT) | instid1(VALU_DEP_2)
	v_lshlrev_b32_e32 v5, 1, v1
	v_cmp_gt_i64_e64 s1, s[4:5], v[1:2]
	s_delay_alu instid0(VALU_DEP_1)
	s_and_saveexec_b32 s2, s1
	s_cbranch_execz .LBB99_6
; %bb.5:
	global_load_u16 v15, v5, s[6:7]
	v_max_f32_e32 v7, v9, v9
	s_waitcnt vmcnt(0)
	v_cvt_f32_f16_e32 v6, v15
	s_delay_alu instid0(VALU_DEP_1)
	v_max_f32_e32 v9, v7, v6
.LBB99_6:
	s_or_b32 exec_lo, exec_lo, s2
	v_add_nc_u32_e32 v1, s8, v1
                                        ; implicit-def: $vgpr14
	s_delay_alu instid0(VALU_DEP_1) | instskip(SKIP_1) | instid1(VALU_DEP_2)
	v_cmp_gt_i64_e64 s2, s[4:5], v[1:2]
	v_lshlrev_b32_e32 v6, 1, v1
	s_and_saveexec_b32 s3, s2
	s_cbranch_execz .LBB99_8
; %bb.7:
	global_load_u16 v14, v6, s[6:7]
	v_max_f32_e32 v7, v9, v9
	s_waitcnt vmcnt(0)
	v_cvt_f32_f16_e32 v2, v14
	s_delay_alu instid0(VALU_DEP_1)
	v_max_f32_e32 v9, v7, v2
.LBB99_8:
	s_or_b32 exec_lo, exec_lo, s3
	v_dual_mov_b32 v2, 0 :: v_dual_add_nc_u32 v1, s8, v1
                                        ; implicit-def: $vgpr13
	s_delay_alu instid0(VALU_DEP_1) | instskip(NEXT) | instid1(VALU_DEP_2)
	v_lshlrev_b32_e32 v7, 1, v1
	v_cmp_gt_i64_e64 s3, s[4:5], v[1:2]
	s_delay_alu instid0(VALU_DEP_1)
	s_and_saveexec_b32 s9, s3
	s_cbranch_execz .LBB99_10
; %bb.9:
	global_load_u16 v13, v7, s[6:7]
	v_max_f32_e32 v9, v9, v9
	s_waitcnt vmcnt(0)
	v_cvt_f32_f16_e32 v8, v13
	s_delay_alu instid0(VALU_DEP_1)
	v_max_f32_e32 v9, v9, v8
.LBB99_10:
	s_or_b32 exec_lo, exec_lo, s9
	v_add_nc_u32_e32 v1, s8, v1
                                        ; implicit-def: $vgpr12
	s_delay_alu instid0(VALU_DEP_1) | instskip(SKIP_1) | instid1(VALU_DEP_2)
	v_cmp_gt_i64_e64 s4, s[4:5], v[1:2]
	v_lshlrev_b32_e32 v1, 1, v1
	s_and_saveexec_b32 s5, s4
	s_cbranch_execz .LBB99_12
; %bb.11:
	global_load_u16 v12, v1, s[6:7]
	v_max_f32_e32 v8, v9, v9
	s_waitcnt vmcnt(0)
	v_cvt_f32_f16_e32 v2, v12
	s_delay_alu instid0(VALU_DEP_1)
	v_max_f32_e32 v9, v8, v2
.LBB99_12:
	s_or_b32 exec_lo, exec_lo, s5
	v_mbcnt_lo_u32_b32 v11, -1, 0
	s_barrier
	buffer_gl0_inv
	v_cmp_gt_u32_e64 s5, 16, v11
	s_delay_alu instid0(VALU_DEP_1) | instskip(SKIP_1) | instid1(VALU_DEP_2)
	v_cndmask_b32_e64 v2, 0, 1, s5
	v_cmp_gt_u32_e64 s5, 24, v11
	v_lshlrev_b32_e32 v2, 4, v2
	s_delay_alu instid0(VALU_DEP_2) | instskip(NEXT) | instid1(VALU_DEP_2)
	v_cndmask_b32_e64 v8, 0, 1, s5
	v_add_lshl_u32 v2, v2, v11, 2
	s_delay_alu instid0(VALU_DEP_2) | instskip(SKIP_4) | instid1(VALU_DEP_1)
	v_lshlrev_b32_e32 v8, 3, v8
	ds_bpermute_b32 v10, v2, v9
	v_add_lshl_u32 v8, v8, v11, 2
	s_waitcnt lgkmcnt(0)
	v_cmp_lt_f32_e64 s5, v9, v10
	v_cndmask_b32_e64 v10, v9, v10, s5
	v_cmp_gt_u32_e64 s5, 28, v11
	ds_bpermute_b32 v17, v8, v10
	v_cndmask_b32_e64 v9, 0, 1, s5
	s_delay_alu instid0(VALU_DEP_1) | instskip(NEXT) | instid1(VALU_DEP_1)
	v_lshlrev_b32_e32 v9, 2, v9
	v_add_lshl_u32 v9, v9, v11, 2
	s_waitcnt lgkmcnt(0)
	v_cmp_lt_f32_e64 s5, v10, v17
	s_delay_alu instid0(VALU_DEP_1) | instskip(SKIP_3) | instid1(VALU_DEP_1)
	v_cndmask_b32_e64 v17, v10, v17, s5
	v_cmp_gt_u32_e64 s5, 30, v11
	ds_bpermute_b32 v19, v9, v17
	v_cndmask_b32_e64 v10, 0, 1, s5
	v_lshlrev_b32_e32 v10, 1, v10
	s_delay_alu instid0(VALU_DEP_1) | instskip(SKIP_2) | instid1(VALU_DEP_1)
	v_add_lshl_u32 v10, v10, v11, 2
	s_waitcnt lgkmcnt(0)
	v_cmp_lt_f32_e64 s5, v17, v19
	v_cndmask_b32_e64 v17, v17, v19, s5
	v_cmp_ne_u32_e64 s5, 31, v11
	ds_bpermute_b32 v19, v10, v17
	v_add_co_ci_u32_e64 v11, s5, 0, v11, s5
	s_delay_alu instid0(VALU_DEP_1) | instskip(SKIP_2) | instid1(VALU_DEP_1)
	v_lshlrev_b32_e32 v11, 2, v11
	s_waitcnt lgkmcnt(0)
	v_cmp_lt_f32_e64 s5, v17, v19
	v_cndmask_b32_e64 v20, v17, v19, s5
	v_and_b32_e32 v19, 31, v0
	v_lshrrev_b32_e32 v17, 3, v0
	ds_bpermute_b32 v21, v11, v20
	v_cmp_eq_u32_e64 s5, 0, v19
	s_delay_alu instid0(VALU_DEP_1) | instskip(NEXT) | instid1(SALU_CYCLE_1)
	s_and_saveexec_b32 s6, s5
	s_xor_b32 s7, exec_lo, s6
	s_cbranch_execz .LBB99_14
; %bb.13:
	s_waitcnt lgkmcnt(0)
	v_cmp_lt_f32_e64 s6, v20, v21
	v_add_nc_u32_e32 v22, 0, v17
	s_delay_alu instid0(VALU_DEP_2)
	v_cndmask_b32_e64 v20, v20, v21, s6
	ds_store_b32 v22, v20
.LBB99_14:
	s_or_b32 exec_lo, exec_lo, s7
	s_lshr_b32 s6, s8, 5
	v_mov_b32_e32 v20, 0xff7fffff
	v_cmp_gt_u32_e64 s6, s6, v0
	v_lshl_add_u32 v19, v19, 2, 0
	s_waitcnt lgkmcnt(0)
	s_barrier
	buffer_gl0_inv
	s_and_saveexec_b32 s7, s6
	s_cbranch_execnz .LBB99_43
; %bb.15:
	s_or_b32 exec_lo, exec_lo, s7
	v_cmp_gt_u32_e64 s7, 32, v0
	s_delay_alu instid0(VALU_DEP_1)
	s_and_saveexec_b32 s9, s7
	s_cbranch_execnz .LBB99_44
.LBB99_16:
	s_or_b32 exec_lo, exec_lo, s9
	v_cmp_eq_u32_e64 s8, 0, v0
	s_delay_alu instid0(VALU_DEP_1)
	s_and_saveexec_b32 s9, s8
	s_cbranch_execz .LBB99_18
.LBB99_17:
	v_mov_b32_e32 v0, 0
	s_waitcnt lgkmcnt(0)
	ds_store_b32 v0, v20
.LBB99_18:
	s_or_b32 exec_lo, exec_lo, s9
	s_waitcnt lgkmcnt(0)
	v_mov_b32_e32 v20, 0
	s_barrier
	buffer_gl0_inv
	v_cvt_f32_f16_e32 v0, v18
	ds_load_b32 v21, v20
	s_waitcnt lgkmcnt(0)
	v_sub_f32_e32 v0, v0, v21
	s_and_saveexec_b32 s12, vcc_lo
	s_cbranch_execz .LBB99_20
; %bb.19:
	s_delay_alu instid0(VALU_DEP_1) | instskip(SKIP_1) | instid1(VALU_DEP_2)
	v_mul_f32_e32 v18, 0x3fb8aa3b, v0
	v_cmp_ngt_f32_e64 s9, 0xc2ce8ed0, v0
	v_fma_f32 v20, 0x3fb8aa3b, v0, -v18
	v_rndne_f32_e32 v22, v18
	s_delay_alu instid0(VALU_DEP_2) | instskip(NEXT) | instid1(VALU_DEP_2)
	v_fmamk_f32 v20, v0, 0x32a5705f, v20
	v_sub_f32_e32 v18, v18, v22
	s_delay_alu instid0(VALU_DEP_1) | instskip(SKIP_1) | instid1(VALU_DEP_2)
	v_add_f32_e32 v18, v18, v20
	v_cvt_i32_f32_e32 v20, v22
	v_exp_f32_e32 v18, v18
	s_waitcnt_depctr 0xfff
	v_ldexp_f32 v18, v18, v20
	s_delay_alu instid0(VALU_DEP_1) | instskip(SKIP_1) | instid1(VALU_DEP_1)
	v_cndmask_b32_e64 v18, 0, v18, s9
	v_cmp_nlt_f32_e64 s9, 0x42b17218, v0
	v_cndmask_b32_e64 v20, 0x7f800000, v18, s9
.LBB99_20:
	s_or_b32 exec_lo, exec_lo, s12
	v_cvt_f32_f16_e32 v16, v16
	s_delay_alu instid0(VALU_DEP_1)
	v_sub_f32_e32 v16, v16, v21
	s_and_saveexec_b32 s12, s0
	s_cbranch_execz .LBB99_22
; %bb.21:
	s_delay_alu instid0(VALU_DEP_1) | instskip(SKIP_1) | instid1(VALU_DEP_2)
	v_mul_f32_e32 v18, 0x3fb8aa3b, v16
	v_cmp_ngt_f32_e64 s9, 0xc2ce8ed0, v16
	v_fma_f32 v22, 0x3fb8aa3b, v16, -v18
	v_rndne_f32_e32 v23, v18
	s_delay_alu instid0(VALU_DEP_2) | instskip(NEXT) | instid1(VALU_DEP_2)
	v_fmamk_f32 v22, v16, 0x32a5705f, v22
	v_sub_f32_e32 v18, v18, v23
	s_delay_alu instid0(VALU_DEP_1) | instskip(SKIP_1) | instid1(VALU_DEP_2)
	v_add_f32_e32 v18, v18, v22
	v_cvt_i32_f32_e32 v22, v23
	v_exp_f32_e32 v18, v18
	s_waitcnt_depctr 0xfff
	v_ldexp_f32 v18, v18, v22
	s_delay_alu instid0(VALU_DEP_1) | instskip(SKIP_1) | instid1(VALU_DEP_1)
	v_cndmask_b32_e64 v18, 0, v18, s9
	v_cmp_nlt_f32_e64 s9, 0x42b17218, v16
	v_cndmask_b32_e64 v18, 0x7f800000, v18, s9
	s_delay_alu instid0(VALU_DEP_1)
	v_add_f32_e32 v20, v20, v18
.LBB99_22:
	s_or_b32 exec_lo, exec_lo, s12
	v_cvt_f32_f16_e32 v15, v15
	s_delay_alu instid0(VALU_DEP_1)
	v_sub_f32_e32 v15, v15, v21
	s_and_saveexec_b32 s12, s1
	s_cbranch_execz .LBB99_24
; %bb.23:
	s_delay_alu instid0(VALU_DEP_1) | instskip(SKIP_1) | instid1(VALU_DEP_2)
	v_mul_f32_e32 v18, 0x3fb8aa3b, v15
	v_cmp_ngt_f32_e64 s9, 0xc2ce8ed0, v15
	v_fma_f32 v22, 0x3fb8aa3b, v15, -v18
	v_rndne_f32_e32 v23, v18
	s_delay_alu instid0(VALU_DEP_2) | instskip(NEXT) | instid1(VALU_DEP_2)
	v_fmamk_f32 v22, v15, 0x32a5705f, v22
	v_sub_f32_e32 v18, v18, v23
	s_delay_alu instid0(VALU_DEP_1) | instskip(SKIP_1) | instid1(VALU_DEP_2)
	v_add_f32_e32 v18, v18, v22
	v_cvt_i32_f32_e32 v22, v23
	v_exp_f32_e32 v18, v18
	s_waitcnt_depctr 0xfff
	v_ldexp_f32 v18, v18, v22
	s_delay_alu instid0(VALU_DEP_1) | instskip(SKIP_1) | instid1(VALU_DEP_1)
	v_cndmask_b32_e64 v18, 0, v18, s9
	v_cmp_nlt_f32_e64 s9, 0x42b17218, v15
	v_cndmask_b32_e64 v18, 0x7f800000, v18, s9
	s_delay_alu instid0(VALU_DEP_1)
	v_add_f32_e32 v20, v20, v18
.LBB99_24:
	;; [unrolled: 28-line block ×4, first 2 shown]
	s_or_b32 exec_lo, exec_lo, s12
	v_cvt_f32_f16_e32 v12, v12
	s_delay_alu instid0(VALU_DEP_1)
	v_sub_f32_e32 v12, v12, v21
	s_and_saveexec_b32 s12, s4
	s_cbranch_execz .LBB99_30
; %bb.29:
	s_delay_alu instid0(VALU_DEP_1) | instskip(SKIP_1) | instid1(VALU_DEP_2)
	v_mul_f32_e32 v18, 0x3fb8aa3b, v12
	v_cmp_ngt_f32_e64 s9, 0xc2ce8ed0, v12
	v_fma_f32 v21, 0x3fb8aa3b, v12, -v18
	v_rndne_f32_e32 v22, v18
	s_delay_alu instid0(VALU_DEP_1) | instskip(NEXT) | instid1(VALU_DEP_1)
	v_dual_fmamk_f32 v21, v12, 0x32a5705f, v21 :: v_dual_sub_f32 v18, v18, v22
	v_add_f32_e32 v18, v18, v21
	v_cvt_i32_f32_e32 v21, v22
	s_delay_alu instid0(VALU_DEP_2) | instskip(SKIP_2) | instid1(VALU_DEP_1)
	v_exp_f32_e32 v18, v18
	s_waitcnt_depctr 0xfff
	v_ldexp_f32 v18, v18, v21
	v_cndmask_b32_e64 v18, 0, v18, s9
	v_cmp_nlt_f32_e64 s9, 0x42b17218, v12
	s_delay_alu instid0(VALU_DEP_1) | instskip(NEXT) | instid1(VALU_DEP_1)
	v_cndmask_b32_e64 v18, 0x7f800000, v18, s9
	v_add_f32_e32 v20, v20, v18
.LBB99_30:
	s_or_b32 exec_lo, exec_lo, s12
	ds_bpermute_b32 v18, v2, v20
	s_waitcnt lgkmcnt(0)
	s_barrier
	buffer_gl0_inv
	v_add_f32_e32 v18, v20, v18
	ds_bpermute_b32 v20, v8, v18
	s_waitcnt lgkmcnt(0)
	v_add_f32_e32 v18, v18, v20
	ds_bpermute_b32 v20, v9, v18
	s_waitcnt lgkmcnt(0)
	v_add_f32_e32 v18, v18, v20
	ds_bpermute_b32 v20, v10, v18
	s_waitcnt lgkmcnt(0)
	v_add_f32_e32 v18, v18, v20
	ds_bpermute_b32 v20, v11, v18
	s_and_saveexec_b32 s9, s5
	s_delay_alu instid0(SALU_CYCLE_1)
	s_xor_b32 s5, exec_lo, s9
	s_cbranch_execz .LBB99_32
; %bb.31:
	s_waitcnt lgkmcnt(0)
	v_dual_add_f32 v18, v18, v20 :: v_dual_add_nc_u32 v17, 0, v17
	ds_store_b32 v17, v18
.LBB99_32:
	s_or_b32 exec_lo, exec_lo, s5
	v_mov_b32_e32 v17, 0
	s_waitcnt lgkmcnt(0)
	s_barrier
	buffer_gl0_inv
	s_and_saveexec_b32 s5, s6
	s_cbranch_execnz .LBB99_45
; %bb.33:
	s_or_b32 exec_lo, exec_lo, s5
	s_and_saveexec_b32 s5, s7
	s_cbranch_execnz .LBB99_46
.LBB99_34:
	s_or_b32 exec_lo, exec_lo, s5
	s_and_saveexec_b32 s5, s8
	s_cbranch_execz .LBB99_36
.LBB99_35:
	v_mov_b32_e32 v2, 0
	s_waitcnt lgkmcnt(0)
	ds_store_b32 v2, v17
.LBB99_36:
	s_or_b32 exec_lo, exec_lo, s5
	v_mov_b32_e32 v2, 0
	s_waitcnt lgkmcnt(0)
	s_barrier
	buffer_gl0_inv
	ds_load_b32 v2, v2
	s_waitcnt lgkmcnt(0)
	v_cmp_gt_f32_e64 s5, 0x800000, v2
	s_delay_alu instid0(VALU_DEP_1) | instskip(NEXT) | instid1(VALU_DEP_1)
	v_cndmask_b32_e64 v8, 1.0, 0x4f800000, s5
	v_mul_f32_e32 v2, v2, v8
	s_delay_alu instid0(VALU_DEP_1) | instskip(SKIP_3) | instid1(VALU_DEP_2)
	v_log_f32_e32 v2, v2
	s_waitcnt_depctr 0xfff
	v_mul_f32_e32 v8, 0x3f317217, v2
	v_cmp_gt_f32_e64 s6, 0x7f800000, |v2|
	v_fma_f32 v9, 0x3f317217, v2, -v8
	s_delay_alu instid0(VALU_DEP_1) | instskip(NEXT) | instid1(VALU_DEP_1)
	v_fmamk_f32 v9, v2, 0x3377d1cf, v9
	v_add_f32_e32 v8, v8, v9
	s_delay_alu instid0(VALU_DEP_1) | instskip(SKIP_3) | instid1(VALU_DEP_1)
	v_cndmask_b32_e64 v2, v2, v8, s6
	v_cndmask_b32_e64 v8, 0, 0x41b17218, s5
	s_add_u32 s6, s16, s10
	s_addc_u32 s7, s17, s11
	v_sub_f32_e32 v2, v2, v8
	s_and_saveexec_b32 s5, vcc_lo
	s_cbranch_execnz .LBB99_47
; %bb.37:
	s_or_b32 exec_lo, exec_lo, s5
	s_and_saveexec_b32 s5, s0
	s_cbranch_execnz .LBB99_48
.LBB99_38:
	s_or_b32 exec_lo, exec_lo, s5
	s_and_saveexec_b32 s0, s1
	s_cbranch_execnz .LBB99_49
.LBB99_39:
	s_or_b32 exec_lo, exec_lo, s0
	s_and_saveexec_b32 s0, s2
	s_cbranch_execnz .LBB99_50
.LBB99_40:
	s_or_b32 exec_lo, exec_lo, s0
	s_and_saveexec_b32 s0, s3
	s_cbranch_execnz .LBB99_51
.LBB99_41:
	s_or_b32 exec_lo, exec_lo, s0
	s_and_saveexec_b32 s0, s4
	s_cbranch_execnz .LBB99_52
.LBB99_42:
	s_nop 0
	s_sendmsg sendmsg(MSG_DEALLOC_VGPRS)
	s_endpgm
.LBB99_43:
	ds_load_b32 v20, v19
	s_or_b32 exec_lo, exec_lo, s7
	v_cmp_gt_u32_e64 s7, 32, v0
	s_delay_alu instid0(VALU_DEP_1)
	s_and_saveexec_b32 s9, s7
	s_cbranch_execz .LBB99_16
.LBB99_44:
	s_waitcnt lgkmcnt(0)
	ds_bpermute_b32 v21, v2, v20
	s_waitcnt lgkmcnt(0)
	v_cmp_lt_f32_e64 s8, v20, v21
	s_delay_alu instid0(VALU_DEP_1) | instskip(SKIP_3) | instid1(VALU_DEP_1)
	v_cndmask_b32_e64 v20, v20, v21, s8
	ds_bpermute_b32 v21, v8, v20
	s_waitcnt lgkmcnt(0)
	v_cmp_lt_f32_e64 s8, v20, v21
	v_cndmask_b32_e64 v20, v20, v21, s8
	ds_bpermute_b32 v21, v9, v20
	s_waitcnt lgkmcnt(0)
	v_cmp_lt_f32_e64 s8, v20, v21
	s_delay_alu instid0(VALU_DEP_1) | instskip(SKIP_3) | instid1(VALU_DEP_1)
	v_cndmask_b32_e64 v20, v20, v21, s8
	ds_bpermute_b32 v21, v10, v20
	s_waitcnt lgkmcnt(0)
	v_cmp_lt_f32_e64 s8, v20, v21
	v_cndmask_b32_e64 v20, v20, v21, s8
	ds_bpermute_b32 v21, v11, v20
	s_waitcnt lgkmcnt(0)
	v_cmp_lt_f32_e64 s8, v20, v21
	s_delay_alu instid0(VALU_DEP_1) | instskip(SKIP_2) | instid1(VALU_DEP_1)
	v_cndmask_b32_e64 v20, v20, v21, s8
	s_or_b32 exec_lo, exec_lo, s9
	v_cmp_eq_u32_e64 s8, 0, v0
	s_and_saveexec_b32 s9, s8
	s_cbranch_execnz .LBB99_17
	s_branch .LBB99_18
.LBB99_45:
	ds_load_b32 v17, v19
	s_or_b32 exec_lo, exec_lo, s5
	s_and_saveexec_b32 s5, s7
	s_cbranch_execz .LBB99_34
.LBB99_46:
	s_waitcnt lgkmcnt(0)
	ds_bpermute_b32 v2, v2, v17
	s_waitcnt lgkmcnt(0)
	v_add_f32_e32 v2, v17, v2
	ds_bpermute_b32 v8, v8, v2
	s_waitcnt lgkmcnt(0)
	v_add_f32_e32 v2, v2, v8
	;; [unrolled: 3-line block ×5, first 2 shown]
	s_or_b32 exec_lo, exec_lo, s5
	s_and_saveexec_b32 s5, s8
	s_cbranch_execnz .LBB99_35
	s_branch .LBB99_36
.LBB99_47:
	s_delay_alu instid0(VALU_DEP_1) | instskip(NEXT) | instid1(VALU_DEP_1)
	v_sub_f32_e32 v0, v0, v2
	v_cvt_f16_f32_e32 v0, v0
	global_store_b16 v3, v0, s[6:7]
	s_or_b32 exec_lo, exec_lo, s5
	s_and_saveexec_b32 s5, s0
	s_cbranch_execz .LBB99_38
.LBB99_48:
	v_sub_f32_e32 v0, v16, v2
	s_delay_alu instid0(VALU_DEP_1)
	v_cvt_f16_f32_e32 v0, v0
	global_store_b16 v4, v0, s[6:7]
	s_or_b32 exec_lo, exec_lo, s5
	s_and_saveexec_b32 s0, s1
	s_cbranch_execz .LBB99_39
.LBB99_49:
	v_sub_f32_e32 v0, v15, v2
	s_delay_alu instid0(VALU_DEP_1)
	v_cvt_f16_f32_e32 v0, v0
	global_store_b16 v5, v0, s[6:7]
	s_or_b32 exec_lo, exec_lo, s0
	s_and_saveexec_b32 s0, s2
	s_cbranch_execz .LBB99_40
.LBB99_50:
	v_sub_f32_e32 v0, v14, v2
	s_delay_alu instid0(VALU_DEP_1)
	v_cvt_f16_f32_e32 v0, v0
	global_store_b16 v6, v0, s[6:7]
	s_or_b32 exec_lo, exec_lo, s0
	s_and_saveexec_b32 s0, s3
	s_cbranch_execz .LBB99_41
.LBB99_51:
	v_sub_f32_e32 v0, v13, v2
	s_delay_alu instid0(VALU_DEP_1)
	v_cvt_f16_f32_e32 v0, v0
	global_store_b16 v7, v0, s[6:7]
	s_or_b32 exec_lo, exec_lo, s0
	s_and_saveexec_b32 s0, s4
	s_cbranch_execz .LBB99_42
.LBB99_52:
	v_sub_f32_e32 v0, v12, v2
	s_delay_alu instid0(VALU_DEP_1)
	v_cvt_f16_f32_e32 v0, v0
	global_store_b16 v1, v0, s[6:7]
	s_nop 0
	s_sendmsg sendmsg(MSG_DEALLOC_VGPRS)
	s_endpgm
	.section	.rodata,"a",@progbits
	.p2align	6, 0x0
	.amdhsa_kernel _ZN2at6native12_GLOBAL__N_122cunn_SoftMaxForwardRegIN3c104HalfEfS4_NS1_25LogSoftMaxForwardEpilogueElLi6EEEvPT1_PKT_T3_
		.amdhsa_group_segment_fixed_size 0
		.amdhsa_private_segment_fixed_size 0
		.amdhsa_kernarg_size 280
		.amdhsa_user_sgpr_count 15
		.amdhsa_user_sgpr_dispatch_ptr 0
		.amdhsa_user_sgpr_queue_ptr 0
		.amdhsa_user_sgpr_kernarg_segment_ptr 1
		.amdhsa_user_sgpr_dispatch_id 0
		.amdhsa_user_sgpr_private_segment_size 0
		.amdhsa_wavefront_size32 1
		.amdhsa_uses_dynamic_stack 0
		.amdhsa_enable_private_segment 0
		.amdhsa_system_sgpr_workgroup_id_x 1
		.amdhsa_system_sgpr_workgroup_id_y 0
		.amdhsa_system_sgpr_workgroup_id_z 0
		.amdhsa_system_sgpr_workgroup_info 0
		.amdhsa_system_vgpr_workitem_id 0
		.amdhsa_next_free_vgpr 24
		.amdhsa_next_free_sgpr 20
		.amdhsa_reserve_vcc 1
		.amdhsa_float_round_mode_32 0
		.amdhsa_float_round_mode_16_64 0
		.amdhsa_float_denorm_mode_32 3
		.amdhsa_float_denorm_mode_16_64 3
		.amdhsa_dx10_clamp 1
		.amdhsa_ieee_mode 1
		.amdhsa_fp16_overflow 0
		.amdhsa_workgroup_processor_mode 1
		.amdhsa_memory_ordered 1
		.amdhsa_forward_progress 0
		.amdhsa_shared_vgpr_count 0
		.amdhsa_exception_fp_ieee_invalid_op 0
		.amdhsa_exception_fp_denorm_src 0
		.amdhsa_exception_fp_ieee_div_zero 0
		.amdhsa_exception_fp_ieee_overflow 0
		.amdhsa_exception_fp_ieee_underflow 0
		.amdhsa_exception_fp_ieee_inexact 0
		.amdhsa_exception_int_div_zero 0
	.end_amdhsa_kernel
	.section	.text._ZN2at6native12_GLOBAL__N_122cunn_SoftMaxForwardRegIN3c104HalfEfS4_NS1_25LogSoftMaxForwardEpilogueElLi6EEEvPT1_PKT_T3_,"axG",@progbits,_ZN2at6native12_GLOBAL__N_122cunn_SoftMaxForwardRegIN3c104HalfEfS4_NS1_25LogSoftMaxForwardEpilogueElLi6EEEvPT1_PKT_T3_,comdat
.Lfunc_end99:
	.size	_ZN2at6native12_GLOBAL__N_122cunn_SoftMaxForwardRegIN3c104HalfEfS4_NS1_25LogSoftMaxForwardEpilogueElLi6EEEvPT1_PKT_T3_, .Lfunc_end99-_ZN2at6native12_GLOBAL__N_122cunn_SoftMaxForwardRegIN3c104HalfEfS4_NS1_25LogSoftMaxForwardEpilogueElLi6EEEvPT1_PKT_T3_
                                        ; -- End function
	.section	.AMDGPU.csdata,"",@progbits
; Kernel info:
; codeLenInByte = 2840
; NumSgprs: 22
; NumVgprs: 24
; ScratchSize: 0
; MemoryBound: 0
; FloatMode: 240
; IeeeMode: 1
; LDSByteSize: 0 bytes/workgroup (compile time only)
; SGPRBlocks: 2
; VGPRBlocks: 2
; NumSGPRsForWavesPerEU: 22
; NumVGPRsForWavesPerEU: 24
; Occupancy: 16
; WaveLimiterHint : 0
; COMPUTE_PGM_RSRC2:SCRATCH_EN: 0
; COMPUTE_PGM_RSRC2:USER_SGPR: 15
; COMPUTE_PGM_RSRC2:TRAP_HANDLER: 0
; COMPUTE_PGM_RSRC2:TGID_X_EN: 1
; COMPUTE_PGM_RSRC2:TGID_Y_EN: 0
; COMPUTE_PGM_RSRC2:TGID_Z_EN: 0
; COMPUTE_PGM_RSRC2:TIDIG_COMP_CNT: 0
	.section	.text._ZN2at6native12_GLOBAL__N_122cunn_SoftMaxForwardRegIN3c104HalfEfS4_NS1_25LogSoftMaxForwardEpilogueElLi7EEEvPT1_PKT_T3_,"axG",@progbits,_ZN2at6native12_GLOBAL__N_122cunn_SoftMaxForwardRegIN3c104HalfEfS4_NS1_25LogSoftMaxForwardEpilogueElLi7EEEvPT1_PKT_T3_,comdat
	.globl	_ZN2at6native12_GLOBAL__N_122cunn_SoftMaxForwardRegIN3c104HalfEfS4_NS1_25LogSoftMaxForwardEpilogueElLi7EEEvPT1_PKT_T3_ ; -- Begin function _ZN2at6native12_GLOBAL__N_122cunn_SoftMaxForwardRegIN3c104HalfEfS4_NS1_25LogSoftMaxForwardEpilogueElLi7EEEvPT1_PKT_T3_
	.p2align	8
	.type	_ZN2at6native12_GLOBAL__N_122cunn_SoftMaxForwardRegIN3c104HalfEfS4_NS1_25LogSoftMaxForwardEpilogueElLi7EEEvPT1_PKT_T3_,@function
_ZN2at6native12_GLOBAL__N_122cunn_SoftMaxForwardRegIN3c104HalfEfS4_NS1_25LogSoftMaxForwardEpilogueElLi7EEEvPT1_PKT_T3_: ; @_ZN2at6native12_GLOBAL__N_122cunn_SoftMaxForwardRegIN3c104HalfEfS4_NS1_25LogSoftMaxForwardEpilogueElLi7EEEvPT1_PKT_T3_
; %bb.0:
	s_clause 0x2
	s_load_b64 s[6:7], s[0:1], 0x10
	s_load_b128 s[16:19], s[0:1], 0x0
	s_load_b32 s0, s[0:1], 0x24
	v_dual_mov_b32 v2, 0 :: v_dual_lshlrev_b32 v3, 1, v0
	v_mov_b32_e32 v10, 0xff7fffff
                                        ; implicit-def: $vgpr21
	s_delay_alu instid0(VALU_DEP_2)
	v_mov_b32_e32 v1, v2
	s_waitcnt lgkmcnt(0)
	s_mul_i32 s1, s15, s7
	s_mul_hi_u32 s3, s15, s6
	s_mul_i32 s2, s15, s6
	s_add_i32 s3, s3, s1
	v_cmp_gt_i64_e32 vcc_lo, s[6:7], v[0:1]
	s_lshl_b64 s[12:13], s[2:3], 1
	s_delay_alu instid0(SALU_CYCLE_1)
	s_add_u32 s8, s18, s12
	s_addc_u32 s9, s19, s13
	s_and_saveexec_b32 s1, vcc_lo
	s_cbranch_execz .LBB100_2
; %bb.1:
	global_load_u16 v21, v3, s[8:9]
	s_waitcnt vmcnt(0)
	v_cvt_f32_f16_e32 v1, v21
	s_delay_alu instid0(VALU_DEP_1)
	v_max_f32_e32 v10, 0xff7fffff, v1
.LBB100_2:
	s_or_b32 exec_lo, exec_lo, s1
	s_and_b32 s10, 0xffff, s0
                                        ; implicit-def: $vgpr19
	s_delay_alu instid0(SALU_CYCLE_1) | instskip(NEXT) | instid1(VALU_DEP_1)
	v_add_nc_u32_e32 v1, s10, v0
	v_cmp_gt_i64_e64 s0, s[6:7], v[1:2]
	v_lshlrev_b32_e32 v4, 1, v1
	s_delay_alu instid0(VALU_DEP_2)
	s_and_saveexec_b32 s1, s0
	s_cbranch_execz .LBB100_4
; %bb.3:
	global_load_u16 v19, v4, s[8:9]
	v_max_f32_e32 v5, v10, v10
	s_waitcnt vmcnt(0)
	v_cvt_f32_f16_e32 v2, v19
	s_delay_alu instid0(VALU_DEP_1)
	v_max_f32_e32 v10, v5, v2
.LBB100_4:
	s_or_b32 exec_lo, exec_lo, s1
	v_dual_mov_b32 v2, 0 :: v_dual_add_nc_u32 v1, s10, v1
                                        ; implicit-def: $vgpr17
	s_delay_alu instid0(VALU_DEP_1) | instskip(NEXT) | instid1(VALU_DEP_2)
	v_lshlrev_b32_e32 v5, 1, v1
	v_cmp_gt_i64_e64 s1, s[6:7], v[1:2]
	s_delay_alu instid0(VALU_DEP_1)
	s_and_saveexec_b32 s2, s1
	s_cbranch_execz .LBB100_6
; %bb.5:
	global_load_u16 v17, v5, s[8:9]
	v_max_f32_e32 v7, v10, v10
	s_waitcnt vmcnt(0)
	v_cvt_f32_f16_e32 v6, v17
	s_delay_alu instid0(VALU_DEP_1)
	v_max_f32_e32 v10, v7, v6
.LBB100_6:
	s_or_b32 exec_lo, exec_lo, s2
	v_add_nc_u32_e32 v1, s10, v1
                                        ; implicit-def: $vgpr16
	s_delay_alu instid0(VALU_DEP_1) | instskip(SKIP_1) | instid1(VALU_DEP_2)
	v_cmp_gt_i64_e64 s2, s[6:7], v[1:2]
	v_lshlrev_b32_e32 v6, 1, v1
	s_and_saveexec_b32 s3, s2
	s_cbranch_execz .LBB100_8
; %bb.7:
	global_load_u16 v16, v6, s[8:9]
	v_max_f32_e32 v7, v10, v10
	s_waitcnt vmcnt(0)
	v_cvt_f32_f16_e32 v2, v16
	s_delay_alu instid0(VALU_DEP_1)
	v_max_f32_e32 v10, v7, v2
.LBB100_8:
	s_or_b32 exec_lo, exec_lo, s3
	v_dual_mov_b32 v2, 0 :: v_dual_add_nc_u32 v1, s10, v1
                                        ; implicit-def: $vgpr15
	s_delay_alu instid0(VALU_DEP_1) | instskip(NEXT) | instid1(VALU_DEP_2)
	v_lshlrev_b32_e32 v7, 1, v1
	v_cmp_gt_i64_e64 s3, s[6:7], v[1:2]
	s_delay_alu instid0(VALU_DEP_1)
	s_and_saveexec_b32 s4, s3
	s_cbranch_execz .LBB100_10
; %bb.9:
	global_load_u16 v15, v7, s[8:9]
	v_max_f32_e32 v9, v10, v10
	s_waitcnt vmcnt(0)
	v_cvt_f32_f16_e32 v8, v15
	s_delay_alu instid0(VALU_DEP_1)
	v_max_f32_e32 v10, v9, v8
.LBB100_10:
	s_or_b32 exec_lo, exec_lo, s4
	v_add_nc_u32_e32 v1, s10, v1
                                        ; implicit-def: $vgpr14
	s_delay_alu instid0(VALU_DEP_1) | instskip(SKIP_1) | instid1(VALU_DEP_2)
	v_cmp_gt_i64_e64 s4, s[6:7], v[1:2]
	v_lshlrev_b32_e32 v2, 1, v1
	s_and_saveexec_b32 s5, s4
	s_cbranch_execz .LBB100_12
; %bb.11:
	global_load_u16 v14, v2, s[8:9]
	v_max_f32_e32 v9, v10, v10
	s_waitcnt vmcnt(0)
	v_cvt_f32_f16_e32 v8, v14
	s_delay_alu instid0(VALU_DEP_1)
	v_max_f32_e32 v10, v9, v8
.LBB100_12:
	s_or_b32 exec_lo, exec_lo, s5
	v_dual_mov_b32 v9, 0 :: v_dual_add_nc_u32 v8, s10, v1
                                        ; implicit-def: $vgpr13
	s_delay_alu instid0(VALU_DEP_1) | instskip(NEXT) | instid1(VALU_DEP_2)
	v_lshlrev_b32_e32 v1, 1, v8
	v_cmp_gt_i64_e64 s5, s[6:7], v[8:9]
	s_delay_alu instid0(VALU_DEP_1)
	s_and_saveexec_b32 s6, s5
	s_cbranch_execz .LBB100_14
; %bb.13:
	global_load_u16 v13, v1, s[8:9]
	v_max_f32_e32 v9, v10, v10
	s_waitcnt vmcnt(0)
	v_cvt_f32_f16_e32 v8, v13
	s_delay_alu instid0(VALU_DEP_1)
	v_max_f32_e32 v10, v9, v8
.LBB100_14:
	s_or_b32 exec_lo, exec_lo, s6
	v_mbcnt_lo_u32_b32 v12, -1, 0
	s_barrier
	buffer_gl0_inv
	v_cmp_gt_u32_e64 s6, 16, v12
	s_delay_alu instid0(VALU_DEP_1) | instskip(SKIP_1) | instid1(VALU_DEP_2)
	v_cndmask_b32_e64 v8, 0, 1, s6
	v_cmp_gt_u32_e64 s6, 24, v12
	v_lshlrev_b32_e32 v8, 4, v8
	s_delay_alu instid0(VALU_DEP_2) | instskip(NEXT) | instid1(VALU_DEP_2)
	v_cndmask_b32_e64 v9, 0, 1, s6
	v_add_lshl_u32 v8, v8, v12, 2
	s_delay_alu instid0(VALU_DEP_2) | instskip(SKIP_4) | instid1(VALU_DEP_1)
	v_lshlrev_b32_e32 v9, 3, v9
	ds_bpermute_b32 v11, v8, v10
	v_add_lshl_u32 v9, v9, v12, 2
	s_waitcnt lgkmcnt(0)
	v_cmp_lt_f32_e64 s6, v10, v11
	v_cndmask_b32_e64 v11, v10, v11, s6
	v_cmp_gt_u32_e64 s6, 28, v12
	ds_bpermute_b32 v18, v9, v11
	v_cndmask_b32_e64 v10, 0, 1, s6
	s_delay_alu instid0(VALU_DEP_1) | instskip(NEXT) | instid1(VALU_DEP_1)
	v_lshlrev_b32_e32 v10, 2, v10
	v_add_lshl_u32 v10, v10, v12, 2
	s_waitcnt lgkmcnt(0)
	v_cmp_lt_f32_e64 s6, v11, v18
	s_delay_alu instid0(VALU_DEP_1) | instskip(SKIP_3) | instid1(VALU_DEP_1)
	v_cndmask_b32_e64 v18, v11, v18, s6
	v_cmp_gt_u32_e64 s6, 30, v12
	ds_bpermute_b32 v20, v10, v18
	v_cndmask_b32_e64 v11, 0, 1, s6
	v_lshlrev_b32_e32 v11, 1, v11
	s_delay_alu instid0(VALU_DEP_1) | instskip(SKIP_2) | instid1(VALU_DEP_1)
	v_add_lshl_u32 v11, v11, v12, 2
	s_waitcnt lgkmcnt(0)
	v_cmp_lt_f32_e64 s6, v18, v20
	v_cndmask_b32_e64 v18, v18, v20, s6
	v_cmp_ne_u32_e64 s6, 31, v12
	ds_bpermute_b32 v20, v11, v18
	v_add_co_ci_u32_e64 v12, s6, 0, v12, s6
	s_delay_alu instid0(VALU_DEP_1) | instskip(SKIP_2) | instid1(VALU_DEP_1)
	v_lshlrev_b32_e32 v12, 2, v12
	s_waitcnt lgkmcnt(0)
	v_cmp_lt_f32_e64 s6, v18, v20
	v_cndmask_b32_e64 v22, v18, v20, s6
	v_and_b32_e32 v20, 31, v0
	v_lshrrev_b32_e32 v18, 3, v0
	ds_bpermute_b32 v23, v12, v22
	v_cmp_eq_u32_e64 s6, 0, v20
	s_delay_alu instid0(VALU_DEP_1) | instskip(NEXT) | instid1(SALU_CYCLE_1)
	s_and_saveexec_b32 s7, s6
	s_xor_b32 s8, exec_lo, s7
	s_cbranch_execz .LBB100_16
; %bb.15:
	s_waitcnt lgkmcnt(0)
	v_cmp_lt_f32_e64 s7, v22, v23
	v_add_nc_u32_e32 v24, 0, v18
	s_delay_alu instid0(VALU_DEP_2)
	v_cndmask_b32_e64 v22, v22, v23, s7
	ds_store_b32 v24, v22
.LBB100_16:
	s_or_b32 exec_lo, exec_lo, s8
	s_lshr_b32 s7, s10, 5
	v_mov_b32_e32 v22, 0xff7fffff
	v_cmp_gt_u32_e64 s7, s7, v0
	v_lshl_add_u32 v20, v20, 2, 0
	s_waitcnt lgkmcnt(0)
	s_barrier
	buffer_gl0_inv
	s_and_saveexec_b32 s8, s7
	s_cbranch_execnz .LBB100_48
; %bb.17:
	s_or_b32 exec_lo, exec_lo, s8
	v_cmp_gt_u32_e64 s8, 32, v0
	s_delay_alu instid0(VALU_DEP_1)
	s_and_saveexec_b32 s10, s8
	s_cbranch_execnz .LBB100_49
.LBB100_18:
	s_or_b32 exec_lo, exec_lo, s10
	v_cmp_eq_u32_e64 s9, 0, v0
	s_delay_alu instid0(VALU_DEP_1)
	s_and_saveexec_b32 s10, s9
	s_cbranch_execz .LBB100_20
.LBB100_19:
	v_mov_b32_e32 v0, 0
	s_waitcnt lgkmcnt(0)
	ds_store_b32 v0, v22
.LBB100_20:
	s_or_b32 exec_lo, exec_lo, s10
	s_waitcnt lgkmcnt(0)
	v_mov_b32_e32 v22, 0
	s_barrier
	buffer_gl0_inv
	v_cvt_f32_f16_e32 v0, v21
	ds_load_b32 v23, v22
	s_waitcnt lgkmcnt(0)
	v_sub_f32_e32 v0, v0, v23
	s_and_saveexec_b32 s11, vcc_lo
	s_cbranch_execz .LBB100_22
; %bb.21:
	s_delay_alu instid0(VALU_DEP_1) | instskip(SKIP_1) | instid1(VALU_DEP_2)
	v_mul_f32_e32 v21, 0x3fb8aa3b, v0
	v_cmp_ngt_f32_e64 s10, 0xc2ce8ed0, v0
	v_fma_f32 v22, 0x3fb8aa3b, v0, -v21
	v_rndne_f32_e32 v24, v21
	s_delay_alu instid0(VALU_DEP_1) | instskip(NEXT) | instid1(VALU_DEP_1)
	v_dual_fmamk_f32 v22, v0, 0x32a5705f, v22 :: v_dual_sub_f32 v21, v21, v24
	v_add_f32_e32 v21, v21, v22
	v_cvt_i32_f32_e32 v22, v24
	s_delay_alu instid0(VALU_DEP_2) | instskip(SKIP_2) | instid1(VALU_DEP_1)
	v_exp_f32_e32 v21, v21
	s_waitcnt_depctr 0xfff
	v_ldexp_f32 v21, v21, v22
	v_cndmask_b32_e64 v21, 0, v21, s10
	v_cmp_nlt_f32_e64 s10, 0x42b17218, v0
	s_delay_alu instid0(VALU_DEP_1)
	v_cndmask_b32_e64 v22, 0x7f800000, v21, s10
.LBB100_22:
	s_or_b32 exec_lo, exec_lo, s11
	v_cvt_f32_f16_e32 v19, v19
	s_delay_alu instid0(VALU_DEP_1)
	v_sub_f32_e32 v19, v19, v23
	s_and_saveexec_b32 s11, s0
	s_cbranch_execz .LBB100_24
; %bb.23:
	s_delay_alu instid0(VALU_DEP_1) | instskip(SKIP_1) | instid1(VALU_DEP_2)
	v_mul_f32_e32 v21, 0x3fb8aa3b, v19
	v_cmp_ngt_f32_e64 s10, 0xc2ce8ed0, v19
	v_fma_f32 v24, 0x3fb8aa3b, v19, -v21
	v_rndne_f32_e32 v25, v21
	s_delay_alu instid0(VALU_DEP_1) | instskip(NEXT) | instid1(VALU_DEP_1)
	v_dual_fmamk_f32 v24, v19, 0x32a5705f, v24 :: v_dual_sub_f32 v21, v21, v25
	v_add_f32_e32 v21, v21, v24
	v_cvt_i32_f32_e32 v24, v25
	s_delay_alu instid0(VALU_DEP_2) | instskip(SKIP_2) | instid1(VALU_DEP_1)
	v_exp_f32_e32 v21, v21
	s_waitcnt_depctr 0xfff
	v_ldexp_f32 v21, v21, v24
	v_cndmask_b32_e64 v21, 0, v21, s10
	v_cmp_nlt_f32_e64 s10, 0x42b17218, v19
	s_delay_alu instid0(VALU_DEP_1) | instskip(NEXT) | instid1(VALU_DEP_1)
	v_cndmask_b32_e64 v21, 0x7f800000, v21, s10
	v_add_f32_e32 v22, v22, v21
.LBB100_24:
	s_or_b32 exec_lo, exec_lo, s11
	v_cvt_f32_f16_e32 v17, v17
	s_delay_alu instid0(VALU_DEP_1)
	v_sub_f32_e32 v17, v17, v23
	s_and_saveexec_b32 s11, s1
	s_cbranch_execz .LBB100_26
; %bb.25:
	s_delay_alu instid0(VALU_DEP_1) | instskip(SKIP_1) | instid1(VALU_DEP_2)
	v_mul_f32_e32 v21, 0x3fb8aa3b, v17
	v_cmp_ngt_f32_e64 s10, 0xc2ce8ed0, v17
	v_fma_f32 v24, 0x3fb8aa3b, v17, -v21
	v_rndne_f32_e32 v25, v21
	s_delay_alu instid0(VALU_DEP_2) | instskip(NEXT) | instid1(VALU_DEP_2)
	v_fmamk_f32 v24, v17, 0x32a5705f, v24
	v_sub_f32_e32 v21, v21, v25
	s_delay_alu instid0(VALU_DEP_1) | instskip(SKIP_1) | instid1(VALU_DEP_2)
	v_add_f32_e32 v21, v21, v24
	v_cvt_i32_f32_e32 v24, v25
	v_exp_f32_e32 v21, v21
	s_waitcnt_depctr 0xfff
	v_ldexp_f32 v21, v21, v24
	s_delay_alu instid0(VALU_DEP_1) | instskip(SKIP_1) | instid1(VALU_DEP_1)
	v_cndmask_b32_e64 v21, 0, v21, s10
	v_cmp_nlt_f32_e64 s10, 0x42b17218, v17
	v_cndmask_b32_e64 v21, 0x7f800000, v21, s10
	s_delay_alu instid0(VALU_DEP_1)
	v_add_f32_e32 v22, v22, v21
.LBB100_26:
	s_or_b32 exec_lo, exec_lo, s11
	v_cvt_f32_f16_e32 v16, v16
	s_delay_alu instid0(VALU_DEP_1)
	v_sub_f32_e32 v16, v16, v23
	s_and_saveexec_b32 s11, s2
	s_cbranch_execz .LBB100_28
; %bb.27:
	s_delay_alu instid0(VALU_DEP_1) | instskip(SKIP_1) | instid1(VALU_DEP_2)
	v_mul_f32_e32 v21, 0x3fb8aa3b, v16
	v_cmp_ngt_f32_e64 s10, 0xc2ce8ed0, v16
	v_fma_f32 v24, 0x3fb8aa3b, v16, -v21
	v_rndne_f32_e32 v25, v21
	s_delay_alu instid0(VALU_DEP_1) | instskip(NEXT) | instid1(VALU_DEP_1)
	v_dual_fmamk_f32 v24, v16, 0x32a5705f, v24 :: v_dual_sub_f32 v21, v21, v25
	v_add_f32_e32 v21, v21, v24
	v_cvt_i32_f32_e32 v24, v25
	s_delay_alu instid0(VALU_DEP_2) | instskip(SKIP_2) | instid1(VALU_DEP_1)
	v_exp_f32_e32 v21, v21
	s_waitcnt_depctr 0xfff
	v_ldexp_f32 v21, v21, v24
	v_cndmask_b32_e64 v21, 0, v21, s10
	v_cmp_nlt_f32_e64 s10, 0x42b17218, v16
	s_delay_alu instid0(VALU_DEP_1) | instskip(NEXT) | instid1(VALU_DEP_1)
	v_cndmask_b32_e64 v21, 0x7f800000, v21, s10
	v_add_f32_e32 v22, v22, v21
.LBB100_28:
	s_or_b32 exec_lo, exec_lo, s11
	v_cvt_f32_f16_e32 v15, v15
	s_delay_alu instid0(VALU_DEP_1)
	v_sub_f32_e32 v15, v15, v23
	s_and_saveexec_b32 s11, s3
	s_cbranch_execz .LBB100_30
; %bb.29:
	s_delay_alu instid0(VALU_DEP_1) | instskip(SKIP_1) | instid1(VALU_DEP_2)
	v_mul_f32_e32 v21, 0x3fb8aa3b, v15
	v_cmp_ngt_f32_e64 s10, 0xc2ce8ed0, v15
	v_fma_f32 v24, 0x3fb8aa3b, v15, -v21
	v_rndne_f32_e32 v25, v21
	s_delay_alu instid0(VALU_DEP_1) | instskip(NEXT) | instid1(VALU_DEP_1)
	v_dual_fmamk_f32 v24, v15, 0x32a5705f, v24 :: v_dual_sub_f32 v21, v21, v25
	v_add_f32_e32 v21, v21, v24
	v_cvt_i32_f32_e32 v24, v25
	s_delay_alu instid0(VALU_DEP_2) | instskip(SKIP_2) | instid1(VALU_DEP_1)
	v_exp_f32_e32 v21, v21
	s_waitcnt_depctr 0xfff
	v_ldexp_f32 v21, v21, v24
	v_cndmask_b32_e64 v21, 0, v21, s10
	v_cmp_nlt_f32_e64 s10, 0x42b17218, v15
	s_delay_alu instid0(VALU_DEP_1) | instskip(NEXT) | instid1(VALU_DEP_1)
	v_cndmask_b32_e64 v21, 0x7f800000, v21, s10
	v_add_f32_e32 v22, v22, v21
.LBB100_30:
	;; [unrolled: 26-line block ×3, first 2 shown]
	s_or_b32 exec_lo, exec_lo, s11
	v_cvt_f32_f16_e32 v13, v13
	s_delay_alu instid0(VALU_DEP_1)
	v_sub_f32_e32 v13, v13, v23
	s_and_saveexec_b32 s11, s5
	s_cbranch_execz .LBB100_34
; %bb.33:
	s_delay_alu instid0(VALU_DEP_1) | instskip(SKIP_1) | instid1(VALU_DEP_2)
	v_mul_f32_e32 v21, 0x3fb8aa3b, v13
	v_cmp_ngt_f32_e64 s10, 0xc2ce8ed0, v13
	v_fma_f32 v23, 0x3fb8aa3b, v13, -v21
	v_rndne_f32_e32 v24, v21
	s_delay_alu instid0(VALU_DEP_2) | instskip(NEXT) | instid1(VALU_DEP_2)
	v_fmamk_f32 v23, v13, 0x32a5705f, v23
	v_sub_f32_e32 v21, v21, v24
	s_delay_alu instid0(VALU_DEP_1) | instskip(SKIP_1) | instid1(VALU_DEP_2)
	v_add_f32_e32 v21, v21, v23
	v_cvt_i32_f32_e32 v23, v24
	v_exp_f32_e32 v21, v21
	s_waitcnt_depctr 0xfff
	v_ldexp_f32 v21, v21, v23
	s_delay_alu instid0(VALU_DEP_1) | instskip(SKIP_1) | instid1(VALU_DEP_1)
	v_cndmask_b32_e64 v21, 0, v21, s10
	v_cmp_nlt_f32_e64 s10, 0x42b17218, v13
	v_cndmask_b32_e64 v21, 0x7f800000, v21, s10
	s_delay_alu instid0(VALU_DEP_1)
	v_add_f32_e32 v22, v22, v21
.LBB100_34:
	s_or_b32 exec_lo, exec_lo, s11
	ds_bpermute_b32 v21, v8, v22
	s_waitcnt lgkmcnt(0)
	s_barrier
	buffer_gl0_inv
	v_add_f32_e32 v21, v22, v21
	ds_bpermute_b32 v22, v9, v21
	s_waitcnt lgkmcnt(0)
	v_add_f32_e32 v21, v21, v22
	ds_bpermute_b32 v22, v10, v21
	s_waitcnt lgkmcnt(0)
	;; [unrolled: 3-line block ×3, first 2 shown]
	v_add_f32_e32 v21, v21, v22
	ds_bpermute_b32 v22, v12, v21
	s_and_saveexec_b32 s10, s6
	s_delay_alu instid0(SALU_CYCLE_1)
	s_xor_b32 s6, exec_lo, s10
	s_cbranch_execz .LBB100_36
; %bb.35:
	v_add_nc_u32_e32 v18, 0, v18
	s_waitcnt lgkmcnt(0)
	v_add_f32_e32 v21, v21, v22
	ds_store_b32 v18, v21
.LBB100_36:
	s_or_b32 exec_lo, exec_lo, s6
	v_mov_b32_e32 v18, 0
	s_waitcnt lgkmcnt(0)
	s_barrier
	buffer_gl0_inv
	s_and_saveexec_b32 s6, s7
	s_cbranch_execnz .LBB100_50
; %bb.37:
	s_or_b32 exec_lo, exec_lo, s6
	s_and_saveexec_b32 s6, s8
	s_cbranch_execnz .LBB100_51
.LBB100_38:
	s_or_b32 exec_lo, exec_lo, s6
	s_and_saveexec_b32 s6, s9
	s_cbranch_execz .LBB100_40
.LBB100_39:
	v_mov_b32_e32 v8, 0
	s_waitcnt lgkmcnt(0)
	ds_store_b32 v8, v18
.LBB100_40:
	s_or_b32 exec_lo, exec_lo, s6
	v_mov_b32_e32 v8, 0
	s_waitcnt lgkmcnt(0)
	s_barrier
	buffer_gl0_inv
	ds_load_b32 v8, v8
	s_waitcnt lgkmcnt(0)
	v_cmp_gt_f32_e64 s6, 0x800000, v8
	s_delay_alu instid0(VALU_DEP_1) | instskip(NEXT) | instid1(VALU_DEP_1)
	v_cndmask_b32_e64 v9, 1.0, 0x4f800000, s6
	v_mul_f32_e32 v8, v8, v9
	s_delay_alu instid0(VALU_DEP_1) | instskip(SKIP_3) | instid1(VALU_DEP_2)
	v_log_f32_e32 v8, v8
	s_waitcnt_depctr 0xfff
	v_mul_f32_e32 v9, 0x3f317217, v8
	v_cmp_gt_f32_e64 s7, 0x7f800000, |v8|
	v_fma_f32 v10, 0x3f317217, v8, -v9
	s_delay_alu instid0(VALU_DEP_1) | instskip(NEXT) | instid1(VALU_DEP_1)
	v_fmamk_f32 v10, v8, 0x3377d1cf, v10
	v_add_f32_e32 v9, v9, v10
	s_delay_alu instid0(VALU_DEP_1) | instskip(SKIP_3) | instid1(VALU_DEP_1)
	v_cndmask_b32_e64 v8, v8, v9, s7
	v_cndmask_b32_e64 v9, 0, 0x41b17218, s6
	s_add_u32 s6, s16, s12
	s_addc_u32 s7, s17, s13
	v_sub_f32_e32 v8, v8, v9
	s_and_saveexec_b32 s8, vcc_lo
	s_cbranch_execnz .LBB100_52
; %bb.41:
	s_or_b32 exec_lo, exec_lo, s8
	s_and_saveexec_b32 s8, s0
	s_cbranch_execnz .LBB100_53
.LBB100_42:
	s_or_b32 exec_lo, exec_lo, s8
	s_and_saveexec_b32 s0, s1
	s_cbranch_execnz .LBB100_54
.LBB100_43:
	s_or_b32 exec_lo, exec_lo, s0
	s_and_saveexec_b32 s0, s2
	s_cbranch_execnz .LBB100_55
.LBB100_44:
	s_or_b32 exec_lo, exec_lo, s0
	s_and_saveexec_b32 s0, s3
	s_cbranch_execnz .LBB100_56
.LBB100_45:
	s_or_b32 exec_lo, exec_lo, s0
	s_and_saveexec_b32 s0, s4
	s_cbranch_execnz .LBB100_57
.LBB100_46:
	s_or_b32 exec_lo, exec_lo, s0
	s_and_saveexec_b32 s0, s5
	s_cbranch_execnz .LBB100_58
.LBB100_47:
	s_nop 0
	s_sendmsg sendmsg(MSG_DEALLOC_VGPRS)
	s_endpgm
.LBB100_48:
	ds_load_b32 v22, v20
	s_or_b32 exec_lo, exec_lo, s8
	v_cmp_gt_u32_e64 s8, 32, v0
	s_delay_alu instid0(VALU_DEP_1)
	s_and_saveexec_b32 s10, s8
	s_cbranch_execz .LBB100_18
.LBB100_49:
	s_waitcnt lgkmcnt(0)
	ds_bpermute_b32 v23, v8, v22
	s_waitcnt lgkmcnt(0)
	v_cmp_lt_f32_e64 s9, v22, v23
	s_delay_alu instid0(VALU_DEP_1) | instskip(SKIP_3) | instid1(VALU_DEP_1)
	v_cndmask_b32_e64 v22, v22, v23, s9
	ds_bpermute_b32 v23, v9, v22
	s_waitcnt lgkmcnt(0)
	v_cmp_lt_f32_e64 s9, v22, v23
	v_cndmask_b32_e64 v22, v22, v23, s9
	ds_bpermute_b32 v23, v10, v22
	s_waitcnt lgkmcnt(0)
	v_cmp_lt_f32_e64 s9, v22, v23
	s_delay_alu instid0(VALU_DEP_1) | instskip(SKIP_3) | instid1(VALU_DEP_1)
	v_cndmask_b32_e64 v22, v22, v23, s9
	ds_bpermute_b32 v23, v11, v22
	s_waitcnt lgkmcnt(0)
	v_cmp_lt_f32_e64 s9, v22, v23
	v_cndmask_b32_e64 v22, v22, v23, s9
	ds_bpermute_b32 v23, v12, v22
	s_waitcnt lgkmcnt(0)
	v_cmp_lt_f32_e64 s9, v22, v23
	s_delay_alu instid0(VALU_DEP_1) | instskip(SKIP_2) | instid1(VALU_DEP_1)
	v_cndmask_b32_e64 v22, v22, v23, s9
	s_or_b32 exec_lo, exec_lo, s10
	v_cmp_eq_u32_e64 s9, 0, v0
	s_and_saveexec_b32 s10, s9
	s_cbranch_execnz .LBB100_19
	s_branch .LBB100_20
.LBB100_50:
	ds_load_b32 v18, v20
	s_or_b32 exec_lo, exec_lo, s6
	s_and_saveexec_b32 s6, s8
	s_cbranch_execz .LBB100_38
.LBB100_51:
	s_waitcnt lgkmcnt(0)
	ds_bpermute_b32 v8, v8, v18
	s_waitcnt lgkmcnt(0)
	v_add_f32_e32 v8, v18, v8
	ds_bpermute_b32 v9, v9, v8
	s_waitcnt lgkmcnt(0)
	v_add_f32_e32 v8, v8, v9
	;; [unrolled: 3-line block ×5, first 2 shown]
	s_or_b32 exec_lo, exec_lo, s6
	s_and_saveexec_b32 s6, s9
	s_cbranch_execnz .LBB100_39
	s_branch .LBB100_40
.LBB100_52:
	s_delay_alu instid0(VALU_DEP_1) | instskip(NEXT) | instid1(VALU_DEP_1)
	v_sub_f32_e32 v0, v0, v8
	v_cvt_f16_f32_e32 v0, v0
	global_store_b16 v3, v0, s[6:7]
	s_or_b32 exec_lo, exec_lo, s8
	s_and_saveexec_b32 s8, s0
	s_cbranch_execz .LBB100_42
.LBB100_53:
	v_sub_f32_e32 v0, v19, v8
	s_delay_alu instid0(VALU_DEP_1)
	v_cvt_f16_f32_e32 v0, v0
	global_store_b16 v4, v0, s[6:7]
	s_or_b32 exec_lo, exec_lo, s8
	s_and_saveexec_b32 s0, s1
	s_cbranch_execz .LBB100_43
.LBB100_54:
	v_sub_f32_e32 v0, v17, v8
	s_delay_alu instid0(VALU_DEP_1)
	v_cvt_f16_f32_e32 v0, v0
	global_store_b16 v5, v0, s[6:7]
	s_or_b32 exec_lo, exec_lo, s0
	s_and_saveexec_b32 s0, s2
	s_cbranch_execz .LBB100_44
.LBB100_55:
	v_sub_f32_e32 v0, v16, v8
	s_delay_alu instid0(VALU_DEP_1)
	v_cvt_f16_f32_e32 v0, v0
	global_store_b16 v6, v0, s[6:7]
	s_or_b32 exec_lo, exec_lo, s0
	s_and_saveexec_b32 s0, s3
	s_cbranch_execz .LBB100_45
.LBB100_56:
	v_sub_f32_e32 v0, v15, v8
	s_delay_alu instid0(VALU_DEP_1)
	v_cvt_f16_f32_e32 v0, v0
	global_store_b16 v7, v0, s[6:7]
	s_or_b32 exec_lo, exec_lo, s0
	s_and_saveexec_b32 s0, s4
	s_cbranch_execz .LBB100_46
.LBB100_57:
	v_sub_f32_e32 v0, v14, v8
	s_delay_alu instid0(VALU_DEP_1)
	v_cvt_f16_f32_e32 v0, v0
	global_store_b16 v2, v0, s[6:7]
	s_or_b32 exec_lo, exec_lo, s0
	s_and_saveexec_b32 s0, s5
	s_cbranch_execz .LBB100_47
.LBB100_58:
	v_sub_f32_e32 v0, v13, v8
	s_delay_alu instid0(VALU_DEP_1)
	v_cvt_f16_f32_e32 v0, v0
	global_store_b16 v1, v0, s[6:7]
	s_nop 0
	s_sendmsg sendmsg(MSG_DEALLOC_VGPRS)
	s_endpgm
	.section	.rodata,"a",@progbits
	.p2align	6, 0x0
	.amdhsa_kernel _ZN2at6native12_GLOBAL__N_122cunn_SoftMaxForwardRegIN3c104HalfEfS4_NS1_25LogSoftMaxForwardEpilogueElLi7EEEvPT1_PKT_T3_
		.amdhsa_group_segment_fixed_size 0
		.amdhsa_private_segment_fixed_size 0
		.amdhsa_kernarg_size 280
		.amdhsa_user_sgpr_count 15
		.amdhsa_user_sgpr_dispatch_ptr 0
		.amdhsa_user_sgpr_queue_ptr 0
		.amdhsa_user_sgpr_kernarg_segment_ptr 1
		.amdhsa_user_sgpr_dispatch_id 0
		.amdhsa_user_sgpr_private_segment_size 0
		.amdhsa_wavefront_size32 1
		.amdhsa_uses_dynamic_stack 0
		.amdhsa_enable_private_segment 0
		.amdhsa_system_sgpr_workgroup_id_x 1
		.amdhsa_system_sgpr_workgroup_id_y 0
		.amdhsa_system_sgpr_workgroup_id_z 0
		.amdhsa_system_sgpr_workgroup_info 0
		.amdhsa_system_vgpr_workitem_id 0
		.amdhsa_next_free_vgpr 26
		.amdhsa_next_free_sgpr 20
		.amdhsa_reserve_vcc 1
		.amdhsa_float_round_mode_32 0
		.amdhsa_float_round_mode_16_64 0
		.amdhsa_float_denorm_mode_32 3
		.amdhsa_float_denorm_mode_16_64 3
		.amdhsa_dx10_clamp 1
		.amdhsa_ieee_mode 1
		.amdhsa_fp16_overflow 0
		.amdhsa_workgroup_processor_mode 1
		.amdhsa_memory_ordered 1
		.amdhsa_forward_progress 0
		.amdhsa_shared_vgpr_count 0
		.amdhsa_exception_fp_ieee_invalid_op 0
		.amdhsa_exception_fp_denorm_src 0
		.amdhsa_exception_fp_ieee_div_zero 0
		.amdhsa_exception_fp_ieee_overflow 0
		.amdhsa_exception_fp_ieee_underflow 0
		.amdhsa_exception_fp_ieee_inexact 0
		.amdhsa_exception_int_div_zero 0
	.end_amdhsa_kernel
	.section	.text._ZN2at6native12_GLOBAL__N_122cunn_SoftMaxForwardRegIN3c104HalfEfS4_NS1_25LogSoftMaxForwardEpilogueElLi7EEEvPT1_PKT_T3_,"axG",@progbits,_ZN2at6native12_GLOBAL__N_122cunn_SoftMaxForwardRegIN3c104HalfEfS4_NS1_25LogSoftMaxForwardEpilogueElLi7EEEvPT1_PKT_T3_,comdat
.Lfunc_end100:
	.size	_ZN2at6native12_GLOBAL__N_122cunn_SoftMaxForwardRegIN3c104HalfEfS4_NS1_25LogSoftMaxForwardEpilogueElLi7EEEvPT1_PKT_T3_, .Lfunc_end100-_ZN2at6native12_GLOBAL__N_122cunn_SoftMaxForwardRegIN3c104HalfEfS4_NS1_25LogSoftMaxForwardEpilogueElLi7EEEvPT1_PKT_T3_
                                        ; -- End function
	.section	.AMDGPU.csdata,"",@progbits
; Kernel info:
; codeLenInByte = 3092
; NumSgprs: 22
; NumVgprs: 26
; ScratchSize: 0
; MemoryBound: 0
; FloatMode: 240
; IeeeMode: 1
; LDSByteSize: 0 bytes/workgroup (compile time only)
; SGPRBlocks: 2
; VGPRBlocks: 3
; NumSGPRsForWavesPerEU: 22
; NumVGPRsForWavesPerEU: 26
; Occupancy: 16
; WaveLimiterHint : 0
; COMPUTE_PGM_RSRC2:SCRATCH_EN: 0
; COMPUTE_PGM_RSRC2:USER_SGPR: 15
; COMPUTE_PGM_RSRC2:TRAP_HANDLER: 0
; COMPUTE_PGM_RSRC2:TGID_X_EN: 1
; COMPUTE_PGM_RSRC2:TGID_Y_EN: 0
; COMPUTE_PGM_RSRC2:TGID_Z_EN: 0
; COMPUTE_PGM_RSRC2:TIDIG_COMP_CNT: 0
	.section	.text._ZN2at6native12_GLOBAL__N_122cunn_SoftMaxForwardRegIN3c104HalfEfS4_NS1_25LogSoftMaxForwardEpilogueElLi8EEEvPT1_PKT_T3_,"axG",@progbits,_ZN2at6native12_GLOBAL__N_122cunn_SoftMaxForwardRegIN3c104HalfEfS4_NS1_25LogSoftMaxForwardEpilogueElLi8EEEvPT1_PKT_T3_,comdat
	.globl	_ZN2at6native12_GLOBAL__N_122cunn_SoftMaxForwardRegIN3c104HalfEfS4_NS1_25LogSoftMaxForwardEpilogueElLi8EEEvPT1_PKT_T3_ ; -- Begin function _ZN2at6native12_GLOBAL__N_122cunn_SoftMaxForwardRegIN3c104HalfEfS4_NS1_25LogSoftMaxForwardEpilogueElLi8EEEvPT1_PKT_T3_
	.p2align	8
	.type	_ZN2at6native12_GLOBAL__N_122cunn_SoftMaxForwardRegIN3c104HalfEfS4_NS1_25LogSoftMaxForwardEpilogueElLi8EEEvPT1_PKT_T3_,@function
_ZN2at6native12_GLOBAL__N_122cunn_SoftMaxForwardRegIN3c104HalfEfS4_NS1_25LogSoftMaxForwardEpilogueElLi8EEEvPT1_PKT_T3_: ; @_ZN2at6native12_GLOBAL__N_122cunn_SoftMaxForwardRegIN3c104HalfEfS4_NS1_25LogSoftMaxForwardEpilogueElLi8EEEvPT1_PKT_T3_
; %bb.0:
	s_clause 0x2
	s_load_b64 s[6:7], s[0:1], 0x10
	s_load_b128 s[16:19], s[0:1], 0x0
	s_load_b32 s0, s[0:1], 0x24
	v_dual_mov_b32 v2, 0 :: v_dual_mov_b32 v11, 0xff7fffff
	v_lshlrev_b32_e32 v3, 1, v0
                                        ; implicit-def: $vgpr23
	s_delay_alu instid0(VALU_DEP_2)
	v_mov_b32_e32 v1, v2
	s_waitcnt lgkmcnt(0)
	s_mul_i32 s1, s15, s7
	s_mul_hi_u32 s3, s15, s6
	s_mul_i32 s2, s15, s6
	s_add_i32 s3, s3, s1
	v_cmp_gt_i64_e32 vcc_lo, s[6:7], v[0:1]
	s_lshl_b64 s[12:13], s[2:3], 1
	s_delay_alu instid0(SALU_CYCLE_1)
	s_add_u32 s8, s18, s12
	s_addc_u32 s9, s19, s13
	s_and_saveexec_b32 s1, vcc_lo
	s_cbranch_execz .LBB101_2
; %bb.1:
	global_load_u16 v23, v3, s[8:9]
	s_waitcnt vmcnt(0)
	v_cvt_f32_f16_e32 v1, v23
	s_delay_alu instid0(VALU_DEP_1)
	v_max_f32_e32 v11, 0xff7fffff, v1
.LBB101_2:
	s_or_b32 exec_lo, exec_lo, s1
	s_and_b32 s10, 0xffff, s0
                                        ; implicit-def: $vgpr22
	s_delay_alu instid0(SALU_CYCLE_1) | instskip(NEXT) | instid1(VALU_DEP_1)
	v_add_nc_u32_e32 v1, s10, v0
	v_cmp_gt_i64_e64 s0, s[6:7], v[1:2]
	v_lshlrev_b32_e32 v4, 1, v1
	s_delay_alu instid0(VALU_DEP_2)
	s_and_saveexec_b32 s1, s0
	s_cbranch_execz .LBB101_4
; %bb.3:
	global_load_u16 v22, v4, s[8:9]
	v_max_f32_e32 v5, v11, v11
	s_waitcnt vmcnt(0)
	v_cvt_f32_f16_e32 v2, v22
	s_delay_alu instid0(VALU_DEP_1)
	v_max_f32_e32 v11, v5, v2
.LBB101_4:
	s_or_b32 exec_lo, exec_lo, s1
	v_dual_mov_b32 v2, 0 :: v_dual_add_nc_u32 v1, s10, v1
                                        ; implicit-def: $vgpr20
	s_delay_alu instid0(VALU_DEP_1) | instskip(NEXT) | instid1(VALU_DEP_2)
	v_lshlrev_b32_e32 v5, 1, v1
	v_cmp_gt_i64_e64 s1, s[6:7], v[1:2]
	s_delay_alu instid0(VALU_DEP_1)
	s_and_saveexec_b32 s2, s1
	s_cbranch_execz .LBB101_6
; %bb.5:
	global_load_u16 v20, v5, s[8:9]
	v_max_f32_e32 v7, v11, v11
	s_waitcnt vmcnt(0)
	v_cvt_f32_f16_e32 v6, v20
	s_delay_alu instid0(VALU_DEP_1)
	v_max_f32_e32 v11, v7, v6
.LBB101_6:
	s_or_b32 exec_lo, exec_lo, s2
	v_add_nc_u32_e32 v1, s10, v1
                                        ; implicit-def: $vgpr18
	s_delay_alu instid0(VALU_DEP_1) | instskip(SKIP_1) | instid1(VALU_DEP_2)
	v_cmp_gt_i64_e64 s2, s[6:7], v[1:2]
	v_lshlrev_b32_e32 v6, 1, v1
	s_and_saveexec_b32 s3, s2
	s_cbranch_execz .LBB101_8
; %bb.7:
	global_load_u16 v18, v6, s[8:9]
	v_max_f32_e32 v7, v11, v11
	s_waitcnt vmcnt(0)
	v_cvt_f32_f16_e32 v2, v18
	s_delay_alu instid0(VALU_DEP_1)
	v_max_f32_e32 v11, v7, v2
.LBB101_8:
	s_or_b32 exec_lo, exec_lo, s3
	v_dual_mov_b32 v2, 0 :: v_dual_add_nc_u32 v1, s10, v1
                                        ; implicit-def: $vgpr17
	s_delay_alu instid0(VALU_DEP_1) | instskip(NEXT) | instid1(VALU_DEP_2)
	v_lshlrev_b32_e32 v7, 1, v1
	v_cmp_gt_i64_e64 s3, s[6:7], v[1:2]
	s_delay_alu instid0(VALU_DEP_1)
	s_and_saveexec_b32 s4, s3
	s_cbranch_execz .LBB101_10
; %bb.9:
	global_load_u16 v17, v7, s[8:9]
	v_max_f32_e32 v9, v11, v11
	s_waitcnt vmcnt(0)
	v_cvt_f32_f16_e32 v8, v17
	s_delay_alu instid0(VALU_DEP_1)
	v_max_f32_e32 v11, v9, v8
.LBB101_10:
	s_or_b32 exec_lo, exec_lo, s4
	v_add_nc_u32_e32 v1, s10, v1
                                        ; implicit-def: $vgpr16
	s_delay_alu instid0(VALU_DEP_1) | instskip(SKIP_1) | instid1(VALU_DEP_2)
	v_cmp_gt_i64_e64 s4, s[6:7], v[1:2]
	v_lshlrev_b32_e32 v8, 1, v1
	s_and_saveexec_b32 s5, s4
	s_cbranch_execz .LBB101_12
; %bb.11:
	global_load_u16 v16, v8, s[8:9]
	v_max_f32_e32 v9, v11, v11
	s_waitcnt vmcnt(0)
	v_cvt_f32_f16_e32 v2, v16
	s_delay_alu instid0(VALU_DEP_1)
	v_max_f32_e32 v11, v9, v2
.LBB101_12:
	s_or_b32 exec_lo, exec_lo, s5
	v_dual_mov_b32 v2, 0 :: v_dual_add_nc_u32 v1, s10, v1
                                        ; implicit-def: $vgpr15
	s_delay_alu instid0(VALU_DEP_1) | instskip(NEXT) | instid1(VALU_DEP_2)
	v_lshlrev_b32_e32 v9, 1, v1
	v_cmp_gt_i64_e64 s5, s[6:7], v[1:2]
	s_delay_alu instid0(VALU_DEP_1)
	s_and_saveexec_b32 s11, s5
	s_cbranch_execz .LBB101_14
; %bb.13:
	global_load_u16 v15, v9, s[8:9]
	v_max_f32_e32 v11, v11, v11
	s_waitcnt vmcnt(0)
	v_cvt_f32_f16_e32 v10, v15
	s_delay_alu instid0(VALU_DEP_1)
	v_max_f32_e32 v11, v11, v10
.LBB101_14:
	s_or_b32 exec_lo, exec_lo, s11
	v_add_nc_u32_e32 v1, s10, v1
                                        ; implicit-def: $vgpr14
	s_delay_alu instid0(VALU_DEP_1) | instskip(SKIP_1) | instid1(VALU_DEP_2)
	v_cmp_gt_i64_e64 s6, s[6:7], v[1:2]
	v_lshlrev_b32_e32 v1, 1, v1
	s_and_saveexec_b32 s7, s6
	s_cbranch_execz .LBB101_16
; %bb.15:
	global_load_u16 v14, v1, s[8:9]
	v_max_f32_e32 v10, v11, v11
	s_waitcnt vmcnt(0)
	v_cvt_f32_f16_e32 v2, v14
	s_delay_alu instid0(VALU_DEP_1)
	v_max_f32_e32 v11, v10, v2
.LBB101_16:
	s_or_b32 exec_lo, exec_lo, s7
	v_mbcnt_lo_u32_b32 v13, -1, 0
	s_barrier
	buffer_gl0_inv
	v_cmp_gt_u32_e64 s7, 16, v13
	s_delay_alu instid0(VALU_DEP_1) | instskip(SKIP_1) | instid1(VALU_DEP_2)
	v_cndmask_b32_e64 v2, 0, 1, s7
	v_cmp_gt_u32_e64 s7, 24, v13
	v_lshlrev_b32_e32 v2, 4, v2
	s_delay_alu instid0(VALU_DEP_2) | instskip(NEXT) | instid1(VALU_DEP_2)
	v_cndmask_b32_e64 v10, 0, 1, s7
	v_add_lshl_u32 v2, v2, v13, 2
	s_delay_alu instid0(VALU_DEP_2) | instskip(SKIP_4) | instid1(VALU_DEP_1)
	v_lshlrev_b32_e32 v10, 3, v10
	ds_bpermute_b32 v12, v2, v11
	v_add_lshl_u32 v10, v10, v13, 2
	s_waitcnt lgkmcnt(0)
	v_cmp_lt_f32_e64 s7, v11, v12
	v_cndmask_b32_e64 v12, v11, v12, s7
	v_cmp_gt_u32_e64 s7, 28, v13
	ds_bpermute_b32 v19, v10, v12
	v_cndmask_b32_e64 v11, 0, 1, s7
	s_delay_alu instid0(VALU_DEP_1) | instskip(NEXT) | instid1(VALU_DEP_1)
	v_lshlrev_b32_e32 v11, 2, v11
	v_add_lshl_u32 v11, v11, v13, 2
	s_waitcnt lgkmcnt(0)
	v_cmp_lt_f32_e64 s7, v12, v19
	s_delay_alu instid0(VALU_DEP_1) | instskip(SKIP_3) | instid1(VALU_DEP_1)
	v_cndmask_b32_e64 v19, v12, v19, s7
	v_cmp_gt_u32_e64 s7, 30, v13
	ds_bpermute_b32 v21, v11, v19
	v_cndmask_b32_e64 v12, 0, 1, s7
	v_lshlrev_b32_e32 v12, 1, v12
	s_delay_alu instid0(VALU_DEP_1) | instskip(SKIP_2) | instid1(VALU_DEP_1)
	v_add_lshl_u32 v12, v12, v13, 2
	s_waitcnt lgkmcnt(0)
	v_cmp_lt_f32_e64 s7, v19, v21
	v_cndmask_b32_e64 v19, v19, v21, s7
	v_cmp_ne_u32_e64 s7, 31, v13
	ds_bpermute_b32 v21, v12, v19
	v_add_co_ci_u32_e64 v13, s7, 0, v13, s7
	s_delay_alu instid0(VALU_DEP_1) | instskip(SKIP_2) | instid1(VALU_DEP_1)
	v_lshlrev_b32_e32 v13, 2, v13
	s_waitcnt lgkmcnt(0)
	v_cmp_lt_f32_e64 s7, v19, v21
	v_cndmask_b32_e64 v24, v19, v21, s7
	v_and_b32_e32 v21, 31, v0
	v_lshrrev_b32_e32 v19, 3, v0
	ds_bpermute_b32 v25, v13, v24
	v_cmp_eq_u32_e64 s7, 0, v21
	s_delay_alu instid0(VALU_DEP_1) | instskip(NEXT) | instid1(SALU_CYCLE_1)
	s_and_saveexec_b32 s8, s7
	s_xor_b32 s9, exec_lo, s8
	s_cbranch_execz .LBB101_18
; %bb.17:
	s_waitcnt lgkmcnt(0)
	v_cmp_lt_f32_e64 s8, v24, v25
	v_add_nc_u32_e32 v26, 0, v19
	s_delay_alu instid0(VALU_DEP_2)
	v_cndmask_b32_e64 v24, v24, v25, s8
	ds_store_b32 v26, v24
.LBB101_18:
	s_or_b32 exec_lo, exec_lo, s9
	s_lshr_b32 s8, s10, 5
	v_mov_b32_e32 v24, 0xff7fffff
	v_cmp_gt_u32_e64 s8, s8, v0
	v_lshl_add_u32 v21, v21, 2, 0
	s_waitcnt lgkmcnt(0)
	s_barrier
	buffer_gl0_inv
	s_and_saveexec_b32 s9, s8
	s_cbranch_execnz .LBB101_53
; %bb.19:
	s_or_b32 exec_lo, exec_lo, s9
	v_cmp_gt_u32_e64 s9, 32, v0
	s_delay_alu instid0(VALU_DEP_1)
	s_and_saveexec_b32 s11, s9
	s_cbranch_execnz .LBB101_54
.LBB101_20:
	s_or_b32 exec_lo, exec_lo, s11
	v_cmp_eq_u32_e64 s10, 0, v0
	s_delay_alu instid0(VALU_DEP_1)
	s_and_saveexec_b32 s11, s10
	s_cbranch_execz .LBB101_22
.LBB101_21:
	v_mov_b32_e32 v0, 0
	s_waitcnt lgkmcnt(0)
	ds_store_b32 v0, v24
.LBB101_22:
	s_or_b32 exec_lo, exec_lo, s11
	s_waitcnt lgkmcnt(0)
	v_mov_b32_e32 v24, 0
	s_barrier
	buffer_gl0_inv
	v_cvt_f32_f16_e32 v0, v23
	ds_load_b32 v25, v24
	s_waitcnt lgkmcnt(0)
	v_sub_f32_e32 v0, v0, v25
	s_and_saveexec_b32 s14, vcc_lo
	s_cbranch_execz .LBB101_24
; %bb.23:
	s_delay_alu instid0(VALU_DEP_1) | instskip(SKIP_1) | instid1(VALU_DEP_2)
	v_mul_f32_e32 v23, 0x3fb8aa3b, v0
	v_cmp_ngt_f32_e64 s11, 0xc2ce8ed0, v0
	v_fma_f32 v24, 0x3fb8aa3b, v0, -v23
	v_rndne_f32_e32 v26, v23
	s_delay_alu instid0(VALU_DEP_1) | instskip(NEXT) | instid1(VALU_DEP_1)
	v_dual_fmamk_f32 v24, v0, 0x32a5705f, v24 :: v_dual_sub_f32 v23, v23, v26
	v_add_f32_e32 v23, v23, v24
	v_cvt_i32_f32_e32 v24, v26
	s_delay_alu instid0(VALU_DEP_2) | instskip(SKIP_2) | instid1(VALU_DEP_1)
	v_exp_f32_e32 v23, v23
	s_waitcnt_depctr 0xfff
	v_ldexp_f32 v23, v23, v24
	v_cndmask_b32_e64 v23, 0, v23, s11
	v_cmp_nlt_f32_e64 s11, 0x42b17218, v0
	s_delay_alu instid0(VALU_DEP_1)
	v_cndmask_b32_e64 v24, 0x7f800000, v23, s11
.LBB101_24:
	s_or_b32 exec_lo, exec_lo, s14
	v_cvt_f32_f16_e32 v22, v22
	s_delay_alu instid0(VALU_DEP_1)
	v_sub_f32_e32 v22, v22, v25
	s_and_saveexec_b32 s14, s0
	s_cbranch_execz .LBB101_26
; %bb.25:
	s_delay_alu instid0(VALU_DEP_1) | instskip(SKIP_1) | instid1(VALU_DEP_2)
	v_mul_f32_e32 v23, 0x3fb8aa3b, v22
	v_cmp_ngt_f32_e64 s11, 0xc2ce8ed0, v22
	v_fma_f32 v26, 0x3fb8aa3b, v22, -v23
	v_rndne_f32_e32 v27, v23
	s_delay_alu instid0(VALU_DEP_1) | instskip(NEXT) | instid1(VALU_DEP_1)
	v_dual_fmamk_f32 v26, v22, 0x32a5705f, v26 :: v_dual_sub_f32 v23, v23, v27
	v_add_f32_e32 v23, v23, v26
	v_cvt_i32_f32_e32 v26, v27
	s_delay_alu instid0(VALU_DEP_2) | instskip(SKIP_2) | instid1(VALU_DEP_1)
	v_exp_f32_e32 v23, v23
	s_waitcnt_depctr 0xfff
	v_ldexp_f32 v23, v23, v26
	v_cndmask_b32_e64 v23, 0, v23, s11
	v_cmp_nlt_f32_e64 s11, 0x42b17218, v22
	s_delay_alu instid0(VALU_DEP_1) | instskip(NEXT) | instid1(VALU_DEP_1)
	v_cndmask_b32_e64 v23, 0x7f800000, v23, s11
	v_add_f32_e32 v24, v24, v23
.LBB101_26:
	s_or_b32 exec_lo, exec_lo, s14
	v_cvt_f32_f16_e32 v20, v20
	s_delay_alu instid0(VALU_DEP_1)
	v_sub_f32_e32 v20, v20, v25
	s_and_saveexec_b32 s14, s1
	s_cbranch_execz .LBB101_28
; %bb.27:
	s_delay_alu instid0(VALU_DEP_1) | instskip(SKIP_1) | instid1(VALU_DEP_2)
	v_mul_f32_e32 v23, 0x3fb8aa3b, v20
	v_cmp_ngt_f32_e64 s11, 0xc2ce8ed0, v20
	v_fma_f32 v26, 0x3fb8aa3b, v20, -v23
	v_rndne_f32_e32 v27, v23
	s_delay_alu instid0(VALU_DEP_1) | instskip(NEXT) | instid1(VALU_DEP_1)
	v_dual_fmamk_f32 v26, v20, 0x32a5705f, v26 :: v_dual_sub_f32 v23, v23, v27
	v_add_f32_e32 v23, v23, v26
	v_cvt_i32_f32_e32 v26, v27
	s_delay_alu instid0(VALU_DEP_2) | instskip(SKIP_2) | instid1(VALU_DEP_1)
	v_exp_f32_e32 v23, v23
	s_waitcnt_depctr 0xfff
	v_ldexp_f32 v23, v23, v26
	v_cndmask_b32_e64 v23, 0, v23, s11
	v_cmp_nlt_f32_e64 s11, 0x42b17218, v20
	s_delay_alu instid0(VALU_DEP_1) | instskip(NEXT) | instid1(VALU_DEP_1)
	v_cndmask_b32_e64 v23, 0x7f800000, v23, s11
	v_add_f32_e32 v24, v24, v23
.LBB101_28:
	;; [unrolled: 26-line block ×5, first 2 shown]
	s_or_b32 exec_lo, exec_lo, s14
	v_cvt_f32_f16_e32 v15, v15
	s_delay_alu instid0(VALU_DEP_1)
	v_sub_f32_e32 v15, v15, v25
	s_and_saveexec_b32 s14, s5
	s_cbranch_execz .LBB101_36
; %bb.35:
	s_delay_alu instid0(VALU_DEP_1) | instskip(SKIP_1) | instid1(VALU_DEP_2)
	v_mul_f32_e32 v23, 0x3fb8aa3b, v15
	v_cmp_ngt_f32_e64 s11, 0xc2ce8ed0, v15
	v_fma_f32 v26, 0x3fb8aa3b, v15, -v23
	v_rndne_f32_e32 v27, v23
	s_delay_alu instid0(VALU_DEP_2) | instskip(NEXT) | instid1(VALU_DEP_2)
	v_fmamk_f32 v26, v15, 0x32a5705f, v26
	v_sub_f32_e32 v23, v23, v27
	s_delay_alu instid0(VALU_DEP_1) | instskip(SKIP_1) | instid1(VALU_DEP_2)
	v_add_f32_e32 v23, v23, v26
	v_cvt_i32_f32_e32 v26, v27
	v_exp_f32_e32 v23, v23
	s_waitcnt_depctr 0xfff
	v_ldexp_f32 v23, v23, v26
	s_delay_alu instid0(VALU_DEP_1) | instskip(SKIP_1) | instid1(VALU_DEP_1)
	v_cndmask_b32_e64 v23, 0, v23, s11
	v_cmp_nlt_f32_e64 s11, 0x42b17218, v15
	v_cndmask_b32_e64 v23, 0x7f800000, v23, s11
	s_delay_alu instid0(VALU_DEP_1)
	v_add_f32_e32 v24, v24, v23
.LBB101_36:
	s_or_b32 exec_lo, exec_lo, s14
	v_cvt_f32_f16_e32 v14, v14
	s_delay_alu instid0(VALU_DEP_1)
	v_sub_f32_e32 v14, v14, v25
	s_and_saveexec_b32 s14, s6
	s_cbranch_execz .LBB101_38
; %bb.37:
	s_delay_alu instid0(VALU_DEP_1) | instskip(SKIP_1) | instid1(VALU_DEP_2)
	v_mul_f32_e32 v23, 0x3fb8aa3b, v14
	v_cmp_ngt_f32_e64 s11, 0xc2ce8ed0, v14
	v_fma_f32 v25, 0x3fb8aa3b, v14, -v23
	v_rndne_f32_e32 v26, v23
	s_delay_alu instid0(VALU_DEP_2) | instskip(NEXT) | instid1(VALU_DEP_2)
	v_fmamk_f32 v25, v14, 0x32a5705f, v25
	v_sub_f32_e32 v23, v23, v26
	s_delay_alu instid0(VALU_DEP_1) | instskip(SKIP_1) | instid1(VALU_DEP_2)
	v_add_f32_e32 v23, v23, v25
	v_cvt_i32_f32_e32 v25, v26
	v_exp_f32_e32 v23, v23
	s_waitcnt_depctr 0xfff
	v_ldexp_f32 v23, v23, v25
	s_delay_alu instid0(VALU_DEP_1) | instskip(SKIP_1) | instid1(VALU_DEP_1)
	v_cndmask_b32_e64 v23, 0, v23, s11
	v_cmp_nlt_f32_e64 s11, 0x42b17218, v14
	v_cndmask_b32_e64 v23, 0x7f800000, v23, s11
	s_delay_alu instid0(VALU_DEP_1)
	v_add_f32_e32 v24, v24, v23
.LBB101_38:
	s_or_b32 exec_lo, exec_lo, s14
	ds_bpermute_b32 v23, v2, v24
	s_waitcnt lgkmcnt(0)
	s_barrier
	buffer_gl0_inv
	v_add_f32_e32 v23, v24, v23
	ds_bpermute_b32 v24, v10, v23
	s_waitcnt lgkmcnt(0)
	v_add_f32_e32 v23, v23, v24
	ds_bpermute_b32 v24, v11, v23
	s_waitcnt lgkmcnt(0)
	;; [unrolled: 3-line block ×3, first 2 shown]
	v_add_f32_e32 v23, v23, v24
	ds_bpermute_b32 v24, v13, v23
	s_and_saveexec_b32 s11, s7
	s_delay_alu instid0(SALU_CYCLE_1)
	s_xor_b32 s7, exec_lo, s11
	s_cbranch_execz .LBB101_40
; %bb.39:
	v_add_nc_u32_e32 v19, 0, v19
	s_waitcnt lgkmcnt(0)
	v_add_f32_e32 v23, v23, v24
	ds_store_b32 v19, v23
.LBB101_40:
	s_or_b32 exec_lo, exec_lo, s7
	v_mov_b32_e32 v19, 0
	s_waitcnt lgkmcnt(0)
	s_barrier
	buffer_gl0_inv
	s_and_saveexec_b32 s7, s8
	s_cbranch_execnz .LBB101_55
; %bb.41:
	s_or_b32 exec_lo, exec_lo, s7
	s_and_saveexec_b32 s7, s9
	s_cbranch_execnz .LBB101_56
.LBB101_42:
	s_or_b32 exec_lo, exec_lo, s7
	s_and_saveexec_b32 s7, s10
	s_cbranch_execz .LBB101_44
.LBB101_43:
	v_mov_b32_e32 v2, 0
	s_waitcnt lgkmcnt(0)
	ds_store_b32 v2, v19
.LBB101_44:
	s_or_b32 exec_lo, exec_lo, s7
	v_mov_b32_e32 v2, 0
	s_waitcnt lgkmcnt(0)
	s_barrier
	buffer_gl0_inv
	ds_load_b32 v2, v2
	s_waitcnt lgkmcnt(0)
	v_cmp_gt_f32_e64 s7, 0x800000, v2
	s_delay_alu instid0(VALU_DEP_1) | instskip(NEXT) | instid1(VALU_DEP_1)
	v_cndmask_b32_e64 v10, 1.0, 0x4f800000, s7
	v_mul_f32_e32 v2, v2, v10
	s_delay_alu instid0(VALU_DEP_1) | instskip(SKIP_3) | instid1(VALU_DEP_2)
	v_log_f32_e32 v2, v2
	s_waitcnt_depctr 0xfff
	v_mul_f32_e32 v10, 0x3f317217, v2
	v_cmp_gt_f32_e64 s8, 0x7f800000, |v2|
	v_fma_f32 v11, 0x3f317217, v2, -v10
	s_delay_alu instid0(VALU_DEP_1) | instskip(NEXT) | instid1(VALU_DEP_1)
	v_fmamk_f32 v11, v2, 0x3377d1cf, v11
	v_add_f32_e32 v10, v10, v11
	s_delay_alu instid0(VALU_DEP_1) | instskip(SKIP_3) | instid1(VALU_DEP_1)
	v_cndmask_b32_e64 v2, v2, v10, s8
	v_cndmask_b32_e64 v10, 0, 0x41b17218, s7
	s_add_u32 s8, s16, s12
	s_addc_u32 s9, s17, s13
	v_sub_f32_e32 v2, v2, v10
	s_and_saveexec_b32 s7, vcc_lo
	s_cbranch_execnz .LBB101_57
; %bb.45:
	s_or_b32 exec_lo, exec_lo, s7
	s_and_saveexec_b32 s7, s0
	s_cbranch_execnz .LBB101_58
.LBB101_46:
	s_or_b32 exec_lo, exec_lo, s7
	s_and_saveexec_b32 s0, s1
	s_cbranch_execnz .LBB101_59
.LBB101_47:
	s_or_b32 exec_lo, exec_lo, s0
	s_and_saveexec_b32 s0, s2
	s_cbranch_execnz .LBB101_60
.LBB101_48:
	s_or_b32 exec_lo, exec_lo, s0
	s_and_saveexec_b32 s0, s3
	s_cbranch_execnz .LBB101_61
.LBB101_49:
	s_or_b32 exec_lo, exec_lo, s0
	s_and_saveexec_b32 s0, s4
	s_cbranch_execnz .LBB101_62
.LBB101_50:
	s_or_b32 exec_lo, exec_lo, s0
	s_and_saveexec_b32 s0, s5
	s_cbranch_execnz .LBB101_63
.LBB101_51:
	s_or_b32 exec_lo, exec_lo, s0
	s_and_saveexec_b32 s0, s6
	s_cbranch_execnz .LBB101_64
.LBB101_52:
	s_nop 0
	s_sendmsg sendmsg(MSG_DEALLOC_VGPRS)
	s_endpgm
.LBB101_53:
	ds_load_b32 v24, v21
	s_or_b32 exec_lo, exec_lo, s9
	v_cmp_gt_u32_e64 s9, 32, v0
	s_delay_alu instid0(VALU_DEP_1)
	s_and_saveexec_b32 s11, s9
	s_cbranch_execz .LBB101_20
.LBB101_54:
	s_waitcnt lgkmcnt(0)
	ds_bpermute_b32 v25, v2, v24
	s_waitcnt lgkmcnt(0)
	v_cmp_lt_f32_e64 s10, v24, v25
	s_delay_alu instid0(VALU_DEP_1) | instskip(SKIP_3) | instid1(VALU_DEP_1)
	v_cndmask_b32_e64 v24, v24, v25, s10
	ds_bpermute_b32 v25, v10, v24
	s_waitcnt lgkmcnt(0)
	v_cmp_lt_f32_e64 s10, v24, v25
	v_cndmask_b32_e64 v24, v24, v25, s10
	ds_bpermute_b32 v25, v11, v24
	s_waitcnt lgkmcnt(0)
	v_cmp_lt_f32_e64 s10, v24, v25
	s_delay_alu instid0(VALU_DEP_1) | instskip(SKIP_3) | instid1(VALU_DEP_1)
	v_cndmask_b32_e64 v24, v24, v25, s10
	ds_bpermute_b32 v25, v12, v24
	s_waitcnt lgkmcnt(0)
	v_cmp_lt_f32_e64 s10, v24, v25
	v_cndmask_b32_e64 v24, v24, v25, s10
	ds_bpermute_b32 v25, v13, v24
	s_waitcnt lgkmcnt(0)
	v_cmp_lt_f32_e64 s10, v24, v25
	s_delay_alu instid0(VALU_DEP_1) | instskip(SKIP_2) | instid1(VALU_DEP_1)
	v_cndmask_b32_e64 v24, v24, v25, s10
	s_or_b32 exec_lo, exec_lo, s11
	v_cmp_eq_u32_e64 s10, 0, v0
	s_and_saveexec_b32 s11, s10
	s_cbranch_execnz .LBB101_21
	s_branch .LBB101_22
.LBB101_55:
	ds_load_b32 v19, v21
	s_or_b32 exec_lo, exec_lo, s7
	s_and_saveexec_b32 s7, s9
	s_cbranch_execz .LBB101_42
.LBB101_56:
	s_waitcnt lgkmcnt(0)
	ds_bpermute_b32 v2, v2, v19
	s_waitcnt lgkmcnt(0)
	v_add_f32_e32 v2, v19, v2
	ds_bpermute_b32 v10, v10, v2
	s_waitcnt lgkmcnt(0)
	v_add_f32_e32 v2, v2, v10
	ds_bpermute_b32 v10, v11, v2
	s_waitcnt lgkmcnt(0)
	v_add_f32_e32 v2, v2, v10
	ds_bpermute_b32 v10, v12, v2
	s_waitcnt lgkmcnt(0)
	v_add_f32_e32 v2, v2, v10
	ds_bpermute_b32 v10, v13, v2
	s_waitcnt lgkmcnt(0)
	v_add_f32_e32 v19, v2, v10
	s_or_b32 exec_lo, exec_lo, s7
	s_and_saveexec_b32 s7, s10
	s_cbranch_execnz .LBB101_43
	s_branch .LBB101_44
.LBB101_57:
	s_delay_alu instid0(VALU_DEP_1) | instskip(NEXT) | instid1(VALU_DEP_1)
	v_sub_f32_e32 v0, v0, v2
	v_cvt_f16_f32_e32 v0, v0
	global_store_b16 v3, v0, s[8:9]
	s_or_b32 exec_lo, exec_lo, s7
	s_and_saveexec_b32 s7, s0
	s_cbranch_execz .LBB101_46
.LBB101_58:
	v_sub_f32_e32 v0, v22, v2
	s_delay_alu instid0(VALU_DEP_1)
	v_cvt_f16_f32_e32 v0, v0
	global_store_b16 v4, v0, s[8:9]
	s_or_b32 exec_lo, exec_lo, s7
	s_and_saveexec_b32 s0, s1
	s_cbranch_execz .LBB101_47
.LBB101_59:
	v_sub_f32_e32 v0, v20, v2
	s_delay_alu instid0(VALU_DEP_1)
	v_cvt_f16_f32_e32 v0, v0
	global_store_b16 v5, v0, s[8:9]
	s_or_b32 exec_lo, exec_lo, s0
	s_and_saveexec_b32 s0, s2
	s_cbranch_execz .LBB101_48
.LBB101_60:
	v_sub_f32_e32 v0, v18, v2
	s_delay_alu instid0(VALU_DEP_1)
	v_cvt_f16_f32_e32 v0, v0
	global_store_b16 v6, v0, s[8:9]
	s_or_b32 exec_lo, exec_lo, s0
	s_and_saveexec_b32 s0, s3
	s_cbranch_execz .LBB101_49
.LBB101_61:
	v_sub_f32_e32 v0, v17, v2
	s_delay_alu instid0(VALU_DEP_1)
	v_cvt_f16_f32_e32 v0, v0
	global_store_b16 v7, v0, s[8:9]
	s_or_b32 exec_lo, exec_lo, s0
	s_and_saveexec_b32 s0, s4
	s_cbranch_execz .LBB101_50
.LBB101_62:
	v_sub_f32_e32 v0, v16, v2
	s_delay_alu instid0(VALU_DEP_1)
	v_cvt_f16_f32_e32 v0, v0
	global_store_b16 v8, v0, s[8:9]
	s_or_b32 exec_lo, exec_lo, s0
	s_and_saveexec_b32 s0, s5
	s_cbranch_execz .LBB101_51
.LBB101_63:
	v_sub_f32_e32 v0, v15, v2
	s_delay_alu instid0(VALU_DEP_1)
	v_cvt_f16_f32_e32 v0, v0
	global_store_b16 v9, v0, s[8:9]
	s_or_b32 exec_lo, exec_lo, s0
	s_and_saveexec_b32 s0, s6
	s_cbranch_execz .LBB101_52
.LBB101_64:
	v_sub_f32_e32 v0, v14, v2
	s_delay_alu instid0(VALU_DEP_1)
	v_cvt_f16_f32_e32 v0, v0
	global_store_b16 v1, v0, s[8:9]
	s_nop 0
	s_sendmsg sendmsg(MSG_DEALLOC_VGPRS)
	s_endpgm
	.section	.rodata,"a",@progbits
	.p2align	6, 0x0
	.amdhsa_kernel _ZN2at6native12_GLOBAL__N_122cunn_SoftMaxForwardRegIN3c104HalfEfS4_NS1_25LogSoftMaxForwardEpilogueElLi8EEEvPT1_PKT_T3_
		.amdhsa_group_segment_fixed_size 0
		.amdhsa_private_segment_fixed_size 0
		.amdhsa_kernarg_size 280
		.amdhsa_user_sgpr_count 15
		.amdhsa_user_sgpr_dispatch_ptr 0
		.amdhsa_user_sgpr_queue_ptr 0
		.amdhsa_user_sgpr_kernarg_segment_ptr 1
		.amdhsa_user_sgpr_dispatch_id 0
		.amdhsa_user_sgpr_private_segment_size 0
		.amdhsa_wavefront_size32 1
		.amdhsa_uses_dynamic_stack 0
		.amdhsa_enable_private_segment 0
		.amdhsa_system_sgpr_workgroup_id_x 1
		.amdhsa_system_sgpr_workgroup_id_y 0
		.amdhsa_system_sgpr_workgroup_id_z 0
		.amdhsa_system_sgpr_workgroup_info 0
		.amdhsa_system_vgpr_workitem_id 0
		.amdhsa_next_free_vgpr 28
		.amdhsa_next_free_sgpr 20
		.amdhsa_reserve_vcc 1
		.amdhsa_float_round_mode_32 0
		.amdhsa_float_round_mode_16_64 0
		.amdhsa_float_denorm_mode_32 3
		.amdhsa_float_denorm_mode_16_64 3
		.amdhsa_dx10_clamp 1
		.amdhsa_ieee_mode 1
		.amdhsa_fp16_overflow 0
		.amdhsa_workgroup_processor_mode 1
		.amdhsa_memory_ordered 1
		.amdhsa_forward_progress 0
		.amdhsa_shared_vgpr_count 0
		.amdhsa_exception_fp_ieee_invalid_op 0
		.amdhsa_exception_fp_denorm_src 0
		.amdhsa_exception_fp_ieee_div_zero 0
		.amdhsa_exception_fp_ieee_overflow 0
		.amdhsa_exception_fp_ieee_underflow 0
		.amdhsa_exception_fp_ieee_inexact 0
		.amdhsa_exception_int_div_zero 0
	.end_amdhsa_kernel
	.section	.text._ZN2at6native12_GLOBAL__N_122cunn_SoftMaxForwardRegIN3c104HalfEfS4_NS1_25LogSoftMaxForwardEpilogueElLi8EEEvPT1_PKT_T3_,"axG",@progbits,_ZN2at6native12_GLOBAL__N_122cunn_SoftMaxForwardRegIN3c104HalfEfS4_NS1_25LogSoftMaxForwardEpilogueElLi8EEEvPT1_PKT_T3_,comdat
.Lfunc_end101:
	.size	_ZN2at6native12_GLOBAL__N_122cunn_SoftMaxForwardRegIN3c104HalfEfS4_NS1_25LogSoftMaxForwardEpilogueElLi8EEEvPT1_PKT_T3_, .Lfunc_end101-_ZN2at6native12_GLOBAL__N_122cunn_SoftMaxForwardRegIN3c104HalfEfS4_NS1_25LogSoftMaxForwardEpilogueElLi8EEEvPT1_PKT_T3_
                                        ; -- End function
	.section	.AMDGPU.csdata,"",@progbits
; Kernel info:
; codeLenInByte = 3344
; NumSgprs: 22
; NumVgprs: 28
; ScratchSize: 0
; MemoryBound: 0
; FloatMode: 240
; IeeeMode: 1
; LDSByteSize: 0 bytes/workgroup (compile time only)
; SGPRBlocks: 2
; VGPRBlocks: 3
; NumSGPRsForWavesPerEU: 22
; NumVGPRsForWavesPerEU: 28
; Occupancy: 16
; WaveLimiterHint : 0
; COMPUTE_PGM_RSRC2:SCRATCH_EN: 0
; COMPUTE_PGM_RSRC2:USER_SGPR: 15
; COMPUTE_PGM_RSRC2:TRAP_HANDLER: 0
; COMPUTE_PGM_RSRC2:TGID_X_EN: 1
; COMPUTE_PGM_RSRC2:TGID_Y_EN: 0
; COMPUTE_PGM_RSRC2:TGID_Z_EN: 0
; COMPUTE_PGM_RSRC2:TIDIG_COMP_CNT: 0
	.section	.text._ZN2at6native12_GLOBAL__N_122cunn_SoftMaxForwardRegIN3c104HalfEfS4_NS1_25LogSoftMaxForwardEpilogueElLi9EEEvPT1_PKT_T3_,"axG",@progbits,_ZN2at6native12_GLOBAL__N_122cunn_SoftMaxForwardRegIN3c104HalfEfS4_NS1_25LogSoftMaxForwardEpilogueElLi9EEEvPT1_PKT_T3_,comdat
	.globl	_ZN2at6native12_GLOBAL__N_122cunn_SoftMaxForwardRegIN3c104HalfEfS4_NS1_25LogSoftMaxForwardEpilogueElLi9EEEvPT1_PKT_T3_ ; -- Begin function _ZN2at6native12_GLOBAL__N_122cunn_SoftMaxForwardRegIN3c104HalfEfS4_NS1_25LogSoftMaxForwardEpilogueElLi9EEEvPT1_PKT_T3_
	.p2align	8
	.type	_ZN2at6native12_GLOBAL__N_122cunn_SoftMaxForwardRegIN3c104HalfEfS4_NS1_25LogSoftMaxForwardEpilogueElLi9EEEvPT1_PKT_T3_,@function
_ZN2at6native12_GLOBAL__N_122cunn_SoftMaxForwardRegIN3c104HalfEfS4_NS1_25LogSoftMaxForwardEpilogueElLi9EEEvPT1_PKT_T3_: ; @_ZN2at6native12_GLOBAL__N_122cunn_SoftMaxForwardRegIN3c104HalfEfS4_NS1_25LogSoftMaxForwardEpilogueElLi9EEEvPT1_PKT_T3_
; %bb.0:
	s_clause 0x2
	s_load_b64 s[8:9], s[0:1], 0x10
	s_load_b128 s[16:19], s[0:1], 0x0
	s_load_b32 s0, s[0:1], 0x24
	v_dual_mov_b32 v2, 0 :: v_dual_lshlrev_b32 v3, 1, v0
	v_mov_b32_e32 v12, 0xff7fffff
                                        ; implicit-def: $vgpr25
	s_delay_alu instid0(VALU_DEP_2)
	v_mov_b32_e32 v1, v2
	s_waitcnt lgkmcnt(0)
	s_mul_i32 s1, s15, s9
	s_mul_hi_u32 s3, s15, s8
	s_mul_i32 s2, s15, s8
	s_add_i32 s3, s3, s1
	v_cmp_gt_i64_e32 vcc_lo, s[8:9], v[0:1]
	s_lshl_b64 s[14:15], s[2:3], 1
	s_delay_alu instid0(SALU_CYCLE_1)
	s_add_u32 s10, s18, s14
	s_addc_u32 s11, s19, s15
	s_and_saveexec_b32 s1, vcc_lo
	s_cbranch_execz .LBB102_2
; %bb.1:
	global_load_u16 v25, v3, s[10:11]
	s_waitcnt vmcnt(0)
	v_cvt_f32_f16_e32 v1, v25
	s_delay_alu instid0(VALU_DEP_1)
	v_max_f32_e32 v12, 0xff7fffff, v1
.LBB102_2:
	s_or_b32 exec_lo, exec_lo, s1
	s_and_b32 s12, 0xffff, s0
                                        ; implicit-def: $vgpr24
	s_delay_alu instid0(SALU_CYCLE_1) | instskip(NEXT) | instid1(VALU_DEP_1)
	v_add_nc_u32_e32 v1, s12, v0
	v_cmp_gt_i64_e64 s0, s[8:9], v[1:2]
	v_lshlrev_b32_e32 v4, 1, v1
	s_delay_alu instid0(VALU_DEP_2)
	s_and_saveexec_b32 s1, s0
	s_cbranch_execz .LBB102_4
; %bb.3:
	global_load_u16 v24, v4, s[10:11]
	v_max_f32_e32 v5, v12, v12
	s_waitcnt vmcnt(0)
	v_cvt_f32_f16_e32 v2, v24
	s_delay_alu instid0(VALU_DEP_1)
	v_max_f32_e32 v12, v5, v2
.LBB102_4:
	s_or_b32 exec_lo, exec_lo, s1
	v_dual_mov_b32 v2, 0 :: v_dual_add_nc_u32 v1, s12, v1
                                        ; implicit-def: $vgpr23
	s_delay_alu instid0(VALU_DEP_1) | instskip(NEXT) | instid1(VALU_DEP_2)
	v_lshlrev_b32_e32 v5, 1, v1
	v_cmp_gt_i64_e64 s1, s[8:9], v[1:2]
	s_delay_alu instid0(VALU_DEP_1)
	s_and_saveexec_b32 s2, s1
	s_cbranch_execz .LBB102_6
; %bb.5:
	global_load_u16 v23, v5, s[10:11]
	v_max_f32_e32 v7, v12, v12
	s_waitcnt vmcnt(0)
	v_cvt_f32_f16_e32 v6, v23
	s_delay_alu instid0(VALU_DEP_1)
	v_max_f32_e32 v12, v7, v6
.LBB102_6:
	s_or_b32 exec_lo, exec_lo, s2
	v_add_nc_u32_e32 v1, s12, v1
                                        ; implicit-def: $vgpr21
	s_delay_alu instid0(VALU_DEP_1) | instskip(SKIP_1) | instid1(VALU_DEP_2)
	v_cmp_gt_i64_e64 s2, s[8:9], v[1:2]
	v_lshlrev_b32_e32 v6, 1, v1
	s_and_saveexec_b32 s3, s2
	s_cbranch_execz .LBB102_8
; %bb.7:
	global_load_u16 v21, v6, s[10:11]
	v_max_f32_e32 v7, v12, v12
	s_waitcnt vmcnt(0)
	v_cvt_f32_f16_e32 v2, v21
	s_delay_alu instid0(VALU_DEP_1)
	v_max_f32_e32 v12, v7, v2
.LBB102_8:
	s_or_b32 exec_lo, exec_lo, s3
	v_dual_mov_b32 v2, 0 :: v_dual_add_nc_u32 v1, s12, v1
                                        ; implicit-def: $vgpr19
	s_delay_alu instid0(VALU_DEP_1) | instskip(NEXT) | instid1(VALU_DEP_2)
	v_lshlrev_b32_e32 v7, 1, v1
	v_cmp_gt_i64_e64 s3, s[8:9], v[1:2]
	s_delay_alu instid0(VALU_DEP_1)
	s_and_saveexec_b32 s4, s3
	s_cbranch_execz .LBB102_10
; %bb.9:
	global_load_u16 v19, v7, s[10:11]
	v_max_f32_e32 v9, v12, v12
	s_waitcnt vmcnt(0)
	v_cvt_f32_f16_e32 v8, v19
	s_delay_alu instid0(VALU_DEP_1)
	v_max_f32_e32 v12, v9, v8
.LBB102_10:
	s_or_b32 exec_lo, exec_lo, s4
	v_add_nc_u32_e32 v1, s12, v1
                                        ; implicit-def: $vgpr18
	s_delay_alu instid0(VALU_DEP_1) | instskip(SKIP_1) | instid1(VALU_DEP_2)
	v_cmp_gt_i64_e64 s4, s[8:9], v[1:2]
	v_lshlrev_b32_e32 v8, 1, v1
	s_and_saveexec_b32 s5, s4
	s_cbranch_execz .LBB102_12
; %bb.11:
	global_load_u16 v18, v8, s[10:11]
	v_max_f32_e32 v9, v12, v12
	s_waitcnt vmcnt(0)
	v_cvt_f32_f16_e32 v2, v18
	s_delay_alu instid0(VALU_DEP_1)
	v_max_f32_e32 v12, v9, v2
.LBB102_12:
	s_or_b32 exec_lo, exec_lo, s5
	v_dual_mov_b32 v2, 0 :: v_dual_add_nc_u32 v1, s12, v1
                                        ; implicit-def: $vgpr17
	s_delay_alu instid0(VALU_DEP_1) | instskip(NEXT) | instid1(VALU_DEP_2)
	v_lshlrev_b32_e32 v9, 1, v1
	v_cmp_gt_i64_e64 s5, s[8:9], v[1:2]
	s_delay_alu instid0(VALU_DEP_1)
	s_and_saveexec_b32 s6, s5
	s_cbranch_execz .LBB102_14
; %bb.13:
	global_load_u16 v17, v9, s[10:11]
	v_max_f32_e32 v11, v12, v12
	s_waitcnt vmcnt(0)
	v_cvt_f32_f16_e32 v10, v17
	s_delay_alu instid0(VALU_DEP_1)
	v_max_f32_e32 v12, v11, v10
.LBB102_14:
	s_or_b32 exec_lo, exec_lo, s6
	v_add_nc_u32_e32 v1, s12, v1
                                        ; implicit-def: $vgpr16
	s_delay_alu instid0(VALU_DEP_1) | instskip(SKIP_1) | instid1(VALU_DEP_2)
	v_cmp_gt_i64_e64 s6, s[8:9], v[1:2]
	v_lshlrev_b32_e32 v2, 1, v1
	s_and_saveexec_b32 s7, s6
	s_cbranch_execz .LBB102_16
; %bb.15:
	global_load_u16 v16, v2, s[10:11]
	v_max_f32_e32 v11, v12, v12
	s_waitcnt vmcnt(0)
	v_cvt_f32_f16_e32 v10, v16
	s_delay_alu instid0(VALU_DEP_1)
	v_max_f32_e32 v12, v11, v10
.LBB102_16:
	s_or_b32 exec_lo, exec_lo, s7
	v_dual_mov_b32 v11, 0 :: v_dual_add_nc_u32 v10, s12, v1
                                        ; implicit-def: $vgpr15
	s_delay_alu instid0(VALU_DEP_1) | instskip(NEXT) | instid1(VALU_DEP_2)
	v_lshlrev_b32_e32 v1, 1, v10
	v_cmp_gt_i64_e64 s7, s[8:9], v[10:11]
	s_delay_alu instid0(VALU_DEP_1)
	s_and_saveexec_b32 s8, s7
	s_cbranch_execz .LBB102_18
; %bb.17:
	global_load_u16 v15, v1, s[10:11]
	v_max_f32_e32 v11, v12, v12
	s_waitcnt vmcnt(0)
	v_cvt_f32_f16_e32 v10, v15
	s_delay_alu instid0(VALU_DEP_1)
	v_max_f32_e32 v12, v11, v10
.LBB102_18:
	s_or_b32 exec_lo, exec_lo, s8
	v_mbcnt_lo_u32_b32 v14, -1, 0
	s_barrier
	buffer_gl0_inv
	v_cmp_gt_u32_e64 s8, 16, v14
	s_delay_alu instid0(VALU_DEP_1) | instskip(SKIP_1) | instid1(VALU_DEP_2)
	v_cndmask_b32_e64 v10, 0, 1, s8
	v_cmp_gt_u32_e64 s8, 24, v14
	v_lshlrev_b32_e32 v10, 4, v10
	s_delay_alu instid0(VALU_DEP_2) | instskip(NEXT) | instid1(VALU_DEP_2)
	v_cndmask_b32_e64 v11, 0, 1, s8
	v_add_lshl_u32 v10, v10, v14, 2
	s_delay_alu instid0(VALU_DEP_2) | instskip(SKIP_4) | instid1(VALU_DEP_1)
	v_lshlrev_b32_e32 v11, 3, v11
	ds_bpermute_b32 v13, v10, v12
	v_add_lshl_u32 v11, v11, v14, 2
	s_waitcnt lgkmcnt(0)
	v_cmp_lt_f32_e64 s8, v12, v13
	v_cndmask_b32_e64 v13, v12, v13, s8
	v_cmp_gt_u32_e64 s8, 28, v14
	ds_bpermute_b32 v20, v11, v13
	v_cndmask_b32_e64 v12, 0, 1, s8
	s_delay_alu instid0(VALU_DEP_1) | instskip(NEXT) | instid1(VALU_DEP_1)
	v_lshlrev_b32_e32 v12, 2, v12
	v_add_lshl_u32 v12, v12, v14, 2
	s_waitcnt lgkmcnt(0)
	v_cmp_lt_f32_e64 s8, v13, v20
	s_delay_alu instid0(VALU_DEP_1) | instskip(SKIP_3) | instid1(VALU_DEP_1)
	v_cndmask_b32_e64 v20, v13, v20, s8
	v_cmp_gt_u32_e64 s8, 30, v14
	ds_bpermute_b32 v22, v12, v20
	v_cndmask_b32_e64 v13, 0, 1, s8
	v_lshlrev_b32_e32 v13, 1, v13
	s_delay_alu instid0(VALU_DEP_1) | instskip(SKIP_2) | instid1(VALU_DEP_1)
	v_add_lshl_u32 v13, v13, v14, 2
	s_waitcnt lgkmcnt(0)
	v_cmp_lt_f32_e64 s8, v20, v22
	v_cndmask_b32_e64 v20, v20, v22, s8
	v_cmp_ne_u32_e64 s8, 31, v14
	ds_bpermute_b32 v22, v13, v20
	v_add_co_ci_u32_e64 v14, s8, 0, v14, s8
	s_delay_alu instid0(VALU_DEP_1) | instskip(SKIP_2) | instid1(VALU_DEP_1)
	v_lshlrev_b32_e32 v14, 2, v14
	s_waitcnt lgkmcnt(0)
	v_cmp_lt_f32_e64 s8, v20, v22
	v_cndmask_b32_e64 v26, v20, v22, s8
	v_and_b32_e32 v22, 31, v0
	v_lshrrev_b32_e32 v20, 3, v0
	ds_bpermute_b32 v27, v14, v26
	v_cmp_eq_u32_e64 s8, 0, v22
	s_delay_alu instid0(VALU_DEP_1) | instskip(NEXT) | instid1(SALU_CYCLE_1)
	s_and_saveexec_b32 s9, s8
	s_xor_b32 s10, exec_lo, s9
	s_cbranch_execz .LBB102_20
; %bb.19:
	s_waitcnt lgkmcnt(0)
	v_cmp_lt_f32_e64 s9, v26, v27
	v_add_nc_u32_e32 v28, 0, v20
	s_delay_alu instid0(VALU_DEP_2)
	v_cndmask_b32_e64 v26, v26, v27, s9
	ds_store_b32 v28, v26
.LBB102_20:
	s_or_b32 exec_lo, exec_lo, s10
	s_lshr_b32 s9, s12, 5
	v_mov_b32_e32 v26, 0xff7fffff
	v_cmp_gt_u32_e64 s9, s9, v0
	v_lshl_add_u32 v22, v22, 2, 0
	s_waitcnt lgkmcnt(0)
	s_barrier
	buffer_gl0_inv
	s_and_saveexec_b32 s10, s9
	s_cbranch_execnz .LBB102_58
; %bb.21:
	s_or_b32 exec_lo, exec_lo, s10
	v_cmp_gt_u32_e64 s10, 32, v0
	s_delay_alu instid0(VALU_DEP_1)
	s_and_saveexec_b32 s12, s10
	s_cbranch_execnz .LBB102_59
.LBB102_22:
	s_or_b32 exec_lo, exec_lo, s12
	v_cmp_eq_u32_e64 s11, 0, v0
	s_delay_alu instid0(VALU_DEP_1)
	s_and_saveexec_b32 s12, s11
	s_cbranch_execz .LBB102_24
.LBB102_23:
	v_mov_b32_e32 v0, 0
	s_waitcnt lgkmcnt(0)
	ds_store_b32 v0, v26
.LBB102_24:
	s_or_b32 exec_lo, exec_lo, s12
	s_waitcnt lgkmcnt(0)
	v_mov_b32_e32 v26, 0
	s_barrier
	buffer_gl0_inv
	v_cvt_f32_f16_e32 v0, v25
	ds_load_b32 v27, v26
	s_waitcnt lgkmcnt(0)
	v_sub_f32_e32 v0, v0, v27
	s_and_saveexec_b32 s13, vcc_lo
	s_cbranch_execz .LBB102_26
; %bb.25:
	s_delay_alu instid0(VALU_DEP_1) | instskip(SKIP_1) | instid1(VALU_DEP_2)
	v_mul_f32_e32 v25, 0x3fb8aa3b, v0
	v_cmp_ngt_f32_e64 s12, 0xc2ce8ed0, v0
	v_fma_f32 v26, 0x3fb8aa3b, v0, -v25
	v_rndne_f32_e32 v28, v25
	s_delay_alu instid0(VALU_DEP_1) | instskip(NEXT) | instid1(VALU_DEP_1)
	v_dual_fmamk_f32 v26, v0, 0x32a5705f, v26 :: v_dual_sub_f32 v25, v25, v28
	v_add_f32_e32 v25, v25, v26
	v_cvt_i32_f32_e32 v26, v28
	s_delay_alu instid0(VALU_DEP_2) | instskip(SKIP_2) | instid1(VALU_DEP_1)
	v_exp_f32_e32 v25, v25
	s_waitcnt_depctr 0xfff
	v_ldexp_f32 v25, v25, v26
	v_cndmask_b32_e64 v25, 0, v25, s12
	v_cmp_nlt_f32_e64 s12, 0x42b17218, v0
	s_delay_alu instid0(VALU_DEP_1)
	v_cndmask_b32_e64 v26, 0x7f800000, v25, s12
.LBB102_26:
	s_or_b32 exec_lo, exec_lo, s13
	v_cvt_f32_f16_e32 v24, v24
	s_delay_alu instid0(VALU_DEP_1)
	v_sub_f32_e32 v24, v24, v27
	s_and_saveexec_b32 s13, s0
	s_cbranch_execz .LBB102_28
; %bb.27:
	s_delay_alu instid0(VALU_DEP_1) | instskip(SKIP_1) | instid1(VALU_DEP_2)
	v_mul_f32_e32 v25, 0x3fb8aa3b, v24
	v_cmp_ngt_f32_e64 s12, 0xc2ce8ed0, v24
	v_fma_f32 v28, 0x3fb8aa3b, v24, -v25
	v_rndne_f32_e32 v29, v25
	s_delay_alu instid0(VALU_DEP_1) | instskip(NEXT) | instid1(VALU_DEP_1)
	v_dual_fmamk_f32 v28, v24, 0x32a5705f, v28 :: v_dual_sub_f32 v25, v25, v29
	v_add_f32_e32 v25, v25, v28
	v_cvt_i32_f32_e32 v28, v29
	s_delay_alu instid0(VALU_DEP_2) | instskip(SKIP_2) | instid1(VALU_DEP_1)
	v_exp_f32_e32 v25, v25
	s_waitcnt_depctr 0xfff
	v_ldexp_f32 v25, v25, v28
	v_cndmask_b32_e64 v25, 0, v25, s12
	v_cmp_nlt_f32_e64 s12, 0x42b17218, v24
	s_delay_alu instid0(VALU_DEP_1) | instskip(NEXT) | instid1(VALU_DEP_1)
	v_cndmask_b32_e64 v25, 0x7f800000, v25, s12
	v_add_f32_e32 v26, v26, v25
.LBB102_28:
	s_or_b32 exec_lo, exec_lo, s13
	v_cvt_f32_f16_e32 v23, v23
	s_delay_alu instid0(VALU_DEP_1)
	v_sub_f32_e32 v23, v23, v27
	s_and_saveexec_b32 s13, s1
	s_cbranch_execz .LBB102_30
; %bb.29:
	s_delay_alu instid0(VALU_DEP_1) | instskip(SKIP_1) | instid1(VALU_DEP_2)
	v_mul_f32_e32 v25, 0x3fb8aa3b, v23
	v_cmp_ngt_f32_e64 s12, 0xc2ce8ed0, v23
	v_fma_f32 v28, 0x3fb8aa3b, v23, -v25
	v_rndne_f32_e32 v29, v25
	s_delay_alu instid0(VALU_DEP_1) | instskip(NEXT) | instid1(VALU_DEP_1)
	v_dual_fmamk_f32 v28, v23, 0x32a5705f, v28 :: v_dual_sub_f32 v25, v25, v29
	v_add_f32_e32 v25, v25, v28
	v_cvt_i32_f32_e32 v28, v29
	s_delay_alu instid0(VALU_DEP_2) | instskip(SKIP_2) | instid1(VALU_DEP_1)
	v_exp_f32_e32 v25, v25
	s_waitcnt_depctr 0xfff
	v_ldexp_f32 v25, v25, v28
	v_cndmask_b32_e64 v25, 0, v25, s12
	v_cmp_nlt_f32_e64 s12, 0x42b17218, v23
	s_delay_alu instid0(VALU_DEP_1) | instskip(NEXT) | instid1(VALU_DEP_1)
	v_cndmask_b32_e64 v25, 0x7f800000, v25, s12
	v_add_f32_e32 v26, v26, v25
.LBB102_30:
	s_or_b32 exec_lo, exec_lo, s13
	v_cvt_f32_f16_e32 v21, v21
	s_delay_alu instid0(VALU_DEP_1)
	v_sub_f32_e32 v21, v21, v27
	s_and_saveexec_b32 s13, s2
	s_cbranch_execz .LBB102_32
; %bb.31:
	s_delay_alu instid0(VALU_DEP_1) | instskip(SKIP_1) | instid1(VALU_DEP_2)
	v_mul_f32_e32 v25, 0x3fb8aa3b, v21
	v_cmp_ngt_f32_e64 s12, 0xc2ce8ed0, v21
	v_fma_f32 v28, 0x3fb8aa3b, v21, -v25
	v_rndne_f32_e32 v29, v25
	s_delay_alu instid0(VALU_DEP_2) | instskip(NEXT) | instid1(VALU_DEP_2)
	v_fmamk_f32 v28, v21, 0x32a5705f, v28
	v_sub_f32_e32 v25, v25, v29
	s_delay_alu instid0(VALU_DEP_1) | instskip(SKIP_1) | instid1(VALU_DEP_2)
	v_add_f32_e32 v25, v25, v28
	v_cvt_i32_f32_e32 v28, v29
	v_exp_f32_e32 v25, v25
	s_waitcnt_depctr 0xfff
	v_ldexp_f32 v25, v25, v28
	s_delay_alu instid0(VALU_DEP_1) | instskip(SKIP_1) | instid1(VALU_DEP_1)
	v_cndmask_b32_e64 v25, 0, v25, s12
	v_cmp_nlt_f32_e64 s12, 0x42b17218, v21
	v_cndmask_b32_e64 v25, 0x7f800000, v25, s12
	s_delay_alu instid0(VALU_DEP_1)
	v_add_f32_e32 v26, v26, v25
.LBB102_32:
	s_or_b32 exec_lo, exec_lo, s13
	v_cvt_f32_f16_e32 v19, v19
	s_delay_alu instid0(VALU_DEP_1)
	v_sub_f32_e32 v19, v19, v27
	s_and_saveexec_b32 s13, s3
	s_cbranch_execz .LBB102_34
; %bb.33:
	s_delay_alu instid0(VALU_DEP_1) | instskip(SKIP_1) | instid1(VALU_DEP_2)
	v_mul_f32_e32 v25, 0x3fb8aa3b, v19
	v_cmp_ngt_f32_e64 s12, 0xc2ce8ed0, v19
	v_fma_f32 v28, 0x3fb8aa3b, v19, -v25
	v_rndne_f32_e32 v29, v25
	s_delay_alu instid0(VALU_DEP_1) | instskip(NEXT) | instid1(VALU_DEP_1)
	v_dual_fmamk_f32 v28, v19, 0x32a5705f, v28 :: v_dual_sub_f32 v25, v25, v29
	v_add_f32_e32 v25, v25, v28
	v_cvt_i32_f32_e32 v28, v29
	s_delay_alu instid0(VALU_DEP_2) | instskip(SKIP_2) | instid1(VALU_DEP_1)
	v_exp_f32_e32 v25, v25
	s_waitcnt_depctr 0xfff
	v_ldexp_f32 v25, v25, v28
	v_cndmask_b32_e64 v25, 0, v25, s12
	v_cmp_nlt_f32_e64 s12, 0x42b17218, v19
	s_delay_alu instid0(VALU_DEP_1) | instskip(NEXT) | instid1(VALU_DEP_1)
	v_cndmask_b32_e64 v25, 0x7f800000, v25, s12
	v_add_f32_e32 v26, v26, v25
.LBB102_34:
	s_or_b32 exec_lo, exec_lo, s13
	v_cvt_f32_f16_e32 v18, v18
	s_delay_alu instid0(VALU_DEP_1)
	v_sub_f32_e32 v18, v18, v27
	s_and_saveexec_b32 s13, s4
	s_cbranch_execz .LBB102_36
; %bb.35:
	s_delay_alu instid0(VALU_DEP_1) | instskip(SKIP_1) | instid1(VALU_DEP_2)
	v_mul_f32_e32 v25, 0x3fb8aa3b, v18
	v_cmp_ngt_f32_e64 s12, 0xc2ce8ed0, v18
	v_fma_f32 v28, 0x3fb8aa3b, v18, -v25
	v_rndne_f32_e32 v29, v25
	s_delay_alu instid0(VALU_DEP_1) | instskip(NEXT) | instid1(VALU_DEP_1)
	v_dual_fmamk_f32 v28, v18, 0x32a5705f, v28 :: v_dual_sub_f32 v25, v25, v29
	v_add_f32_e32 v25, v25, v28
	v_cvt_i32_f32_e32 v28, v29
	s_delay_alu instid0(VALU_DEP_2) | instskip(SKIP_2) | instid1(VALU_DEP_1)
	v_exp_f32_e32 v25, v25
	s_waitcnt_depctr 0xfff
	v_ldexp_f32 v25, v25, v28
	v_cndmask_b32_e64 v25, 0, v25, s12
	v_cmp_nlt_f32_e64 s12, 0x42b17218, v18
	s_delay_alu instid0(VALU_DEP_1) | instskip(NEXT) | instid1(VALU_DEP_1)
	v_cndmask_b32_e64 v25, 0x7f800000, v25, s12
	v_add_f32_e32 v26, v26, v25
.LBB102_36:
	s_or_b32 exec_lo, exec_lo, s13
	v_cvt_f32_f16_e32 v17, v17
	s_delay_alu instid0(VALU_DEP_1)
	v_sub_f32_e32 v17, v17, v27
	s_and_saveexec_b32 s13, s5
	s_cbranch_execz .LBB102_38
; %bb.37:
	s_delay_alu instid0(VALU_DEP_1) | instskip(SKIP_1) | instid1(VALU_DEP_2)
	v_mul_f32_e32 v25, 0x3fb8aa3b, v17
	v_cmp_ngt_f32_e64 s12, 0xc2ce8ed0, v17
	v_fma_f32 v28, 0x3fb8aa3b, v17, -v25
	v_rndne_f32_e32 v29, v25
	s_delay_alu instid0(VALU_DEP_2) | instskip(NEXT) | instid1(VALU_DEP_2)
	v_fmamk_f32 v28, v17, 0x32a5705f, v28
	v_sub_f32_e32 v25, v25, v29
	s_delay_alu instid0(VALU_DEP_1) | instskip(SKIP_1) | instid1(VALU_DEP_2)
	v_add_f32_e32 v25, v25, v28
	v_cvt_i32_f32_e32 v28, v29
	v_exp_f32_e32 v25, v25
	s_waitcnt_depctr 0xfff
	v_ldexp_f32 v25, v25, v28
	s_delay_alu instid0(VALU_DEP_1) | instskip(SKIP_1) | instid1(VALU_DEP_1)
	v_cndmask_b32_e64 v25, 0, v25, s12
	v_cmp_nlt_f32_e64 s12, 0x42b17218, v17
	v_cndmask_b32_e64 v25, 0x7f800000, v25, s12
	s_delay_alu instid0(VALU_DEP_1)
	v_add_f32_e32 v26, v26, v25
.LBB102_38:
	s_or_b32 exec_lo, exec_lo, s13
	v_cvt_f32_f16_e32 v16, v16
	s_delay_alu instid0(VALU_DEP_1)
	v_sub_f32_e32 v16, v16, v27
	s_and_saveexec_b32 s13, s6
	s_cbranch_execz .LBB102_40
; %bb.39:
	s_delay_alu instid0(VALU_DEP_1) | instskip(SKIP_1) | instid1(VALU_DEP_2)
	v_mul_f32_e32 v25, 0x3fb8aa3b, v16
	v_cmp_ngt_f32_e64 s12, 0xc2ce8ed0, v16
	v_fma_f32 v28, 0x3fb8aa3b, v16, -v25
	v_rndne_f32_e32 v29, v25
	s_delay_alu instid0(VALU_DEP_1) | instskip(NEXT) | instid1(VALU_DEP_1)
	v_dual_fmamk_f32 v28, v16, 0x32a5705f, v28 :: v_dual_sub_f32 v25, v25, v29
	v_add_f32_e32 v25, v25, v28
	v_cvt_i32_f32_e32 v28, v29
	s_delay_alu instid0(VALU_DEP_2) | instskip(SKIP_2) | instid1(VALU_DEP_1)
	v_exp_f32_e32 v25, v25
	s_waitcnt_depctr 0xfff
	v_ldexp_f32 v25, v25, v28
	v_cndmask_b32_e64 v25, 0, v25, s12
	v_cmp_nlt_f32_e64 s12, 0x42b17218, v16
	s_delay_alu instid0(VALU_DEP_1) | instskip(NEXT) | instid1(VALU_DEP_1)
	v_cndmask_b32_e64 v25, 0x7f800000, v25, s12
	v_add_f32_e32 v26, v26, v25
.LBB102_40:
	s_or_b32 exec_lo, exec_lo, s13
	v_cvt_f32_f16_e32 v15, v15
	s_delay_alu instid0(VALU_DEP_1)
	v_sub_f32_e32 v15, v15, v27
	s_and_saveexec_b32 s13, s7
	s_cbranch_execz .LBB102_42
; %bb.41:
	s_delay_alu instid0(VALU_DEP_1) | instskip(SKIP_1) | instid1(VALU_DEP_2)
	v_mul_f32_e32 v25, 0x3fb8aa3b, v15
	v_cmp_ngt_f32_e64 s12, 0xc2ce8ed0, v15
	v_fma_f32 v27, 0x3fb8aa3b, v15, -v25
	v_rndne_f32_e32 v28, v25
	s_delay_alu instid0(VALU_DEP_2) | instskip(NEXT) | instid1(VALU_DEP_2)
	v_fmamk_f32 v27, v15, 0x32a5705f, v27
	v_sub_f32_e32 v25, v25, v28
	s_delay_alu instid0(VALU_DEP_1) | instskip(SKIP_1) | instid1(VALU_DEP_2)
	v_add_f32_e32 v25, v25, v27
	v_cvt_i32_f32_e32 v27, v28
	v_exp_f32_e32 v25, v25
	s_waitcnt_depctr 0xfff
	v_ldexp_f32 v25, v25, v27
	s_delay_alu instid0(VALU_DEP_1) | instskip(SKIP_1) | instid1(VALU_DEP_1)
	v_cndmask_b32_e64 v25, 0, v25, s12
	v_cmp_nlt_f32_e64 s12, 0x42b17218, v15
	v_cndmask_b32_e64 v25, 0x7f800000, v25, s12
	s_delay_alu instid0(VALU_DEP_1)
	v_add_f32_e32 v26, v26, v25
.LBB102_42:
	s_or_b32 exec_lo, exec_lo, s13
	ds_bpermute_b32 v25, v10, v26
	s_waitcnt lgkmcnt(0)
	s_barrier
	buffer_gl0_inv
	v_add_f32_e32 v25, v26, v25
	ds_bpermute_b32 v26, v11, v25
	s_waitcnt lgkmcnt(0)
	v_add_f32_e32 v25, v25, v26
	ds_bpermute_b32 v26, v12, v25
	s_waitcnt lgkmcnt(0)
	;; [unrolled: 3-line block ×3, first 2 shown]
	v_add_f32_e32 v25, v25, v26
	ds_bpermute_b32 v26, v14, v25
	s_and_saveexec_b32 s12, s8
	s_delay_alu instid0(SALU_CYCLE_1)
	s_xor_b32 s8, exec_lo, s12
	s_cbranch_execz .LBB102_44
; %bb.43:
	s_waitcnt lgkmcnt(0)
	v_dual_add_f32 v25, v25, v26 :: v_dual_add_nc_u32 v20, 0, v20
	ds_store_b32 v20, v25
.LBB102_44:
	s_or_b32 exec_lo, exec_lo, s8
	v_mov_b32_e32 v20, 0
	s_waitcnt lgkmcnt(0)
	s_barrier
	buffer_gl0_inv
	s_and_saveexec_b32 s8, s9
	s_cbranch_execnz .LBB102_60
; %bb.45:
	s_or_b32 exec_lo, exec_lo, s8
	s_and_saveexec_b32 s8, s10
	s_cbranch_execnz .LBB102_61
.LBB102_46:
	s_or_b32 exec_lo, exec_lo, s8
	s_and_saveexec_b32 s8, s11
	s_cbranch_execz .LBB102_48
.LBB102_47:
	v_mov_b32_e32 v10, 0
	s_waitcnt lgkmcnt(0)
	ds_store_b32 v10, v20
.LBB102_48:
	s_or_b32 exec_lo, exec_lo, s8
	v_mov_b32_e32 v10, 0
	s_waitcnt lgkmcnt(0)
	s_barrier
	buffer_gl0_inv
	ds_load_b32 v10, v10
	s_waitcnt lgkmcnt(0)
	v_cmp_gt_f32_e64 s8, 0x800000, v10
	s_delay_alu instid0(VALU_DEP_1) | instskip(NEXT) | instid1(VALU_DEP_1)
	v_cndmask_b32_e64 v11, 1.0, 0x4f800000, s8
	v_mul_f32_e32 v10, v10, v11
	s_delay_alu instid0(VALU_DEP_1) | instskip(SKIP_3) | instid1(VALU_DEP_2)
	v_log_f32_e32 v10, v10
	s_waitcnt_depctr 0xfff
	v_mul_f32_e32 v11, 0x3f317217, v10
	v_cmp_gt_f32_e64 s9, 0x7f800000, |v10|
	v_fma_f32 v12, 0x3f317217, v10, -v11
	s_delay_alu instid0(VALU_DEP_1) | instskip(NEXT) | instid1(VALU_DEP_1)
	v_fmamk_f32 v12, v10, 0x3377d1cf, v12
	v_add_f32_e32 v11, v11, v12
	s_delay_alu instid0(VALU_DEP_1) | instskip(SKIP_3) | instid1(VALU_DEP_1)
	v_cndmask_b32_e64 v10, v10, v11, s9
	v_cndmask_b32_e64 v11, 0, 0x41b17218, s8
	s_add_u32 s8, s16, s14
	s_addc_u32 s9, s17, s15
	v_sub_f32_e32 v10, v10, v11
	s_and_saveexec_b32 s10, vcc_lo
	s_cbranch_execnz .LBB102_62
; %bb.49:
	s_or_b32 exec_lo, exec_lo, s10
	s_and_saveexec_b32 s10, s0
	s_cbranch_execnz .LBB102_63
.LBB102_50:
	s_or_b32 exec_lo, exec_lo, s10
	s_and_saveexec_b32 s0, s1
	s_cbranch_execnz .LBB102_64
.LBB102_51:
	s_or_b32 exec_lo, exec_lo, s0
	s_and_saveexec_b32 s0, s2
	s_cbranch_execnz .LBB102_65
.LBB102_52:
	s_or_b32 exec_lo, exec_lo, s0
	s_and_saveexec_b32 s0, s3
	s_cbranch_execnz .LBB102_66
.LBB102_53:
	s_or_b32 exec_lo, exec_lo, s0
	s_and_saveexec_b32 s0, s4
	s_cbranch_execnz .LBB102_67
.LBB102_54:
	s_or_b32 exec_lo, exec_lo, s0
	s_and_saveexec_b32 s0, s5
	s_cbranch_execnz .LBB102_68
.LBB102_55:
	s_or_b32 exec_lo, exec_lo, s0
	s_and_saveexec_b32 s0, s6
	s_cbranch_execnz .LBB102_69
.LBB102_56:
	s_or_b32 exec_lo, exec_lo, s0
	s_and_saveexec_b32 s0, s7
	s_cbranch_execnz .LBB102_70
.LBB102_57:
	s_nop 0
	s_sendmsg sendmsg(MSG_DEALLOC_VGPRS)
	s_endpgm
.LBB102_58:
	ds_load_b32 v26, v22
	s_or_b32 exec_lo, exec_lo, s10
	v_cmp_gt_u32_e64 s10, 32, v0
	s_delay_alu instid0(VALU_DEP_1)
	s_and_saveexec_b32 s12, s10
	s_cbranch_execz .LBB102_22
.LBB102_59:
	s_waitcnt lgkmcnt(0)
	ds_bpermute_b32 v27, v10, v26
	s_waitcnt lgkmcnt(0)
	v_cmp_lt_f32_e64 s11, v26, v27
	s_delay_alu instid0(VALU_DEP_1) | instskip(SKIP_3) | instid1(VALU_DEP_1)
	v_cndmask_b32_e64 v26, v26, v27, s11
	ds_bpermute_b32 v27, v11, v26
	s_waitcnt lgkmcnt(0)
	v_cmp_lt_f32_e64 s11, v26, v27
	v_cndmask_b32_e64 v26, v26, v27, s11
	ds_bpermute_b32 v27, v12, v26
	s_waitcnt lgkmcnt(0)
	v_cmp_lt_f32_e64 s11, v26, v27
	s_delay_alu instid0(VALU_DEP_1) | instskip(SKIP_3) | instid1(VALU_DEP_1)
	v_cndmask_b32_e64 v26, v26, v27, s11
	ds_bpermute_b32 v27, v13, v26
	s_waitcnt lgkmcnt(0)
	v_cmp_lt_f32_e64 s11, v26, v27
	v_cndmask_b32_e64 v26, v26, v27, s11
	ds_bpermute_b32 v27, v14, v26
	s_waitcnt lgkmcnt(0)
	v_cmp_lt_f32_e64 s11, v26, v27
	s_delay_alu instid0(VALU_DEP_1) | instskip(SKIP_2) | instid1(VALU_DEP_1)
	v_cndmask_b32_e64 v26, v26, v27, s11
	s_or_b32 exec_lo, exec_lo, s12
	v_cmp_eq_u32_e64 s11, 0, v0
	s_and_saveexec_b32 s12, s11
	s_cbranch_execnz .LBB102_23
	s_branch .LBB102_24
.LBB102_60:
	ds_load_b32 v20, v22
	s_or_b32 exec_lo, exec_lo, s8
	s_and_saveexec_b32 s8, s10
	s_cbranch_execz .LBB102_46
.LBB102_61:
	s_waitcnt lgkmcnt(0)
	ds_bpermute_b32 v10, v10, v20
	s_waitcnt lgkmcnt(0)
	v_add_f32_e32 v10, v20, v10
	ds_bpermute_b32 v11, v11, v10
	s_waitcnt lgkmcnt(0)
	v_add_f32_e32 v10, v10, v11
	;; [unrolled: 3-line block ×5, first 2 shown]
	s_or_b32 exec_lo, exec_lo, s8
	s_and_saveexec_b32 s8, s11
	s_cbranch_execnz .LBB102_47
	s_branch .LBB102_48
.LBB102_62:
	s_delay_alu instid0(VALU_DEP_1) | instskip(NEXT) | instid1(VALU_DEP_1)
	v_sub_f32_e32 v0, v0, v10
	v_cvt_f16_f32_e32 v0, v0
	global_store_b16 v3, v0, s[8:9]
	s_or_b32 exec_lo, exec_lo, s10
	s_and_saveexec_b32 s10, s0
	s_cbranch_execz .LBB102_50
.LBB102_63:
	v_sub_f32_e32 v0, v24, v10
	s_delay_alu instid0(VALU_DEP_1)
	v_cvt_f16_f32_e32 v0, v0
	global_store_b16 v4, v0, s[8:9]
	s_or_b32 exec_lo, exec_lo, s10
	s_and_saveexec_b32 s0, s1
	s_cbranch_execz .LBB102_51
.LBB102_64:
	v_sub_f32_e32 v0, v23, v10
	s_delay_alu instid0(VALU_DEP_1)
	v_cvt_f16_f32_e32 v0, v0
	global_store_b16 v5, v0, s[8:9]
	s_or_b32 exec_lo, exec_lo, s0
	s_and_saveexec_b32 s0, s2
	s_cbranch_execz .LBB102_52
.LBB102_65:
	v_sub_f32_e32 v0, v21, v10
	s_delay_alu instid0(VALU_DEP_1)
	v_cvt_f16_f32_e32 v0, v0
	global_store_b16 v6, v0, s[8:9]
	s_or_b32 exec_lo, exec_lo, s0
	s_and_saveexec_b32 s0, s3
	s_cbranch_execz .LBB102_53
.LBB102_66:
	v_sub_f32_e32 v0, v19, v10
	s_delay_alu instid0(VALU_DEP_1)
	v_cvt_f16_f32_e32 v0, v0
	global_store_b16 v7, v0, s[8:9]
	s_or_b32 exec_lo, exec_lo, s0
	s_and_saveexec_b32 s0, s4
	s_cbranch_execz .LBB102_54
.LBB102_67:
	v_sub_f32_e32 v0, v18, v10
	s_delay_alu instid0(VALU_DEP_1)
	v_cvt_f16_f32_e32 v0, v0
	global_store_b16 v8, v0, s[8:9]
	s_or_b32 exec_lo, exec_lo, s0
	s_and_saveexec_b32 s0, s5
	s_cbranch_execz .LBB102_55
.LBB102_68:
	v_sub_f32_e32 v0, v17, v10
	s_delay_alu instid0(VALU_DEP_1)
	v_cvt_f16_f32_e32 v0, v0
	global_store_b16 v9, v0, s[8:9]
	s_or_b32 exec_lo, exec_lo, s0
	s_and_saveexec_b32 s0, s6
	s_cbranch_execz .LBB102_56
.LBB102_69:
	v_sub_f32_e32 v0, v16, v10
	s_delay_alu instid0(VALU_DEP_1)
	v_cvt_f16_f32_e32 v0, v0
	global_store_b16 v2, v0, s[8:9]
	s_or_b32 exec_lo, exec_lo, s0
	s_and_saveexec_b32 s0, s7
	s_cbranch_execz .LBB102_57
.LBB102_70:
	v_sub_f32_e32 v0, v15, v10
	s_delay_alu instid0(VALU_DEP_1)
	v_cvt_f16_f32_e32 v0, v0
	global_store_b16 v1, v0, s[8:9]
	s_nop 0
	s_sendmsg sendmsg(MSG_DEALLOC_VGPRS)
	s_endpgm
	.section	.rodata,"a",@progbits
	.p2align	6, 0x0
	.amdhsa_kernel _ZN2at6native12_GLOBAL__N_122cunn_SoftMaxForwardRegIN3c104HalfEfS4_NS1_25LogSoftMaxForwardEpilogueElLi9EEEvPT1_PKT_T3_
		.amdhsa_group_segment_fixed_size 0
		.amdhsa_private_segment_fixed_size 0
		.amdhsa_kernarg_size 280
		.amdhsa_user_sgpr_count 15
		.amdhsa_user_sgpr_dispatch_ptr 0
		.amdhsa_user_sgpr_queue_ptr 0
		.amdhsa_user_sgpr_kernarg_segment_ptr 1
		.amdhsa_user_sgpr_dispatch_id 0
		.amdhsa_user_sgpr_private_segment_size 0
		.amdhsa_wavefront_size32 1
		.amdhsa_uses_dynamic_stack 0
		.amdhsa_enable_private_segment 0
		.amdhsa_system_sgpr_workgroup_id_x 1
		.amdhsa_system_sgpr_workgroup_id_y 0
		.amdhsa_system_sgpr_workgroup_id_z 0
		.amdhsa_system_sgpr_workgroup_info 0
		.amdhsa_system_vgpr_workitem_id 0
		.amdhsa_next_free_vgpr 30
		.amdhsa_next_free_sgpr 20
		.amdhsa_reserve_vcc 1
		.amdhsa_float_round_mode_32 0
		.amdhsa_float_round_mode_16_64 0
		.amdhsa_float_denorm_mode_32 3
		.amdhsa_float_denorm_mode_16_64 3
		.amdhsa_dx10_clamp 1
		.amdhsa_ieee_mode 1
		.amdhsa_fp16_overflow 0
		.amdhsa_workgroup_processor_mode 1
		.amdhsa_memory_ordered 1
		.amdhsa_forward_progress 0
		.amdhsa_shared_vgpr_count 0
		.amdhsa_exception_fp_ieee_invalid_op 0
		.amdhsa_exception_fp_denorm_src 0
		.amdhsa_exception_fp_ieee_div_zero 0
		.amdhsa_exception_fp_ieee_overflow 0
		.amdhsa_exception_fp_ieee_underflow 0
		.amdhsa_exception_fp_ieee_inexact 0
		.amdhsa_exception_int_div_zero 0
	.end_amdhsa_kernel
	.section	.text._ZN2at6native12_GLOBAL__N_122cunn_SoftMaxForwardRegIN3c104HalfEfS4_NS1_25LogSoftMaxForwardEpilogueElLi9EEEvPT1_PKT_T3_,"axG",@progbits,_ZN2at6native12_GLOBAL__N_122cunn_SoftMaxForwardRegIN3c104HalfEfS4_NS1_25LogSoftMaxForwardEpilogueElLi9EEEvPT1_PKT_T3_,comdat
.Lfunc_end102:
	.size	_ZN2at6native12_GLOBAL__N_122cunn_SoftMaxForwardRegIN3c104HalfEfS4_NS1_25LogSoftMaxForwardEpilogueElLi9EEEvPT1_PKT_T3_, .Lfunc_end102-_ZN2at6native12_GLOBAL__N_122cunn_SoftMaxForwardRegIN3c104HalfEfS4_NS1_25LogSoftMaxForwardEpilogueElLi9EEEvPT1_PKT_T3_
                                        ; -- End function
	.section	.AMDGPU.csdata,"",@progbits
; Kernel info:
; codeLenInByte = 3608
; NumSgprs: 22
; NumVgprs: 30
; ScratchSize: 0
; MemoryBound: 0
; FloatMode: 240
; IeeeMode: 1
; LDSByteSize: 0 bytes/workgroup (compile time only)
; SGPRBlocks: 2
; VGPRBlocks: 3
; NumSGPRsForWavesPerEU: 22
; NumVGPRsForWavesPerEU: 30
; Occupancy: 16
; WaveLimiterHint : 0
; COMPUTE_PGM_RSRC2:SCRATCH_EN: 0
; COMPUTE_PGM_RSRC2:USER_SGPR: 15
; COMPUTE_PGM_RSRC2:TRAP_HANDLER: 0
; COMPUTE_PGM_RSRC2:TGID_X_EN: 1
; COMPUTE_PGM_RSRC2:TGID_Y_EN: 0
; COMPUTE_PGM_RSRC2:TGID_Z_EN: 0
; COMPUTE_PGM_RSRC2:TIDIG_COMP_CNT: 0
	.section	.text._ZN2at6native12_GLOBAL__N_123cunn_SoftMaxForwardSmemILi8EN3c104HalfEfS4_NS1_25LogSoftMaxForwardEpilogueElEEvPT2_PKT0_T4_,"axG",@progbits,_ZN2at6native12_GLOBAL__N_123cunn_SoftMaxForwardSmemILi8EN3c104HalfEfS4_NS1_25LogSoftMaxForwardEpilogueElEEvPT2_PKT0_T4_,comdat
	.globl	_ZN2at6native12_GLOBAL__N_123cunn_SoftMaxForwardSmemILi8EN3c104HalfEfS4_NS1_25LogSoftMaxForwardEpilogueElEEvPT2_PKT0_T4_ ; -- Begin function _ZN2at6native12_GLOBAL__N_123cunn_SoftMaxForwardSmemILi8EN3c104HalfEfS4_NS1_25LogSoftMaxForwardEpilogueElEEvPT2_PKT0_T4_
	.p2align	8
	.type	_ZN2at6native12_GLOBAL__N_123cunn_SoftMaxForwardSmemILi8EN3c104HalfEfS4_NS1_25LogSoftMaxForwardEpilogueElEEvPT2_PKT0_T4_,@function
_ZN2at6native12_GLOBAL__N_123cunn_SoftMaxForwardSmemILi8EN3c104HalfEfS4_NS1_25LogSoftMaxForwardEpilogueElEEvPT2_PKT0_T4_: ; @_ZN2at6native12_GLOBAL__N_123cunn_SoftMaxForwardSmemILi8EN3c104HalfEfS4_NS1_25LogSoftMaxForwardEpilogueElEEvPT2_PKT0_T4_
; %bb.0:
	s_clause 0x1
	s_load_b64 s[10:11], s[0:1], 0x10
	s_load_b128 s[16:19], s[0:1], 0x0
	v_dual_mov_b32 v1, 0 :: v_dual_lshlrev_b32 v2, 3, v0
	v_lshlrev_b32_e32 v6, 4, v0
	s_mov_b32 s4, 0
	s_delay_alu instid0(VALU_DEP_2) | instskip(SKIP_1) | instid1(VALU_DEP_1)
	v_dual_mov_b32 v8, 0xff7fffff :: v_dual_mov_b32 v3, v1
	s_waitcnt lgkmcnt(0)
	v_cmp_gt_i64_e32 vcc_lo, s[10:11], v[2:3]
	s_mul_i32 s9, s11, s15
	s_mul_hi_u32 s14, s10, s15
	s_mul_i32 s12, s10, s15
	s_and_saveexec_b32 s5, vcc_lo
	s_cbranch_execz .LBB103_4
; %bb.1:
	s_load_b32 s2, s[0:1], 0x24
	s_add_i32 s13, s14, s9
	v_dual_mov_b32 v8, 0xff7fffff :: v_dual_add_nc_u32 v7, 0, v6
	v_dual_mov_b32 v5, v1 :: v_dual_mov_b32 v4, v0
	s_waitcnt lgkmcnt(0)
	s_and_b32 s6, s2, 0xffff
	s_lshl_b64 s[2:3], s[12:13], 1
	s_lshl_b32 s7, s6, 4
	s_add_u32 s2, s18, s2
	s_addc_u32 s3, s19, s3
	v_add_co_u32 v2, s2, s2, v6
	s_delay_alu instid0(VALU_DEP_1) | instskip(NEXT) | instid1(VALU_DEP_2)
	v_add_co_ci_u32_e64 v3, null, s3, 0, s2
	v_add_co_u32 v2, s2, v2, 8
	s_delay_alu instid0(VALU_DEP_1)
	v_add_co_ci_u32_e64 v3, s2, 0, v3, s2
	s_set_inst_prefetch_distance 0x1
	.p2align	6
.LBB103_2:                              ; =>This Inner Loop Header: Depth=1
	global_load_b128 v[9:12], v[2:3], off offset:-8
	v_add_co_u32 v4, s2, v4, s6
	s_delay_alu instid0(VALU_DEP_1) | instskip(SKIP_1) | instid1(VALU_DEP_1)
	v_add_co_ci_u32_e64 v5, s2, 0, v5, s2
	v_add_co_u32 v2, s2, v2, s7
	v_add_co_ci_u32_e64 v3, s2, 0, v3, s2
	s_delay_alu instid0(VALU_DEP_3) | instskip(NEXT) | instid1(VALU_DEP_1)
	v_lshlrev_b64 v[13:14], 3, v[4:5]
	v_cmp_le_i64_e64 s3, s[10:11], v[13:14]
	s_delay_alu instid0(VALU_DEP_1)
	s_or_b32 s4, s3, s4
	s_waitcnt vmcnt(0)
	v_lshrrev_b32_e32 v15, 16, v9
	v_lshrrev_b32_e32 v16, 16, v10
	v_cvt_f32_f16_e32 v17, v9
	v_lshrrev_b32_e32 v18, 16, v11
	v_cvt_f32_f16_e32 v19, v10
	v_cvt_f32_f16_e32 v15, v15
	;; [unrolled: 1-line block ×5, first 2 shown]
	ds_store_b128 v7, v[9:12]
	v_max3_f32 v8, v8, v17, v15
	v_lshrrev_b32_e32 v15, 16, v12
	v_cvt_f32_f16_e32 v17, v11
	v_add_nc_u32_e32 v7, s7, v7
	s_delay_alu instid0(VALU_DEP_4) | instskip(NEXT) | instid1(VALU_DEP_4)
	v_max3_f32 v8, v8, v19, v16
	v_cvt_f32_f16_e32 v14, v15
	s_delay_alu instid0(VALU_DEP_2) | instskip(NEXT) | instid1(VALU_DEP_1)
	v_max3_f32 v8, v8, v17, v18
	v_max3_f32 v8, v8, v13, v14
	s_and_not1_b32 exec_lo, exec_lo, s4
	s_cbranch_execnz .LBB103_2
; %bb.3:
	s_set_inst_prefetch_distance 0x2
	s_or_b32 exec_lo, exec_lo, s4
.LBB103_4:
	s_delay_alu instid0(SALU_CYCLE_1)
	s_or_b32 exec_lo, exec_lo, s5
	v_mbcnt_lo_u32_b32 v2, -1, 0
	v_lshrrev_b32_e32 v11, 3, v0
	s_lshl_b32 s3, s10, 1
	s_waitcnt lgkmcnt(0)
	s_add_i32 s13, s3, 0
	v_cmp_gt_u32_e64 s2, 16, v2
	s_barrier
	buffer_gl0_inv
	v_cndmask_b32_e64 v3, 0, 1, s2
	v_cmp_gt_u32_e64 s2, 24, v2
	s_delay_alu instid0(VALU_DEP_2) | instskip(NEXT) | instid1(VALU_DEP_2)
	v_lshlrev_b32_e32 v3, 4, v3
	v_cndmask_b32_e64 v4, 0, 1, s2
	s_delay_alu instid0(VALU_DEP_2) | instskip(NEXT) | instid1(VALU_DEP_2)
	v_add_lshl_u32 v5, v3, v2, 2
	v_lshlrev_b32_e32 v4, 3, v4
	ds_bpermute_b32 v3, v5, v8
	v_add_lshl_u32 v7, v4, v2, 2
	s_waitcnt lgkmcnt(0)
	v_cmp_lt_f32_e64 s2, v8, v3
	s_delay_alu instid0(VALU_DEP_1) | instskip(SKIP_3) | instid1(VALU_DEP_1)
	v_cndmask_b32_e64 v3, v8, v3, s2
	v_cmp_gt_u32_e64 s2, 28, v2
	ds_bpermute_b32 v4, v7, v3
	v_cndmask_b32_e64 v8, 0, 1, s2
	v_lshlrev_b32_e32 v8, 2, v8
	s_delay_alu instid0(VALU_DEP_1) | instskip(SKIP_2) | instid1(VALU_DEP_1)
	v_add_lshl_u32 v8, v8, v2, 2
	s_waitcnt lgkmcnt(0)
	v_cmp_lt_f32_e64 s2, v3, v4
	v_cndmask_b32_e64 v3, v3, v4, s2
	v_cmp_gt_u32_e64 s2, 30, v2
	ds_bpermute_b32 v4, v8, v3
	v_cndmask_b32_e64 v9, 0, 1, s2
	s_delay_alu instid0(VALU_DEP_1) | instskip(NEXT) | instid1(VALU_DEP_1)
	v_lshlrev_b32_e32 v9, 1, v9
	v_add_lshl_u32 v9, v9, v2, 2
	s_waitcnt lgkmcnt(0)
	v_cmp_lt_f32_e64 s2, v3, v4
	s_delay_alu instid0(VALU_DEP_1) | instskip(SKIP_3) | instid1(VALU_DEP_1)
	v_cndmask_b32_e64 v3, v3, v4, s2
	v_cmp_ne_u32_e64 s2, 31, v2
	ds_bpermute_b32 v4, v9, v3
	v_add_co_ci_u32_e64 v10, s2, 0, v2, s2
	v_lshlrev_b32_e32 v10, 2, v10
	s_waitcnt lgkmcnt(0)
	v_cmp_lt_f32_e64 s2, v3, v4
	s_delay_alu instid0(VALU_DEP_1) | instskip(SKIP_3) | instid1(VALU_DEP_1)
	v_cndmask_b32_e64 v2, v3, v4, s2
	v_and_b32_e32 v3, 31, v0
	ds_bpermute_b32 v4, v10, v2
	v_cmp_eq_u32_e64 s2, 0, v3
	s_and_saveexec_b32 s4, s2
	s_cbranch_execz .LBB103_6
; %bb.5:
	s_waitcnt lgkmcnt(0)
	v_cmp_lt_f32_e64 s3, v2, v4
	v_add_nc_u32_e32 v12, s13, v11
	s_delay_alu instid0(VALU_DEP_2)
	v_cndmask_b32_e64 v2, v2, v4, s3
	ds_store_b32 v12, v2
.LBB103_6:
	s_or_b32 exec_lo, exec_lo, s4
	s_waitcnt lgkmcnt(0)
	s_barrier
	buffer_gl0_inv
	s_load_b32 s4, s[0:1], 0x24
	v_mov_b32_e32 v2, 0xff7fffff
	v_lshl_add_u32 v12, v3, 2, s13
	s_waitcnt lgkmcnt(0)
	s_bfe_u32 s0, s4, 0xb0005
	s_delay_alu instid0(SALU_CYCLE_1) | instskip(NEXT) | instid1(VALU_DEP_1)
	v_cmp_gt_u32_e64 s0, s0, v0
	s_and_saveexec_b32 s1, s0
	s_cbranch_execnz .LBB103_24
; %bb.7:
	s_or_b32 exec_lo, exec_lo, s1
	v_cmp_gt_u32_e64 s1, 32, v0
	s_delay_alu instid0(VALU_DEP_1)
	s_and_saveexec_b32 s5, s1
	s_cbranch_execnz .LBB103_25
.LBB103_8:
	s_or_b32 exec_lo, exec_lo, s5
	v_cmp_eq_u32_e64 s3, 0, v0
	s_delay_alu instid0(VALU_DEP_1)
	s_and_saveexec_b32 s5, s3
	s_cbranch_execz .LBB103_10
.LBB103_9:
	v_mov_b32_e32 v3, s13
	s_waitcnt lgkmcnt(0)
	ds_store_b32 v3, v2
.LBB103_10:
	s_or_b32 exec_lo, exec_lo, s5
	s_waitcnt lgkmcnt(0)
	v_mov_b32_e32 v2, s13
	s_barrier
	buffer_gl0_inv
	v_mov_b32_e32 v14, 0
	ds_load_b32 v4, v2
	s_and_b32 s15, s4, 0xffff
	s_and_saveexec_b32 s18, vcc_lo
	s_cbranch_execz .LBB103_14
; %bb.11:
	v_dual_mov_b32 v14, 0 :: v_dual_mov_b32 v3, v1
	v_lshl_add_u32 v13, v0, 4, 0
	v_mov_b32_e32 v2, v0
	s_mov_b32 s19, 0
	s_lshl_b32 s20, s15, 4
.LBB103_12:                             ; =>This Inner Loop Header: Depth=1
	ds_load_b128 v[15:18], v13
	v_add_co_u32 v2, s4, v2, s15
	s_delay_alu instid0(VALU_DEP_1) | instskip(SKIP_1) | instid1(VALU_DEP_2)
	v_add_co_ci_u32_e64 v3, s4, 0, v3, s4
	v_add_nc_u32_e32 v13, s20, v13
	v_lshlrev_b64 v[19:20], 3, v[2:3]
	s_waitcnt lgkmcnt(0)
	v_lshrrev_b32_e32 v23, 16, v17
	v_lshrrev_b32_e32 v22, 16, v16
	v_cvt_f32_f16_e32 v17, v17
	v_lshrrev_b32_e32 v21, 16, v15
	v_cvt_f32_f16_e32 v15, v15
	v_cvt_f32_f16_e32 v23, v23
	;; [unrolled: 1-line block ×3, first 2 shown]
	v_lshrrev_b32_e32 v24, 16, v18
	v_cvt_f32_f16_e32 v18, v18
	v_cvt_f32_f16_e32 v16, v16
	v_sub_f32_e32 v23, v23, v4
	v_sub_f32_e32 v22, v22, v4
	v_cvt_f32_f16_e32 v24, v24
	v_cvt_f32_f16_e32 v21, v21
	s_delay_alu instid0(VALU_DEP_4) | instskip(NEXT) | instid1(VALU_DEP_4)
	v_mul_f32_e32 v37, 0x3fb8aa3b, v23
	v_dual_sub_f32 v17, v17, v4 :: v_dual_mul_f32 v34, 0x3fb8aa3b, v22
	v_sub_f32_e32 v18, v18, v4
	s_delay_alu instid0(VALU_DEP_3) | instskip(NEXT) | instid1(VALU_DEP_3)
	v_rndne_f32_e32 v46, v37
	v_mul_f32_e32 v27, 0x3fb8aa3b, v17
	s_delay_alu instid0(VALU_DEP_3) | instskip(SKIP_2) | instid1(VALU_DEP_4)
	v_dual_sub_f32 v15, v15, v4 :: v_dual_mul_f32 v28, 0x3fb8aa3b, v18
	v_sub_f32_e32 v16, v16, v4
	v_rndne_f32_e32 v44, v34
	v_fma_f32 v35, 0x3fb8aa3b, v17, -v27
	s_delay_alu instid0(VALU_DEP_4)
	v_mul_f32_e32 v25, 0x3fb8aa3b, v15
	v_cmp_ngt_f32_e64 s6, 0xc2ce8ed0, v15
	v_mul_f32_e32 v26, 0x3fb8aa3b, v16
	v_rndne_f32_e32 v36, v27
	v_fmac_f32_e32 v35, 0x32a5705f, v17
	v_fma_f32 v29, 0x3fb8aa3b, v15, -v25
	v_sub_f32_e32 v24, v24, v4
	v_rndne_f32_e32 v30, v25
	v_fma_f32 v32, 0x3fb8aa3b, v16, -v26
	v_rndne_f32_e32 v33, v26
	v_fmac_f32_e32 v29, 0x32a5705f, v15
	s_delay_alu instid0(VALU_DEP_4) | instskip(NEXT) | instid1(VALU_DEP_3)
	v_dual_mul_f32 v40, 0x3fb8aa3b, v24 :: v_dual_sub_f32 v25, v25, v30
	v_dual_sub_f32 v21, v21, v4 :: v_dual_sub_f32 v26, v26, v33
	v_fmac_f32_e32 v32, 0x32a5705f, v16
	v_cvt_i32_f32_e32 v30, v30
	s_delay_alu instid0(VALU_DEP_4) | instskip(NEXT) | instid1(VALU_DEP_4)
	v_add_f32_e32 v25, v25, v29
	v_mul_f32_e32 v31, 0x3fb8aa3b, v21
	v_fma_f32 v38, 0x3fb8aa3b, v18, -v28
	v_add_f32_e32 v26, v26, v32
	v_rndne_f32_e32 v39, v28
	v_exp_f32_e32 v25, v25
	v_fma_f32 v41, 0x3fb8aa3b, v21, -v31
	v_rndne_f32_e32 v42, v31
	v_cmp_nlt_f32_e64 s8, 0x42b17218, v15
	v_dual_sub_f32 v27, v27, v36 :: v_dual_sub_f32 v28, v28, v39
	v_fmac_f32_e32 v38, 0x32a5705f, v18
	v_fma_f32 v47, 0x3fb8aa3b, v24, -v40
	v_rndne_f32_e32 v48, v40
	v_dual_fmac_f32 v41, 0x32a5705f, v21 :: v_dual_sub_f32 v32, v34, v44
	s_delay_alu instid0(TRANS32_DEP_1) | instskip(SKIP_3) | instid1(VALU_DEP_4)
	v_ldexp_f32 v25, v25, v30
	v_sub_f32_e32 v29, v31, v42
	v_fma_f32 v43, 0x3fb8aa3b, v22, -v34
	v_dual_add_f32 v27, v27, v35 :: v_dual_add_f32 v28, v28, v38
	v_cndmask_b32_e64 v25, 0, v25, s6
	v_sub_f32_e32 v38, v40, v48
	v_exp_f32_e32 v26, v26
	v_cvt_i32_f32_e32 v33, v33
	v_cvt_i32_f32_e32 v31, v42
	v_cndmask_b32_e64 v15, 0x7f800000, v25, s8
	v_fmac_f32_e32 v47, 0x32a5705f, v24
	v_cmp_ngt_f32_e64 s4, 0xc2ce8ed0, v16
	v_cmp_ngt_f32_e64 s7, 0xc2ce8ed0, v21
	v_cvt_i32_f32_e32 v34, v44
	v_dual_add_f32 v14, v14, v15 :: v_dual_add_f32 v29, v29, v41
	v_dual_fmac_f32 v43, 0x32a5705f, v22 :: v_dual_add_f32 v38, v38, v47
	v_sub_f32_e32 v35, v37, v46
	v_ldexp_f32 v26, v26, v33
	s_delay_alu instid0(VALU_DEP_4) | instskip(NEXT) | instid1(VALU_DEP_3)
	v_exp_f32_e32 v29, v29
	v_add_f32_e32 v32, v32, v43
	v_exp_f32_e32 v27, v27
	v_cvt_i32_f32_e32 v36, v36
	v_cndmask_b32_e64 v26, 0, v26, s4
	v_cmp_nlt_f32_e64 s4, 0x42b17218, v21
	v_exp_f32_e32 v32, v32
	v_fma_f32 v45, 0x3fb8aa3b, v23, -v37
	v_cmp_ngt_f32_e64 s5, 0xc2ce8ed0, v17
	v_cvt_i32_f32_e32 v37, v46
	v_ldexp_f32 v29, v29, v31
	v_exp_f32_e32 v28, v28
	v_ldexp_f32 v27, v27, v36
	v_cvt_i32_f32_e32 v39, v39
	v_exp_f32_e32 v38, v38
	v_cndmask_b32_e64 v25, 0, v29, s7
	v_ldexp_f32 v29, v32, v34
	v_cmp_nlt_f32_e64 s7, 0x42b17218, v16
	v_cvt_i32_f32_e32 v40, v48
	v_cmp_ngt_f32_e64 s6, 0xc2ce8ed0, v18
	v_cndmask_b32_e64 v15, 0x7f800000, v25, s4
	v_cmp_ngt_f32_e64 s4, 0xc2ce8ed0, v22
	v_cndmask_b32_e64 v16, 0x7f800000, v26, s7
	v_ldexp_f32 v28, v28, v39
	s_delay_alu instid0(VALU_DEP_4) | instskip(NEXT) | instid1(VALU_DEP_4)
	v_add_f32_e32 v14, v14, v15
	v_cndmask_b32_e64 v21, 0, v29, s4
	v_cmp_nlt_f32_e64 s4, 0x42b17218, v22
	v_fmac_f32_e32 v45, 0x32a5705f, v23
	v_cndmask_b32_e64 v15, 0, v27, s5
	v_add_f32_e32 v14, v14, v16
	v_cmp_nlt_f32_e64 s5, 0x42b17218, v17
	v_cndmask_b32_e64 v21, 0x7f800000, v21, s4
	v_cmp_ngt_f32_e64 s4, 0xc2ce8ed0, v23
	v_cndmask_b32_e64 v17, 0, v28, s6
	s_delay_alu instid0(VALU_DEP_4) | instskip(NEXT) | instid1(VALU_DEP_4)
	v_cndmask_b32_e64 v15, 0x7f800000, v15, s5
	v_add_f32_e32 v14, v14, v21
	v_add_f32_e32 v35, v35, v45
	v_ldexp_f32 v21, v38, v40
	v_cmp_nlt_f32_e64 s5, 0x42b17218, v18
	s_delay_alu instid0(VALU_DEP_4) | instskip(NEXT) | instid1(VALU_DEP_4)
	v_add_f32_e32 v14, v14, v15
	v_exp_f32_e32 v35, v35
	s_delay_alu instid0(VALU_DEP_2) | instskip(SKIP_2) | instid1(VALU_DEP_1)
	v_cndmask_b32_e64 v15, 0x7f800000, v17, s5
	s_waitcnt_depctr 0xfff
	v_ldexp_f32 v25, v35, v37
	v_cndmask_b32_e64 v16, 0, v25, s4
	v_cmp_nlt_f32_e64 s4, 0x42b17218, v23
	s_delay_alu instid0(VALU_DEP_1) | instskip(SKIP_1) | instid1(VALU_DEP_2)
	v_cndmask_b32_e64 v16, 0x7f800000, v16, s4
	v_cmp_ngt_f32_e64 s4, 0xc2ce8ed0, v24
	v_add_f32_e32 v14, v14, v16
	s_delay_alu instid0(VALU_DEP_2) | instskip(SKIP_1) | instid1(VALU_DEP_3)
	v_cndmask_b32_e64 v17, 0, v21, s4
	v_cmp_nlt_f32_e64 s4, 0x42b17218, v24
	v_add_f32_e32 v14, v14, v15
	s_delay_alu instid0(VALU_DEP_2) | instskip(SKIP_1) | instid1(VALU_DEP_2)
	v_cndmask_b32_e64 v16, 0x7f800000, v17, s4
	v_cmp_le_i64_e64 s4, s[10:11], v[19:20]
	v_add_f32_e32 v14, v14, v16
	s_delay_alu instid0(VALU_DEP_2) | instskip(NEXT) | instid1(SALU_CYCLE_1)
	s_or_b32 s19, s4, s19
	s_and_not1_b32 exec_lo, exec_lo, s19
	s_cbranch_execnz .LBB103_12
; %bb.13:
	s_or_b32 exec_lo, exec_lo, s19
.LBB103_14:
	s_delay_alu instid0(SALU_CYCLE_1)
	s_or_b32 exec_lo, exec_lo, s18
	ds_bpermute_b32 v2, v5, v14
	s_waitcnt lgkmcnt(0)
	s_barrier
	buffer_gl0_inv
	v_add_f32_e32 v2, v14, v2
	ds_bpermute_b32 v3, v7, v2
	s_waitcnt lgkmcnt(0)
	v_add_f32_e32 v2, v2, v3
	ds_bpermute_b32 v3, v8, v2
	s_waitcnt lgkmcnt(0)
	;; [unrolled: 3-line block ×3, first 2 shown]
	v_add_f32_e32 v2, v2, v3
	ds_bpermute_b32 v3, v10, v2
	s_and_saveexec_b32 s4, s2
	s_cbranch_execz .LBB103_16
; %bb.15:
	v_add_nc_u32_e32 v11, s13, v11
	s_waitcnt lgkmcnt(0)
	v_add_f32_e32 v2, v2, v3
	ds_store_b32 v11, v2
.LBB103_16:
	s_or_b32 exec_lo, exec_lo, s4
	v_mov_b32_e32 v2, 0
	s_waitcnt lgkmcnt(0)
	s_barrier
	buffer_gl0_inv
	s_and_saveexec_b32 s2, s0
	s_cbranch_execnz .LBB103_26
; %bb.17:
	s_or_b32 exec_lo, exec_lo, s2
	s_and_saveexec_b32 s0, s1
	s_cbranch_execnz .LBB103_27
.LBB103_18:
	s_or_b32 exec_lo, exec_lo, s0
	s_and_saveexec_b32 s0, s3
	s_cbranch_execz .LBB103_20
.LBB103_19:
	v_mov_b32_e32 v3, s13
	s_waitcnt lgkmcnt(0)
	ds_store_b32 v3, v2
.LBB103_20:
	s_or_b32 exec_lo, exec_lo, s0
	s_waitcnt lgkmcnt(0)
	s_barrier
	buffer_gl0_inv
	s_and_saveexec_b32 s0, vcc_lo
	s_cbranch_execz .LBB103_23
; %bb.21:
	v_mov_b32_e32 v2, s13
	s_add_i32 s13, s14, s9
	s_lshl_b32 s1, s15, 4
	s_lshl_b64 s[2:3], s[12:13], 1
	s_delay_alu instid0(SALU_CYCLE_1)
	s_add_u32 s0, s16, s2
	ds_load_b32 v2, v2
	s_addc_u32 s2, s17, s3
	s_waitcnt lgkmcnt(0)
	v_cmp_gt_f32_e32 vcc_lo, 0x800000, v2
	v_cndmask_b32_e64 v3, 1.0, 0x4f800000, vcc_lo
	s_delay_alu instid0(VALU_DEP_1) | instskip(NEXT) | instid1(VALU_DEP_1)
	v_mul_f32_e32 v2, v2, v3
	v_log_f32_e32 v2, v2
	s_waitcnt_depctr 0xfff
	v_mul_f32_e32 v3, 0x3f317217, v2
	s_delay_alu instid0(VALU_DEP_1) | instskip(NEXT) | instid1(VALU_DEP_1)
	v_fma_f32 v5, 0x3f317217, v2, -v3
	v_fmamk_f32 v7, v2, 0x3377d1cf, v5
	v_add_nc_u32_e32 v5, 0, v6
	s_delay_alu instid0(VALU_DEP_2) | instskip(SKIP_2) | instid1(VALU_DEP_3)
	v_add_f32_e32 v3, v3, v7
	v_cndmask_b32_e64 v7, 0, 0x41b17218, vcc_lo
	v_cmp_gt_f32_e64 vcc_lo, 0x7f800000, |v2|
	v_cndmask_b32_e32 v2, v2, v3, vcc_lo
	v_add_co_u32 v3, s0, s0, v6
	s_delay_alu instid0(VALU_DEP_1) | instskip(NEXT) | instid1(VALU_DEP_3)
	v_add_co_ci_u32_e64 v8, null, s2, 0, s0
	v_sub_f32_e32 v6, v2, v7
	s_delay_alu instid0(VALU_DEP_3) | instskip(NEXT) | instid1(VALU_DEP_3)
	v_add_co_u32 v2, vcc_lo, v3, 14
	v_add_co_ci_u32_e32 v3, vcc_lo, 0, v8, vcc_lo
	s_mov_b32 s2, 0
.LBB103_22:                             ; =>This Inner Loop Header: Depth=1
	ds_load_b128 v[7:10], v5
	v_add_co_u32 v0, vcc_lo, v0, s15
	v_add_co_ci_u32_e32 v1, vcc_lo, 0, v1, vcc_lo
	s_delay_alu instid0(VALU_DEP_1) | instskip(NEXT) | instid1(VALU_DEP_1)
	v_lshlrev_b64 v[11:12], 3, v[0:1]
	v_cmp_le_i64_e32 vcc_lo, s[10:11], v[11:12]
	s_or_b32 s2, vcc_lo, s2
	s_waitcnt lgkmcnt(0)
	v_lshrrev_b32_e32 v11, 16, v7
	v_lshrrev_b32_e32 v12, 16, v8
	v_cvt_f32_f16_e32 v7, v7
	v_cvt_f32_f16_e32 v8, v8
	v_add_nc_u32_e32 v5, s1, v5
	v_lshrrev_b32_e32 v13, 16, v9
	v_lshrrev_b32_e32 v14, 16, v10
	v_cvt_f32_f16_e32 v9, v9
	v_sub_f32_e32 v8, v8, v4
	v_cvt_f32_f16_e32 v10, v10
	v_sub_f32_e32 v7, v7, v4
	v_cvt_f32_f16_e32 v11, v11
	v_cvt_f32_f16_e32 v12, v12
	v_sub_f32_e32 v8, v8, v6
	v_cvt_f32_f16_e32 v13, v13
	v_dual_sub_f32 v10, v10, v4 :: v_dual_sub_f32 v7, v7, v6
	v_sub_f32_e32 v9, v9, v4
	v_cvt_f32_f16_e32 v14, v14
	v_cvt_f16_f32_e32 v8, v8
	s_delay_alu instid0(VALU_DEP_4) | instskip(NEXT) | instid1(VALU_DEP_4)
	v_sub_f32_e32 v10, v10, v6
	v_dual_sub_f32 v12, v12, v4 :: v_dual_sub_f32 v9, v9, v6
	v_sub_f32_e32 v13, v13, v4
	v_sub_f32_e32 v14, v14, v4
	s_delay_alu instid0(VALU_DEP_3) | instskip(SKIP_1) | instid1(VALU_DEP_4)
	v_dual_sub_f32 v11, v11, v4 :: v_dual_sub_f32 v12, v12, v6
	v_cvt_f16_f32_e32 v7, v7
	v_sub_f32_e32 v13, v13, v6
	s_delay_alu instid0(VALU_DEP_4) | instskip(NEXT) | instid1(VALU_DEP_4)
	v_sub_f32_e32 v14, v14, v6
	v_sub_f32_e32 v11, v11, v6
	v_cvt_f16_f32_e32 v9, v9
	v_cvt_f16_f32_e32 v10, v10
	v_cvt_f16_f32_e32 v13, v13
	v_cvt_f16_f32_e32 v14, v14
	v_cvt_f16_f32_e32 v12, v12
	v_cvt_f16_f32_e32 v11, v11
	s_delay_alu instid0(VALU_DEP_4) | instskip(NEXT) | instid1(VALU_DEP_4)
	v_pack_b32_f16 v9, v9, v13
	v_pack_b32_f16 v10, v10, v14
	s_delay_alu instid0(VALU_DEP_4) | instskip(NEXT) | instid1(VALU_DEP_4)
	v_pack_b32_f16 v8, v8, v12
	v_pack_b32_f16 v7, v7, v11
	global_store_b128 v[2:3], v[7:10], off offset:-14
	v_add_co_u32 v2, s0, v2, s1
	s_delay_alu instid0(VALU_DEP_1)
	v_add_co_ci_u32_e64 v3, s0, 0, v3, s0
	s_and_not1_b32 exec_lo, exec_lo, s2
	s_cbranch_execnz .LBB103_22
.LBB103_23:
	s_nop 0
	s_sendmsg sendmsg(MSG_DEALLOC_VGPRS)
	s_endpgm
.LBB103_24:
	ds_load_b32 v2, v12
	s_or_b32 exec_lo, exec_lo, s1
	v_cmp_gt_u32_e64 s1, 32, v0
	s_delay_alu instid0(VALU_DEP_1)
	s_and_saveexec_b32 s5, s1
	s_cbranch_execz .LBB103_8
.LBB103_25:
	s_waitcnt lgkmcnt(0)
	ds_bpermute_b32 v3, v5, v2
	s_waitcnt lgkmcnt(0)
	v_cmp_lt_f32_e64 s3, v2, v3
	s_delay_alu instid0(VALU_DEP_1) | instskip(SKIP_3) | instid1(VALU_DEP_1)
	v_cndmask_b32_e64 v2, v2, v3, s3
	ds_bpermute_b32 v3, v7, v2
	s_waitcnt lgkmcnt(0)
	v_cmp_lt_f32_e64 s3, v2, v3
	v_cndmask_b32_e64 v2, v2, v3, s3
	ds_bpermute_b32 v3, v8, v2
	s_waitcnt lgkmcnt(0)
	v_cmp_lt_f32_e64 s3, v2, v3
	s_delay_alu instid0(VALU_DEP_1) | instskip(SKIP_3) | instid1(VALU_DEP_1)
	v_cndmask_b32_e64 v2, v2, v3, s3
	ds_bpermute_b32 v3, v9, v2
	s_waitcnt lgkmcnt(0)
	v_cmp_lt_f32_e64 s3, v2, v3
	v_cndmask_b32_e64 v2, v2, v3, s3
	ds_bpermute_b32 v3, v10, v2
	s_waitcnt lgkmcnt(0)
	v_cmp_lt_f32_e64 s3, v2, v3
	s_delay_alu instid0(VALU_DEP_1) | instskip(SKIP_2) | instid1(VALU_DEP_1)
	v_cndmask_b32_e64 v2, v2, v3, s3
	s_or_b32 exec_lo, exec_lo, s5
	v_cmp_eq_u32_e64 s3, 0, v0
	s_and_saveexec_b32 s5, s3
	s_cbranch_execnz .LBB103_9
	s_branch .LBB103_10
.LBB103_26:
	ds_load_b32 v2, v12
	s_or_b32 exec_lo, exec_lo, s2
	s_and_saveexec_b32 s0, s1
	s_cbranch_execz .LBB103_18
.LBB103_27:
	s_waitcnt lgkmcnt(0)
	ds_bpermute_b32 v3, v5, v2
	s_waitcnt lgkmcnt(0)
	v_add_f32_e32 v2, v2, v3
	ds_bpermute_b32 v3, v7, v2
	s_waitcnt lgkmcnt(0)
	v_add_f32_e32 v2, v2, v3
	;; [unrolled: 3-line block ×5, first 2 shown]
	s_or_b32 exec_lo, exec_lo, s0
	s_and_saveexec_b32 s0, s3
	s_cbranch_execnz .LBB103_19
	s_branch .LBB103_20
	.section	.rodata,"a",@progbits
	.p2align	6, 0x0
	.amdhsa_kernel _ZN2at6native12_GLOBAL__N_123cunn_SoftMaxForwardSmemILi8EN3c104HalfEfS4_NS1_25LogSoftMaxForwardEpilogueElEEvPT2_PKT0_T4_
		.amdhsa_group_segment_fixed_size 0
		.amdhsa_private_segment_fixed_size 0
		.amdhsa_kernarg_size 280
		.amdhsa_user_sgpr_count 15
		.amdhsa_user_sgpr_dispatch_ptr 0
		.amdhsa_user_sgpr_queue_ptr 0
		.amdhsa_user_sgpr_kernarg_segment_ptr 1
		.amdhsa_user_sgpr_dispatch_id 0
		.amdhsa_user_sgpr_private_segment_size 0
		.amdhsa_wavefront_size32 1
		.amdhsa_uses_dynamic_stack 0
		.amdhsa_enable_private_segment 0
		.amdhsa_system_sgpr_workgroup_id_x 1
		.amdhsa_system_sgpr_workgroup_id_y 0
		.amdhsa_system_sgpr_workgroup_id_z 0
		.amdhsa_system_sgpr_workgroup_info 0
		.amdhsa_system_vgpr_workitem_id 0
		.amdhsa_next_free_vgpr 49
		.amdhsa_next_free_sgpr 21
		.amdhsa_reserve_vcc 1
		.amdhsa_float_round_mode_32 0
		.amdhsa_float_round_mode_16_64 0
		.amdhsa_float_denorm_mode_32 3
		.amdhsa_float_denorm_mode_16_64 3
		.amdhsa_dx10_clamp 1
		.amdhsa_ieee_mode 1
		.amdhsa_fp16_overflow 0
		.amdhsa_workgroup_processor_mode 1
		.amdhsa_memory_ordered 1
		.amdhsa_forward_progress 0
		.amdhsa_shared_vgpr_count 0
		.amdhsa_exception_fp_ieee_invalid_op 0
		.amdhsa_exception_fp_denorm_src 0
		.amdhsa_exception_fp_ieee_div_zero 0
		.amdhsa_exception_fp_ieee_overflow 0
		.amdhsa_exception_fp_ieee_underflow 0
		.amdhsa_exception_fp_ieee_inexact 0
		.amdhsa_exception_int_div_zero 0
	.end_amdhsa_kernel
	.section	.text._ZN2at6native12_GLOBAL__N_123cunn_SoftMaxForwardSmemILi8EN3c104HalfEfS4_NS1_25LogSoftMaxForwardEpilogueElEEvPT2_PKT0_T4_,"axG",@progbits,_ZN2at6native12_GLOBAL__N_123cunn_SoftMaxForwardSmemILi8EN3c104HalfEfS4_NS1_25LogSoftMaxForwardEpilogueElEEvPT2_PKT0_T4_,comdat
.Lfunc_end103:
	.size	_ZN2at6native12_GLOBAL__N_123cunn_SoftMaxForwardSmemILi8EN3c104HalfEfS4_NS1_25LogSoftMaxForwardEpilogueElEEvPT2_PKT0_T4_, .Lfunc_end103-_ZN2at6native12_GLOBAL__N_123cunn_SoftMaxForwardSmemILi8EN3c104HalfEfS4_NS1_25LogSoftMaxForwardEpilogueElEEvPT2_PKT0_T4_
                                        ; -- End function
	.section	.AMDGPU.csdata,"",@progbits
; Kernel info:
; codeLenInByte = 3060
; NumSgprs: 23
; NumVgprs: 49
; ScratchSize: 0
; MemoryBound: 0
; FloatMode: 240
; IeeeMode: 1
; LDSByteSize: 0 bytes/workgroup (compile time only)
; SGPRBlocks: 2
; VGPRBlocks: 6
; NumSGPRsForWavesPerEU: 23
; NumVGPRsForWavesPerEU: 49
; Occupancy: 16
; WaveLimiterHint : 0
; COMPUTE_PGM_RSRC2:SCRATCH_EN: 0
; COMPUTE_PGM_RSRC2:USER_SGPR: 15
; COMPUTE_PGM_RSRC2:TRAP_HANDLER: 0
; COMPUTE_PGM_RSRC2:TGID_X_EN: 1
; COMPUTE_PGM_RSRC2:TGID_Y_EN: 0
; COMPUTE_PGM_RSRC2:TGID_Z_EN: 0
; COMPUTE_PGM_RSRC2:TIDIG_COMP_CNT: 0
	.section	.text._ZN2at6native12_GLOBAL__N_119cunn_SoftMaxForwardILi8EN3c104HalfEfS4_NS1_25LogSoftMaxForwardEpilogueEEEvPT2_PKT0_i,"axG",@progbits,_ZN2at6native12_GLOBAL__N_119cunn_SoftMaxForwardILi8EN3c104HalfEfS4_NS1_25LogSoftMaxForwardEpilogueEEEvPT2_PKT0_i,comdat
	.globl	_ZN2at6native12_GLOBAL__N_119cunn_SoftMaxForwardILi8EN3c104HalfEfS4_NS1_25LogSoftMaxForwardEpilogueEEEvPT2_PKT0_i ; -- Begin function _ZN2at6native12_GLOBAL__N_119cunn_SoftMaxForwardILi8EN3c104HalfEfS4_NS1_25LogSoftMaxForwardEpilogueEEEvPT2_PKT0_i
	.p2align	8
	.type	_ZN2at6native12_GLOBAL__N_119cunn_SoftMaxForwardILi8EN3c104HalfEfS4_NS1_25LogSoftMaxForwardEpilogueEEEvPT2_PKT0_i,@function
_ZN2at6native12_GLOBAL__N_119cunn_SoftMaxForwardILi8EN3c104HalfEfS4_NS1_25LogSoftMaxForwardEpilogueEEEvPT2_PKT0_i: ; @_ZN2at6native12_GLOBAL__N_119cunn_SoftMaxForwardILi8EN3c104HalfEfS4_NS1_25LogSoftMaxForwardEpilogueEEEvPT2_PKT0_i
; %bb.0:
	s_clause 0x1
	s_load_b32 s14, s[0:1], 0x10
	s_load_b128 s[8:11], s[0:1], 0x0
	s_mov_b32 s13, 0
	s_waitcnt lgkmcnt(0)
	s_ashr_i32 s2, s14, 31
	s_mul_hi_u32 s3, s14, s15
	s_mul_i32 s2, s2, s15
	s_delay_alu instid0(SALU_CYCLE_1) | instskip(SKIP_1) | instid1(SALU_CYCLE_1)
	s_add_i32 s3, s3, s2
	s_mul_i32 s2, s14, s15
	s_lshl_b64 s[16:17], s[2:3], 1
	s_delay_alu instid0(SALU_CYCLE_1) | instskip(SKIP_2) | instid1(SALU_CYCLE_1)
	s_add_u32 s10, s10, s16
	s_addc_u32 s11, s11, s17
	s_bfe_u32 s12, s10, 0x30001
	s_cmp_lg_u32 s12, 0
	s_cselect_b32 s18, -1, 0
	s_delay_alu instid0(SALU_CYCLE_1)
	s_and_b32 vcc_lo, exec_lo, s18
	s_cbranch_vccz .LBB104_25
; %bb.1:
	s_lshl_b64 s[2:3], s[12:13], 1
	v_cmp_le_u32_e32 vcc_lo, s12, v0
	s_sub_u32 s6, s10, s2
	s_subb_u32 s7, s11, s3
	s_add_i32 s3, s12, s14
	v_mov_b32_e32 v4, 0xff7fffff
	v_cmp_gt_i32_e64 s2, s3, v0
	s_delay_alu instid0(VALU_DEP_1) | instskip(NEXT) | instid1(SALU_CYCLE_1)
	s_and_b32 s4, vcc_lo, s2
	s_and_saveexec_b32 s2, s4
	s_cbranch_execz .LBB104_3
; %bb.2:
	v_lshlrev_b32_e32 v1, 1, v0
	global_load_u16 v1, v1, s[6:7]
	s_waitcnt vmcnt(0)
	v_cvt_f32_f16_e32 v1, v1
	s_delay_alu instid0(VALU_DEP_1)
	v_max_f32_e32 v4, 0xff7fffff, v1
.LBB104_3:
	s_or_b32 exec_lo, exec_lo, s2
	s_load_b32 s2, s[0:1], 0x24
	s_add_u32 s4, s0, 24
	s_addc_u32 s5, s1, 0
	s_waitcnt lgkmcnt(0)
	s_and_b32 s2, s2, 0xffff
	s_delay_alu instid0(SALU_CYCLE_1) | instskip(SKIP_1) | instid1(SALU_CYCLE_1)
	v_sub_nc_u32_e64 v1, s3, s2 clamp
	s_lshl_b32 s2, s2, 1
	s_add_u32 s2, s6, s2
	s_addc_u32 s3, s7, 0
	s_delay_alu instid0(VALU_DEP_1)
	v_readfirstlane_b32 s13, v1
	s_branch .LBB104_5
.LBB104_4:
	v_mov_b32_e32 v4, 0xff7fffff
	s_add_u32 s4, s0, 24
	s_addc_u32 s5, s1, 0
	s_mov_b32 s13, s14
	s_mov_b64 s[2:3], s[10:11]
.LBB104_5:
	s_load_b32 s6, s[4:5], 0x0
	v_mov_b32_e32 v1, 0
	v_lshlrev_b32_e32 v3, 3, v0
	s_waitcnt lgkmcnt(0)
	s_cmp_lt_u32 s15, s6
	s_cselect_b32 s6, 12, 18
	s_delay_alu instid0(SALU_CYCLE_1) | instskip(SKIP_4) | instid1(VALU_DEP_1)
	s_add_u32 s4, s4, s6
	s_addc_u32 s5, s5, 0
	global_load_u16 v5, v1, s[4:5]
	s_waitcnt vmcnt(0)
	v_readfirstlane_b32 s4, v5
	s_lshl_b32 s4, s4, 3
	s_delay_alu instid0(SALU_CYCLE_1) | instskip(SKIP_1) | instid1(VALU_DEP_1)
	v_cvt_f32_u32_e32 v1, s4
	s_sub_i32 s6, 0, s4
	v_rcp_iflag_f32_e32 v1, v1
	s_waitcnt_depctr 0xfff
	v_mul_f32_e32 v1, 0x4f7ffffe, v1
	s_delay_alu instid0(VALU_DEP_1) | instskip(NEXT) | instid1(VALU_DEP_1)
	v_cvt_u32_f32_e32 v1, v1
	v_readfirstlane_b32 s5, v1
	s_delay_alu instid0(VALU_DEP_1) | instskip(NEXT) | instid1(SALU_CYCLE_1)
	s_mul_i32 s6, s6, s5
	s_mul_hi_u32 s6, s5, s6
	s_delay_alu instid0(SALU_CYCLE_1) | instskip(NEXT) | instid1(SALU_CYCLE_1)
	s_add_i32 s5, s5, s6
	s_mul_hi_u32 s5, s13, s5
	s_delay_alu instid0(SALU_CYCLE_1) | instskip(NEXT) | instid1(SALU_CYCLE_1)
	s_mul_i32 s5, s5, s4
	s_sub_i32 s5, s13, s5
	s_delay_alu instid0(SALU_CYCLE_1) | instskip(SKIP_2) | instid1(SALU_CYCLE_1)
	s_sub_i32 s6, s5, s4
	s_cmp_ge_u32 s5, s4
	s_cselect_b32 s5, s6, s5
	s_sub_i32 s6, s5, s4
	s_cmp_ge_u32 s5, s4
	s_cselect_b32 s4, s6, s5
	s_mov_b32 s6, 0
	s_sub_i32 s4, s13, s4
	s_mov_b32 s5, exec_lo
	v_cmpx_gt_i32_e64 s4, v3
	s_cbranch_execz .LBB104_9
; %bb.6:
	v_mov_b32_e32 v1, v0
	s_set_inst_prefetch_distance 0x1
	.p2align	6
.LBB104_7:                              ; =>This Inner Loop Header: Depth=1
	s_delay_alu instid0(VALU_DEP_1) | instskip(NEXT) | instid1(VALU_DEP_1)
	v_ashrrev_i32_e32 v2, 31, v1
	v_lshlrev_b64 v[6:7], 4, v[1:2]
	v_add_nc_u32_e32 v1, v1, v5
	s_delay_alu instid0(VALU_DEP_2) | instskip(NEXT) | instid1(VALU_DEP_3)
	v_add_co_u32 v6, vcc_lo, s2, v6
	v_add_co_ci_u32_e32 v7, vcc_lo, s3, v7, vcc_lo
	global_load_b128 v[6:9], v[6:7], off
	s_waitcnt vmcnt(0)
	v_lshrrev_b32_e32 v2, 16, v6
	v_lshrrev_b32_e32 v10, 16, v7
	v_cvt_f32_f16_e32 v6, v6
	v_lshrrev_b32_e32 v11, 16, v8
	v_cvt_f32_f16_e32 v7, v7
	v_cvt_f32_f16_e32 v2, v2
	;; [unrolled: 1-line block ×3, first 2 shown]
	s_delay_alu instid0(VALU_DEP_2)
	v_max3_f32 v2, v4, v6, v2
	v_lshrrev_b32_e32 v4, 16, v9
	v_cvt_f32_f16_e32 v6, v8
	v_cvt_f32_f16_e32 v8, v11
	;; [unrolled: 1-line block ×3, first 2 shown]
	v_max3_f32 v2, v2, v7, v10
	v_lshlrev_b32_e32 v7, 3, v1
	v_cvt_f32_f16_e32 v4, v4
	s_delay_alu instid0(VALU_DEP_3) | instskip(NEXT) | instid1(VALU_DEP_3)
	v_max3_f32 v2, v2, v6, v8
	v_cmp_le_i32_e32 vcc_lo, s4, v7
	s_delay_alu instid0(VALU_DEP_2) | instskip(SKIP_1) | instid1(SALU_CYCLE_1)
	v_max3_f32 v4, v2, v9, v4
	s_or_b32 s6, vcc_lo, s6
	s_and_not1_b32 exec_lo, exec_lo, s6
	s_cbranch_execnz .LBB104_7
; %bb.8:
	s_set_inst_prefetch_distance 0x2
	s_or_b32 exec_lo, exec_lo, s6
.LBB104_9:
	s_delay_alu instid0(SALU_CYCLE_1) | instskip(SKIP_2) | instid1(VALU_DEP_1)
	s_or_b32 exec_lo, exec_lo, s5
	v_add_nc_u32_e32 v1, s4, v0
	s_mov_b32 s4, exec_lo
	v_cmpx_gt_i32_e64 s13, v1
	s_cbranch_execz .LBB104_13
; %bb.10:
	s_mov_b32 s5, 0
.LBB104_11:                             ; =>This Inner Loop Header: Depth=1
	v_ashrrev_i32_e32 v2, 31, v1
	s_delay_alu instid0(VALU_DEP_2) | instskip(NEXT) | instid1(VALU_DEP_2)
	v_max_f32_e32 v4, v4, v4
	v_lshlrev_b64 v[6:7], 1, v[1:2]
	v_add_nc_u32_e32 v1, v1, v5
	s_delay_alu instid0(VALU_DEP_2) | instskip(NEXT) | instid1(VALU_DEP_3)
	v_add_co_u32 v6, vcc_lo, s2, v6
	v_add_co_ci_u32_e32 v7, vcc_lo, s3, v7, vcc_lo
	s_delay_alu instid0(VALU_DEP_3) | instskip(SKIP_4) | instid1(VALU_DEP_1)
	v_cmp_le_i32_e32 vcc_lo, s13, v1
	global_load_u16 v2, v[6:7], off
	s_or_b32 s5, vcc_lo, s5
	s_waitcnt vmcnt(0)
	v_cvt_f32_f16_e32 v2, v2
	v_max_f32_e32 v4, v4, v2
	s_and_not1_b32 exec_lo, exec_lo, s5
	s_cbranch_execnz .LBB104_11
; %bb.12:
	s_or_b32 exec_lo, exec_lo, s5
.LBB104_13:
	s_delay_alu instid0(SALU_CYCLE_1)
	s_or_b32 exec_lo, exec_lo, s4
	v_mbcnt_lo_u32_b32 v1, -1, 0
	v_lshrrev_b32_e32 v12, 3, v0
	s_barrier
	buffer_gl0_inv
	v_cmp_gt_u32_e32 vcc_lo, 16, v1
	v_cndmask_b32_e64 v2, 0, 1, vcc_lo
	v_cmp_gt_u32_e32 vcc_lo, 24, v1
	s_delay_alu instid0(VALU_DEP_2) | instskip(SKIP_1) | instid1(VALU_DEP_2)
	v_lshlrev_b32_e32 v2, 4, v2
	v_cndmask_b32_e64 v5, 0, 1, vcc_lo
	v_add_lshl_u32 v6, v2, v1, 2
	ds_bpermute_b32 v2, v6, v4
	s_waitcnt lgkmcnt(0)
	v_cmp_lt_f32_e32 vcc_lo, v4, v2
	v_dual_cndmask_b32 v2, v4, v2 :: v_dual_lshlrev_b32 v5, 3, v5
	s_delay_alu instid0(VALU_DEP_1)
	v_add_lshl_u32 v7, v5, v1, 2
	v_cmp_gt_u32_e32 vcc_lo, 28, v1
	ds_bpermute_b32 v4, v7, v2
	v_cndmask_b32_e64 v5, 0, 1, vcc_lo
	s_waitcnt lgkmcnt(0)
	v_cmp_lt_f32_e32 vcc_lo, v2, v4
	s_delay_alu instid0(VALU_DEP_2) | instskip(NEXT) | instid1(VALU_DEP_1)
	v_dual_cndmask_b32 v2, v2, v4 :: v_dual_lshlrev_b32 v5, 2, v5
	v_add_lshl_u32 v8, v5, v1, 2
	v_cmp_gt_u32_e32 vcc_lo, 30, v1
	ds_bpermute_b32 v4, v8, v2
	v_cndmask_b32_e64 v5, 0, 1, vcc_lo
	s_waitcnt lgkmcnt(0)
	v_cmp_lt_f32_e32 vcc_lo, v2, v4
	s_delay_alu instid0(VALU_DEP_2) | instskip(NEXT) | instid1(VALU_DEP_1)
	v_dual_cndmask_b32 v2, v2, v4 :: v_dual_lshlrev_b32 v5, 1, v5
	v_add_lshl_u32 v10, v5, v1, 2
	v_cmp_ne_u32_e32 vcc_lo, 31, v1
	ds_bpermute_b32 v4, v10, v2
	v_add_co_ci_u32_e32 v5, vcc_lo, 0, v1, vcc_lo
	s_delay_alu instid0(VALU_DEP_1)
	v_lshlrev_b32_e32 v11, 2, v5
	s_waitcnt lgkmcnt(0)
	v_cmp_lt_f32_e32 vcc_lo, v2, v4
	v_cndmask_b32_e32 v1, v2, v4, vcc_lo
	v_and_b32_e32 v2, 31, v0
	ds_bpermute_b32 v4, v11, v1
	v_cmp_eq_u32_e64 s2, 0, v2
	s_delay_alu instid0(VALU_DEP_1)
	s_and_saveexec_b32 s3, s2
	s_cbranch_execz .LBB104_15
; %bb.14:
	s_waitcnt lgkmcnt(0)
	v_cmp_lt_f32_e32 vcc_lo, v1, v4
	v_add_nc_u32_e32 v5, 0, v12
	v_cndmask_b32_e32 v1, v1, v4, vcc_lo
	ds_store_b32 v5, v1
.LBB104_15:
	s_or_b32 exec_lo, exec_lo, s3
	s_waitcnt lgkmcnt(0)
	s_barrier
	buffer_gl0_inv
	s_load_b32 s4, s[0:1], 0x24
	s_add_u32 s6, s0, 24
	s_addc_u32 s7, s1, 0
	v_mov_b32_e32 v1, 0xff7fffff
	v_lshl_add_u32 v13, v2, 2, 0
	s_waitcnt lgkmcnt(0)
	s_bfe_u32 s0, s4, 0xb0005
	s_delay_alu instid0(SALU_CYCLE_1) | instskip(NEXT) | instid1(VALU_DEP_1)
	v_cmp_gt_u32_e64 s0, s0, v0
	s_and_saveexec_b32 s1, s0
	s_cbranch_execnz .LBB104_23
; %bb.16:
	s_or_b32 exec_lo, exec_lo, s1
	v_cmp_gt_u32_e64 s1, 32, v0
	s_delay_alu instid0(VALU_DEP_1)
	s_and_saveexec_b32 s3, s1
	s_cbranch_execnz .LBB104_24
.LBB104_17:
	s_or_b32 exec_lo, exec_lo, s3
	v_cmp_eq_u32_e64 s3, 0, v0
	s_delay_alu instid0(VALU_DEP_1)
	s_and_saveexec_b32 s5, s3
	s_cbranch_execz .LBB104_19
.LBB104_18:
	v_mov_b32_e32 v2, 0
	s_waitcnt lgkmcnt(0)
	ds_store_b32 v2, v1
.LBB104_19:
	s_or_b32 exec_lo, exec_lo, s5
	v_mov_b32_e32 v14, 0
	s_waitcnt lgkmcnt(0)
	s_barrier
	buffer_gl0_inv
	v_cndmask_b32_e64 v9, 0, 1, s18
	ds_load_b32 v4, v14
	s_and_b32 s20, s4, 0xffff
	s_and_not1_b32 vcc_lo, exec_lo, s18
	s_mov_b32 s13, 0
	s_cbranch_vccnz .LBB104_26
; %bb.20:
	s_lshl_b64 s[4:5], s[12:13], 1
	v_cmp_le_u32_e32 vcc_lo, s12, v0
	s_sub_u32 s18, s10, s4
	s_subb_u32 s19, s11, s5
	s_add_i32 s5, s12, s14
	v_mov_b32_e32 v14, 0
	v_cmp_gt_i32_e64 s4, s5, v0
	s_delay_alu instid0(VALU_DEP_1) | instskip(NEXT) | instid1(SALU_CYCLE_1)
	s_and_b32 s13, vcc_lo, s4
	s_and_saveexec_b32 s4, s13
	s_cbranch_execz .LBB104_22
; %bb.21:
	v_lshlrev_b32_e32 v1, 1, v0
	global_load_u16 v1, v1, s[18:19]
	s_waitcnt vmcnt(0)
	v_cvt_f32_f16_e32 v1, v1
	s_waitcnt lgkmcnt(0)
	s_delay_alu instid0(VALU_DEP_1) | instskip(NEXT) | instid1(VALU_DEP_1)
	v_sub_f32_e32 v1, v1, v4
	v_mul_f32_e32 v2, 0x3fb8aa3b, v1
	s_delay_alu instid0(VALU_DEP_1) | instskip(SKIP_1) | instid1(VALU_DEP_1)
	v_fma_f32 v5, 0x3fb8aa3b, v1, -v2
	v_rndne_f32_e32 v14, v2
	v_dual_fmamk_f32 v5, v1, 0x32a5705f, v5 :: v_dual_sub_f32 v2, v2, v14
	s_delay_alu instid0(VALU_DEP_1) | instskip(SKIP_2) | instid1(VALU_DEP_3)
	v_add_f32_e32 v2, v2, v5
	v_cvt_i32_f32_e32 v5, v14
	v_cmp_ngt_f32_e32 vcc_lo, 0xc2ce8ed0, v1
	v_exp_f32_e32 v2, v2
	s_waitcnt_depctr 0xfff
	v_ldexp_f32 v2, v2, v5
	s_delay_alu instid0(VALU_DEP_1) | instskip(SKIP_1) | instid1(VALU_DEP_2)
	v_cndmask_b32_e32 v2, 0, v2, vcc_lo
	v_cmp_nlt_f32_e32 vcc_lo, 0x42b17218, v1
	v_cndmask_b32_e32 v14, 0x7f800000, v2, vcc_lo
.LBB104_22:
	s_or_b32 exec_lo, exec_lo, s4
	v_sub_nc_u32_e64 v1, s5, s20 clamp
	s_lshl_b32 s4, s20, 1
	s_delay_alu instid0(SALU_CYCLE_1) | instskip(SKIP_1) | instid1(VALU_DEP_1)
	s_add_u32 s18, s18, s4
	s_addc_u32 s19, s19, 0
	v_readfirstlane_b32 s13, v1
	s_branch .LBB104_27
.LBB104_23:
	ds_load_b32 v1, v13
	s_or_b32 exec_lo, exec_lo, s1
	v_cmp_gt_u32_e64 s1, 32, v0
	s_delay_alu instid0(VALU_DEP_1)
	s_and_saveexec_b32 s3, s1
	s_cbranch_execz .LBB104_17
.LBB104_24:
	s_waitcnt lgkmcnt(0)
	ds_bpermute_b32 v2, v6, v1
	s_waitcnt lgkmcnt(0)
	v_cmp_lt_f32_e32 vcc_lo, v1, v2
	v_cndmask_b32_e32 v1, v1, v2, vcc_lo
	ds_bpermute_b32 v2, v7, v1
	s_waitcnt lgkmcnt(0)
	v_cmp_lt_f32_e32 vcc_lo, v1, v2
	v_cndmask_b32_e32 v1, v1, v2, vcc_lo
	;; [unrolled: 4-line block ×5, first 2 shown]
	s_or_b32 exec_lo, exec_lo, s3
	v_cmp_eq_u32_e64 s3, 0, v0
	s_delay_alu instid0(VALU_DEP_1)
	s_and_saveexec_b32 s5, s3
	s_cbranch_execnz .LBB104_18
	s_branch .LBB104_19
.LBB104_25:
                                        ; implicit-def: $sgpr2_sgpr3
                                        ; implicit-def: $sgpr13
                                        ; implicit-def: $vgpr4
                                        ; implicit-def: $sgpr4_sgpr5
	s_cbranch_execnz .LBB104_4
	s_branch .LBB104_5
.LBB104_26:
	s_mov_b64 s[18:19], s[10:11]
	s_mov_b32 s13, s14
.LBB104_27:
	s_load_b32 s4, s[6:7], 0x0
	v_mov_b32_e32 v1, 0
	s_mov_b32 s24, 0
	s_mov_b32 s23, exec_lo
	s_waitcnt lgkmcnt(0)
	s_cmp_lt_u32 s15, s4
	s_cselect_b32 s4, 12, 18
	s_delay_alu instid0(SALU_CYCLE_1) | instskip(SKIP_4) | instid1(VALU_DEP_1)
	s_add_u32 s4, s6, s4
	s_addc_u32 s5, s7, 0
	global_load_u16 v5, v1, s[4:5]
	s_waitcnt vmcnt(0)
	v_readfirstlane_b32 s4, v5
	s_lshl_b32 s15, s4, 3
	s_delay_alu instid0(SALU_CYCLE_1) | instskip(SKIP_1) | instid1(VALU_DEP_1)
	v_cvt_f32_u32_e32 v1, s15
	s_sub_i32 s4, 0, s15
	v_rcp_iflag_f32_e32 v1, v1
	s_waitcnt_depctr 0xfff
	v_mul_f32_e32 v1, 0x4f7ffffe, v1
	s_delay_alu instid0(VALU_DEP_1) | instskip(NEXT) | instid1(VALU_DEP_1)
	v_cvt_u32_f32_e32 v1, v1
	v_readfirstlane_b32 s21, v1
	s_delay_alu instid0(VALU_DEP_1) | instskip(NEXT) | instid1(SALU_CYCLE_1)
	s_mul_i32 s4, s4, s21
	s_mul_hi_u32 s4, s21, s4
	s_delay_alu instid0(SALU_CYCLE_1) | instskip(NEXT) | instid1(SALU_CYCLE_1)
	s_add_i32 s21, s21, s4
	s_mul_hi_u32 s4, s13, s21
	s_delay_alu instid0(SALU_CYCLE_1) | instskip(NEXT) | instid1(SALU_CYCLE_1)
	s_mul_i32 s4, s4, s15
	s_sub_i32 s4, s13, s4
	s_delay_alu instid0(SALU_CYCLE_1) | instskip(SKIP_2) | instid1(SALU_CYCLE_1)
	s_sub_i32 s5, s4, s15
	s_cmp_ge_u32 s4, s15
	s_cselect_b32 s4, s5, s4
	s_sub_i32 s5, s4, s15
	s_cmp_ge_u32 s4, s15
	s_cselect_b32 s4, s5, s4
	s_delay_alu instid0(SALU_CYCLE_1) | instskip(NEXT) | instid1(SALU_CYCLE_1)
	s_sub_i32 s22, s13, s4
	v_cmpx_gt_i32_e64 s22, v3
	s_cbranch_execz .LBB104_31
; %bb.28:
	v_mov_b32_e32 v1, v0
.LBB104_29:                             ; =>This Inner Loop Header: Depth=1
	s_delay_alu instid0(VALU_DEP_1) | instskip(NEXT) | instid1(VALU_DEP_1)
	v_ashrrev_i32_e32 v2, 31, v1
	v_lshlrev_b64 v[15:16], 4, v[1:2]
	s_delay_alu instid0(VALU_DEP_1) | instskip(NEXT) | instid1(VALU_DEP_2)
	v_add_co_u32 v15, vcc_lo, s18, v15
	v_add_co_ci_u32_e32 v16, vcc_lo, s19, v16, vcc_lo
	global_load_b128 v[15:18], v[15:16], off
	s_waitcnt vmcnt(0)
	v_lshrrev_b32_e32 v2, 16, v15
	v_lshrrev_b32_e32 v20, 16, v17
	v_cvt_f32_f16_e32 v15, v15
	v_cvt_f32_f16_e32 v17, v17
	v_lshrrev_b32_e32 v19, 16, v16
	v_lshrrev_b32_e32 v21, 16, v18
	v_cvt_f32_f16_e32 v16, v16
	v_cvt_f32_f16_e32 v18, v18
	v_sub_f32_e32 v17, v17, v4
	v_sub_f32_e32 v15, v15, v4
	v_cvt_f32_f16_e32 v19, v19
	v_cvt_f32_f16_e32 v2, v2
	v_dual_sub_f32 v16, v16, v4 :: v_dual_add_nc_u32 v1, v1, v5
	v_mul_f32_e32 v24, 0x3fb8aa3b, v17
	v_mul_f32_e32 v22, 0x3fb8aa3b, v15
	v_cvt_f32_f16_e32 v21, v21
	v_cvt_f32_f16_e32 v20, v20
	v_cmp_ngt_f32_e64 s5, 0xc2ce8ed0, v15
	v_fma_f32 v32, 0x3fb8aa3b, v17, -v24
	v_fma_f32 v26, 0x3fb8aa3b, v15, -v22
	v_sub_f32_e32 v19, v19, v4
	v_rndne_f32_e32 v27, v22
	v_sub_f32_e32 v21, v21, v4
	v_rndne_f32_e32 v33, v24
	v_fmac_f32_e32 v26, 0x32a5705f, v15
	v_dual_sub_f32 v18, v18, v4 :: v_dual_mul_f32 v31, 0x3fb8aa3b, v19
	v_sub_f32_e32 v2, v2, v4
	v_sub_f32_e32 v22, v22, v27
	v_dual_sub_f32 v20, v20, v4 :: v_dual_mul_f32 v37, 0x3fb8aa3b, v21
	s_delay_alu instid0(VALU_DEP_4) | instskip(NEXT) | instid1(VALU_DEP_4)
	v_mul_f32_e32 v25, 0x3fb8aa3b, v18
	v_dual_mul_f32 v23, 0x3fb8aa3b, v16 :: v_dual_mul_f32 v28, 0x3fb8aa3b, v2
	v_fma_f32 v40, 0x3fb8aa3b, v19, -v31
	v_rndne_f32_e32 v41, v31
	s_delay_alu instid0(VALU_DEP_4) | instskip(NEXT) | instid1(VALU_DEP_4)
	v_fma_f32 v35, 0x3fb8aa3b, v18, -v25
	v_fma_f32 v29, 0x3fb8aa3b, v16, -v23
	v_rndne_f32_e32 v30, v23
	v_rndne_f32_e32 v36, v25
	v_fma_f32 v38, 0x3fb8aa3b, v2, -v28
	v_rndne_f32_e32 v39, v28
	s_delay_alu instid0(VALU_DEP_4) | instskip(SKIP_4) | instid1(VALU_DEP_4)
	v_dual_mul_f32 v34, 0x3fb8aa3b, v20 :: v_dual_sub_f32 v23, v23, v30
	v_dual_fmac_f32 v29, 0x32a5705f, v16 :: v_dual_fmac_f32 v32, 0x32a5705f, v17
	v_dual_sub_f32 v24, v24, v33 :: v_dual_fmac_f32 v35, 0x32a5705f, v18
	v_dual_sub_f32 v25, v25, v36 :: v_dual_add_f32 v22, v22, v26
	v_rndne_f32_e32 v45, v37
	v_dual_fmac_f32 v38, 0x32a5705f, v2 :: v_dual_add_f32 v23, v23, v29
	v_dual_sub_f32 v26, v28, v39 :: v_dual_sub_f32 v29, v31, v41
	v_fmac_f32_e32 v40, 0x32a5705f, v19
	v_dual_add_f32 v24, v24, v32 :: v_dual_add_f32 v25, v25, v35
	v_sub_f32_e32 v35, v37, v45
	v_exp_f32_e32 v22, v22
	v_add_f32_e32 v26, v26, v38
	v_cvt_i32_f32_e32 v27, v27
	v_rndne_f32_e32 v43, v34
	v_exp_f32_e32 v23, v23
	v_cvt_i32_f32_e32 v30, v30
	v_exp_f32_e32 v26, v26
	v_fma_f32 v42, 0x3fb8aa3b, v20, -v34
	v_cvt_i32_f32_e32 v28, v39
	v_dual_sub_f32 v32, v34, v43 :: v_dual_add_f32 v29, v29, v40
	v_ldexp_f32 v22, v22, v27
	v_cmp_ngt_f32_e32 vcc_lo, 0xc2ce8ed0, v16
	v_cmp_ngt_f32_e64 s6, 0xc2ce8ed0, v2
	s_delay_alu instid0(TRANS32_DEP_2)
	v_ldexp_f32 v23, v23, v30
	v_fmac_f32_e32 v42, 0x32a5705f, v20
	v_exp_f32_e32 v29, v29
	v_cndmask_b32_e64 v22, 0, v22, s5
	v_ldexp_f32 v26, v26, v28
	v_cndmask_b32_e32 v23, 0, v23, vcc_lo
	v_cmp_nlt_f32_e64 s7, 0x42b17218, v15
	v_cvt_i32_f32_e32 v31, v41
	v_add_f32_e32 v32, v32, v42
	v_cmp_nlt_f32_e32 vcc_lo, 0x42b17218, v2
	v_fma_f32 v44, 0x3fb8aa3b, v21, -v37
	v_cndmask_b32_e64 v15, 0x7f800000, v22, s7
	v_cndmask_b32_e64 v22, 0, v26, s6
	v_exp_f32_e32 v32, v32
	v_ldexp_f32 v26, v29, v31
	v_cvt_i32_f32_e32 v34, v43
	v_add_f32_e32 v2, v14, v15
	v_cndmask_b32_e32 v14, 0x7f800000, v22, vcc_lo
	v_cmp_ngt_f32_e32 vcc_lo, 0xc2ce8ed0, v19
	v_exp_f32_e32 v24, v24
	v_cmp_nlt_f32_e64 s6, 0x42b17218, v16
	v_cvt_i32_f32_e32 v33, v33
	v_add_f32_e32 v2, v2, v14
	v_cndmask_b32_e32 v16, 0, v26, vcc_lo
	v_cmp_nlt_f32_e32 vcc_lo, 0x42b17218, v19
	v_cndmask_b32_e64 v15, 0x7f800000, v23, s6
	v_ldexp_f32 v22, v32, v34
	v_exp_f32_e32 v25, v25
	v_cmp_ngt_f32_e64 s4, 0xc2ce8ed0, v17
	v_cndmask_b32_e32 v16, 0x7f800000, v16, vcc_lo
	v_cmp_ngt_f32_e32 vcc_lo, 0xc2ce8ed0, v20
	v_fmac_f32_e32 v44, 0x32a5705f, v21
	v_ldexp_f32 v24, v24, v33
	v_add_f32_e32 v2, v2, v15
	v_cvt_i32_f32_e32 v36, v36
	v_cndmask_b32_e32 v15, 0, v22, vcc_lo
	v_add_f32_e32 v35, v35, v44
	v_cndmask_b32_e64 v14, 0, v24, s4
	v_cmp_nlt_f32_e64 s4, 0x42b17218, v17
	v_cvt_i32_f32_e32 v37, v45
	v_ldexp_f32 v25, v25, v36
	v_exp_f32_e32 v35, v35
	v_cmp_ngt_f32_e64 s5, 0xc2ce8ed0, v18
	v_cndmask_b32_e64 v14, 0x7f800000, v14, s4
	v_add_f32_e32 v2, v2, v16
	v_cmp_nlt_f32_e32 vcc_lo, 0x42b17218, v20
	v_cmp_nlt_f32_e64 s4, 0x42b17218, v18
	v_cndmask_b32_e64 v16, 0, v25, s5
	s_delay_alu instid0(VALU_DEP_4) | instskip(NEXT) | instid1(TRANS32_DEP_1)
	v_dual_add_f32 v2, v2, v14 :: v_dual_cndmask_b32 v15, 0x7f800000, v15
	v_ldexp_f32 v17, v35, v37
	v_cmp_ngt_f32_e32 vcc_lo, 0xc2ce8ed0, v21
	s_delay_alu instid0(VALU_DEP_4) | instskip(NEXT) | instid1(VALU_DEP_4)
	v_cndmask_b32_e64 v14, 0x7f800000, v16, s4
	v_dual_add_f32 v2, v2, v15 :: v_dual_lshlrev_b32 v15, 3, v1
	s_delay_alu instid0(VALU_DEP_4) | instskip(SKIP_1) | instid1(VALU_DEP_3)
	v_cndmask_b32_e32 v16, 0, v17, vcc_lo
	v_cmp_nlt_f32_e32 vcc_lo, 0x42b17218, v21
	v_add_f32_e32 v2, v2, v14
	s_delay_alu instid0(VALU_DEP_3) | instskip(SKIP_1) | instid1(VALU_DEP_2)
	v_cndmask_b32_e32 v16, 0x7f800000, v16, vcc_lo
	v_cmp_le_i32_e32 vcc_lo, s22, v15
	v_add_f32_e32 v14, v2, v16
	s_or_b32 s24, vcc_lo, s24
	s_delay_alu instid0(SALU_CYCLE_1)
	s_and_not1_b32 exec_lo, exec_lo, s24
	s_cbranch_execnz .LBB104_29
; %bb.30:
	s_or_b32 exec_lo, exec_lo, s24
.LBB104_31:
	s_delay_alu instid0(SALU_CYCLE_1) | instskip(SKIP_2) | instid1(VALU_DEP_1)
	s_or_b32 exec_lo, exec_lo, s23
	v_add_nc_u32_e32 v1, s22, v0
	s_mov_b32 s4, exec_lo
	v_cmpx_gt_i32_e64 s13, v1
	s_cbranch_execz .LBB104_35
; %bb.32:
	s_mov_b32 s5, 0
	s_set_inst_prefetch_distance 0x1
	.p2align	6
.LBB104_33:                             ; =>This Inner Loop Header: Depth=1
	v_ashrrev_i32_e32 v2, 31, v1
	s_delay_alu instid0(VALU_DEP_1) | instskip(NEXT) | instid1(VALU_DEP_1)
	v_lshlrev_b64 v[15:16], 1, v[1:2]
	v_add_co_u32 v15, vcc_lo, s18, v15
	s_delay_alu instid0(VALU_DEP_2) | instskip(SKIP_3) | instid1(VALU_DEP_1)
	v_add_co_ci_u32_e32 v16, vcc_lo, s19, v16, vcc_lo
	global_load_u16 v2, v[15:16], off
	s_waitcnt vmcnt(0)
	v_cvt_f32_f16_e32 v2, v2
	v_sub_f32_e32 v2, v2, v4
	s_delay_alu instid0(VALU_DEP_1) | instskip(NEXT) | instid1(VALU_DEP_1)
	v_mul_f32_e32 v15, 0x3fb8aa3b, v2
	v_fma_f32 v16, 0x3fb8aa3b, v2, -v15
	v_rndne_f32_e32 v17, v15
	s_delay_alu instid0(VALU_DEP_1) | instskip(SKIP_1) | instid1(VALU_DEP_4)
	v_sub_f32_e32 v15, v15, v17
	v_cmp_ngt_f32_e32 vcc_lo, 0xc2ce8ed0, v2
	v_fmac_f32_e32 v16, 0x32a5705f, v2
	s_delay_alu instid0(VALU_DEP_1) | instskip(SKIP_1) | instid1(VALU_DEP_2)
	v_add_f32_e32 v15, v15, v16
	v_cvt_i32_f32_e32 v16, v17
	v_exp_f32_e32 v15, v15
	s_waitcnt_depctr 0xfff
	v_ldexp_f32 v15, v15, v16
	s_delay_alu instid0(VALU_DEP_1) | instskip(SKIP_1) | instid1(VALU_DEP_2)
	v_cndmask_b32_e32 v15, 0, v15, vcc_lo
	v_cmp_nlt_f32_e32 vcc_lo, 0x42b17218, v2
	v_dual_cndmask_b32 v2, 0x7f800000, v15 :: v_dual_add_nc_u32 v1, v1, v5
	s_delay_alu instid0(VALU_DEP_1) | instskip(NEXT) | instid1(VALU_DEP_2)
	v_cmp_le_i32_e32 vcc_lo, s13, v1
	v_add_f32_e32 v14, v14, v2
	s_or_b32 s5, vcc_lo, s5
	s_delay_alu instid0(SALU_CYCLE_1)
	s_and_not1_b32 exec_lo, exec_lo, s5
	s_cbranch_execnz .LBB104_33
; %bb.34:
	s_set_inst_prefetch_distance 0x2
	s_or_b32 exec_lo, exec_lo, s5
.LBB104_35:
	s_delay_alu instid0(SALU_CYCLE_1)
	s_or_b32 exec_lo, exec_lo, s4
	ds_bpermute_b32 v1, v6, v14
	s_waitcnt lgkmcnt(0)
	s_barrier
	buffer_gl0_inv
	v_add_f32_e32 v1, v14, v1
	ds_bpermute_b32 v2, v7, v1
	s_waitcnt lgkmcnt(0)
	v_add_f32_e32 v1, v1, v2
	ds_bpermute_b32 v2, v8, v1
	s_waitcnt lgkmcnt(0)
	;; [unrolled: 3-line block ×3, first 2 shown]
	v_add_f32_e32 v1, v1, v2
	ds_bpermute_b32 v2, v11, v1
	s_and_saveexec_b32 s4, s2
	s_cbranch_execz .LBB104_37
; %bb.36:
	s_waitcnt lgkmcnt(0)
	v_dual_add_f32 v1, v1, v2 :: v_dual_add_nc_u32 v12, 0, v12
	ds_store_b32 v12, v1
.LBB104_37:
	s_or_b32 exec_lo, exec_lo, s4
	v_mov_b32_e32 v1, 0
	s_waitcnt lgkmcnt(0)
	s_barrier
	buffer_gl0_inv
	s_and_saveexec_b32 s2, s0
	s_cbranch_execnz .LBB104_58
; %bb.38:
	s_or_b32 exec_lo, exec_lo, s2
	s_and_saveexec_b32 s0, s1
	s_cbranch_execnz .LBB104_59
.LBB104_39:
	s_or_b32 exec_lo, exec_lo, s0
	s_and_saveexec_b32 s0, s3
	s_cbranch_execz .LBB104_41
.LBB104_40:
	v_mov_b32_e32 v2, 0
	s_waitcnt lgkmcnt(0)
	ds_store_b32 v2, v1
.LBB104_41:
	s_or_b32 exec_lo, exec_lo, s0
	s_waitcnt lgkmcnt(0)
	v_mov_b32_e32 v1, 0
	s_barrier
	buffer_gl0_inv
	s_add_u32 s1, s8, s16
	ds_load_b32 v1, v1
	s_addc_u32 s5, s9, s17
	s_waitcnt lgkmcnt(0)
	v_cmp_gt_f32_e32 vcc_lo, 0x800000, v1
	v_cndmask_b32_e64 v2, 1.0, 0x4f800000, vcc_lo
	s_delay_alu instid0(VALU_DEP_1) | instskip(NEXT) | instid1(VALU_DEP_1)
	v_mul_f32_e32 v1, v1, v2
	v_log_f32_e32 v1, v1
	s_waitcnt_depctr 0xfff
	v_mul_f32_e32 v2, 0x3f317217, v1
	v_cmp_gt_f32_e64 s0, 0x7f800000, |v1|
	s_delay_alu instid0(VALU_DEP_2) | instskip(NEXT) | instid1(VALU_DEP_1)
	v_fma_f32 v6, 0x3f317217, v1, -v2
	v_fmamk_f32 v6, v1, 0x3377d1cf, v6
	s_delay_alu instid0(VALU_DEP_1) | instskip(NEXT) | instid1(VALU_DEP_1)
	v_add_f32_e32 v2, v2, v6
	v_cndmask_b32_e64 v1, v1, v2, s0
	v_cndmask_b32_e64 v2, 0, 0x41b17218, vcc_lo
	s_bfe_u32 s0, s1, 0x30001
	s_delay_alu instid0(SALU_CYCLE_1) | instskip(SKIP_1) | instid1(VALU_DEP_1)
	s_cmp_lg_u32 s12, s0
	s_mov_b32 s0, -1
	v_sub_f32_e32 v6, v1, v2
	s_cbranch_scc0 .LBB104_46
; %bb.42:
	s_mov_b32 s2, exec_lo
	v_cmpx_gt_i32_e64 s14, v0
	s_cbranch_execz .LBB104_45
; %bb.43:
	v_mov_b32_e32 v1, v0
	s_mov_b32 s3, 0
	.p2align	6
.LBB104_44:                             ; =>This Inner Loop Header: Depth=1
	s_delay_alu instid0(VALU_DEP_1) | instskip(NEXT) | instid1(VALU_DEP_1)
	v_ashrrev_i32_e32 v2, 31, v1
	v_lshlrev_b64 v[7:8], 1, v[1:2]
	v_add_nc_u32_e32 v1, s20, v1
	s_delay_alu instid0(VALU_DEP_2) | instskip(NEXT) | instid1(VALU_DEP_3)
	v_add_co_u32 v10, vcc_lo, s10, v7
	v_add_co_ci_u32_e32 v11, vcc_lo, s11, v8, vcc_lo
	v_add_co_u32 v7, s0, s1, v7
	s_delay_alu instid0(VALU_DEP_1)
	v_add_co_ci_u32_e64 v8, s0, s5, v8, s0
	global_load_u16 v2, v[10:11], off
	v_cmp_le_i32_e32 vcc_lo, s14, v1
	s_or_b32 s3, vcc_lo, s3
	s_waitcnt vmcnt(0)
	v_cvt_f32_f16_e32 v2, v2
	s_delay_alu instid0(VALU_DEP_1) | instskip(NEXT) | instid1(VALU_DEP_1)
	v_sub_f32_e32 v2, v2, v4
	v_sub_f32_e32 v2, v2, v6
	s_delay_alu instid0(VALU_DEP_1)
	v_cvt_f16_f32_e32 v2, v2
	global_store_b16 v[7:8], v2, off
	s_and_not1_b32 exec_lo, exec_lo, s3
	s_cbranch_execnz .LBB104_44
.LBB104_45:
	s_or_b32 exec_lo, exec_lo, s2
	s_mov_b32 s0, 0
.LBB104_46:
	s_delay_alu instid0(SALU_CYCLE_1)
	s_and_not1_b32 vcc_lo, exec_lo, s0
	s_cbranch_vccnz .LBB104_57
; %bb.47:
	v_cmp_ne_u32_e32 vcc_lo, 1, v9
	s_cbranch_vccnz .LBB104_51
; %bb.48:
	s_mov_b32 s13, 0
	v_cmp_le_u32_e32 vcc_lo, s12, v0
	s_lshl_b64 s[6:7], s[12:13], 1
	s_delay_alu instid0(SALU_CYCLE_1) | instskip(SKIP_4) | instid1(SALU_CYCLE_1)
	s_sub_u32 s2, s10, s6
	s_subb_u32 s3, s11, s7
	s_sub_u32 s4, s1, s6
	s_subb_u32 s5, s5, s7
	s_add_i32 s1, s12, s14
	v_cmp_gt_i32_e64 s0, s1, v0
	s_delay_alu instid0(VALU_DEP_1) | instskip(NEXT) | instid1(SALU_CYCLE_1)
	s_and_b32 s6, vcc_lo, s0
	s_and_saveexec_b32 s0, s6
	s_cbranch_execz .LBB104_50
; %bb.49:
	v_lshlrev_b32_e32 v1, 1, v0
	global_load_u16 v2, v1, s[2:3]
	s_waitcnt vmcnt(0)
	v_cvt_f32_f16_e32 v2, v2
	s_delay_alu instid0(VALU_DEP_1) | instskip(NEXT) | instid1(VALU_DEP_1)
	v_sub_f32_e32 v2, v2, v4
	v_sub_f32_e32 v2, v2, v6
	s_delay_alu instid0(VALU_DEP_1)
	v_cvt_f16_f32_e32 v2, v2
	global_store_b16 v1, v2, s[4:5]
.LBB104_50:
	s_or_b32 exec_lo, exec_lo, s0
	v_sub_nc_u32_e64 v1, s1, s20 clamp
	s_lshl_b32 s0, s20, 1
	s_delay_alu instid0(SALU_CYCLE_1) | instskip(SKIP_1) | instid1(VALU_DEP_1)
	s_add_u32 s10, s2, s0
	s_addc_u32 s11, s3, 0
	v_readfirstlane_b32 s14, v1
	s_add_u32 s1, s4, s0
	s_addc_u32 s5, s5, 0
.LBB104_51:
	s_delay_alu instid0(VALU_DEP_1) | instskip(NEXT) | instid1(SALU_CYCLE_1)
	s_mul_hi_u32 s0, s14, s21
	s_mul_i32 s0, s0, s15
	s_delay_alu instid0(SALU_CYCLE_1) | instskip(NEXT) | instid1(SALU_CYCLE_1)
	s_sub_i32 s0, s14, s0
	s_sub_i32 s2, s0, s15
	s_cmp_ge_u32 s0, s15
	s_cselect_b32 s0, s2, s0
	s_delay_alu instid0(SALU_CYCLE_1) | instskip(SKIP_4) | instid1(SALU_CYCLE_1)
	s_sub_i32 s2, s0, s15
	s_cmp_ge_u32 s0, s15
	s_cselect_b32 s0, s2, s0
	s_mov_b32 s2, exec_lo
	s_sub_i32 s0, s14, s0
	v_cmpx_gt_i32_e64 s0, v3
	s_cbranch_execz .LBB104_54
; %bb.52:
	v_mov_b32_e32 v1, v0
	s_mov_b32 s3, 0
.LBB104_53:                             ; =>This Inner Loop Header: Depth=1
	s_delay_alu instid0(VALU_DEP_1) | instskip(NEXT) | instid1(VALU_DEP_1)
	v_ashrrev_i32_e32 v2, 31, v1
	v_lshlrev_b64 v[2:3], 4, v[1:2]
	s_delay_alu instid0(VALU_DEP_1) | instskip(NEXT) | instid1(VALU_DEP_2)
	v_add_co_u32 v7, vcc_lo, s10, v2
	v_add_co_ci_u32_e32 v8, vcc_lo, s11, v3, vcc_lo
	v_add_co_u32 v2, vcc_lo, s1, v2
	v_add_co_ci_u32_e32 v3, vcc_lo, s5, v3, vcc_lo
	global_load_b128 v[7:10], v[7:8], off
	s_waitcnt vmcnt(0)
	v_lshrrev_b32_e32 v12, 16, v7
	v_lshrrev_b32_e32 v13, 16, v8
	;; [unrolled: 1-line block ×3, first 2 shown]
	v_cvt_f32_f16_e32 v7, v7
	v_lshrrev_b32_e32 v15, 16, v10
	v_cvt_f32_f16_e32 v8, v8
	v_add_nc_u32_e32 v1, v1, v5
	v_cvt_f32_f16_e32 v9, v9
	v_cvt_f32_f16_e32 v10, v10
	;; [unrolled: 1-line block ×3, first 2 shown]
	s_delay_alu instid0(VALU_DEP_4) | instskip(SKIP_3) | instid1(VALU_DEP_4)
	v_dual_sub_f32 v8, v8, v4 :: v_dual_lshlrev_b32 v11, 3, v1
	v_sub_f32_e32 v7, v7, v4
	v_cvt_f32_f16_e32 v13, v13
	v_cvt_f32_f16_e32 v14, v14
	v_sub_f32_e32 v8, v8, v6
	v_sub_f32_e32 v10, v10, v4
	;; [unrolled: 1-line block ×3, first 2 shown]
	v_cvt_f32_f16_e32 v15, v15
	v_dual_sub_f32 v7, v7, v6 :: v_dual_sub_f32 v12, v12, v4
	v_sub_f32_e32 v13, v13, v4
	v_sub_f32_e32 v14, v14, v4
	s_delay_alu instid0(VALU_DEP_4) | instskip(SKIP_2) | instid1(VALU_DEP_4)
	v_dual_sub_f32 v15, v15, v4 :: v_dual_sub_f32 v10, v10, v6
	v_sub_f32_e32 v9, v9, v6
	v_sub_f32_e32 v12, v12, v6
	;; [unrolled: 1-line block ×3, first 2 shown]
	s_delay_alu instid0(VALU_DEP_4)
	v_sub_f32_e32 v15, v15, v6
	v_sub_f32_e32 v13, v13, v6
	v_cvt_f16_f32_e32 v7, v7
	v_cvt_f16_f32_e32 v8, v8
	;; [unrolled: 1-line block ×8, first 2 shown]
	v_cmp_le_i32_e32 vcc_lo, s0, v11
	v_pack_b32_f16 v10, v10, v15
	v_pack_b32_f16 v9, v9, v14
	;; [unrolled: 1-line block ×4, first 2 shown]
	s_or_b32 s3, vcc_lo, s3
	global_store_b128 v[2:3], v[7:10], off
	s_and_not1_b32 exec_lo, exec_lo, s3
	s_cbranch_execnz .LBB104_53
.LBB104_54:
	s_or_b32 exec_lo, exec_lo, s2
	v_add_nc_u32_e32 v0, s0, v0
	s_mov_b32 s0, exec_lo
	s_delay_alu instid0(VALU_DEP_1)
	v_cmpx_gt_i32_e64 s14, v0
	s_cbranch_execz .LBB104_57
; %bb.55:
	s_mov_b32 s2, 0
	.p2align	6
.LBB104_56:                             ; =>This Inner Loop Header: Depth=1
	v_ashrrev_i32_e32 v1, 31, v0
	s_delay_alu instid0(VALU_DEP_1) | instskip(SKIP_1) | instid1(VALU_DEP_2)
	v_lshlrev_b64 v[1:2], 1, v[0:1]
	v_add_nc_u32_e32 v0, v0, v5
	v_add_co_u32 v7, vcc_lo, s10, v1
	s_delay_alu instid0(VALU_DEP_3) | instskip(SKIP_1) | instid1(VALU_DEP_1)
	v_add_co_ci_u32_e32 v8, vcc_lo, s11, v2, vcc_lo
	v_add_co_u32 v1, s0, s1, v1
	v_add_co_ci_u32_e64 v2, s0, s5, v2, s0
	global_load_u16 v3, v[7:8], off
	v_cmp_le_i32_e32 vcc_lo, s14, v0
	s_or_b32 s2, vcc_lo, s2
	s_waitcnt vmcnt(0)
	v_cvt_f32_f16_e32 v3, v3
	s_delay_alu instid0(VALU_DEP_1) | instskip(NEXT) | instid1(VALU_DEP_1)
	v_sub_f32_e32 v3, v3, v4
	v_sub_f32_e32 v3, v3, v6
	s_delay_alu instid0(VALU_DEP_1)
	v_cvt_f16_f32_e32 v3, v3
	global_store_b16 v[1:2], v3, off
	s_and_not1_b32 exec_lo, exec_lo, s2
	s_cbranch_execnz .LBB104_56
.LBB104_57:
	s_nop 0
	s_sendmsg sendmsg(MSG_DEALLOC_VGPRS)
	s_endpgm
.LBB104_58:
	ds_load_b32 v1, v13
	s_or_b32 exec_lo, exec_lo, s2
	s_and_saveexec_b32 s0, s1
	s_cbranch_execz .LBB104_39
.LBB104_59:
	s_waitcnt lgkmcnt(0)
	ds_bpermute_b32 v2, v6, v1
	s_waitcnt lgkmcnt(0)
	v_add_f32_e32 v1, v1, v2
	ds_bpermute_b32 v2, v7, v1
	s_waitcnt lgkmcnt(0)
	v_add_f32_e32 v1, v1, v2
	;; [unrolled: 3-line block ×5, first 2 shown]
	s_or_b32 exec_lo, exec_lo, s0
	s_and_saveexec_b32 s0, s3
	s_cbranch_execnz .LBB104_40
	s_branch .LBB104_41
	.section	.rodata,"a",@progbits
	.p2align	6, 0x0
	.amdhsa_kernel _ZN2at6native12_GLOBAL__N_119cunn_SoftMaxForwardILi8EN3c104HalfEfS4_NS1_25LogSoftMaxForwardEpilogueEEEvPT2_PKT0_i
		.amdhsa_group_segment_fixed_size 0
		.amdhsa_private_segment_fixed_size 0
		.amdhsa_kernarg_size 280
		.amdhsa_user_sgpr_count 15
		.amdhsa_user_sgpr_dispatch_ptr 0
		.amdhsa_user_sgpr_queue_ptr 0
		.amdhsa_user_sgpr_kernarg_segment_ptr 1
		.amdhsa_user_sgpr_dispatch_id 0
		.amdhsa_user_sgpr_private_segment_size 0
		.amdhsa_wavefront_size32 1
		.amdhsa_uses_dynamic_stack 0
		.amdhsa_enable_private_segment 0
		.amdhsa_system_sgpr_workgroup_id_x 1
		.amdhsa_system_sgpr_workgroup_id_y 0
		.amdhsa_system_sgpr_workgroup_id_z 0
		.amdhsa_system_sgpr_workgroup_info 0
		.amdhsa_system_vgpr_workitem_id 0
		.amdhsa_next_free_vgpr 46
		.amdhsa_next_free_sgpr 25
		.amdhsa_reserve_vcc 1
		.amdhsa_float_round_mode_32 0
		.amdhsa_float_round_mode_16_64 0
		.amdhsa_float_denorm_mode_32 3
		.amdhsa_float_denorm_mode_16_64 3
		.amdhsa_dx10_clamp 1
		.amdhsa_ieee_mode 1
		.amdhsa_fp16_overflow 0
		.amdhsa_workgroup_processor_mode 1
		.amdhsa_memory_ordered 1
		.amdhsa_forward_progress 0
		.amdhsa_shared_vgpr_count 0
		.amdhsa_exception_fp_ieee_invalid_op 0
		.amdhsa_exception_fp_denorm_src 0
		.amdhsa_exception_fp_ieee_div_zero 0
		.amdhsa_exception_fp_ieee_overflow 0
		.amdhsa_exception_fp_ieee_underflow 0
		.amdhsa_exception_fp_ieee_inexact 0
		.amdhsa_exception_int_div_zero 0
	.end_amdhsa_kernel
	.section	.text._ZN2at6native12_GLOBAL__N_119cunn_SoftMaxForwardILi8EN3c104HalfEfS4_NS1_25LogSoftMaxForwardEpilogueEEEvPT2_PKT0_i,"axG",@progbits,_ZN2at6native12_GLOBAL__N_119cunn_SoftMaxForwardILi8EN3c104HalfEfS4_NS1_25LogSoftMaxForwardEpilogueEEEvPT2_PKT0_i,comdat
.Lfunc_end104:
	.size	_ZN2at6native12_GLOBAL__N_119cunn_SoftMaxForwardILi8EN3c104HalfEfS4_NS1_25LogSoftMaxForwardEpilogueEEEvPT2_PKT0_i, .Lfunc_end104-_ZN2at6native12_GLOBAL__N_119cunn_SoftMaxForwardILi8EN3c104HalfEfS4_NS1_25LogSoftMaxForwardEpilogueEEEvPT2_PKT0_i
                                        ; -- End function
	.section	.AMDGPU.csdata,"",@progbits
; Kernel info:
; codeLenInByte = 4340
; NumSgprs: 27
; NumVgprs: 46
; ScratchSize: 0
; MemoryBound: 0
; FloatMode: 240
; IeeeMode: 1
; LDSByteSize: 0 bytes/workgroup (compile time only)
; SGPRBlocks: 3
; VGPRBlocks: 5
; NumSGPRsForWavesPerEU: 27
; NumVGPRsForWavesPerEU: 46
; Occupancy: 16
; WaveLimiterHint : 0
; COMPUTE_PGM_RSRC2:SCRATCH_EN: 0
; COMPUTE_PGM_RSRC2:USER_SGPR: 15
; COMPUTE_PGM_RSRC2:TRAP_HANDLER: 0
; COMPUTE_PGM_RSRC2:TGID_X_EN: 1
; COMPUTE_PGM_RSRC2:TGID_Y_EN: 0
; COMPUTE_PGM_RSRC2:TGID_Z_EN: 0
; COMPUTE_PGM_RSRC2:TIDIG_COMP_CNT: 0
	.section	.text._ZN12_GLOBAL__N_120softmax_warp_forwardIN3c104HalfEffLi0ELb1ELb0ELi64EEEvPT0_PKT_iiiPKbib,"axG",@progbits,_ZN12_GLOBAL__N_120softmax_warp_forwardIN3c104HalfEffLi0ELb1ELb0ELi64EEEvPT0_PKT_iiiPKbib,comdat
	.globl	_ZN12_GLOBAL__N_120softmax_warp_forwardIN3c104HalfEffLi0ELb1ELb0ELi64EEEvPT0_PKT_iiiPKbib ; -- Begin function _ZN12_GLOBAL__N_120softmax_warp_forwardIN3c104HalfEffLi0ELb1ELb0ELi64EEEvPT0_PKT_iiiPKbib
	.p2align	8
	.type	_ZN12_GLOBAL__N_120softmax_warp_forwardIN3c104HalfEffLi0ELb1ELb0ELi64EEEvPT0_PKT_iiiPKbib,@function
_ZN12_GLOBAL__N_120softmax_warp_forwardIN3c104HalfEffLi0ELb1ELb0ELi64EEEvPT0_PKT_iiiPKbib: ; @_ZN12_GLOBAL__N_120softmax_warp_forwardIN3c104HalfEffLi0ELb1ELb0ELi64EEEvPT0_PKT_iiiPKbib
; %bb.0:
	s_clause 0x1
	s_load_b32 s2, s[0:1], 0x3c
	s_load_b256 s[4:11], s[0:1], 0x0
	v_bfe_u32 v1, v0, 10, 10
	v_and_b32_e32 v2, 0x3ff, v0
	v_mov_b32_e32 v5, 0xff800000
	s_waitcnt lgkmcnt(0)
	s_lshr_b32 s0, s2, 16
	s_delay_alu instid0(VALU_DEP_2) | instskip(SKIP_1) | instid1(SALU_CYCLE_1)
	v_cmp_gt_i32_e32 vcc_lo, s10, v2
	s_mul_i32 s15, s15, s0
	v_add_lshl_u32 v3, s15, v1, 1
	s_delay_alu instid0(VALU_DEP_1) | instskip(SKIP_1) | instid1(VALU_DEP_1)
	v_mad_u64_u32 v[0:1], null, v3, s9, v[2:3]
	v_sub_nc_u32_e32 v4, s8, v3
	v_cmp_lt_i32_e64 s0, 0, v4
	s_delay_alu instid0(VALU_DEP_3) | instskip(NEXT) | instid1(VALU_DEP_2)
	v_ashrrev_i32_e32 v1, 31, v0
	s_and_b32 s2, vcc_lo, s0
	s_delay_alu instid0(VALU_DEP_1) | instskip(NEXT) | instid1(VALU_DEP_1)
	v_lshlrev_b64 v[6:7], 1, v[0:1]
	v_add_co_u32 v2, s1, s6, v6
	v_mov_b32_e32 v6, 0xff800000
	s_delay_alu instid0(VALU_DEP_3)
	v_add_co_ci_u32_e64 v3, s1, s7, v7, s1
	s_and_saveexec_b32 s1, s2
	s_cbranch_execz .LBB105_2
; %bb.1:
	global_load_u16 v6, v[2:3], off
	s_waitcnt vmcnt(0)
	v_cvt_f32_f16_e32 v6, v6
.LBB105_2:
	s_or_b32 exec_lo, exec_lo, s1
	v_cmp_lt_i32_e64 s1, 1, v4
	s_delay_alu instid0(VALU_DEP_1) | instskip(NEXT) | instid1(SALU_CYCLE_1)
	s_and_b32 s1, vcc_lo, s1
	s_and_saveexec_b32 s2, s1
	s_cbranch_execz .LBB105_4
; %bb.3:
	s_mov_b32 s11, 0
	s_delay_alu instid0(SALU_CYCLE_1) | instskip(NEXT) | instid1(SALU_CYCLE_1)
	s_lshl_b64 s[6:7], s[10:11], 1
	v_add_co_u32 v2, s1, v2, s6
	s_delay_alu instid0(VALU_DEP_1)
	v_add_co_ci_u32_e64 v3, s1, s7, v3, s1
	global_load_u16 v2, v[2:3], off
	s_waitcnt vmcnt(0)
	v_cvt_f32_f16_e32 v5, v2
.LBB105_4:
	s_or_b32 exec_lo, exec_lo, s2
	s_and_saveexec_b32 s1, s0
	s_cbranch_execz .LBB105_10
; %bb.5:
	v_lshlrev_b64 v[0:1], 2, v[0:1]
	s_delay_alu instid0(VALU_DEP_1) | instskip(NEXT) | instid1(VALU_DEP_1)
	v_add_co_u32 v0, s0, s4, v0
	v_add_co_ci_u32_e64 v1, s0, s5, v1, s0
	s_and_saveexec_b32 s2, vcc_lo
	s_cbranch_execz .LBB105_7
; %bb.6:
	v_sub_f32_e32 v2, v6, v6
	s_delay_alu instid0(VALU_DEP_1) | instskip(NEXT) | instid1(VALU_DEP_1)
	v_mul_f32_e32 v3, 0x3fb8aa3b, v2
	v_rndne_f32_e32 v6, v3
	v_fma_f32 v7, 0x3fb8aa3b, v2, -v3
	s_delay_alu instid0(VALU_DEP_2) | instskip(NEXT) | instid1(VALU_DEP_2)
	v_sub_f32_e32 v3, v3, v6
	v_fmamk_f32 v7, v2, 0x32a5705f, v7
	v_cvt_i32_f32_e32 v6, v6
	s_delay_alu instid0(VALU_DEP_2) | instskip(SKIP_1) | instid1(VALU_DEP_2)
	v_add_f32_e32 v3, v3, v7
	v_cmp_ngt_f32_e64 s0, 0xc2ce8ed0, v2
	v_exp_f32_e32 v3, v3
	s_waitcnt_depctr 0xfff
	v_ldexp_f32 v3, v3, v6
	s_delay_alu instid0(VALU_DEP_1) | instskip(SKIP_1) | instid1(VALU_DEP_1)
	v_cndmask_b32_e64 v3, 0, v3, s0
	v_cmp_nlt_f32_e64 s0, 0x42b17218, v2
	v_cndmask_b32_e64 v3, 0x7f800000, v3, s0
	s_delay_alu instid0(VALU_DEP_1) | instskip(NEXT) | instid1(VALU_DEP_1)
	v_cmp_gt_f32_e64 s0, 0x800000, v3
	v_cndmask_b32_e64 v6, 1.0, 0x4f800000, s0
	s_delay_alu instid0(VALU_DEP_1) | instskip(NEXT) | instid1(VALU_DEP_1)
	v_mul_f32_e32 v3, v3, v6
	v_log_f32_e32 v3, v3
	s_waitcnt_depctr 0xfff
	v_mul_f32_e32 v6, 0x3f317217, v3
	v_cmp_gt_f32_e64 s1, 0x7f800000, |v3|
	s_delay_alu instid0(VALU_DEP_2) | instskip(NEXT) | instid1(VALU_DEP_1)
	v_fma_f32 v7, 0x3f317217, v3, -v6
	v_fmamk_f32 v7, v3, 0x3377d1cf, v7
	s_delay_alu instid0(VALU_DEP_1) | instskip(NEXT) | instid1(VALU_DEP_1)
	v_add_f32_e32 v6, v6, v7
	v_cndmask_b32_e64 v3, v3, v6, s1
	v_cndmask_b32_e64 v6, 0, 0x41b17218, s0
	s_delay_alu instid0(VALU_DEP_1) | instskip(NEXT) | instid1(VALU_DEP_1)
	v_sub_f32_e32 v3, v3, v6
	v_sub_f32_e32 v2, v2, v3
	global_store_b32 v[0:1], v2, off
.LBB105_7:
	s_or_b32 exec_lo, exec_lo, s2
	v_cmp_ne_u32_e64 s0, 1, v4
	s_delay_alu instid0(VALU_DEP_1)
	s_and_b32 exec_lo, exec_lo, s0
	s_cbranch_execz .LBB105_10
; %bb.8:
	s_and_b32 exec_lo, exec_lo, vcc_lo
	s_cbranch_execz .LBB105_10
; %bb.9:
	v_sub_f32_e32 v2, v5, v5
	s_mov_b32 s11, 0
	s_delay_alu instid0(SALU_CYCLE_1) | instskip(NEXT) | instid1(VALU_DEP_1)
	s_lshl_b64 s[0:1], s[10:11], 2
	v_mul_f32_e32 v3, 0x3fb8aa3b, v2
	s_delay_alu instid0(VALU_DEP_1) | instskip(SKIP_1) | instid1(VALU_DEP_2)
	v_rndne_f32_e32 v4, v3
	v_fma_f32 v5, 0x3fb8aa3b, v2, -v3
	v_sub_f32_e32 v3, v3, v4
	s_delay_alu instid0(VALU_DEP_2) | instskip(SKIP_2) | instid1(VALU_DEP_3)
	v_fmamk_f32 v5, v2, 0x32a5705f, v5
	v_cvt_i32_f32_e32 v4, v4
	v_cmp_ngt_f32_e32 vcc_lo, 0xc2ce8ed0, v2
	v_add_f32_e32 v3, v3, v5
	s_delay_alu instid0(VALU_DEP_1) | instskip(SKIP_2) | instid1(VALU_DEP_1)
	v_exp_f32_e32 v3, v3
	s_waitcnt_depctr 0xfff
	v_ldexp_f32 v3, v3, v4
	v_cndmask_b32_e32 v3, 0, v3, vcc_lo
	v_cmp_nlt_f32_e32 vcc_lo, 0x42b17218, v2
	s_delay_alu instid0(VALU_DEP_2) | instskip(NEXT) | instid1(VALU_DEP_1)
	v_cndmask_b32_e32 v3, 0x7f800000, v3, vcc_lo
	v_cmp_gt_f32_e32 vcc_lo, 0x800000, v3
	v_cndmask_b32_e64 v4, 1.0, 0x4f800000, vcc_lo
	s_delay_alu instid0(VALU_DEP_1) | instskip(NEXT) | instid1(VALU_DEP_1)
	v_mul_f32_e32 v3, v3, v4
	v_log_f32_e32 v3, v3
	s_waitcnt_depctr 0xfff
	v_mul_f32_e32 v4, 0x3f317217, v3
	s_delay_alu instid0(VALU_DEP_1) | instskip(NEXT) | instid1(VALU_DEP_1)
	v_fma_f32 v5, 0x3f317217, v3, -v4
	v_fmamk_f32 v5, v3, 0x3377d1cf, v5
	s_delay_alu instid0(VALU_DEP_1) | instskip(SKIP_2) | instid1(VALU_DEP_3)
	v_add_f32_e32 v4, v4, v5
	v_cndmask_b32_e64 v5, 0, 0x41b17218, vcc_lo
	v_cmp_gt_f32_e64 vcc_lo, 0x7f800000, |v3|
	v_cndmask_b32_e32 v3, v3, v4, vcc_lo
	v_add_co_u32 v0, vcc_lo, v0, s0
	v_add_co_ci_u32_e32 v1, vcc_lo, s1, v1, vcc_lo
	s_delay_alu instid0(VALU_DEP_3) | instskip(NEXT) | instid1(VALU_DEP_1)
	v_sub_f32_e32 v3, v3, v5
	v_sub_f32_e32 v2, v2, v3
	global_store_b32 v[0:1], v2, off
.LBB105_10:
	s_nop 0
	s_sendmsg sendmsg(MSG_DEALLOC_VGPRS)
	s_endpgm
	.section	.rodata,"a",@progbits
	.p2align	6, 0x0
	.amdhsa_kernel _ZN12_GLOBAL__N_120softmax_warp_forwardIN3c104HalfEffLi0ELb1ELb0ELi64EEEvPT0_PKT_iiiPKbib
		.amdhsa_group_segment_fixed_size 0
		.amdhsa_private_segment_fixed_size 0
		.amdhsa_kernarg_size 304
		.amdhsa_user_sgpr_count 15
		.amdhsa_user_sgpr_dispatch_ptr 0
		.amdhsa_user_sgpr_queue_ptr 0
		.amdhsa_user_sgpr_kernarg_segment_ptr 1
		.amdhsa_user_sgpr_dispatch_id 0
		.amdhsa_user_sgpr_private_segment_size 0
		.amdhsa_wavefront_size32 1
		.amdhsa_uses_dynamic_stack 0
		.amdhsa_enable_private_segment 0
		.amdhsa_system_sgpr_workgroup_id_x 1
		.amdhsa_system_sgpr_workgroup_id_y 0
		.amdhsa_system_sgpr_workgroup_id_z 0
		.amdhsa_system_sgpr_workgroup_info 0
		.amdhsa_system_vgpr_workitem_id 1
		.amdhsa_next_free_vgpr 8
		.amdhsa_next_free_sgpr 16
		.amdhsa_reserve_vcc 1
		.amdhsa_float_round_mode_32 0
		.amdhsa_float_round_mode_16_64 0
		.amdhsa_float_denorm_mode_32 3
		.amdhsa_float_denorm_mode_16_64 3
		.amdhsa_dx10_clamp 1
		.amdhsa_ieee_mode 1
		.amdhsa_fp16_overflow 0
		.amdhsa_workgroup_processor_mode 1
		.amdhsa_memory_ordered 1
		.amdhsa_forward_progress 0
		.amdhsa_shared_vgpr_count 0
		.amdhsa_exception_fp_ieee_invalid_op 0
		.amdhsa_exception_fp_denorm_src 0
		.amdhsa_exception_fp_ieee_div_zero 0
		.amdhsa_exception_fp_ieee_overflow 0
		.amdhsa_exception_fp_ieee_underflow 0
		.amdhsa_exception_fp_ieee_inexact 0
		.amdhsa_exception_int_div_zero 0
	.end_amdhsa_kernel
	.section	.text._ZN12_GLOBAL__N_120softmax_warp_forwardIN3c104HalfEffLi0ELb1ELb0ELi64EEEvPT0_PKT_iiiPKbib,"axG",@progbits,_ZN12_GLOBAL__N_120softmax_warp_forwardIN3c104HalfEffLi0ELb1ELb0ELi64EEEvPT0_PKT_iiiPKbib,comdat
.Lfunc_end105:
	.size	_ZN12_GLOBAL__N_120softmax_warp_forwardIN3c104HalfEffLi0ELb1ELb0ELi64EEEvPT0_PKT_iiiPKbib, .Lfunc_end105-_ZN12_GLOBAL__N_120softmax_warp_forwardIN3c104HalfEffLi0ELb1ELb0ELi64EEEvPT0_PKT_iiiPKbib
                                        ; -- End function
	.section	.AMDGPU.csdata,"",@progbits
; Kernel info:
; codeLenInByte = 856
; NumSgprs: 18
; NumVgprs: 8
; ScratchSize: 0
; MemoryBound: 0
; FloatMode: 240
; IeeeMode: 1
; LDSByteSize: 0 bytes/workgroup (compile time only)
; SGPRBlocks: 2
; VGPRBlocks: 0
; NumSGPRsForWavesPerEU: 18
; NumVGPRsForWavesPerEU: 8
; Occupancy: 16
; WaveLimiterHint : 0
; COMPUTE_PGM_RSRC2:SCRATCH_EN: 0
; COMPUTE_PGM_RSRC2:USER_SGPR: 15
; COMPUTE_PGM_RSRC2:TRAP_HANDLER: 0
; COMPUTE_PGM_RSRC2:TGID_X_EN: 1
; COMPUTE_PGM_RSRC2:TGID_Y_EN: 0
; COMPUTE_PGM_RSRC2:TGID_Z_EN: 0
; COMPUTE_PGM_RSRC2:TIDIG_COMP_CNT: 1
	.section	.text._ZN12_GLOBAL__N_120softmax_warp_forwardIN3c104HalfEffLi0ELb1ELb0ELi32EEEvPT0_PKT_iiiPKbib,"axG",@progbits,_ZN12_GLOBAL__N_120softmax_warp_forwardIN3c104HalfEffLi0ELb1ELb0ELi32EEEvPT0_PKT_iiiPKbib,comdat
	.globl	_ZN12_GLOBAL__N_120softmax_warp_forwardIN3c104HalfEffLi0ELb1ELb0ELi32EEEvPT0_PKT_iiiPKbib ; -- Begin function _ZN12_GLOBAL__N_120softmax_warp_forwardIN3c104HalfEffLi0ELb1ELb0ELi32EEEvPT0_PKT_iiiPKbib
	.p2align	8
	.type	_ZN12_GLOBAL__N_120softmax_warp_forwardIN3c104HalfEffLi0ELb1ELb0ELi32EEEvPT0_PKT_iiiPKbib,@function
_ZN12_GLOBAL__N_120softmax_warp_forwardIN3c104HalfEffLi0ELb1ELb0ELi32EEEvPT0_PKT_iiiPKbib: ; @_ZN12_GLOBAL__N_120softmax_warp_forwardIN3c104HalfEffLi0ELb1ELb0ELi32EEEvPT0_PKT_iiiPKbib
; %bb.0:
	s_clause 0x1
	s_load_b32 s2, s[0:1], 0x3c
	s_load_b256 s[4:11], s[0:1], 0x0
	v_bfe_u32 v1, v0, 10, 10
	v_and_b32_e32 v2, 0x3ff, v0
	v_mov_b32_e32 v5, 0xff800000
	s_waitcnt lgkmcnt(0)
	s_lshr_b32 s0, s2, 16
	s_delay_alu instid0(VALU_DEP_2) | instskip(SKIP_1) | instid1(SALU_CYCLE_1)
	v_cmp_gt_i32_e32 vcc_lo, s10, v2
	s_mul_i32 s15, s15, s0
	v_add_lshl_u32 v3, s15, v1, 1
	s_delay_alu instid0(VALU_DEP_1) | instskip(SKIP_1) | instid1(VALU_DEP_1)
	v_mad_u64_u32 v[0:1], null, v3, s9, v[2:3]
	v_sub_nc_u32_e32 v4, s8, v3
	v_cmp_lt_i32_e64 s0, 0, v4
	s_delay_alu instid0(VALU_DEP_3) | instskip(NEXT) | instid1(VALU_DEP_2)
	v_ashrrev_i32_e32 v1, 31, v0
	s_and_b32 s2, vcc_lo, s0
	s_delay_alu instid0(VALU_DEP_1) | instskip(NEXT) | instid1(VALU_DEP_1)
	v_lshlrev_b64 v[6:7], 1, v[0:1]
	v_add_co_u32 v2, s1, s6, v6
	v_mov_b32_e32 v6, 0xff800000
	s_delay_alu instid0(VALU_DEP_3)
	v_add_co_ci_u32_e64 v3, s1, s7, v7, s1
	s_and_saveexec_b32 s1, s2
	s_cbranch_execz .LBB106_2
; %bb.1:
	global_load_u16 v6, v[2:3], off
	s_waitcnt vmcnt(0)
	v_cvt_f32_f16_e32 v6, v6
.LBB106_2:
	s_or_b32 exec_lo, exec_lo, s1
	v_cmp_lt_i32_e64 s1, 1, v4
	s_delay_alu instid0(VALU_DEP_1) | instskip(NEXT) | instid1(SALU_CYCLE_1)
	s_and_b32 s1, vcc_lo, s1
	s_and_saveexec_b32 s2, s1
	s_cbranch_execz .LBB106_4
; %bb.3:
	s_mov_b32 s11, 0
	s_delay_alu instid0(SALU_CYCLE_1) | instskip(NEXT) | instid1(SALU_CYCLE_1)
	s_lshl_b64 s[6:7], s[10:11], 1
	v_add_co_u32 v2, s1, v2, s6
	s_delay_alu instid0(VALU_DEP_1)
	v_add_co_ci_u32_e64 v3, s1, s7, v3, s1
	global_load_u16 v2, v[2:3], off
	s_waitcnt vmcnt(0)
	v_cvt_f32_f16_e32 v5, v2
.LBB106_4:
	s_or_b32 exec_lo, exec_lo, s2
	s_and_saveexec_b32 s1, s0
	s_cbranch_execz .LBB106_10
; %bb.5:
	v_lshlrev_b64 v[0:1], 2, v[0:1]
	s_delay_alu instid0(VALU_DEP_1) | instskip(NEXT) | instid1(VALU_DEP_1)
	v_add_co_u32 v0, s0, s4, v0
	v_add_co_ci_u32_e64 v1, s0, s5, v1, s0
	s_and_saveexec_b32 s2, vcc_lo
	s_cbranch_execz .LBB106_7
; %bb.6:
	v_sub_f32_e32 v2, v6, v6
	s_delay_alu instid0(VALU_DEP_1) | instskip(NEXT) | instid1(VALU_DEP_1)
	v_mul_f32_e32 v3, 0x3fb8aa3b, v2
	v_rndne_f32_e32 v6, v3
	v_fma_f32 v7, 0x3fb8aa3b, v2, -v3
	s_delay_alu instid0(VALU_DEP_2) | instskip(NEXT) | instid1(VALU_DEP_2)
	v_sub_f32_e32 v3, v3, v6
	v_fmamk_f32 v7, v2, 0x32a5705f, v7
	v_cvt_i32_f32_e32 v6, v6
	s_delay_alu instid0(VALU_DEP_2) | instskip(SKIP_1) | instid1(VALU_DEP_2)
	v_add_f32_e32 v3, v3, v7
	v_cmp_ngt_f32_e64 s0, 0xc2ce8ed0, v2
	v_exp_f32_e32 v3, v3
	s_waitcnt_depctr 0xfff
	v_ldexp_f32 v3, v3, v6
	s_delay_alu instid0(VALU_DEP_1) | instskip(SKIP_1) | instid1(VALU_DEP_1)
	v_cndmask_b32_e64 v3, 0, v3, s0
	v_cmp_nlt_f32_e64 s0, 0x42b17218, v2
	v_cndmask_b32_e64 v3, 0x7f800000, v3, s0
	s_delay_alu instid0(VALU_DEP_1) | instskip(NEXT) | instid1(VALU_DEP_1)
	v_cmp_gt_f32_e64 s0, 0x800000, v3
	v_cndmask_b32_e64 v6, 1.0, 0x4f800000, s0
	s_delay_alu instid0(VALU_DEP_1) | instskip(NEXT) | instid1(VALU_DEP_1)
	v_mul_f32_e32 v3, v3, v6
	v_log_f32_e32 v3, v3
	s_waitcnt_depctr 0xfff
	v_mul_f32_e32 v6, 0x3f317217, v3
	v_cmp_gt_f32_e64 s1, 0x7f800000, |v3|
	s_delay_alu instid0(VALU_DEP_2) | instskip(NEXT) | instid1(VALU_DEP_1)
	v_fma_f32 v7, 0x3f317217, v3, -v6
	v_fmamk_f32 v7, v3, 0x3377d1cf, v7
	s_delay_alu instid0(VALU_DEP_1) | instskip(NEXT) | instid1(VALU_DEP_1)
	v_add_f32_e32 v6, v6, v7
	v_cndmask_b32_e64 v3, v3, v6, s1
	v_cndmask_b32_e64 v6, 0, 0x41b17218, s0
	s_delay_alu instid0(VALU_DEP_1) | instskip(NEXT) | instid1(VALU_DEP_1)
	v_sub_f32_e32 v3, v3, v6
	v_sub_f32_e32 v2, v2, v3
	global_store_b32 v[0:1], v2, off
.LBB106_7:
	s_or_b32 exec_lo, exec_lo, s2
	v_cmp_ne_u32_e64 s0, 1, v4
	s_delay_alu instid0(VALU_DEP_1)
	s_and_b32 exec_lo, exec_lo, s0
	s_cbranch_execz .LBB106_10
; %bb.8:
	s_and_b32 exec_lo, exec_lo, vcc_lo
	s_cbranch_execz .LBB106_10
; %bb.9:
	v_sub_f32_e32 v2, v5, v5
	s_mov_b32 s11, 0
	s_delay_alu instid0(SALU_CYCLE_1) | instskip(NEXT) | instid1(VALU_DEP_1)
	s_lshl_b64 s[0:1], s[10:11], 2
	v_mul_f32_e32 v3, 0x3fb8aa3b, v2
	s_delay_alu instid0(VALU_DEP_1) | instskip(SKIP_1) | instid1(VALU_DEP_2)
	v_rndne_f32_e32 v4, v3
	v_fma_f32 v5, 0x3fb8aa3b, v2, -v3
	v_sub_f32_e32 v3, v3, v4
	s_delay_alu instid0(VALU_DEP_2) | instskip(SKIP_2) | instid1(VALU_DEP_3)
	v_fmamk_f32 v5, v2, 0x32a5705f, v5
	v_cvt_i32_f32_e32 v4, v4
	v_cmp_ngt_f32_e32 vcc_lo, 0xc2ce8ed0, v2
	v_add_f32_e32 v3, v3, v5
	s_delay_alu instid0(VALU_DEP_1) | instskip(SKIP_2) | instid1(VALU_DEP_1)
	v_exp_f32_e32 v3, v3
	s_waitcnt_depctr 0xfff
	v_ldexp_f32 v3, v3, v4
	v_cndmask_b32_e32 v3, 0, v3, vcc_lo
	v_cmp_nlt_f32_e32 vcc_lo, 0x42b17218, v2
	s_delay_alu instid0(VALU_DEP_2) | instskip(NEXT) | instid1(VALU_DEP_1)
	v_cndmask_b32_e32 v3, 0x7f800000, v3, vcc_lo
	v_cmp_gt_f32_e32 vcc_lo, 0x800000, v3
	v_cndmask_b32_e64 v4, 1.0, 0x4f800000, vcc_lo
	s_delay_alu instid0(VALU_DEP_1) | instskip(NEXT) | instid1(VALU_DEP_1)
	v_mul_f32_e32 v3, v3, v4
	v_log_f32_e32 v3, v3
	s_waitcnt_depctr 0xfff
	v_mul_f32_e32 v4, 0x3f317217, v3
	s_delay_alu instid0(VALU_DEP_1) | instskip(NEXT) | instid1(VALU_DEP_1)
	v_fma_f32 v5, 0x3f317217, v3, -v4
	v_fmamk_f32 v5, v3, 0x3377d1cf, v5
	s_delay_alu instid0(VALU_DEP_1) | instskip(SKIP_2) | instid1(VALU_DEP_3)
	v_add_f32_e32 v4, v4, v5
	v_cndmask_b32_e64 v5, 0, 0x41b17218, vcc_lo
	v_cmp_gt_f32_e64 vcc_lo, 0x7f800000, |v3|
	v_cndmask_b32_e32 v3, v3, v4, vcc_lo
	v_add_co_u32 v0, vcc_lo, v0, s0
	v_add_co_ci_u32_e32 v1, vcc_lo, s1, v1, vcc_lo
	s_delay_alu instid0(VALU_DEP_3) | instskip(NEXT) | instid1(VALU_DEP_1)
	v_sub_f32_e32 v3, v3, v5
	v_sub_f32_e32 v2, v2, v3
	global_store_b32 v[0:1], v2, off
.LBB106_10:
	s_nop 0
	s_sendmsg sendmsg(MSG_DEALLOC_VGPRS)
	s_endpgm
	.section	.rodata,"a",@progbits
	.p2align	6, 0x0
	.amdhsa_kernel _ZN12_GLOBAL__N_120softmax_warp_forwardIN3c104HalfEffLi0ELb1ELb0ELi32EEEvPT0_PKT_iiiPKbib
		.amdhsa_group_segment_fixed_size 0
		.amdhsa_private_segment_fixed_size 0
		.amdhsa_kernarg_size 304
		.amdhsa_user_sgpr_count 15
		.amdhsa_user_sgpr_dispatch_ptr 0
		.amdhsa_user_sgpr_queue_ptr 0
		.amdhsa_user_sgpr_kernarg_segment_ptr 1
		.amdhsa_user_sgpr_dispatch_id 0
		.amdhsa_user_sgpr_private_segment_size 0
		.amdhsa_wavefront_size32 1
		.amdhsa_uses_dynamic_stack 0
		.amdhsa_enable_private_segment 0
		.amdhsa_system_sgpr_workgroup_id_x 1
		.amdhsa_system_sgpr_workgroup_id_y 0
		.amdhsa_system_sgpr_workgroup_id_z 0
		.amdhsa_system_sgpr_workgroup_info 0
		.amdhsa_system_vgpr_workitem_id 1
		.amdhsa_next_free_vgpr 8
		.amdhsa_next_free_sgpr 16
		.amdhsa_reserve_vcc 1
		.amdhsa_float_round_mode_32 0
		.amdhsa_float_round_mode_16_64 0
		.amdhsa_float_denorm_mode_32 3
		.amdhsa_float_denorm_mode_16_64 3
		.amdhsa_dx10_clamp 1
		.amdhsa_ieee_mode 1
		.amdhsa_fp16_overflow 0
		.amdhsa_workgroup_processor_mode 1
		.amdhsa_memory_ordered 1
		.amdhsa_forward_progress 0
		.amdhsa_shared_vgpr_count 0
		.amdhsa_exception_fp_ieee_invalid_op 0
		.amdhsa_exception_fp_denorm_src 0
		.amdhsa_exception_fp_ieee_div_zero 0
		.amdhsa_exception_fp_ieee_overflow 0
		.amdhsa_exception_fp_ieee_underflow 0
		.amdhsa_exception_fp_ieee_inexact 0
		.amdhsa_exception_int_div_zero 0
	.end_amdhsa_kernel
	.section	.text._ZN12_GLOBAL__N_120softmax_warp_forwardIN3c104HalfEffLi0ELb1ELb0ELi32EEEvPT0_PKT_iiiPKbib,"axG",@progbits,_ZN12_GLOBAL__N_120softmax_warp_forwardIN3c104HalfEffLi0ELb1ELb0ELi32EEEvPT0_PKT_iiiPKbib,comdat
.Lfunc_end106:
	.size	_ZN12_GLOBAL__N_120softmax_warp_forwardIN3c104HalfEffLi0ELb1ELb0ELi32EEEvPT0_PKT_iiiPKbib, .Lfunc_end106-_ZN12_GLOBAL__N_120softmax_warp_forwardIN3c104HalfEffLi0ELb1ELb0ELi32EEEvPT0_PKT_iiiPKbib
                                        ; -- End function
	.section	.AMDGPU.csdata,"",@progbits
; Kernel info:
; codeLenInByte = 856
; NumSgprs: 18
; NumVgprs: 8
; ScratchSize: 0
; MemoryBound: 0
; FloatMode: 240
; IeeeMode: 1
; LDSByteSize: 0 bytes/workgroup (compile time only)
; SGPRBlocks: 2
; VGPRBlocks: 0
; NumSGPRsForWavesPerEU: 18
; NumVGPRsForWavesPerEU: 8
; Occupancy: 16
; WaveLimiterHint : 0
; COMPUTE_PGM_RSRC2:SCRATCH_EN: 0
; COMPUTE_PGM_RSRC2:USER_SGPR: 15
; COMPUTE_PGM_RSRC2:TRAP_HANDLER: 0
; COMPUTE_PGM_RSRC2:TGID_X_EN: 1
; COMPUTE_PGM_RSRC2:TGID_Y_EN: 0
; COMPUTE_PGM_RSRC2:TGID_Z_EN: 0
; COMPUTE_PGM_RSRC2:TIDIG_COMP_CNT: 1
	.section	.text._ZN12_GLOBAL__N_120softmax_warp_forwardIN3c104HalfEffLi1ELb1ELb0ELi64EEEvPT0_PKT_iiiPKbib,"axG",@progbits,_ZN12_GLOBAL__N_120softmax_warp_forwardIN3c104HalfEffLi1ELb1ELb0ELi64EEEvPT0_PKT_iiiPKbib,comdat
	.globl	_ZN12_GLOBAL__N_120softmax_warp_forwardIN3c104HalfEffLi1ELb1ELb0ELi64EEEvPT0_PKT_iiiPKbib ; -- Begin function _ZN12_GLOBAL__N_120softmax_warp_forwardIN3c104HalfEffLi1ELb1ELb0ELi64EEEvPT0_PKT_iiiPKbib
	.p2align	8
	.type	_ZN12_GLOBAL__N_120softmax_warp_forwardIN3c104HalfEffLi1ELb1ELb0ELi64EEEvPT0_PKT_iiiPKbib,@function
_ZN12_GLOBAL__N_120softmax_warp_forwardIN3c104HalfEffLi1ELb1ELb0ELi64EEEvPT0_PKT_iiiPKbib: ; @_ZN12_GLOBAL__N_120softmax_warp_forwardIN3c104HalfEffLi1ELb1ELb0ELi64EEEvPT0_PKT_iiiPKbib
; %bb.0:
	s_clause 0x1
	s_load_b32 s2, s[0:1], 0x3c
	s_load_b256 s[4:11], s[0:1], 0x0
	v_bfe_u32 v1, v0, 10, 10
	v_and_b32_e32 v2, 0x3ff, v0
	v_mov_b32_e32 v5, 0xff800000
	s_waitcnt lgkmcnt(0)
	s_lshr_b32 s0, s2, 16
	s_delay_alu instid0(VALU_DEP_2) | instskip(SKIP_1) | instid1(SALU_CYCLE_1)
	v_cmp_gt_i32_e32 vcc_lo, s10, v2
	s_mul_i32 s15, s15, s0
	v_add_lshl_u32 v3, s15, v1, 1
	s_delay_alu instid0(VALU_DEP_1) | instskip(SKIP_1) | instid1(VALU_DEP_1)
	v_mad_u64_u32 v[0:1], null, v3, s9, v[2:3]
	v_sub_nc_u32_e32 v4, s8, v3
	v_cmp_lt_i32_e64 s0, 0, v4
	s_delay_alu instid0(VALU_DEP_3) | instskip(NEXT) | instid1(VALU_DEP_2)
	v_ashrrev_i32_e32 v1, 31, v0
	s_and_b32 s2, vcc_lo, s0
	s_delay_alu instid0(VALU_DEP_1) | instskip(NEXT) | instid1(VALU_DEP_1)
	v_lshlrev_b64 v[6:7], 1, v[0:1]
	v_add_co_u32 v2, s1, s6, v6
	v_mov_b32_e32 v6, 0xff800000
	s_delay_alu instid0(VALU_DEP_3)
	v_add_co_ci_u32_e64 v3, s1, s7, v7, s1
	s_and_saveexec_b32 s1, s2
	s_cbranch_execz .LBB107_2
; %bb.1:
	global_load_u16 v6, v[2:3], off
	s_waitcnt vmcnt(0)
	v_cvt_f32_f16_e32 v6, v6
.LBB107_2:
	s_or_b32 exec_lo, exec_lo, s1
	v_cmp_lt_i32_e64 s1, 1, v4
	s_delay_alu instid0(VALU_DEP_1) | instskip(NEXT) | instid1(SALU_CYCLE_1)
	s_and_b32 s1, vcc_lo, s1
	s_and_saveexec_b32 s2, s1
	s_cbranch_execz .LBB107_4
; %bb.3:
	s_mov_b32 s11, 0
	s_delay_alu instid0(SALU_CYCLE_1) | instskip(NEXT) | instid1(SALU_CYCLE_1)
	s_lshl_b64 s[6:7], s[10:11], 1
	v_add_co_u32 v2, s1, v2, s6
	s_delay_alu instid0(VALU_DEP_1)
	v_add_co_ci_u32_e64 v3, s1, s7, v3, s1
	global_load_u16 v2, v[2:3], off
	s_waitcnt vmcnt(0)
	v_cvt_f32_f16_e32 v5, v2
.LBB107_4:
	s_or_b32 exec_lo, exec_lo, s2
	v_mbcnt_lo_u32_b32 v2, -1, 0
	s_delay_alu instid0(VALU_DEP_1) | instskip(SKIP_1) | instid1(VALU_DEP_2)
	v_and_b32_e32 v3, 30, v2
	v_xor_b32_e32 v7, 1, v2
	v_add_nc_u32_e32 v3, 2, v3
	s_delay_alu instid0(VALU_DEP_1) | instskip(NEXT) | instid1(VALU_DEP_1)
	v_cmp_lt_i32_e64 s1, v7, v3
	v_cndmask_b32_e64 v2, v2, v7, s1
	s_delay_alu instid0(VALU_DEP_1) | instskip(SKIP_4) | instid1(VALU_DEP_1)
	v_lshlrev_b32_e32 v9, 2, v2
	ds_bpermute_b32 v2, v9, v6
	ds_bpermute_b32 v3, v9, v5
	s_waitcnt lgkmcnt(1)
	v_cmp_lt_f32_e64 s1, v6, v2
	v_cndmask_b32_e64 v2, v6, v2, s1
	s_waitcnt lgkmcnt(0)
	v_cmp_lt_f32_e64 s1, v5, v3
	s_delay_alu instid0(VALU_DEP_1) | instskip(NEXT) | instid1(VALU_DEP_1)
	v_cndmask_b32_e64 v7, v5, v3, s1
	v_dual_sub_f32 v3, v6, v2 :: v_dual_sub_f32 v2, v5, v7
	s_delay_alu instid0(VALU_DEP_1) | instskip(NEXT) | instid1(VALU_DEP_2)
	v_cmp_ngt_f32_e64 s1, 0xc2ce8ed0, v3
	v_mul_f32_e32 v6, 0x3fb8aa3b, v2
	s_delay_alu instid0(VALU_DEP_1) | instskip(SKIP_1) | instid1(VALU_DEP_2)
	v_fma_f32 v10, 0x3fb8aa3b, v2, -v6
	v_rndne_f32_e32 v11, v6
	v_fmac_f32_e32 v10, 0x32a5705f, v2
	s_delay_alu instid0(VALU_DEP_2) | instskip(NEXT) | instid1(VALU_DEP_1)
	v_sub_f32_e32 v6, v6, v11
	v_dual_mul_f32 v5, 0x3fb8aa3b, v3 :: v_dual_add_f32 v6, v6, v10
	s_delay_alu instid0(VALU_DEP_1) | instskip(SKIP_1) | instid1(VALU_DEP_3)
	v_fma_f32 v7, 0x3fb8aa3b, v3, -v5
	v_rndne_f32_e32 v8, v5
	v_exp_f32_e32 v6, v6
	s_delay_alu instid0(VALU_DEP_2) | instskip(NEXT) | instid1(VALU_DEP_2)
	v_fmac_f32_e32 v7, 0x32a5705f, v3
	v_sub_f32_e32 v5, v5, v8
	s_delay_alu instid0(VALU_DEP_1) | instskip(SKIP_2) | instid1(VALU_DEP_3)
	v_add_f32_e32 v5, v5, v7
	v_cvt_i32_f32_e32 v7, v8
	v_cvt_i32_f32_e32 v8, v11
	v_exp_f32_e32 v5, v5
	s_delay_alu instid0(TRANS32_DEP_2) | instid1(VALU_DEP_1)
	v_ldexp_f32 v6, v6, v8
	s_waitcnt_depctr 0xfff
	v_ldexp_f32 v5, v5, v7
	s_delay_alu instid0(VALU_DEP_1) | instskip(SKIP_1) | instid1(VALU_DEP_1)
	v_cndmask_b32_e64 v5, 0, v5, s1
	v_cmp_ngt_f32_e64 s1, 0xc2ce8ed0, v2
	v_cndmask_b32_e64 v6, 0, v6, s1
	v_cmp_nlt_f32_e64 s1, 0x42b17218, v3
	s_delay_alu instid0(VALU_DEP_1)
	v_cndmask_b32_e64 v7, 0x7f800000, v5, s1
	v_cmp_nlt_f32_e64 s1, 0x42b17218, v2
	ds_bpermute_b32 v8, v9, v7
	v_cndmask_b32_e64 v5, 0x7f800000, v6, s1
	ds_bpermute_b32 v6, v9, v5
	s_and_saveexec_b32 s1, s0
	s_cbranch_execz .LBB107_10
; %bb.5:
	v_lshlrev_b64 v[0:1], 2, v[0:1]
	s_delay_alu instid0(VALU_DEP_1) | instskip(NEXT) | instid1(VALU_DEP_1)
	v_add_co_u32 v0, s0, s4, v0
	v_add_co_ci_u32_e64 v1, s0, s5, v1, s0
	s_and_saveexec_b32 s2, vcc_lo
	s_cbranch_execz .LBB107_7
; %bb.6:
	s_waitcnt lgkmcnt(1)
	v_add_f32_e32 v7, v7, v8
	s_delay_alu instid0(VALU_DEP_1) | instskip(NEXT) | instid1(VALU_DEP_1)
	v_cmp_gt_f32_e64 s0, 0x800000, v7
	v_cndmask_b32_e64 v8, 1.0, 0x4f800000, s0
	s_delay_alu instid0(VALU_DEP_1) | instskip(NEXT) | instid1(VALU_DEP_1)
	v_mul_f32_e32 v7, v7, v8
	v_log_f32_e32 v7, v7
	s_waitcnt_depctr 0xfff
	v_mul_f32_e32 v8, 0x3f317217, v7
	v_cmp_gt_f32_e64 s1, 0x7f800000, |v7|
	s_delay_alu instid0(VALU_DEP_2) | instskip(NEXT) | instid1(VALU_DEP_1)
	v_fma_f32 v9, 0x3f317217, v7, -v8
	v_fmamk_f32 v9, v7, 0x3377d1cf, v9
	s_delay_alu instid0(VALU_DEP_1) | instskip(NEXT) | instid1(VALU_DEP_1)
	v_add_f32_e32 v8, v8, v9
	v_cndmask_b32_e64 v7, v7, v8, s1
	v_cndmask_b32_e64 v8, 0, 0x41b17218, s0
	s_delay_alu instid0(VALU_DEP_1) | instskip(NEXT) | instid1(VALU_DEP_1)
	v_sub_f32_e32 v7, v7, v8
	v_sub_f32_e32 v3, v3, v7
	global_store_b32 v[0:1], v3, off
.LBB107_7:
	s_or_b32 exec_lo, exec_lo, s2
	v_cmp_ne_u32_e64 s0, 1, v4
	s_delay_alu instid0(VALU_DEP_1)
	s_and_b32 exec_lo, exec_lo, s0
	s_cbranch_execz .LBB107_10
; %bb.8:
	s_and_b32 exec_lo, exec_lo, vcc_lo
	s_cbranch_execz .LBB107_10
; %bb.9:
	s_waitcnt lgkmcnt(0)
	v_add_f32_e32 v3, v5, v6
	s_mov_b32 s11, 0
	s_delay_alu instid0(SALU_CYCLE_1) | instskip(NEXT) | instid1(VALU_DEP_1)
	s_lshl_b64 s[0:1], s[10:11], 2
	v_cmp_gt_f32_e32 vcc_lo, 0x800000, v3
	v_cndmask_b32_e64 v4, 1.0, 0x4f800000, vcc_lo
	s_delay_alu instid0(VALU_DEP_1) | instskip(NEXT) | instid1(VALU_DEP_1)
	v_mul_f32_e32 v3, v3, v4
	v_log_f32_e32 v3, v3
	s_waitcnt_depctr 0xfff
	v_mul_f32_e32 v4, 0x3f317217, v3
	s_delay_alu instid0(VALU_DEP_1) | instskip(NEXT) | instid1(VALU_DEP_1)
	v_fma_f32 v5, 0x3f317217, v3, -v4
	v_fmamk_f32 v5, v3, 0x3377d1cf, v5
	s_delay_alu instid0(VALU_DEP_1) | instskip(SKIP_2) | instid1(VALU_DEP_3)
	v_add_f32_e32 v4, v4, v5
	v_cndmask_b32_e64 v5, 0, 0x41b17218, vcc_lo
	v_cmp_gt_f32_e64 vcc_lo, 0x7f800000, |v3|
	v_cndmask_b32_e32 v3, v3, v4, vcc_lo
	v_add_co_u32 v0, vcc_lo, v0, s0
	v_add_co_ci_u32_e32 v1, vcc_lo, s1, v1, vcc_lo
	s_delay_alu instid0(VALU_DEP_3) | instskip(NEXT) | instid1(VALU_DEP_1)
	v_sub_f32_e32 v3, v3, v5
	v_sub_f32_e32 v2, v2, v3
	global_store_b32 v[0:1], v2, off
.LBB107_10:
	s_nop 0
	s_sendmsg sendmsg(MSG_DEALLOC_VGPRS)
	s_endpgm
	.section	.rodata,"a",@progbits
	.p2align	6, 0x0
	.amdhsa_kernel _ZN12_GLOBAL__N_120softmax_warp_forwardIN3c104HalfEffLi1ELb1ELb0ELi64EEEvPT0_PKT_iiiPKbib
		.amdhsa_group_segment_fixed_size 0
		.amdhsa_private_segment_fixed_size 0
		.amdhsa_kernarg_size 304
		.amdhsa_user_sgpr_count 15
		.amdhsa_user_sgpr_dispatch_ptr 0
		.amdhsa_user_sgpr_queue_ptr 0
		.amdhsa_user_sgpr_kernarg_segment_ptr 1
		.amdhsa_user_sgpr_dispatch_id 0
		.amdhsa_user_sgpr_private_segment_size 0
		.amdhsa_wavefront_size32 1
		.amdhsa_uses_dynamic_stack 0
		.amdhsa_enable_private_segment 0
		.amdhsa_system_sgpr_workgroup_id_x 1
		.amdhsa_system_sgpr_workgroup_id_y 0
		.amdhsa_system_sgpr_workgroup_id_z 0
		.amdhsa_system_sgpr_workgroup_info 0
		.amdhsa_system_vgpr_workitem_id 1
		.amdhsa_next_free_vgpr 12
		.amdhsa_next_free_sgpr 16
		.amdhsa_reserve_vcc 1
		.amdhsa_float_round_mode_32 0
		.amdhsa_float_round_mode_16_64 0
		.amdhsa_float_denorm_mode_32 3
		.amdhsa_float_denorm_mode_16_64 3
		.amdhsa_dx10_clamp 1
		.amdhsa_ieee_mode 1
		.amdhsa_fp16_overflow 0
		.amdhsa_workgroup_processor_mode 1
		.amdhsa_memory_ordered 1
		.amdhsa_forward_progress 0
		.amdhsa_shared_vgpr_count 0
		.amdhsa_exception_fp_ieee_invalid_op 0
		.amdhsa_exception_fp_denorm_src 0
		.amdhsa_exception_fp_ieee_div_zero 0
		.amdhsa_exception_fp_ieee_overflow 0
		.amdhsa_exception_fp_ieee_underflow 0
		.amdhsa_exception_fp_ieee_inexact 0
		.amdhsa_exception_int_div_zero 0
	.end_amdhsa_kernel
	.section	.text._ZN12_GLOBAL__N_120softmax_warp_forwardIN3c104HalfEffLi1ELb1ELb0ELi64EEEvPT0_PKT_iiiPKbib,"axG",@progbits,_ZN12_GLOBAL__N_120softmax_warp_forwardIN3c104HalfEffLi1ELb1ELb0ELi64EEEvPT0_PKT_iiiPKbib,comdat
.Lfunc_end107:
	.size	_ZN12_GLOBAL__N_120softmax_warp_forwardIN3c104HalfEffLi1ELb1ELb0ELi64EEEvPT0_PKT_iiiPKbib, .Lfunc_end107-_ZN12_GLOBAL__N_120softmax_warp_forwardIN3c104HalfEffLi1ELb1ELb0ELi64EEEvPT0_PKT_iiiPKbib
                                        ; -- End function
	.section	.AMDGPU.csdata,"",@progbits
; Kernel info:
; codeLenInByte = 1016
; NumSgprs: 18
; NumVgprs: 12
; ScratchSize: 0
; MemoryBound: 0
; FloatMode: 240
; IeeeMode: 1
; LDSByteSize: 0 bytes/workgroup (compile time only)
; SGPRBlocks: 2
; VGPRBlocks: 1
; NumSGPRsForWavesPerEU: 18
; NumVGPRsForWavesPerEU: 12
; Occupancy: 16
; WaveLimiterHint : 0
; COMPUTE_PGM_RSRC2:SCRATCH_EN: 0
; COMPUTE_PGM_RSRC2:USER_SGPR: 15
; COMPUTE_PGM_RSRC2:TRAP_HANDLER: 0
; COMPUTE_PGM_RSRC2:TGID_X_EN: 1
; COMPUTE_PGM_RSRC2:TGID_Y_EN: 0
; COMPUTE_PGM_RSRC2:TGID_Z_EN: 0
; COMPUTE_PGM_RSRC2:TIDIG_COMP_CNT: 1
	.section	.text._ZN12_GLOBAL__N_120softmax_warp_forwardIN3c104HalfEffLi1ELb1ELb0ELi32EEEvPT0_PKT_iiiPKbib,"axG",@progbits,_ZN12_GLOBAL__N_120softmax_warp_forwardIN3c104HalfEffLi1ELb1ELb0ELi32EEEvPT0_PKT_iiiPKbib,comdat
	.globl	_ZN12_GLOBAL__N_120softmax_warp_forwardIN3c104HalfEffLi1ELb1ELb0ELi32EEEvPT0_PKT_iiiPKbib ; -- Begin function _ZN12_GLOBAL__N_120softmax_warp_forwardIN3c104HalfEffLi1ELb1ELb0ELi32EEEvPT0_PKT_iiiPKbib
	.p2align	8
	.type	_ZN12_GLOBAL__N_120softmax_warp_forwardIN3c104HalfEffLi1ELb1ELb0ELi32EEEvPT0_PKT_iiiPKbib,@function
_ZN12_GLOBAL__N_120softmax_warp_forwardIN3c104HalfEffLi1ELb1ELb0ELi32EEEvPT0_PKT_iiiPKbib: ; @_ZN12_GLOBAL__N_120softmax_warp_forwardIN3c104HalfEffLi1ELb1ELb0ELi32EEEvPT0_PKT_iiiPKbib
; %bb.0:
	s_clause 0x1
	s_load_b32 s2, s[0:1], 0x3c
	s_load_b256 s[4:11], s[0:1], 0x0
	v_bfe_u32 v1, v0, 10, 10
	v_and_b32_e32 v2, 0x3ff, v0
	v_mov_b32_e32 v5, 0xff800000
	s_waitcnt lgkmcnt(0)
	s_lshr_b32 s0, s2, 16
	s_delay_alu instid0(VALU_DEP_2) | instskip(SKIP_1) | instid1(SALU_CYCLE_1)
	v_cmp_gt_i32_e32 vcc_lo, s10, v2
	s_mul_i32 s15, s15, s0
	v_add_lshl_u32 v3, s15, v1, 1
	s_delay_alu instid0(VALU_DEP_1) | instskip(SKIP_1) | instid1(VALU_DEP_1)
	v_mad_u64_u32 v[0:1], null, v3, s9, v[2:3]
	v_sub_nc_u32_e32 v4, s8, v3
	v_cmp_lt_i32_e64 s0, 0, v4
	s_delay_alu instid0(VALU_DEP_3) | instskip(NEXT) | instid1(VALU_DEP_2)
	v_ashrrev_i32_e32 v1, 31, v0
	s_and_b32 s2, vcc_lo, s0
	s_delay_alu instid0(VALU_DEP_1) | instskip(NEXT) | instid1(VALU_DEP_1)
	v_lshlrev_b64 v[6:7], 1, v[0:1]
	v_add_co_u32 v2, s1, s6, v6
	v_mov_b32_e32 v6, 0xff800000
	s_delay_alu instid0(VALU_DEP_3)
	v_add_co_ci_u32_e64 v3, s1, s7, v7, s1
	s_and_saveexec_b32 s1, s2
	s_cbranch_execz .LBB108_2
; %bb.1:
	global_load_u16 v6, v[2:3], off
	s_waitcnt vmcnt(0)
	v_cvt_f32_f16_e32 v6, v6
.LBB108_2:
	s_or_b32 exec_lo, exec_lo, s1
	v_cmp_lt_i32_e64 s1, 1, v4
	s_delay_alu instid0(VALU_DEP_1) | instskip(NEXT) | instid1(SALU_CYCLE_1)
	s_and_b32 s1, vcc_lo, s1
	s_and_saveexec_b32 s2, s1
	s_cbranch_execz .LBB108_4
; %bb.3:
	s_mov_b32 s11, 0
	s_delay_alu instid0(SALU_CYCLE_1) | instskip(NEXT) | instid1(SALU_CYCLE_1)
	s_lshl_b64 s[6:7], s[10:11], 1
	v_add_co_u32 v2, s1, v2, s6
	s_delay_alu instid0(VALU_DEP_1)
	v_add_co_ci_u32_e64 v3, s1, s7, v3, s1
	global_load_u16 v2, v[2:3], off
	s_waitcnt vmcnt(0)
	v_cvt_f32_f16_e32 v5, v2
.LBB108_4:
	s_or_b32 exec_lo, exec_lo, s2
	v_mbcnt_lo_u32_b32 v2, -1, 0
	s_delay_alu instid0(VALU_DEP_1) | instskip(SKIP_1) | instid1(VALU_DEP_2)
	v_and_b32_e32 v3, 30, v2
	v_xor_b32_e32 v7, 1, v2
	v_add_nc_u32_e32 v3, 2, v3
	s_delay_alu instid0(VALU_DEP_1) | instskip(NEXT) | instid1(VALU_DEP_1)
	v_cmp_lt_i32_e64 s1, v7, v3
	v_cndmask_b32_e64 v2, v2, v7, s1
	s_delay_alu instid0(VALU_DEP_1) | instskip(SKIP_4) | instid1(VALU_DEP_1)
	v_lshlrev_b32_e32 v9, 2, v2
	ds_bpermute_b32 v2, v9, v6
	ds_bpermute_b32 v3, v9, v5
	s_waitcnt lgkmcnt(1)
	v_cmp_lt_f32_e64 s1, v6, v2
	v_cndmask_b32_e64 v2, v6, v2, s1
	s_waitcnt lgkmcnt(0)
	v_cmp_lt_f32_e64 s1, v5, v3
	s_delay_alu instid0(VALU_DEP_1) | instskip(NEXT) | instid1(VALU_DEP_1)
	v_cndmask_b32_e64 v7, v5, v3, s1
	v_dual_sub_f32 v3, v6, v2 :: v_dual_sub_f32 v2, v5, v7
	s_delay_alu instid0(VALU_DEP_1) | instskip(NEXT) | instid1(VALU_DEP_2)
	v_cmp_ngt_f32_e64 s1, 0xc2ce8ed0, v3
	v_mul_f32_e32 v6, 0x3fb8aa3b, v2
	s_delay_alu instid0(VALU_DEP_1) | instskip(SKIP_1) | instid1(VALU_DEP_2)
	v_fma_f32 v10, 0x3fb8aa3b, v2, -v6
	v_rndne_f32_e32 v11, v6
	v_fmac_f32_e32 v10, 0x32a5705f, v2
	s_delay_alu instid0(VALU_DEP_2) | instskip(NEXT) | instid1(VALU_DEP_1)
	v_sub_f32_e32 v6, v6, v11
	v_dual_mul_f32 v5, 0x3fb8aa3b, v3 :: v_dual_add_f32 v6, v6, v10
	s_delay_alu instid0(VALU_DEP_1) | instskip(SKIP_1) | instid1(VALU_DEP_3)
	v_fma_f32 v7, 0x3fb8aa3b, v3, -v5
	v_rndne_f32_e32 v8, v5
	v_exp_f32_e32 v6, v6
	s_delay_alu instid0(VALU_DEP_2) | instskip(NEXT) | instid1(VALU_DEP_2)
	v_fmac_f32_e32 v7, 0x32a5705f, v3
	v_sub_f32_e32 v5, v5, v8
	s_delay_alu instid0(VALU_DEP_1) | instskip(SKIP_2) | instid1(VALU_DEP_3)
	v_add_f32_e32 v5, v5, v7
	v_cvt_i32_f32_e32 v7, v8
	v_cvt_i32_f32_e32 v8, v11
	v_exp_f32_e32 v5, v5
	s_delay_alu instid0(TRANS32_DEP_2) | instid1(VALU_DEP_1)
	v_ldexp_f32 v6, v6, v8
	s_waitcnt_depctr 0xfff
	v_ldexp_f32 v5, v5, v7
	s_delay_alu instid0(VALU_DEP_1) | instskip(SKIP_1) | instid1(VALU_DEP_1)
	v_cndmask_b32_e64 v5, 0, v5, s1
	v_cmp_ngt_f32_e64 s1, 0xc2ce8ed0, v2
	v_cndmask_b32_e64 v6, 0, v6, s1
	v_cmp_nlt_f32_e64 s1, 0x42b17218, v3
	s_delay_alu instid0(VALU_DEP_1)
	v_cndmask_b32_e64 v7, 0x7f800000, v5, s1
	v_cmp_nlt_f32_e64 s1, 0x42b17218, v2
	ds_bpermute_b32 v8, v9, v7
	v_cndmask_b32_e64 v5, 0x7f800000, v6, s1
	ds_bpermute_b32 v6, v9, v5
	s_and_saveexec_b32 s1, s0
	s_cbranch_execz .LBB108_10
; %bb.5:
	v_lshlrev_b64 v[0:1], 2, v[0:1]
	s_delay_alu instid0(VALU_DEP_1) | instskip(NEXT) | instid1(VALU_DEP_1)
	v_add_co_u32 v0, s0, s4, v0
	v_add_co_ci_u32_e64 v1, s0, s5, v1, s0
	s_and_saveexec_b32 s2, vcc_lo
	s_cbranch_execz .LBB108_7
; %bb.6:
	s_waitcnt lgkmcnt(1)
	v_add_f32_e32 v7, v7, v8
	s_delay_alu instid0(VALU_DEP_1) | instskip(NEXT) | instid1(VALU_DEP_1)
	v_cmp_gt_f32_e64 s0, 0x800000, v7
	v_cndmask_b32_e64 v8, 1.0, 0x4f800000, s0
	s_delay_alu instid0(VALU_DEP_1) | instskip(NEXT) | instid1(VALU_DEP_1)
	v_mul_f32_e32 v7, v7, v8
	v_log_f32_e32 v7, v7
	s_waitcnt_depctr 0xfff
	v_mul_f32_e32 v8, 0x3f317217, v7
	v_cmp_gt_f32_e64 s1, 0x7f800000, |v7|
	s_delay_alu instid0(VALU_DEP_2) | instskip(NEXT) | instid1(VALU_DEP_1)
	v_fma_f32 v9, 0x3f317217, v7, -v8
	v_fmamk_f32 v9, v7, 0x3377d1cf, v9
	s_delay_alu instid0(VALU_DEP_1) | instskip(NEXT) | instid1(VALU_DEP_1)
	v_add_f32_e32 v8, v8, v9
	v_cndmask_b32_e64 v7, v7, v8, s1
	v_cndmask_b32_e64 v8, 0, 0x41b17218, s0
	s_delay_alu instid0(VALU_DEP_1) | instskip(NEXT) | instid1(VALU_DEP_1)
	v_sub_f32_e32 v7, v7, v8
	v_sub_f32_e32 v3, v3, v7
	global_store_b32 v[0:1], v3, off
.LBB108_7:
	s_or_b32 exec_lo, exec_lo, s2
	v_cmp_ne_u32_e64 s0, 1, v4
	s_delay_alu instid0(VALU_DEP_1)
	s_and_b32 exec_lo, exec_lo, s0
	s_cbranch_execz .LBB108_10
; %bb.8:
	s_and_b32 exec_lo, exec_lo, vcc_lo
	s_cbranch_execz .LBB108_10
; %bb.9:
	s_waitcnt lgkmcnt(0)
	v_add_f32_e32 v3, v5, v6
	s_mov_b32 s11, 0
	s_delay_alu instid0(SALU_CYCLE_1) | instskip(NEXT) | instid1(VALU_DEP_1)
	s_lshl_b64 s[0:1], s[10:11], 2
	v_cmp_gt_f32_e32 vcc_lo, 0x800000, v3
	v_cndmask_b32_e64 v4, 1.0, 0x4f800000, vcc_lo
	s_delay_alu instid0(VALU_DEP_1) | instskip(NEXT) | instid1(VALU_DEP_1)
	v_mul_f32_e32 v3, v3, v4
	v_log_f32_e32 v3, v3
	s_waitcnt_depctr 0xfff
	v_mul_f32_e32 v4, 0x3f317217, v3
	s_delay_alu instid0(VALU_DEP_1) | instskip(NEXT) | instid1(VALU_DEP_1)
	v_fma_f32 v5, 0x3f317217, v3, -v4
	v_fmamk_f32 v5, v3, 0x3377d1cf, v5
	s_delay_alu instid0(VALU_DEP_1) | instskip(SKIP_2) | instid1(VALU_DEP_3)
	v_add_f32_e32 v4, v4, v5
	v_cndmask_b32_e64 v5, 0, 0x41b17218, vcc_lo
	v_cmp_gt_f32_e64 vcc_lo, 0x7f800000, |v3|
	v_cndmask_b32_e32 v3, v3, v4, vcc_lo
	v_add_co_u32 v0, vcc_lo, v0, s0
	v_add_co_ci_u32_e32 v1, vcc_lo, s1, v1, vcc_lo
	s_delay_alu instid0(VALU_DEP_3) | instskip(NEXT) | instid1(VALU_DEP_1)
	v_sub_f32_e32 v3, v3, v5
	v_sub_f32_e32 v2, v2, v3
	global_store_b32 v[0:1], v2, off
.LBB108_10:
	s_nop 0
	s_sendmsg sendmsg(MSG_DEALLOC_VGPRS)
	s_endpgm
	.section	.rodata,"a",@progbits
	.p2align	6, 0x0
	.amdhsa_kernel _ZN12_GLOBAL__N_120softmax_warp_forwardIN3c104HalfEffLi1ELb1ELb0ELi32EEEvPT0_PKT_iiiPKbib
		.amdhsa_group_segment_fixed_size 0
		.amdhsa_private_segment_fixed_size 0
		.amdhsa_kernarg_size 304
		.amdhsa_user_sgpr_count 15
		.amdhsa_user_sgpr_dispatch_ptr 0
		.amdhsa_user_sgpr_queue_ptr 0
		.amdhsa_user_sgpr_kernarg_segment_ptr 1
		.amdhsa_user_sgpr_dispatch_id 0
		.amdhsa_user_sgpr_private_segment_size 0
		.amdhsa_wavefront_size32 1
		.amdhsa_uses_dynamic_stack 0
		.amdhsa_enable_private_segment 0
		.amdhsa_system_sgpr_workgroup_id_x 1
		.amdhsa_system_sgpr_workgroup_id_y 0
		.amdhsa_system_sgpr_workgroup_id_z 0
		.amdhsa_system_sgpr_workgroup_info 0
		.amdhsa_system_vgpr_workitem_id 1
		.amdhsa_next_free_vgpr 12
		.amdhsa_next_free_sgpr 16
		.amdhsa_reserve_vcc 1
		.amdhsa_float_round_mode_32 0
		.amdhsa_float_round_mode_16_64 0
		.amdhsa_float_denorm_mode_32 3
		.amdhsa_float_denorm_mode_16_64 3
		.amdhsa_dx10_clamp 1
		.amdhsa_ieee_mode 1
		.amdhsa_fp16_overflow 0
		.amdhsa_workgroup_processor_mode 1
		.amdhsa_memory_ordered 1
		.amdhsa_forward_progress 0
		.amdhsa_shared_vgpr_count 0
		.amdhsa_exception_fp_ieee_invalid_op 0
		.amdhsa_exception_fp_denorm_src 0
		.amdhsa_exception_fp_ieee_div_zero 0
		.amdhsa_exception_fp_ieee_overflow 0
		.amdhsa_exception_fp_ieee_underflow 0
		.amdhsa_exception_fp_ieee_inexact 0
		.amdhsa_exception_int_div_zero 0
	.end_amdhsa_kernel
	.section	.text._ZN12_GLOBAL__N_120softmax_warp_forwardIN3c104HalfEffLi1ELb1ELb0ELi32EEEvPT0_PKT_iiiPKbib,"axG",@progbits,_ZN12_GLOBAL__N_120softmax_warp_forwardIN3c104HalfEffLi1ELb1ELb0ELi32EEEvPT0_PKT_iiiPKbib,comdat
.Lfunc_end108:
	.size	_ZN12_GLOBAL__N_120softmax_warp_forwardIN3c104HalfEffLi1ELb1ELb0ELi32EEEvPT0_PKT_iiiPKbib, .Lfunc_end108-_ZN12_GLOBAL__N_120softmax_warp_forwardIN3c104HalfEffLi1ELb1ELb0ELi32EEEvPT0_PKT_iiiPKbib
                                        ; -- End function
	.section	.AMDGPU.csdata,"",@progbits
; Kernel info:
; codeLenInByte = 1016
; NumSgprs: 18
; NumVgprs: 12
; ScratchSize: 0
; MemoryBound: 0
; FloatMode: 240
; IeeeMode: 1
; LDSByteSize: 0 bytes/workgroup (compile time only)
; SGPRBlocks: 2
; VGPRBlocks: 1
; NumSGPRsForWavesPerEU: 18
; NumVGPRsForWavesPerEU: 12
; Occupancy: 16
; WaveLimiterHint : 0
; COMPUTE_PGM_RSRC2:SCRATCH_EN: 0
; COMPUTE_PGM_RSRC2:USER_SGPR: 15
; COMPUTE_PGM_RSRC2:TRAP_HANDLER: 0
; COMPUTE_PGM_RSRC2:TGID_X_EN: 1
; COMPUTE_PGM_RSRC2:TGID_Y_EN: 0
; COMPUTE_PGM_RSRC2:TGID_Z_EN: 0
; COMPUTE_PGM_RSRC2:TIDIG_COMP_CNT: 1
	.section	.text._ZN12_GLOBAL__N_120softmax_warp_forwardIN3c104HalfEffLi2ELb1ELb0ELi64EEEvPT0_PKT_iiiPKbib,"axG",@progbits,_ZN12_GLOBAL__N_120softmax_warp_forwardIN3c104HalfEffLi2ELb1ELb0ELi64EEEvPT0_PKT_iiiPKbib,comdat
	.globl	_ZN12_GLOBAL__N_120softmax_warp_forwardIN3c104HalfEffLi2ELb1ELb0ELi64EEEvPT0_PKT_iiiPKbib ; -- Begin function _ZN12_GLOBAL__N_120softmax_warp_forwardIN3c104HalfEffLi2ELb1ELb0ELi64EEEvPT0_PKT_iiiPKbib
	.p2align	8
	.type	_ZN12_GLOBAL__N_120softmax_warp_forwardIN3c104HalfEffLi2ELb1ELb0ELi64EEEvPT0_PKT_iiiPKbib,@function
_ZN12_GLOBAL__N_120softmax_warp_forwardIN3c104HalfEffLi2ELb1ELb0ELi64EEEvPT0_PKT_iiiPKbib: ; @_ZN12_GLOBAL__N_120softmax_warp_forwardIN3c104HalfEffLi2ELb1ELb0ELi64EEEvPT0_PKT_iiiPKbib
; %bb.0:
	s_clause 0x1
	s_load_b32 s2, s[0:1], 0x3c
	s_load_b256 s[4:11], s[0:1], 0x0
	v_bfe_u32 v1, v0, 10, 10
	v_and_b32_e32 v2, 0x3ff, v0
	v_mov_b32_e32 v5, 0xff800000
	s_waitcnt lgkmcnt(0)
	s_lshr_b32 s0, s2, 16
	s_delay_alu instid0(VALU_DEP_2) | instskip(SKIP_1) | instid1(SALU_CYCLE_1)
	v_cmp_gt_i32_e32 vcc_lo, s10, v2
	s_mul_i32 s15, s15, s0
	v_add_lshl_u32 v3, s15, v1, 1
	s_delay_alu instid0(VALU_DEP_1) | instskip(SKIP_1) | instid1(VALU_DEP_1)
	v_mad_u64_u32 v[0:1], null, v3, s9, v[2:3]
	v_sub_nc_u32_e32 v4, s8, v3
	v_cmp_lt_i32_e64 s0, 0, v4
	s_delay_alu instid0(VALU_DEP_3) | instskip(NEXT) | instid1(VALU_DEP_2)
	v_ashrrev_i32_e32 v1, 31, v0
	s_and_b32 s2, vcc_lo, s0
	s_delay_alu instid0(VALU_DEP_1) | instskip(NEXT) | instid1(VALU_DEP_1)
	v_lshlrev_b64 v[6:7], 1, v[0:1]
	v_add_co_u32 v2, s1, s6, v6
	v_mov_b32_e32 v6, 0xff800000
	s_delay_alu instid0(VALU_DEP_3)
	v_add_co_ci_u32_e64 v3, s1, s7, v7, s1
	s_and_saveexec_b32 s1, s2
	s_cbranch_execz .LBB109_2
; %bb.1:
	global_load_u16 v6, v[2:3], off
	s_waitcnt vmcnt(0)
	v_cvt_f32_f16_e32 v6, v6
.LBB109_2:
	s_or_b32 exec_lo, exec_lo, s1
	v_cmp_lt_i32_e64 s1, 1, v4
	s_delay_alu instid0(VALU_DEP_1) | instskip(NEXT) | instid1(SALU_CYCLE_1)
	s_and_b32 s1, vcc_lo, s1
	s_and_saveexec_b32 s2, s1
	s_cbranch_execz .LBB109_4
; %bb.3:
	s_mov_b32 s11, 0
	s_delay_alu instid0(SALU_CYCLE_1) | instskip(NEXT) | instid1(SALU_CYCLE_1)
	s_lshl_b64 s[6:7], s[10:11], 1
	v_add_co_u32 v2, s1, v2, s6
	s_delay_alu instid0(VALU_DEP_1)
	v_add_co_ci_u32_e64 v3, s1, s7, v3, s1
	global_load_u16 v2, v[2:3], off
	s_waitcnt vmcnt(0)
	v_cvt_f32_f16_e32 v5, v2
.LBB109_4:
	s_or_b32 exec_lo, exec_lo, s2
	v_mbcnt_lo_u32_b32 v2, -1, 0
	s_delay_alu instid0(VALU_DEP_1) | instskip(SKIP_2) | instid1(VALU_DEP_3)
	v_and_b32_e32 v3, 28, v2
	v_xor_b32_e32 v7, 2, v2
	v_xor_b32_e32 v10, 1, v2
	v_add_nc_u32_e32 v3, 4, v3
	s_delay_alu instid0(VALU_DEP_1) | instskip(NEXT) | instid1(VALU_DEP_1)
	v_cmp_lt_i32_e64 s1, v7, v3
	v_cndmask_b32_e64 v7, v2, v7, s1
	s_delay_alu instid0(VALU_DEP_4) | instskip(NEXT) | instid1(VALU_DEP_2)
	v_cmp_lt_i32_e64 s1, v10, v3
	v_lshlrev_b32_e32 v7, 2, v7
	s_delay_alu instid0(VALU_DEP_2)
	v_cndmask_b32_e64 v2, v2, v10, s1
	ds_bpermute_b32 v8, v7, v6
	ds_bpermute_b32 v9, v7, v5
	v_lshlrev_b32_e32 v10, 2, v2
	s_waitcnt lgkmcnt(1)
	v_cmp_lt_f32_e64 s1, v6, v8
	s_delay_alu instid0(VALU_DEP_1)
	v_cndmask_b32_e64 v2, v6, v8, s1
	s_waitcnt lgkmcnt(0)
	v_cmp_lt_f32_e64 s1, v5, v9
	ds_bpermute_b32 v8, v10, v2
	v_cndmask_b32_e64 v3, v5, v9, s1
	ds_bpermute_b32 v9, v10, v3
	s_waitcnt lgkmcnt(1)
	v_cmp_lt_f32_e64 s1, v2, v8
	s_delay_alu instid0(VALU_DEP_1) | instskip(SKIP_2) | instid1(VALU_DEP_1)
	v_cndmask_b32_e64 v2, v2, v8, s1
	s_waitcnt lgkmcnt(0)
	v_cmp_lt_f32_e64 s1, v3, v9
	v_cndmask_b32_e64 v8, v3, v9, s1
	s_delay_alu instid0(VALU_DEP_1) | instskip(NEXT) | instid1(VALU_DEP_1)
	v_dual_sub_f32 v3, v6, v2 :: v_dual_sub_f32 v2, v5, v8
	v_mul_f32_e32 v5, 0x3fb8aa3b, v3
	v_cmp_ngt_f32_e64 s1, 0xc2ce8ed0, v3
	s_delay_alu instid0(VALU_DEP_3) | instskip(NEXT) | instid1(VALU_DEP_3)
	v_mul_f32_e32 v6, 0x3fb8aa3b, v2
	v_fma_f32 v8, 0x3fb8aa3b, v3, -v5
	v_rndne_f32_e32 v9, v5
	s_delay_alu instid0(VALU_DEP_3) | instskip(SKIP_1) | instid1(VALU_DEP_3)
	v_fma_f32 v11, 0x3fb8aa3b, v2, -v6
	v_rndne_f32_e32 v12, v6
	v_dual_fmac_f32 v8, 0x32a5705f, v3 :: v_dual_sub_f32 v5, v5, v9
	s_delay_alu instid0(VALU_DEP_2) | instskip(NEXT) | instid1(VALU_DEP_2)
	v_dual_fmac_f32 v11, 0x32a5705f, v2 :: v_dual_sub_f32 v6, v6, v12
	v_add_f32_e32 v5, v5, v8
	v_cvt_i32_f32_e32 v8, v9
	v_cvt_i32_f32_e32 v9, v12
	s_delay_alu instid0(VALU_DEP_4) | instskip(NEXT) | instid1(VALU_DEP_4)
	v_add_f32_e32 v6, v6, v11
	v_exp_f32_e32 v5, v5
	s_delay_alu instid0(VALU_DEP_1) | instskip(SKIP_3) | instid1(VALU_DEP_2)
	v_exp_f32_e32 v6, v6
	s_waitcnt_depctr 0xfff
	v_ldexp_f32 v5, v5, v8
	v_ldexp_f32 v6, v6, v9
	v_cndmask_b32_e64 v5, 0, v5, s1
	v_cmp_ngt_f32_e64 s1, 0xc2ce8ed0, v2
	s_delay_alu instid0(VALU_DEP_1) | instskip(SKIP_1) | instid1(VALU_DEP_1)
	v_cndmask_b32_e64 v6, 0, v6, s1
	v_cmp_nlt_f32_e64 s1, 0x42b17218, v3
	v_cndmask_b32_e64 v5, 0x7f800000, v5, s1
	v_cmp_nlt_f32_e64 s1, 0x42b17218, v2
	ds_bpermute_b32 v8, v7, v5
	v_cndmask_b32_e64 v6, 0x7f800000, v6, s1
	ds_bpermute_b32 v9, v7, v6
	s_waitcnt lgkmcnt(1)
	v_add_f32_e32 v7, v5, v8
	ds_bpermute_b32 v8, v10, v7
	s_waitcnt lgkmcnt(1)
	v_add_f32_e32 v5, v6, v9
	ds_bpermute_b32 v6, v10, v5
	s_and_saveexec_b32 s1, s0
	s_cbranch_execz .LBB109_10
; %bb.5:
	v_lshlrev_b64 v[0:1], 2, v[0:1]
	s_delay_alu instid0(VALU_DEP_1) | instskip(NEXT) | instid1(VALU_DEP_1)
	v_add_co_u32 v0, s0, s4, v0
	v_add_co_ci_u32_e64 v1, s0, s5, v1, s0
	s_and_saveexec_b32 s2, vcc_lo
	s_cbranch_execz .LBB109_7
; %bb.6:
	s_waitcnt lgkmcnt(1)
	v_add_f32_e32 v7, v7, v8
	s_delay_alu instid0(VALU_DEP_1) | instskip(NEXT) | instid1(VALU_DEP_1)
	v_cmp_gt_f32_e64 s0, 0x800000, v7
	v_cndmask_b32_e64 v8, 1.0, 0x4f800000, s0
	s_delay_alu instid0(VALU_DEP_1) | instskip(NEXT) | instid1(VALU_DEP_1)
	v_mul_f32_e32 v7, v7, v8
	v_log_f32_e32 v7, v7
	s_waitcnt_depctr 0xfff
	v_mul_f32_e32 v8, 0x3f317217, v7
	v_cmp_gt_f32_e64 s1, 0x7f800000, |v7|
	s_delay_alu instid0(VALU_DEP_2) | instskip(NEXT) | instid1(VALU_DEP_1)
	v_fma_f32 v9, 0x3f317217, v7, -v8
	v_fmamk_f32 v9, v7, 0x3377d1cf, v9
	s_delay_alu instid0(VALU_DEP_1) | instskip(NEXT) | instid1(VALU_DEP_1)
	v_add_f32_e32 v8, v8, v9
	v_cndmask_b32_e64 v7, v7, v8, s1
	v_cndmask_b32_e64 v8, 0, 0x41b17218, s0
	s_delay_alu instid0(VALU_DEP_1) | instskip(NEXT) | instid1(VALU_DEP_1)
	v_sub_f32_e32 v7, v7, v8
	v_sub_f32_e32 v3, v3, v7
	global_store_b32 v[0:1], v3, off
.LBB109_7:
	s_or_b32 exec_lo, exec_lo, s2
	v_cmp_ne_u32_e64 s0, 1, v4
	s_delay_alu instid0(VALU_DEP_1)
	s_and_b32 exec_lo, exec_lo, s0
	s_cbranch_execz .LBB109_10
; %bb.8:
	s_and_b32 exec_lo, exec_lo, vcc_lo
	s_cbranch_execz .LBB109_10
; %bb.9:
	s_waitcnt lgkmcnt(0)
	v_add_f32_e32 v3, v5, v6
	s_mov_b32 s11, 0
	s_delay_alu instid0(SALU_CYCLE_1) | instskip(NEXT) | instid1(VALU_DEP_1)
	s_lshl_b64 s[0:1], s[10:11], 2
	v_cmp_gt_f32_e32 vcc_lo, 0x800000, v3
	v_cndmask_b32_e64 v4, 1.0, 0x4f800000, vcc_lo
	s_delay_alu instid0(VALU_DEP_1) | instskip(NEXT) | instid1(VALU_DEP_1)
	v_mul_f32_e32 v3, v3, v4
	v_log_f32_e32 v3, v3
	s_waitcnt_depctr 0xfff
	v_mul_f32_e32 v4, 0x3f317217, v3
	s_delay_alu instid0(VALU_DEP_1) | instskip(NEXT) | instid1(VALU_DEP_1)
	v_fma_f32 v5, 0x3f317217, v3, -v4
	v_fmamk_f32 v5, v3, 0x3377d1cf, v5
	s_delay_alu instid0(VALU_DEP_1) | instskip(SKIP_2) | instid1(VALU_DEP_3)
	v_add_f32_e32 v4, v4, v5
	v_cndmask_b32_e64 v5, 0, 0x41b17218, vcc_lo
	v_cmp_gt_f32_e64 vcc_lo, 0x7f800000, |v3|
	v_cndmask_b32_e32 v3, v3, v4, vcc_lo
	v_add_co_u32 v0, vcc_lo, v0, s0
	v_add_co_ci_u32_e32 v1, vcc_lo, s1, v1, vcc_lo
	s_delay_alu instid0(VALU_DEP_3) | instskip(NEXT) | instid1(VALU_DEP_1)
	v_sub_f32_e32 v3, v3, v5
	v_sub_f32_e32 v2, v2, v3
	global_store_b32 v[0:1], v2, off
.LBB109_10:
	s_nop 0
	s_sendmsg sendmsg(MSG_DEALLOC_VGPRS)
	s_endpgm
	.section	.rodata,"a",@progbits
	.p2align	6, 0x0
	.amdhsa_kernel _ZN12_GLOBAL__N_120softmax_warp_forwardIN3c104HalfEffLi2ELb1ELb0ELi64EEEvPT0_PKT_iiiPKbib
		.amdhsa_group_segment_fixed_size 0
		.amdhsa_private_segment_fixed_size 0
		.amdhsa_kernarg_size 304
		.amdhsa_user_sgpr_count 15
		.amdhsa_user_sgpr_dispatch_ptr 0
		.amdhsa_user_sgpr_queue_ptr 0
		.amdhsa_user_sgpr_kernarg_segment_ptr 1
		.amdhsa_user_sgpr_dispatch_id 0
		.amdhsa_user_sgpr_private_segment_size 0
		.amdhsa_wavefront_size32 1
		.amdhsa_uses_dynamic_stack 0
		.amdhsa_enable_private_segment 0
		.amdhsa_system_sgpr_workgroup_id_x 1
		.amdhsa_system_sgpr_workgroup_id_y 0
		.amdhsa_system_sgpr_workgroup_id_z 0
		.amdhsa_system_sgpr_workgroup_info 0
		.amdhsa_system_vgpr_workitem_id 1
		.amdhsa_next_free_vgpr 13
		.amdhsa_next_free_sgpr 16
		.amdhsa_reserve_vcc 1
		.amdhsa_float_round_mode_32 0
		.amdhsa_float_round_mode_16_64 0
		.amdhsa_float_denorm_mode_32 3
		.amdhsa_float_denorm_mode_16_64 3
		.amdhsa_dx10_clamp 1
		.amdhsa_ieee_mode 1
		.amdhsa_fp16_overflow 0
		.amdhsa_workgroup_processor_mode 1
		.amdhsa_memory_ordered 1
		.amdhsa_forward_progress 0
		.amdhsa_shared_vgpr_count 0
		.amdhsa_exception_fp_ieee_invalid_op 0
		.amdhsa_exception_fp_denorm_src 0
		.amdhsa_exception_fp_ieee_div_zero 0
		.amdhsa_exception_fp_ieee_overflow 0
		.amdhsa_exception_fp_ieee_underflow 0
		.amdhsa_exception_fp_ieee_inexact 0
		.amdhsa_exception_int_div_zero 0
	.end_amdhsa_kernel
	.section	.text._ZN12_GLOBAL__N_120softmax_warp_forwardIN3c104HalfEffLi2ELb1ELb0ELi64EEEvPT0_PKT_iiiPKbib,"axG",@progbits,_ZN12_GLOBAL__N_120softmax_warp_forwardIN3c104HalfEffLi2ELb1ELb0ELi64EEEvPT0_PKT_iiiPKbib,comdat
.Lfunc_end109:
	.size	_ZN12_GLOBAL__N_120softmax_warp_forwardIN3c104HalfEffLi2ELb1ELb0ELi64EEEvPT0_PKT_iiiPKbib, .Lfunc_end109-_ZN12_GLOBAL__N_120softmax_warp_forwardIN3c104HalfEffLi2ELb1ELb0ELi64EEEvPT0_PKT_iiiPKbib
                                        ; -- End function
	.section	.AMDGPU.csdata,"",@progbits
; Kernel info:
; codeLenInByte = 1128
; NumSgprs: 18
; NumVgprs: 13
; ScratchSize: 0
; MemoryBound: 0
; FloatMode: 240
; IeeeMode: 1
; LDSByteSize: 0 bytes/workgroup (compile time only)
; SGPRBlocks: 2
; VGPRBlocks: 1
; NumSGPRsForWavesPerEU: 18
; NumVGPRsForWavesPerEU: 13
; Occupancy: 16
; WaveLimiterHint : 0
; COMPUTE_PGM_RSRC2:SCRATCH_EN: 0
; COMPUTE_PGM_RSRC2:USER_SGPR: 15
; COMPUTE_PGM_RSRC2:TRAP_HANDLER: 0
; COMPUTE_PGM_RSRC2:TGID_X_EN: 1
; COMPUTE_PGM_RSRC2:TGID_Y_EN: 0
; COMPUTE_PGM_RSRC2:TGID_Z_EN: 0
; COMPUTE_PGM_RSRC2:TIDIG_COMP_CNT: 1
	.section	.text._ZN12_GLOBAL__N_120softmax_warp_forwardIN3c104HalfEffLi2ELb1ELb0ELi32EEEvPT0_PKT_iiiPKbib,"axG",@progbits,_ZN12_GLOBAL__N_120softmax_warp_forwardIN3c104HalfEffLi2ELb1ELb0ELi32EEEvPT0_PKT_iiiPKbib,comdat
	.globl	_ZN12_GLOBAL__N_120softmax_warp_forwardIN3c104HalfEffLi2ELb1ELb0ELi32EEEvPT0_PKT_iiiPKbib ; -- Begin function _ZN12_GLOBAL__N_120softmax_warp_forwardIN3c104HalfEffLi2ELb1ELb0ELi32EEEvPT0_PKT_iiiPKbib
	.p2align	8
	.type	_ZN12_GLOBAL__N_120softmax_warp_forwardIN3c104HalfEffLi2ELb1ELb0ELi32EEEvPT0_PKT_iiiPKbib,@function
_ZN12_GLOBAL__N_120softmax_warp_forwardIN3c104HalfEffLi2ELb1ELb0ELi32EEEvPT0_PKT_iiiPKbib: ; @_ZN12_GLOBAL__N_120softmax_warp_forwardIN3c104HalfEffLi2ELb1ELb0ELi32EEEvPT0_PKT_iiiPKbib
; %bb.0:
	s_clause 0x1
	s_load_b32 s2, s[0:1], 0x3c
	s_load_b256 s[4:11], s[0:1], 0x0
	v_bfe_u32 v1, v0, 10, 10
	v_and_b32_e32 v2, 0x3ff, v0
	v_mov_b32_e32 v5, 0xff800000
	s_waitcnt lgkmcnt(0)
	s_lshr_b32 s0, s2, 16
	s_delay_alu instid0(VALU_DEP_2) | instskip(SKIP_1) | instid1(SALU_CYCLE_1)
	v_cmp_gt_i32_e32 vcc_lo, s10, v2
	s_mul_i32 s15, s15, s0
	v_add_lshl_u32 v3, s15, v1, 1
	s_delay_alu instid0(VALU_DEP_1) | instskip(SKIP_1) | instid1(VALU_DEP_1)
	v_mad_u64_u32 v[0:1], null, v3, s9, v[2:3]
	v_sub_nc_u32_e32 v4, s8, v3
	v_cmp_lt_i32_e64 s0, 0, v4
	s_delay_alu instid0(VALU_DEP_3) | instskip(NEXT) | instid1(VALU_DEP_2)
	v_ashrrev_i32_e32 v1, 31, v0
	s_and_b32 s2, vcc_lo, s0
	s_delay_alu instid0(VALU_DEP_1) | instskip(NEXT) | instid1(VALU_DEP_1)
	v_lshlrev_b64 v[6:7], 1, v[0:1]
	v_add_co_u32 v2, s1, s6, v6
	v_mov_b32_e32 v6, 0xff800000
	s_delay_alu instid0(VALU_DEP_3)
	v_add_co_ci_u32_e64 v3, s1, s7, v7, s1
	s_and_saveexec_b32 s1, s2
	s_cbranch_execz .LBB110_2
; %bb.1:
	global_load_u16 v6, v[2:3], off
	s_waitcnt vmcnt(0)
	v_cvt_f32_f16_e32 v6, v6
.LBB110_2:
	s_or_b32 exec_lo, exec_lo, s1
	v_cmp_lt_i32_e64 s1, 1, v4
	s_delay_alu instid0(VALU_DEP_1) | instskip(NEXT) | instid1(SALU_CYCLE_1)
	s_and_b32 s1, vcc_lo, s1
	s_and_saveexec_b32 s2, s1
	s_cbranch_execz .LBB110_4
; %bb.3:
	s_mov_b32 s11, 0
	s_delay_alu instid0(SALU_CYCLE_1) | instskip(NEXT) | instid1(SALU_CYCLE_1)
	s_lshl_b64 s[6:7], s[10:11], 1
	v_add_co_u32 v2, s1, v2, s6
	s_delay_alu instid0(VALU_DEP_1)
	v_add_co_ci_u32_e64 v3, s1, s7, v3, s1
	global_load_u16 v2, v[2:3], off
	s_waitcnt vmcnt(0)
	v_cvt_f32_f16_e32 v5, v2
.LBB110_4:
	s_or_b32 exec_lo, exec_lo, s2
	v_mbcnt_lo_u32_b32 v2, -1, 0
	s_delay_alu instid0(VALU_DEP_1) | instskip(SKIP_2) | instid1(VALU_DEP_3)
	v_and_b32_e32 v3, 28, v2
	v_xor_b32_e32 v7, 2, v2
	v_xor_b32_e32 v10, 1, v2
	v_add_nc_u32_e32 v3, 4, v3
	s_delay_alu instid0(VALU_DEP_1) | instskip(NEXT) | instid1(VALU_DEP_1)
	v_cmp_lt_i32_e64 s1, v7, v3
	v_cndmask_b32_e64 v7, v2, v7, s1
	s_delay_alu instid0(VALU_DEP_4) | instskip(NEXT) | instid1(VALU_DEP_2)
	v_cmp_lt_i32_e64 s1, v10, v3
	v_lshlrev_b32_e32 v7, 2, v7
	s_delay_alu instid0(VALU_DEP_2)
	v_cndmask_b32_e64 v2, v2, v10, s1
	ds_bpermute_b32 v8, v7, v6
	ds_bpermute_b32 v9, v7, v5
	v_lshlrev_b32_e32 v10, 2, v2
	s_waitcnt lgkmcnt(1)
	v_cmp_lt_f32_e64 s1, v6, v8
	s_delay_alu instid0(VALU_DEP_1)
	v_cndmask_b32_e64 v2, v6, v8, s1
	s_waitcnt lgkmcnt(0)
	v_cmp_lt_f32_e64 s1, v5, v9
	ds_bpermute_b32 v8, v10, v2
	v_cndmask_b32_e64 v3, v5, v9, s1
	ds_bpermute_b32 v9, v10, v3
	s_waitcnt lgkmcnt(1)
	v_cmp_lt_f32_e64 s1, v2, v8
	s_delay_alu instid0(VALU_DEP_1) | instskip(SKIP_2) | instid1(VALU_DEP_1)
	v_cndmask_b32_e64 v2, v2, v8, s1
	s_waitcnt lgkmcnt(0)
	v_cmp_lt_f32_e64 s1, v3, v9
	v_cndmask_b32_e64 v8, v3, v9, s1
	s_delay_alu instid0(VALU_DEP_1) | instskip(NEXT) | instid1(VALU_DEP_1)
	v_dual_sub_f32 v3, v6, v2 :: v_dual_sub_f32 v2, v5, v8
	v_mul_f32_e32 v5, 0x3fb8aa3b, v3
	v_cmp_ngt_f32_e64 s1, 0xc2ce8ed0, v3
	s_delay_alu instid0(VALU_DEP_3) | instskip(NEXT) | instid1(VALU_DEP_3)
	v_mul_f32_e32 v6, 0x3fb8aa3b, v2
	v_fma_f32 v8, 0x3fb8aa3b, v3, -v5
	v_rndne_f32_e32 v9, v5
	s_delay_alu instid0(VALU_DEP_3) | instskip(SKIP_1) | instid1(VALU_DEP_3)
	v_fma_f32 v11, 0x3fb8aa3b, v2, -v6
	v_rndne_f32_e32 v12, v6
	v_dual_fmac_f32 v8, 0x32a5705f, v3 :: v_dual_sub_f32 v5, v5, v9
	s_delay_alu instid0(VALU_DEP_2) | instskip(NEXT) | instid1(VALU_DEP_2)
	v_dual_fmac_f32 v11, 0x32a5705f, v2 :: v_dual_sub_f32 v6, v6, v12
	v_add_f32_e32 v5, v5, v8
	v_cvt_i32_f32_e32 v8, v9
	v_cvt_i32_f32_e32 v9, v12
	s_delay_alu instid0(VALU_DEP_4) | instskip(NEXT) | instid1(VALU_DEP_4)
	v_add_f32_e32 v6, v6, v11
	v_exp_f32_e32 v5, v5
	s_delay_alu instid0(VALU_DEP_1) | instskip(SKIP_3) | instid1(VALU_DEP_2)
	v_exp_f32_e32 v6, v6
	s_waitcnt_depctr 0xfff
	v_ldexp_f32 v5, v5, v8
	v_ldexp_f32 v6, v6, v9
	v_cndmask_b32_e64 v5, 0, v5, s1
	v_cmp_ngt_f32_e64 s1, 0xc2ce8ed0, v2
	s_delay_alu instid0(VALU_DEP_1) | instskip(SKIP_1) | instid1(VALU_DEP_1)
	v_cndmask_b32_e64 v6, 0, v6, s1
	v_cmp_nlt_f32_e64 s1, 0x42b17218, v3
	v_cndmask_b32_e64 v5, 0x7f800000, v5, s1
	v_cmp_nlt_f32_e64 s1, 0x42b17218, v2
	ds_bpermute_b32 v8, v7, v5
	v_cndmask_b32_e64 v6, 0x7f800000, v6, s1
	ds_bpermute_b32 v9, v7, v6
	s_waitcnt lgkmcnt(1)
	v_add_f32_e32 v7, v5, v8
	ds_bpermute_b32 v8, v10, v7
	s_waitcnt lgkmcnt(1)
	v_add_f32_e32 v5, v6, v9
	ds_bpermute_b32 v6, v10, v5
	s_and_saveexec_b32 s1, s0
	s_cbranch_execz .LBB110_10
; %bb.5:
	v_lshlrev_b64 v[0:1], 2, v[0:1]
	s_delay_alu instid0(VALU_DEP_1) | instskip(NEXT) | instid1(VALU_DEP_1)
	v_add_co_u32 v0, s0, s4, v0
	v_add_co_ci_u32_e64 v1, s0, s5, v1, s0
	s_and_saveexec_b32 s2, vcc_lo
	s_cbranch_execz .LBB110_7
; %bb.6:
	s_waitcnt lgkmcnt(1)
	v_add_f32_e32 v7, v7, v8
	s_delay_alu instid0(VALU_DEP_1) | instskip(NEXT) | instid1(VALU_DEP_1)
	v_cmp_gt_f32_e64 s0, 0x800000, v7
	v_cndmask_b32_e64 v8, 1.0, 0x4f800000, s0
	s_delay_alu instid0(VALU_DEP_1) | instskip(NEXT) | instid1(VALU_DEP_1)
	v_mul_f32_e32 v7, v7, v8
	v_log_f32_e32 v7, v7
	s_waitcnt_depctr 0xfff
	v_mul_f32_e32 v8, 0x3f317217, v7
	v_cmp_gt_f32_e64 s1, 0x7f800000, |v7|
	s_delay_alu instid0(VALU_DEP_2) | instskip(NEXT) | instid1(VALU_DEP_1)
	v_fma_f32 v9, 0x3f317217, v7, -v8
	v_fmamk_f32 v9, v7, 0x3377d1cf, v9
	s_delay_alu instid0(VALU_DEP_1) | instskip(NEXT) | instid1(VALU_DEP_1)
	v_add_f32_e32 v8, v8, v9
	v_cndmask_b32_e64 v7, v7, v8, s1
	v_cndmask_b32_e64 v8, 0, 0x41b17218, s0
	s_delay_alu instid0(VALU_DEP_1) | instskip(NEXT) | instid1(VALU_DEP_1)
	v_sub_f32_e32 v7, v7, v8
	v_sub_f32_e32 v3, v3, v7
	global_store_b32 v[0:1], v3, off
.LBB110_7:
	s_or_b32 exec_lo, exec_lo, s2
	v_cmp_ne_u32_e64 s0, 1, v4
	s_delay_alu instid0(VALU_DEP_1)
	s_and_b32 exec_lo, exec_lo, s0
	s_cbranch_execz .LBB110_10
; %bb.8:
	s_and_b32 exec_lo, exec_lo, vcc_lo
	s_cbranch_execz .LBB110_10
; %bb.9:
	s_waitcnt lgkmcnt(0)
	v_add_f32_e32 v3, v5, v6
	s_mov_b32 s11, 0
	s_delay_alu instid0(SALU_CYCLE_1) | instskip(NEXT) | instid1(VALU_DEP_1)
	s_lshl_b64 s[0:1], s[10:11], 2
	v_cmp_gt_f32_e32 vcc_lo, 0x800000, v3
	v_cndmask_b32_e64 v4, 1.0, 0x4f800000, vcc_lo
	s_delay_alu instid0(VALU_DEP_1) | instskip(NEXT) | instid1(VALU_DEP_1)
	v_mul_f32_e32 v3, v3, v4
	v_log_f32_e32 v3, v3
	s_waitcnt_depctr 0xfff
	v_mul_f32_e32 v4, 0x3f317217, v3
	s_delay_alu instid0(VALU_DEP_1) | instskip(NEXT) | instid1(VALU_DEP_1)
	v_fma_f32 v5, 0x3f317217, v3, -v4
	v_fmamk_f32 v5, v3, 0x3377d1cf, v5
	s_delay_alu instid0(VALU_DEP_1) | instskip(SKIP_2) | instid1(VALU_DEP_3)
	v_add_f32_e32 v4, v4, v5
	v_cndmask_b32_e64 v5, 0, 0x41b17218, vcc_lo
	v_cmp_gt_f32_e64 vcc_lo, 0x7f800000, |v3|
	v_cndmask_b32_e32 v3, v3, v4, vcc_lo
	v_add_co_u32 v0, vcc_lo, v0, s0
	v_add_co_ci_u32_e32 v1, vcc_lo, s1, v1, vcc_lo
	s_delay_alu instid0(VALU_DEP_3) | instskip(NEXT) | instid1(VALU_DEP_1)
	v_sub_f32_e32 v3, v3, v5
	v_sub_f32_e32 v2, v2, v3
	global_store_b32 v[0:1], v2, off
.LBB110_10:
	s_nop 0
	s_sendmsg sendmsg(MSG_DEALLOC_VGPRS)
	s_endpgm
	.section	.rodata,"a",@progbits
	.p2align	6, 0x0
	.amdhsa_kernel _ZN12_GLOBAL__N_120softmax_warp_forwardIN3c104HalfEffLi2ELb1ELb0ELi32EEEvPT0_PKT_iiiPKbib
		.amdhsa_group_segment_fixed_size 0
		.amdhsa_private_segment_fixed_size 0
		.amdhsa_kernarg_size 304
		.amdhsa_user_sgpr_count 15
		.amdhsa_user_sgpr_dispatch_ptr 0
		.amdhsa_user_sgpr_queue_ptr 0
		.amdhsa_user_sgpr_kernarg_segment_ptr 1
		.amdhsa_user_sgpr_dispatch_id 0
		.amdhsa_user_sgpr_private_segment_size 0
		.amdhsa_wavefront_size32 1
		.amdhsa_uses_dynamic_stack 0
		.amdhsa_enable_private_segment 0
		.amdhsa_system_sgpr_workgroup_id_x 1
		.amdhsa_system_sgpr_workgroup_id_y 0
		.amdhsa_system_sgpr_workgroup_id_z 0
		.amdhsa_system_sgpr_workgroup_info 0
		.amdhsa_system_vgpr_workitem_id 1
		.amdhsa_next_free_vgpr 13
		.amdhsa_next_free_sgpr 16
		.amdhsa_reserve_vcc 1
		.amdhsa_float_round_mode_32 0
		.amdhsa_float_round_mode_16_64 0
		.amdhsa_float_denorm_mode_32 3
		.amdhsa_float_denorm_mode_16_64 3
		.amdhsa_dx10_clamp 1
		.amdhsa_ieee_mode 1
		.amdhsa_fp16_overflow 0
		.amdhsa_workgroup_processor_mode 1
		.amdhsa_memory_ordered 1
		.amdhsa_forward_progress 0
		.amdhsa_shared_vgpr_count 0
		.amdhsa_exception_fp_ieee_invalid_op 0
		.amdhsa_exception_fp_denorm_src 0
		.amdhsa_exception_fp_ieee_div_zero 0
		.amdhsa_exception_fp_ieee_overflow 0
		.amdhsa_exception_fp_ieee_underflow 0
		.amdhsa_exception_fp_ieee_inexact 0
		.amdhsa_exception_int_div_zero 0
	.end_amdhsa_kernel
	.section	.text._ZN12_GLOBAL__N_120softmax_warp_forwardIN3c104HalfEffLi2ELb1ELb0ELi32EEEvPT0_PKT_iiiPKbib,"axG",@progbits,_ZN12_GLOBAL__N_120softmax_warp_forwardIN3c104HalfEffLi2ELb1ELb0ELi32EEEvPT0_PKT_iiiPKbib,comdat
.Lfunc_end110:
	.size	_ZN12_GLOBAL__N_120softmax_warp_forwardIN3c104HalfEffLi2ELb1ELb0ELi32EEEvPT0_PKT_iiiPKbib, .Lfunc_end110-_ZN12_GLOBAL__N_120softmax_warp_forwardIN3c104HalfEffLi2ELb1ELb0ELi32EEEvPT0_PKT_iiiPKbib
                                        ; -- End function
	.section	.AMDGPU.csdata,"",@progbits
; Kernel info:
; codeLenInByte = 1128
; NumSgprs: 18
; NumVgprs: 13
; ScratchSize: 0
; MemoryBound: 0
; FloatMode: 240
; IeeeMode: 1
; LDSByteSize: 0 bytes/workgroup (compile time only)
; SGPRBlocks: 2
; VGPRBlocks: 1
; NumSGPRsForWavesPerEU: 18
; NumVGPRsForWavesPerEU: 13
; Occupancy: 16
; WaveLimiterHint : 0
; COMPUTE_PGM_RSRC2:SCRATCH_EN: 0
; COMPUTE_PGM_RSRC2:USER_SGPR: 15
; COMPUTE_PGM_RSRC2:TRAP_HANDLER: 0
; COMPUTE_PGM_RSRC2:TGID_X_EN: 1
; COMPUTE_PGM_RSRC2:TGID_Y_EN: 0
; COMPUTE_PGM_RSRC2:TGID_Z_EN: 0
; COMPUTE_PGM_RSRC2:TIDIG_COMP_CNT: 1
	.section	.text._ZN12_GLOBAL__N_120softmax_warp_forwardIN3c104HalfEffLi3ELb1ELb0ELi64EEEvPT0_PKT_iiiPKbib,"axG",@progbits,_ZN12_GLOBAL__N_120softmax_warp_forwardIN3c104HalfEffLi3ELb1ELb0ELi64EEEvPT0_PKT_iiiPKbib,comdat
	.globl	_ZN12_GLOBAL__N_120softmax_warp_forwardIN3c104HalfEffLi3ELb1ELb0ELi64EEEvPT0_PKT_iiiPKbib ; -- Begin function _ZN12_GLOBAL__N_120softmax_warp_forwardIN3c104HalfEffLi3ELb1ELb0ELi64EEEvPT0_PKT_iiiPKbib
	.p2align	8
	.type	_ZN12_GLOBAL__N_120softmax_warp_forwardIN3c104HalfEffLi3ELb1ELb0ELi64EEEvPT0_PKT_iiiPKbib,@function
_ZN12_GLOBAL__N_120softmax_warp_forwardIN3c104HalfEffLi3ELb1ELb0ELi64EEEvPT0_PKT_iiiPKbib: ; @_ZN12_GLOBAL__N_120softmax_warp_forwardIN3c104HalfEffLi3ELb1ELb0ELi64EEEvPT0_PKT_iiiPKbib
; %bb.0:
	s_clause 0x1
	s_load_b32 s2, s[0:1], 0x3c
	s_load_b256 s[4:11], s[0:1], 0x0
	v_bfe_u32 v1, v0, 10, 10
	v_and_b32_e32 v2, 0x3ff, v0
	v_mov_b32_e32 v5, 0xff800000
	s_waitcnt lgkmcnt(0)
	s_lshr_b32 s0, s2, 16
	s_delay_alu instid0(VALU_DEP_2) | instskip(SKIP_1) | instid1(SALU_CYCLE_1)
	v_cmp_gt_i32_e32 vcc_lo, s10, v2
	s_mul_i32 s15, s15, s0
	v_add_lshl_u32 v3, s15, v1, 1
	s_delay_alu instid0(VALU_DEP_1) | instskip(SKIP_1) | instid1(VALU_DEP_1)
	v_mad_u64_u32 v[0:1], null, v3, s9, v[2:3]
	v_sub_nc_u32_e32 v4, s8, v3
	v_cmp_lt_i32_e64 s0, 0, v4
	s_delay_alu instid0(VALU_DEP_3) | instskip(NEXT) | instid1(VALU_DEP_2)
	v_ashrrev_i32_e32 v1, 31, v0
	s_and_b32 s2, vcc_lo, s0
	s_delay_alu instid0(VALU_DEP_1) | instskip(NEXT) | instid1(VALU_DEP_1)
	v_lshlrev_b64 v[6:7], 1, v[0:1]
	v_add_co_u32 v2, s1, s6, v6
	v_mov_b32_e32 v6, 0xff800000
	s_delay_alu instid0(VALU_DEP_3)
	v_add_co_ci_u32_e64 v3, s1, s7, v7, s1
	s_and_saveexec_b32 s1, s2
	s_cbranch_execz .LBB111_2
; %bb.1:
	global_load_u16 v6, v[2:3], off
	s_waitcnt vmcnt(0)
	v_cvt_f32_f16_e32 v6, v6
.LBB111_2:
	s_or_b32 exec_lo, exec_lo, s1
	v_cmp_lt_i32_e64 s1, 1, v4
	s_delay_alu instid0(VALU_DEP_1) | instskip(NEXT) | instid1(SALU_CYCLE_1)
	s_and_b32 s1, vcc_lo, s1
	s_and_saveexec_b32 s2, s1
	s_cbranch_execz .LBB111_4
; %bb.3:
	s_mov_b32 s11, 0
	s_delay_alu instid0(SALU_CYCLE_1) | instskip(NEXT) | instid1(SALU_CYCLE_1)
	s_lshl_b64 s[6:7], s[10:11], 1
	v_add_co_u32 v2, s1, v2, s6
	s_delay_alu instid0(VALU_DEP_1)
	v_add_co_ci_u32_e64 v3, s1, s7, v3, s1
	global_load_u16 v2, v[2:3], off
	s_waitcnt vmcnt(0)
	v_cvt_f32_f16_e32 v5, v2
.LBB111_4:
	s_or_b32 exec_lo, exec_lo, s2
	v_mbcnt_lo_u32_b32 v2, -1, 0
	s_delay_alu instid0(VALU_DEP_1) | instskip(SKIP_3) | instid1(VALU_DEP_4)
	v_and_b32_e32 v3, 24, v2
	v_xor_b32_e32 v7, 4, v2
	v_xor_b32_e32 v10, 2, v2
	;; [unrolled: 1-line block ×3, first 2 shown]
	v_add_nc_u32_e32 v3, 8, v3
	s_delay_alu instid0(VALU_DEP_1) | instskip(NEXT) | instid1(VALU_DEP_1)
	v_cmp_lt_i32_e64 s1, v7, v3
	v_cndmask_b32_e64 v7, v2, v7, s1
	v_cmp_lt_i32_e64 s1, v10, v3
	s_delay_alu instid0(VALU_DEP_2) | instskip(NEXT) | instid1(VALU_DEP_2)
	v_lshlrev_b32_e32 v7, 2, v7
	v_cndmask_b32_e64 v10, v2, v10, s1
	ds_bpermute_b32 v8, v7, v6
	ds_bpermute_b32 v9, v7, v5
	v_lshlrev_b32_e32 v10, 2, v10
	s_waitcnt lgkmcnt(1)
	v_cmp_lt_f32_e64 s1, v6, v8
	s_delay_alu instid0(VALU_DEP_1)
	v_cndmask_b32_e64 v8, v6, v8, s1
	s_waitcnt lgkmcnt(0)
	v_cmp_lt_f32_e64 s1, v5, v9
	ds_bpermute_b32 v11, v10, v8
	v_cndmask_b32_e64 v9, v5, v9, s1
	v_cmp_lt_i32_e64 s1, v13, v3
	ds_bpermute_b32 v12, v10, v9
	v_cndmask_b32_e64 v2, v2, v13, s1
	s_delay_alu instid0(VALU_DEP_1) | instskip(SKIP_2) | instid1(VALU_DEP_1)
	v_lshlrev_b32_e32 v13, 2, v2
	s_waitcnt lgkmcnt(1)
	v_cmp_lt_f32_e64 s1, v8, v11
	v_cndmask_b32_e64 v2, v8, v11, s1
	s_waitcnt lgkmcnt(0)
	v_cmp_lt_f32_e64 s1, v9, v12
	ds_bpermute_b32 v8, v13, v2
	v_cndmask_b32_e64 v3, v9, v12, s1
	ds_bpermute_b32 v9, v13, v3
	s_waitcnt lgkmcnt(1)
	v_cmp_lt_f32_e64 s1, v2, v8
	s_delay_alu instid0(VALU_DEP_1) | instskip(SKIP_2) | instid1(VALU_DEP_1)
	v_cndmask_b32_e64 v2, v2, v8, s1
	s_waitcnt lgkmcnt(0)
	v_cmp_lt_f32_e64 s1, v3, v9
	v_cndmask_b32_e64 v8, v3, v9, s1
	s_delay_alu instid0(VALU_DEP_1) | instskip(NEXT) | instid1(VALU_DEP_1)
	v_dual_sub_f32 v3, v6, v2 :: v_dual_sub_f32 v2, v5, v8
	v_mul_f32_e32 v5, 0x3fb8aa3b, v3
	v_cmp_ngt_f32_e64 s1, 0xc2ce8ed0, v3
	s_delay_alu instid0(VALU_DEP_3) | instskip(NEXT) | instid1(VALU_DEP_3)
	v_mul_f32_e32 v6, 0x3fb8aa3b, v2
	v_fma_f32 v8, 0x3fb8aa3b, v3, -v5
	v_rndne_f32_e32 v9, v5
	s_delay_alu instid0(VALU_DEP_3) | instskip(NEXT) | instid1(VALU_DEP_3)
	v_fma_f32 v11, 0x3fb8aa3b, v2, -v6
	v_fmac_f32_e32 v8, 0x32a5705f, v3
	v_rndne_f32_e32 v12, v6
	s_delay_alu instid0(VALU_DEP_1) | instskip(NEXT) | instid1(VALU_DEP_1)
	v_dual_fmac_f32 v11, 0x32a5705f, v2 :: v_dual_sub_f32 v6, v6, v12
	v_dual_sub_f32 v5, v5, v9 :: v_dual_add_f32 v6, v6, v11
	s_delay_alu instid0(VALU_DEP_1) | instskip(SKIP_2) | instid1(VALU_DEP_4)
	v_add_f32_e32 v5, v5, v8
	v_cvt_i32_f32_e32 v8, v9
	v_cvt_i32_f32_e32 v9, v12
	v_exp_f32_e32 v6, v6
	s_delay_alu instid0(VALU_DEP_3) | instskip(SKIP_3) | instid1(VALU_DEP_1)
	v_exp_f32_e32 v5, v5
	s_waitcnt_depctr 0xfff
	v_ldexp_f32 v6, v6, v9
	v_ldexp_f32 v5, v5, v8
	v_cndmask_b32_e64 v5, 0, v5, s1
	v_cmp_ngt_f32_e64 s1, 0xc2ce8ed0, v2
	s_delay_alu instid0(VALU_DEP_1) | instskip(SKIP_1) | instid1(VALU_DEP_1)
	v_cndmask_b32_e64 v6, 0, v6, s1
	v_cmp_nlt_f32_e64 s1, 0x42b17218, v3
	v_cndmask_b32_e64 v5, 0x7f800000, v5, s1
	v_cmp_nlt_f32_e64 s1, 0x42b17218, v2
	ds_bpermute_b32 v8, v7, v5
	v_cndmask_b32_e64 v6, 0x7f800000, v6, s1
	ds_bpermute_b32 v7, v7, v6
	s_waitcnt lgkmcnt(0)
	v_dual_add_f32 v5, v5, v8 :: v_dual_add_f32 v6, v6, v7
	ds_bpermute_b32 v7, v10, v5
	ds_bpermute_b32 v8, v10, v6
	s_waitcnt lgkmcnt(1)
	v_add_f32_e32 v7, v5, v7
	s_waitcnt lgkmcnt(0)
	v_add_f32_e32 v5, v6, v8
	ds_bpermute_b32 v8, v13, v7
	ds_bpermute_b32 v6, v13, v5
	s_and_saveexec_b32 s1, s0
	s_cbranch_execz .LBB111_10
; %bb.5:
	v_lshlrev_b64 v[0:1], 2, v[0:1]
	s_delay_alu instid0(VALU_DEP_1) | instskip(NEXT) | instid1(VALU_DEP_1)
	v_add_co_u32 v0, s0, s4, v0
	v_add_co_ci_u32_e64 v1, s0, s5, v1, s0
	s_and_saveexec_b32 s2, vcc_lo
	s_cbranch_execz .LBB111_7
; %bb.6:
	s_waitcnt lgkmcnt(1)
	v_add_f32_e32 v7, v7, v8
	s_delay_alu instid0(VALU_DEP_1) | instskip(NEXT) | instid1(VALU_DEP_1)
	v_cmp_gt_f32_e64 s0, 0x800000, v7
	v_cndmask_b32_e64 v8, 1.0, 0x4f800000, s0
	s_delay_alu instid0(VALU_DEP_1) | instskip(NEXT) | instid1(VALU_DEP_1)
	v_mul_f32_e32 v7, v7, v8
	v_log_f32_e32 v7, v7
	s_waitcnt_depctr 0xfff
	v_mul_f32_e32 v8, 0x3f317217, v7
	v_cmp_gt_f32_e64 s1, 0x7f800000, |v7|
	s_delay_alu instid0(VALU_DEP_2) | instskip(NEXT) | instid1(VALU_DEP_1)
	v_fma_f32 v9, 0x3f317217, v7, -v8
	v_fmamk_f32 v9, v7, 0x3377d1cf, v9
	s_delay_alu instid0(VALU_DEP_1) | instskip(NEXT) | instid1(VALU_DEP_1)
	v_add_f32_e32 v8, v8, v9
	v_cndmask_b32_e64 v7, v7, v8, s1
	v_cndmask_b32_e64 v8, 0, 0x41b17218, s0
	s_delay_alu instid0(VALU_DEP_1) | instskip(NEXT) | instid1(VALU_DEP_1)
	v_sub_f32_e32 v7, v7, v8
	v_sub_f32_e32 v3, v3, v7
	global_store_b32 v[0:1], v3, off
.LBB111_7:
	s_or_b32 exec_lo, exec_lo, s2
	v_cmp_ne_u32_e64 s0, 1, v4
	s_delay_alu instid0(VALU_DEP_1)
	s_and_b32 exec_lo, exec_lo, s0
	s_cbranch_execz .LBB111_10
; %bb.8:
	s_and_b32 exec_lo, exec_lo, vcc_lo
	s_cbranch_execz .LBB111_10
; %bb.9:
	s_waitcnt lgkmcnt(0)
	v_add_f32_e32 v3, v5, v6
	s_mov_b32 s11, 0
	s_delay_alu instid0(SALU_CYCLE_1) | instskip(NEXT) | instid1(VALU_DEP_1)
	s_lshl_b64 s[0:1], s[10:11], 2
	v_cmp_gt_f32_e32 vcc_lo, 0x800000, v3
	v_cndmask_b32_e64 v4, 1.0, 0x4f800000, vcc_lo
	s_delay_alu instid0(VALU_DEP_1) | instskip(NEXT) | instid1(VALU_DEP_1)
	v_mul_f32_e32 v3, v3, v4
	v_log_f32_e32 v3, v3
	s_waitcnt_depctr 0xfff
	v_mul_f32_e32 v4, 0x3f317217, v3
	s_delay_alu instid0(VALU_DEP_1) | instskip(NEXT) | instid1(VALU_DEP_1)
	v_fma_f32 v5, 0x3f317217, v3, -v4
	v_fmamk_f32 v5, v3, 0x3377d1cf, v5
	s_delay_alu instid0(VALU_DEP_1) | instskip(SKIP_2) | instid1(VALU_DEP_3)
	v_add_f32_e32 v4, v4, v5
	v_cndmask_b32_e64 v5, 0, 0x41b17218, vcc_lo
	v_cmp_gt_f32_e64 vcc_lo, 0x7f800000, |v3|
	v_cndmask_b32_e32 v3, v3, v4, vcc_lo
	v_add_co_u32 v0, vcc_lo, v0, s0
	v_add_co_ci_u32_e32 v1, vcc_lo, s1, v1, vcc_lo
	s_delay_alu instid0(VALU_DEP_3) | instskip(NEXT) | instid1(VALU_DEP_1)
	v_sub_f32_e32 v3, v3, v5
	v_sub_f32_e32 v2, v2, v3
	global_store_b32 v[0:1], v2, off
.LBB111_10:
	s_nop 0
	s_sendmsg sendmsg(MSG_DEALLOC_VGPRS)
	s_endpgm
	.section	.rodata,"a",@progbits
	.p2align	6, 0x0
	.amdhsa_kernel _ZN12_GLOBAL__N_120softmax_warp_forwardIN3c104HalfEffLi3ELb1ELb0ELi64EEEvPT0_PKT_iiiPKbib
		.amdhsa_group_segment_fixed_size 0
		.amdhsa_private_segment_fixed_size 0
		.amdhsa_kernarg_size 304
		.amdhsa_user_sgpr_count 15
		.amdhsa_user_sgpr_dispatch_ptr 0
		.amdhsa_user_sgpr_queue_ptr 0
		.amdhsa_user_sgpr_kernarg_segment_ptr 1
		.amdhsa_user_sgpr_dispatch_id 0
		.amdhsa_user_sgpr_private_segment_size 0
		.amdhsa_wavefront_size32 1
		.amdhsa_uses_dynamic_stack 0
		.amdhsa_enable_private_segment 0
		.amdhsa_system_sgpr_workgroup_id_x 1
		.amdhsa_system_sgpr_workgroup_id_y 0
		.amdhsa_system_sgpr_workgroup_id_z 0
		.amdhsa_system_sgpr_workgroup_info 0
		.amdhsa_system_vgpr_workitem_id 1
		.amdhsa_next_free_vgpr 14
		.amdhsa_next_free_sgpr 16
		.amdhsa_reserve_vcc 1
		.amdhsa_float_round_mode_32 0
		.amdhsa_float_round_mode_16_64 0
		.amdhsa_float_denorm_mode_32 3
		.amdhsa_float_denorm_mode_16_64 3
		.amdhsa_dx10_clamp 1
		.amdhsa_ieee_mode 1
		.amdhsa_fp16_overflow 0
		.amdhsa_workgroup_processor_mode 1
		.amdhsa_memory_ordered 1
		.amdhsa_forward_progress 0
		.amdhsa_shared_vgpr_count 0
		.amdhsa_exception_fp_ieee_invalid_op 0
		.amdhsa_exception_fp_denorm_src 0
		.amdhsa_exception_fp_ieee_div_zero 0
		.amdhsa_exception_fp_ieee_overflow 0
		.amdhsa_exception_fp_ieee_underflow 0
		.amdhsa_exception_fp_ieee_inexact 0
		.amdhsa_exception_int_div_zero 0
	.end_amdhsa_kernel
	.section	.text._ZN12_GLOBAL__N_120softmax_warp_forwardIN3c104HalfEffLi3ELb1ELb0ELi64EEEvPT0_PKT_iiiPKbib,"axG",@progbits,_ZN12_GLOBAL__N_120softmax_warp_forwardIN3c104HalfEffLi3ELb1ELb0ELi64EEEvPT0_PKT_iiiPKbib,comdat
.Lfunc_end111:
	.size	_ZN12_GLOBAL__N_120softmax_warp_forwardIN3c104HalfEffLi3ELb1ELb0ELi64EEEvPT0_PKT_iiiPKbib, .Lfunc_end111-_ZN12_GLOBAL__N_120softmax_warp_forwardIN3c104HalfEffLi3ELb1ELb0ELi64EEEvPT0_PKT_iiiPKbib
                                        ; -- End function
	.section	.AMDGPU.csdata,"",@progbits
; Kernel info:
; codeLenInByte = 1236
; NumSgprs: 18
; NumVgprs: 14
; ScratchSize: 0
; MemoryBound: 0
; FloatMode: 240
; IeeeMode: 1
; LDSByteSize: 0 bytes/workgroup (compile time only)
; SGPRBlocks: 2
; VGPRBlocks: 1
; NumSGPRsForWavesPerEU: 18
; NumVGPRsForWavesPerEU: 14
; Occupancy: 16
; WaveLimiterHint : 0
; COMPUTE_PGM_RSRC2:SCRATCH_EN: 0
; COMPUTE_PGM_RSRC2:USER_SGPR: 15
; COMPUTE_PGM_RSRC2:TRAP_HANDLER: 0
; COMPUTE_PGM_RSRC2:TGID_X_EN: 1
; COMPUTE_PGM_RSRC2:TGID_Y_EN: 0
; COMPUTE_PGM_RSRC2:TGID_Z_EN: 0
; COMPUTE_PGM_RSRC2:TIDIG_COMP_CNT: 1
	.section	.text._ZN12_GLOBAL__N_120softmax_warp_forwardIN3c104HalfEffLi3ELb1ELb0ELi32EEEvPT0_PKT_iiiPKbib,"axG",@progbits,_ZN12_GLOBAL__N_120softmax_warp_forwardIN3c104HalfEffLi3ELb1ELb0ELi32EEEvPT0_PKT_iiiPKbib,comdat
	.globl	_ZN12_GLOBAL__N_120softmax_warp_forwardIN3c104HalfEffLi3ELb1ELb0ELi32EEEvPT0_PKT_iiiPKbib ; -- Begin function _ZN12_GLOBAL__N_120softmax_warp_forwardIN3c104HalfEffLi3ELb1ELb0ELi32EEEvPT0_PKT_iiiPKbib
	.p2align	8
	.type	_ZN12_GLOBAL__N_120softmax_warp_forwardIN3c104HalfEffLi3ELb1ELb0ELi32EEEvPT0_PKT_iiiPKbib,@function
_ZN12_GLOBAL__N_120softmax_warp_forwardIN3c104HalfEffLi3ELb1ELb0ELi32EEEvPT0_PKT_iiiPKbib: ; @_ZN12_GLOBAL__N_120softmax_warp_forwardIN3c104HalfEffLi3ELb1ELb0ELi32EEEvPT0_PKT_iiiPKbib
; %bb.0:
	s_clause 0x1
	s_load_b32 s2, s[0:1], 0x3c
	s_load_b256 s[4:11], s[0:1], 0x0
	v_bfe_u32 v1, v0, 10, 10
	v_and_b32_e32 v2, 0x3ff, v0
	v_mov_b32_e32 v5, 0xff800000
	s_waitcnt lgkmcnt(0)
	s_lshr_b32 s0, s2, 16
	s_delay_alu instid0(VALU_DEP_2) | instskip(SKIP_1) | instid1(SALU_CYCLE_1)
	v_cmp_gt_i32_e32 vcc_lo, s10, v2
	s_mul_i32 s15, s15, s0
	v_add_lshl_u32 v3, s15, v1, 1
	s_delay_alu instid0(VALU_DEP_1) | instskip(SKIP_1) | instid1(VALU_DEP_1)
	v_mad_u64_u32 v[0:1], null, v3, s9, v[2:3]
	v_sub_nc_u32_e32 v4, s8, v3
	v_cmp_lt_i32_e64 s0, 0, v4
	s_delay_alu instid0(VALU_DEP_3) | instskip(NEXT) | instid1(VALU_DEP_2)
	v_ashrrev_i32_e32 v1, 31, v0
	s_and_b32 s2, vcc_lo, s0
	s_delay_alu instid0(VALU_DEP_1) | instskip(NEXT) | instid1(VALU_DEP_1)
	v_lshlrev_b64 v[6:7], 1, v[0:1]
	v_add_co_u32 v2, s1, s6, v6
	v_mov_b32_e32 v6, 0xff800000
	s_delay_alu instid0(VALU_DEP_3)
	v_add_co_ci_u32_e64 v3, s1, s7, v7, s1
	s_and_saveexec_b32 s1, s2
	s_cbranch_execz .LBB112_2
; %bb.1:
	global_load_u16 v6, v[2:3], off
	s_waitcnt vmcnt(0)
	v_cvt_f32_f16_e32 v6, v6
.LBB112_2:
	s_or_b32 exec_lo, exec_lo, s1
	v_cmp_lt_i32_e64 s1, 1, v4
	s_delay_alu instid0(VALU_DEP_1) | instskip(NEXT) | instid1(SALU_CYCLE_1)
	s_and_b32 s1, vcc_lo, s1
	s_and_saveexec_b32 s2, s1
	s_cbranch_execz .LBB112_4
; %bb.3:
	s_mov_b32 s11, 0
	s_delay_alu instid0(SALU_CYCLE_1) | instskip(NEXT) | instid1(SALU_CYCLE_1)
	s_lshl_b64 s[6:7], s[10:11], 1
	v_add_co_u32 v2, s1, v2, s6
	s_delay_alu instid0(VALU_DEP_1)
	v_add_co_ci_u32_e64 v3, s1, s7, v3, s1
	global_load_u16 v2, v[2:3], off
	s_waitcnt vmcnt(0)
	v_cvt_f32_f16_e32 v5, v2
.LBB112_4:
	s_or_b32 exec_lo, exec_lo, s2
	v_mbcnt_lo_u32_b32 v2, -1, 0
	s_delay_alu instid0(VALU_DEP_1) | instskip(SKIP_3) | instid1(VALU_DEP_4)
	v_and_b32_e32 v3, 24, v2
	v_xor_b32_e32 v7, 4, v2
	v_xor_b32_e32 v10, 2, v2
	;; [unrolled: 1-line block ×3, first 2 shown]
	v_add_nc_u32_e32 v3, 8, v3
	s_delay_alu instid0(VALU_DEP_1) | instskip(NEXT) | instid1(VALU_DEP_1)
	v_cmp_lt_i32_e64 s1, v7, v3
	v_cndmask_b32_e64 v7, v2, v7, s1
	v_cmp_lt_i32_e64 s1, v10, v3
	s_delay_alu instid0(VALU_DEP_2) | instskip(NEXT) | instid1(VALU_DEP_2)
	v_lshlrev_b32_e32 v7, 2, v7
	v_cndmask_b32_e64 v10, v2, v10, s1
	ds_bpermute_b32 v8, v7, v6
	ds_bpermute_b32 v9, v7, v5
	v_lshlrev_b32_e32 v10, 2, v10
	s_waitcnt lgkmcnt(1)
	v_cmp_lt_f32_e64 s1, v6, v8
	s_delay_alu instid0(VALU_DEP_1)
	v_cndmask_b32_e64 v8, v6, v8, s1
	s_waitcnt lgkmcnt(0)
	v_cmp_lt_f32_e64 s1, v5, v9
	ds_bpermute_b32 v11, v10, v8
	v_cndmask_b32_e64 v9, v5, v9, s1
	v_cmp_lt_i32_e64 s1, v13, v3
	ds_bpermute_b32 v12, v10, v9
	v_cndmask_b32_e64 v2, v2, v13, s1
	s_delay_alu instid0(VALU_DEP_1) | instskip(SKIP_2) | instid1(VALU_DEP_1)
	v_lshlrev_b32_e32 v13, 2, v2
	s_waitcnt lgkmcnt(1)
	v_cmp_lt_f32_e64 s1, v8, v11
	v_cndmask_b32_e64 v2, v8, v11, s1
	s_waitcnt lgkmcnt(0)
	v_cmp_lt_f32_e64 s1, v9, v12
	ds_bpermute_b32 v8, v13, v2
	v_cndmask_b32_e64 v3, v9, v12, s1
	ds_bpermute_b32 v9, v13, v3
	s_waitcnt lgkmcnt(1)
	v_cmp_lt_f32_e64 s1, v2, v8
	s_delay_alu instid0(VALU_DEP_1) | instskip(SKIP_2) | instid1(VALU_DEP_1)
	v_cndmask_b32_e64 v2, v2, v8, s1
	s_waitcnt lgkmcnt(0)
	v_cmp_lt_f32_e64 s1, v3, v9
	v_cndmask_b32_e64 v8, v3, v9, s1
	s_delay_alu instid0(VALU_DEP_1) | instskip(NEXT) | instid1(VALU_DEP_1)
	v_dual_sub_f32 v3, v6, v2 :: v_dual_sub_f32 v2, v5, v8
	v_mul_f32_e32 v5, 0x3fb8aa3b, v3
	v_cmp_ngt_f32_e64 s1, 0xc2ce8ed0, v3
	s_delay_alu instid0(VALU_DEP_3) | instskip(NEXT) | instid1(VALU_DEP_3)
	v_mul_f32_e32 v6, 0x3fb8aa3b, v2
	v_fma_f32 v8, 0x3fb8aa3b, v3, -v5
	v_rndne_f32_e32 v9, v5
	s_delay_alu instid0(VALU_DEP_3) | instskip(NEXT) | instid1(VALU_DEP_3)
	v_fma_f32 v11, 0x3fb8aa3b, v2, -v6
	v_fmac_f32_e32 v8, 0x32a5705f, v3
	v_rndne_f32_e32 v12, v6
	s_delay_alu instid0(VALU_DEP_1) | instskip(NEXT) | instid1(VALU_DEP_1)
	v_dual_fmac_f32 v11, 0x32a5705f, v2 :: v_dual_sub_f32 v6, v6, v12
	v_dual_sub_f32 v5, v5, v9 :: v_dual_add_f32 v6, v6, v11
	s_delay_alu instid0(VALU_DEP_1) | instskip(SKIP_2) | instid1(VALU_DEP_4)
	v_add_f32_e32 v5, v5, v8
	v_cvt_i32_f32_e32 v8, v9
	v_cvt_i32_f32_e32 v9, v12
	v_exp_f32_e32 v6, v6
	s_delay_alu instid0(VALU_DEP_3) | instskip(SKIP_3) | instid1(VALU_DEP_1)
	v_exp_f32_e32 v5, v5
	s_waitcnt_depctr 0xfff
	v_ldexp_f32 v6, v6, v9
	v_ldexp_f32 v5, v5, v8
	v_cndmask_b32_e64 v5, 0, v5, s1
	v_cmp_ngt_f32_e64 s1, 0xc2ce8ed0, v2
	s_delay_alu instid0(VALU_DEP_1) | instskip(SKIP_1) | instid1(VALU_DEP_1)
	v_cndmask_b32_e64 v6, 0, v6, s1
	v_cmp_nlt_f32_e64 s1, 0x42b17218, v3
	v_cndmask_b32_e64 v5, 0x7f800000, v5, s1
	v_cmp_nlt_f32_e64 s1, 0x42b17218, v2
	ds_bpermute_b32 v8, v7, v5
	v_cndmask_b32_e64 v6, 0x7f800000, v6, s1
	ds_bpermute_b32 v7, v7, v6
	s_waitcnt lgkmcnt(0)
	v_dual_add_f32 v5, v5, v8 :: v_dual_add_f32 v6, v6, v7
	ds_bpermute_b32 v7, v10, v5
	ds_bpermute_b32 v8, v10, v6
	s_waitcnt lgkmcnt(1)
	v_add_f32_e32 v7, v5, v7
	s_waitcnt lgkmcnt(0)
	v_add_f32_e32 v5, v6, v8
	ds_bpermute_b32 v8, v13, v7
	ds_bpermute_b32 v6, v13, v5
	s_and_saveexec_b32 s1, s0
	s_cbranch_execz .LBB112_10
; %bb.5:
	v_lshlrev_b64 v[0:1], 2, v[0:1]
	s_delay_alu instid0(VALU_DEP_1) | instskip(NEXT) | instid1(VALU_DEP_1)
	v_add_co_u32 v0, s0, s4, v0
	v_add_co_ci_u32_e64 v1, s0, s5, v1, s0
	s_and_saveexec_b32 s2, vcc_lo
	s_cbranch_execz .LBB112_7
; %bb.6:
	s_waitcnt lgkmcnt(1)
	v_add_f32_e32 v7, v7, v8
	s_delay_alu instid0(VALU_DEP_1) | instskip(NEXT) | instid1(VALU_DEP_1)
	v_cmp_gt_f32_e64 s0, 0x800000, v7
	v_cndmask_b32_e64 v8, 1.0, 0x4f800000, s0
	s_delay_alu instid0(VALU_DEP_1) | instskip(NEXT) | instid1(VALU_DEP_1)
	v_mul_f32_e32 v7, v7, v8
	v_log_f32_e32 v7, v7
	s_waitcnt_depctr 0xfff
	v_mul_f32_e32 v8, 0x3f317217, v7
	v_cmp_gt_f32_e64 s1, 0x7f800000, |v7|
	s_delay_alu instid0(VALU_DEP_2) | instskip(NEXT) | instid1(VALU_DEP_1)
	v_fma_f32 v9, 0x3f317217, v7, -v8
	v_fmamk_f32 v9, v7, 0x3377d1cf, v9
	s_delay_alu instid0(VALU_DEP_1) | instskip(NEXT) | instid1(VALU_DEP_1)
	v_add_f32_e32 v8, v8, v9
	v_cndmask_b32_e64 v7, v7, v8, s1
	v_cndmask_b32_e64 v8, 0, 0x41b17218, s0
	s_delay_alu instid0(VALU_DEP_1) | instskip(NEXT) | instid1(VALU_DEP_1)
	v_sub_f32_e32 v7, v7, v8
	v_sub_f32_e32 v3, v3, v7
	global_store_b32 v[0:1], v3, off
.LBB112_7:
	s_or_b32 exec_lo, exec_lo, s2
	v_cmp_ne_u32_e64 s0, 1, v4
	s_delay_alu instid0(VALU_DEP_1)
	s_and_b32 exec_lo, exec_lo, s0
	s_cbranch_execz .LBB112_10
; %bb.8:
	s_and_b32 exec_lo, exec_lo, vcc_lo
	s_cbranch_execz .LBB112_10
; %bb.9:
	s_waitcnt lgkmcnt(0)
	v_add_f32_e32 v3, v5, v6
	s_mov_b32 s11, 0
	s_delay_alu instid0(SALU_CYCLE_1) | instskip(NEXT) | instid1(VALU_DEP_1)
	s_lshl_b64 s[0:1], s[10:11], 2
	v_cmp_gt_f32_e32 vcc_lo, 0x800000, v3
	v_cndmask_b32_e64 v4, 1.0, 0x4f800000, vcc_lo
	s_delay_alu instid0(VALU_DEP_1) | instskip(NEXT) | instid1(VALU_DEP_1)
	v_mul_f32_e32 v3, v3, v4
	v_log_f32_e32 v3, v3
	s_waitcnt_depctr 0xfff
	v_mul_f32_e32 v4, 0x3f317217, v3
	s_delay_alu instid0(VALU_DEP_1) | instskip(NEXT) | instid1(VALU_DEP_1)
	v_fma_f32 v5, 0x3f317217, v3, -v4
	v_fmamk_f32 v5, v3, 0x3377d1cf, v5
	s_delay_alu instid0(VALU_DEP_1) | instskip(SKIP_2) | instid1(VALU_DEP_3)
	v_add_f32_e32 v4, v4, v5
	v_cndmask_b32_e64 v5, 0, 0x41b17218, vcc_lo
	v_cmp_gt_f32_e64 vcc_lo, 0x7f800000, |v3|
	v_cndmask_b32_e32 v3, v3, v4, vcc_lo
	v_add_co_u32 v0, vcc_lo, v0, s0
	v_add_co_ci_u32_e32 v1, vcc_lo, s1, v1, vcc_lo
	s_delay_alu instid0(VALU_DEP_3) | instskip(NEXT) | instid1(VALU_DEP_1)
	v_sub_f32_e32 v3, v3, v5
	v_sub_f32_e32 v2, v2, v3
	global_store_b32 v[0:1], v2, off
.LBB112_10:
	s_nop 0
	s_sendmsg sendmsg(MSG_DEALLOC_VGPRS)
	s_endpgm
	.section	.rodata,"a",@progbits
	.p2align	6, 0x0
	.amdhsa_kernel _ZN12_GLOBAL__N_120softmax_warp_forwardIN3c104HalfEffLi3ELb1ELb0ELi32EEEvPT0_PKT_iiiPKbib
		.amdhsa_group_segment_fixed_size 0
		.amdhsa_private_segment_fixed_size 0
		.amdhsa_kernarg_size 304
		.amdhsa_user_sgpr_count 15
		.amdhsa_user_sgpr_dispatch_ptr 0
		.amdhsa_user_sgpr_queue_ptr 0
		.amdhsa_user_sgpr_kernarg_segment_ptr 1
		.amdhsa_user_sgpr_dispatch_id 0
		.amdhsa_user_sgpr_private_segment_size 0
		.amdhsa_wavefront_size32 1
		.amdhsa_uses_dynamic_stack 0
		.amdhsa_enable_private_segment 0
		.amdhsa_system_sgpr_workgroup_id_x 1
		.amdhsa_system_sgpr_workgroup_id_y 0
		.amdhsa_system_sgpr_workgroup_id_z 0
		.amdhsa_system_sgpr_workgroup_info 0
		.amdhsa_system_vgpr_workitem_id 1
		.amdhsa_next_free_vgpr 14
		.amdhsa_next_free_sgpr 16
		.amdhsa_reserve_vcc 1
		.amdhsa_float_round_mode_32 0
		.amdhsa_float_round_mode_16_64 0
		.amdhsa_float_denorm_mode_32 3
		.amdhsa_float_denorm_mode_16_64 3
		.amdhsa_dx10_clamp 1
		.amdhsa_ieee_mode 1
		.amdhsa_fp16_overflow 0
		.amdhsa_workgroup_processor_mode 1
		.amdhsa_memory_ordered 1
		.amdhsa_forward_progress 0
		.amdhsa_shared_vgpr_count 0
		.amdhsa_exception_fp_ieee_invalid_op 0
		.amdhsa_exception_fp_denorm_src 0
		.amdhsa_exception_fp_ieee_div_zero 0
		.amdhsa_exception_fp_ieee_overflow 0
		.amdhsa_exception_fp_ieee_underflow 0
		.amdhsa_exception_fp_ieee_inexact 0
		.amdhsa_exception_int_div_zero 0
	.end_amdhsa_kernel
	.section	.text._ZN12_GLOBAL__N_120softmax_warp_forwardIN3c104HalfEffLi3ELb1ELb0ELi32EEEvPT0_PKT_iiiPKbib,"axG",@progbits,_ZN12_GLOBAL__N_120softmax_warp_forwardIN3c104HalfEffLi3ELb1ELb0ELi32EEEvPT0_PKT_iiiPKbib,comdat
.Lfunc_end112:
	.size	_ZN12_GLOBAL__N_120softmax_warp_forwardIN3c104HalfEffLi3ELb1ELb0ELi32EEEvPT0_PKT_iiiPKbib, .Lfunc_end112-_ZN12_GLOBAL__N_120softmax_warp_forwardIN3c104HalfEffLi3ELb1ELb0ELi32EEEvPT0_PKT_iiiPKbib
                                        ; -- End function
	.section	.AMDGPU.csdata,"",@progbits
; Kernel info:
; codeLenInByte = 1236
; NumSgprs: 18
; NumVgprs: 14
; ScratchSize: 0
; MemoryBound: 0
; FloatMode: 240
; IeeeMode: 1
; LDSByteSize: 0 bytes/workgroup (compile time only)
; SGPRBlocks: 2
; VGPRBlocks: 1
; NumSGPRsForWavesPerEU: 18
; NumVGPRsForWavesPerEU: 14
; Occupancy: 16
; WaveLimiterHint : 0
; COMPUTE_PGM_RSRC2:SCRATCH_EN: 0
; COMPUTE_PGM_RSRC2:USER_SGPR: 15
; COMPUTE_PGM_RSRC2:TRAP_HANDLER: 0
; COMPUTE_PGM_RSRC2:TGID_X_EN: 1
; COMPUTE_PGM_RSRC2:TGID_Y_EN: 0
; COMPUTE_PGM_RSRC2:TGID_Z_EN: 0
; COMPUTE_PGM_RSRC2:TIDIG_COMP_CNT: 1
	.section	.text._ZN12_GLOBAL__N_120softmax_warp_forwardIN3c104HalfEffLi4ELb1ELb0ELi64EEEvPT0_PKT_iiiPKbib,"axG",@progbits,_ZN12_GLOBAL__N_120softmax_warp_forwardIN3c104HalfEffLi4ELb1ELb0ELi64EEEvPT0_PKT_iiiPKbib,comdat
	.globl	_ZN12_GLOBAL__N_120softmax_warp_forwardIN3c104HalfEffLi4ELb1ELb0ELi64EEEvPT0_PKT_iiiPKbib ; -- Begin function _ZN12_GLOBAL__N_120softmax_warp_forwardIN3c104HalfEffLi4ELb1ELb0ELi64EEEvPT0_PKT_iiiPKbib
	.p2align	8
	.type	_ZN12_GLOBAL__N_120softmax_warp_forwardIN3c104HalfEffLi4ELb1ELb0ELi64EEEvPT0_PKT_iiiPKbib,@function
_ZN12_GLOBAL__N_120softmax_warp_forwardIN3c104HalfEffLi4ELb1ELb0ELi64EEEvPT0_PKT_iiiPKbib: ; @_ZN12_GLOBAL__N_120softmax_warp_forwardIN3c104HalfEffLi4ELb1ELb0ELi64EEEvPT0_PKT_iiiPKbib
; %bb.0:
	s_clause 0x1
	s_load_b32 s2, s[0:1], 0x3c
	s_load_b256 s[4:11], s[0:1], 0x0
	v_bfe_u32 v1, v0, 10, 10
	v_and_b32_e32 v2, 0x3ff, v0
	v_mov_b32_e32 v5, 0xff800000
	s_waitcnt lgkmcnt(0)
	s_lshr_b32 s0, s2, 16
	s_delay_alu instid0(VALU_DEP_2) | instskip(SKIP_1) | instid1(SALU_CYCLE_1)
	v_cmp_gt_i32_e32 vcc_lo, s10, v2
	s_mul_i32 s15, s15, s0
	v_add_lshl_u32 v3, s15, v1, 1
	s_delay_alu instid0(VALU_DEP_1) | instskip(SKIP_1) | instid1(VALU_DEP_1)
	v_mad_u64_u32 v[0:1], null, v3, s9, v[2:3]
	v_sub_nc_u32_e32 v4, s8, v3
	v_cmp_lt_i32_e64 s0, 0, v4
	s_delay_alu instid0(VALU_DEP_3) | instskip(NEXT) | instid1(VALU_DEP_2)
	v_ashrrev_i32_e32 v1, 31, v0
	s_and_b32 s2, vcc_lo, s0
	s_delay_alu instid0(VALU_DEP_1) | instskip(NEXT) | instid1(VALU_DEP_1)
	v_lshlrev_b64 v[6:7], 1, v[0:1]
	v_add_co_u32 v2, s1, s6, v6
	v_mov_b32_e32 v6, 0xff800000
	s_delay_alu instid0(VALU_DEP_3)
	v_add_co_ci_u32_e64 v3, s1, s7, v7, s1
	s_and_saveexec_b32 s1, s2
	s_cbranch_execz .LBB113_2
; %bb.1:
	global_load_u16 v6, v[2:3], off
	s_waitcnt vmcnt(0)
	v_cvt_f32_f16_e32 v6, v6
.LBB113_2:
	s_or_b32 exec_lo, exec_lo, s1
	v_cmp_lt_i32_e64 s1, 1, v4
	s_delay_alu instid0(VALU_DEP_1) | instskip(NEXT) | instid1(SALU_CYCLE_1)
	s_and_b32 s1, vcc_lo, s1
	s_and_saveexec_b32 s2, s1
	s_cbranch_execz .LBB113_4
; %bb.3:
	s_mov_b32 s11, 0
	s_delay_alu instid0(SALU_CYCLE_1) | instskip(NEXT) | instid1(SALU_CYCLE_1)
	s_lshl_b64 s[6:7], s[10:11], 1
	v_add_co_u32 v2, s1, v2, s6
	s_delay_alu instid0(VALU_DEP_1)
	v_add_co_ci_u32_e64 v3, s1, s7, v3, s1
	global_load_u16 v2, v[2:3], off
	s_waitcnt vmcnt(0)
	v_cvt_f32_f16_e32 v5, v2
.LBB113_4:
	s_or_b32 exec_lo, exec_lo, s2
	v_mbcnt_lo_u32_b32 v2, -1, 0
	s_delay_alu instid0(VALU_DEP_1)
	v_and_b32_e32 v3, 16, v2
	v_xor_b32_e32 v7, 8, v2
	v_xor_b32_e32 v10, 4, v2
	v_xor_b32_e32 v13, 2, v2
	v_xor_b32_e32 v14, 1, v2
	v_add_nc_u32_e32 v3, 16, v3
	s_delay_alu instid0(VALU_DEP_1) | instskip(NEXT) | instid1(VALU_DEP_1)
	v_cmp_lt_i32_e64 s1, v7, v3
	v_cndmask_b32_e64 v7, v2, v7, s1
	v_cmp_lt_i32_e64 s1, v10, v3
	s_delay_alu instid0(VALU_DEP_2) | instskip(NEXT) | instid1(VALU_DEP_2)
	v_lshlrev_b32_e32 v7, 2, v7
	v_cndmask_b32_e64 v10, v2, v10, s1
	ds_bpermute_b32 v8, v7, v6
	ds_bpermute_b32 v9, v7, v5
	v_lshlrev_b32_e32 v10, 2, v10
	s_waitcnt lgkmcnt(1)
	v_cmp_lt_f32_e64 s1, v6, v8
	s_delay_alu instid0(VALU_DEP_1)
	v_cndmask_b32_e64 v8, v6, v8, s1
	s_waitcnt lgkmcnt(0)
	v_cmp_lt_f32_e64 s1, v5, v9
	ds_bpermute_b32 v11, v10, v8
	v_cndmask_b32_e64 v9, v5, v9, s1
	v_cmp_lt_i32_e64 s1, v13, v3
	ds_bpermute_b32 v12, v10, v9
	v_cndmask_b32_e64 v13, v2, v13, s1
	s_delay_alu instid0(VALU_DEP_1) | instskip(SKIP_2) | instid1(VALU_DEP_1)
	v_lshlrev_b32_e32 v13, 2, v13
	s_waitcnt lgkmcnt(1)
	v_cmp_lt_f32_e64 s1, v8, v11
	v_cndmask_b32_e64 v8, v8, v11, s1
	s_waitcnt lgkmcnt(0)
	v_cmp_lt_f32_e64 s1, v9, v12
	ds_bpermute_b32 v11, v13, v8
	v_cndmask_b32_e64 v9, v9, v12, s1
	v_cmp_lt_i32_e64 s1, v14, v3
	ds_bpermute_b32 v12, v13, v9
	v_cndmask_b32_e64 v2, v2, v14, s1
	s_delay_alu instid0(VALU_DEP_1) | instskip(SKIP_2) | instid1(VALU_DEP_1)
	v_lshlrev_b32_e32 v14, 2, v2
	s_waitcnt lgkmcnt(1)
	v_cmp_lt_f32_e64 s1, v8, v11
	v_cndmask_b32_e64 v2, v8, v11, s1
	s_waitcnt lgkmcnt(0)
	v_cmp_lt_f32_e64 s1, v9, v12
	ds_bpermute_b32 v8, v14, v2
	v_cndmask_b32_e64 v3, v9, v12, s1
	ds_bpermute_b32 v9, v14, v3
	s_waitcnt lgkmcnt(1)
	v_cmp_lt_f32_e64 s1, v2, v8
	s_delay_alu instid0(VALU_DEP_1) | instskip(SKIP_2) | instid1(VALU_DEP_1)
	v_cndmask_b32_e64 v2, v2, v8, s1
	s_waitcnt lgkmcnt(0)
	v_cmp_lt_f32_e64 s1, v3, v9
	v_cndmask_b32_e64 v8, v3, v9, s1
	s_delay_alu instid0(VALU_DEP_1) | instskip(NEXT) | instid1(VALU_DEP_1)
	v_dual_sub_f32 v3, v6, v2 :: v_dual_sub_f32 v2, v5, v8
	v_mul_f32_e32 v5, 0x3fb8aa3b, v3
	v_cmp_ngt_f32_e64 s1, 0xc2ce8ed0, v3
	s_delay_alu instid0(VALU_DEP_3) | instskip(NEXT) | instid1(VALU_DEP_3)
	v_mul_f32_e32 v6, 0x3fb8aa3b, v2
	v_fma_f32 v8, 0x3fb8aa3b, v3, -v5
	v_rndne_f32_e32 v9, v5
	s_delay_alu instid0(VALU_DEP_3) | instskip(SKIP_1) | instid1(VALU_DEP_3)
	v_fma_f32 v11, 0x3fb8aa3b, v2, -v6
	v_rndne_f32_e32 v12, v6
	v_dual_sub_f32 v5, v5, v9 :: v_dual_fmac_f32 v8, 0x32a5705f, v3
	s_delay_alu instid0(VALU_DEP_2) | instskip(NEXT) | instid1(VALU_DEP_2)
	v_dual_fmac_f32 v11, 0x32a5705f, v2 :: v_dual_sub_f32 v6, v6, v12
	v_add_f32_e32 v5, v5, v8
	v_cvt_i32_f32_e32 v8, v9
	v_cvt_i32_f32_e32 v9, v12
	s_delay_alu instid0(VALU_DEP_4) | instskip(NEXT) | instid1(VALU_DEP_4)
	v_add_f32_e32 v6, v6, v11
	v_exp_f32_e32 v5, v5
	s_delay_alu instid0(VALU_DEP_1) | instskip(SKIP_3) | instid1(VALU_DEP_2)
	v_exp_f32_e32 v6, v6
	s_waitcnt_depctr 0xfff
	v_ldexp_f32 v5, v5, v8
	v_ldexp_f32 v6, v6, v9
	v_cndmask_b32_e64 v5, 0, v5, s1
	v_cmp_ngt_f32_e64 s1, 0xc2ce8ed0, v2
	s_delay_alu instid0(VALU_DEP_1) | instskip(SKIP_1) | instid1(VALU_DEP_1)
	v_cndmask_b32_e64 v6, 0, v6, s1
	v_cmp_nlt_f32_e64 s1, 0x42b17218, v3
	v_cndmask_b32_e64 v5, 0x7f800000, v5, s1
	v_cmp_nlt_f32_e64 s1, 0x42b17218, v2
	ds_bpermute_b32 v8, v7, v5
	v_cndmask_b32_e64 v6, 0x7f800000, v6, s1
	ds_bpermute_b32 v7, v7, v6
	s_waitcnt lgkmcnt(0)
	v_dual_add_f32 v5, v5, v8 :: v_dual_add_f32 v6, v6, v7
	ds_bpermute_b32 v7, v10, v5
	ds_bpermute_b32 v8, v10, v6
	s_waitcnt lgkmcnt(0)
	v_dual_add_f32 v5, v5, v7 :: v_dual_add_f32 v6, v6, v8
	ds_bpermute_b32 v7, v13, v5
	ds_bpermute_b32 v8, v13, v6
	s_waitcnt lgkmcnt(1)
	v_add_f32_e32 v7, v5, v7
	s_waitcnt lgkmcnt(0)
	v_add_f32_e32 v5, v6, v8
	ds_bpermute_b32 v8, v14, v7
	ds_bpermute_b32 v6, v14, v5
	s_and_saveexec_b32 s1, s0
	s_cbranch_execz .LBB113_10
; %bb.5:
	v_lshlrev_b64 v[0:1], 2, v[0:1]
	s_delay_alu instid0(VALU_DEP_1) | instskip(NEXT) | instid1(VALU_DEP_1)
	v_add_co_u32 v0, s0, s4, v0
	v_add_co_ci_u32_e64 v1, s0, s5, v1, s0
	s_and_saveexec_b32 s2, vcc_lo
	s_cbranch_execz .LBB113_7
; %bb.6:
	s_waitcnt lgkmcnt(1)
	v_add_f32_e32 v7, v7, v8
	s_delay_alu instid0(VALU_DEP_1) | instskip(NEXT) | instid1(VALU_DEP_1)
	v_cmp_gt_f32_e64 s0, 0x800000, v7
	v_cndmask_b32_e64 v8, 1.0, 0x4f800000, s0
	s_delay_alu instid0(VALU_DEP_1) | instskip(NEXT) | instid1(VALU_DEP_1)
	v_mul_f32_e32 v7, v7, v8
	v_log_f32_e32 v7, v7
	s_waitcnt_depctr 0xfff
	v_mul_f32_e32 v8, 0x3f317217, v7
	v_cmp_gt_f32_e64 s1, 0x7f800000, |v7|
	s_delay_alu instid0(VALU_DEP_2) | instskip(NEXT) | instid1(VALU_DEP_1)
	v_fma_f32 v9, 0x3f317217, v7, -v8
	v_fmamk_f32 v9, v7, 0x3377d1cf, v9
	s_delay_alu instid0(VALU_DEP_1) | instskip(NEXT) | instid1(VALU_DEP_1)
	v_add_f32_e32 v8, v8, v9
	v_cndmask_b32_e64 v7, v7, v8, s1
	v_cndmask_b32_e64 v8, 0, 0x41b17218, s0
	s_delay_alu instid0(VALU_DEP_1) | instskip(NEXT) | instid1(VALU_DEP_1)
	v_sub_f32_e32 v7, v7, v8
	v_sub_f32_e32 v3, v3, v7
	global_store_b32 v[0:1], v3, off
.LBB113_7:
	s_or_b32 exec_lo, exec_lo, s2
	v_cmp_ne_u32_e64 s0, 1, v4
	s_delay_alu instid0(VALU_DEP_1)
	s_and_b32 exec_lo, exec_lo, s0
	s_cbranch_execz .LBB113_10
; %bb.8:
	s_and_b32 exec_lo, exec_lo, vcc_lo
	s_cbranch_execz .LBB113_10
; %bb.9:
	s_waitcnt lgkmcnt(0)
	v_add_f32_e32 v3, v5, v6
	s_mov_b32 s11, 0
	s_delay_alu instid0(SALU_CYCLE_1) | instskip(NEXT) | instid1(VALU_DEP_1)
	s_lshl_b64 s[0:1], s[10:11], 2
	v_cmp_gt_f32_e32 vcc_lo, 0x800000, v3
	v_cndmask_b32_e64 v4, 1.0, 0x4f800000, vcc_lo
	s_delay_alu instid0(VALU_DEP_1) | instskip(NEXT) | instid1(VALU_DEP_1)
	v_mul_f32_e32 v3, v3, v4
	v_log_f32_e32 v3, v3
	s_waitcnt_depctr 0xfff
	v_mul_f32_e32 v4, 0x3f317217, v3
	s_delay_alu instid0(VALU_DEP_1) | instskip(NEXT) | instid1(VALU_DEP_1)
	v_fma_f32 v5, 0x3f317217, v3, -v4
	v_fmamk_f32 v5, v3, 0x3377d1cf, v5
	s_delay_alu instid0(VALU_DEP_1) | instskip(SKIP_2) | instid1(VALU_DEP_3)
	v_add_f32_e32 v4, v4, v5
	v_cndmask_b32_e64 v5, 0, 0x41b17218, vcc_lo
	v_cmp_gt_f32_e64 vcc_lo, 0x7f800000, |v3|
	v_cndmask_b32_e32 v3, v3, v4, vcc_lo
	v_add_co_u32 v0, vcc_lo, v0, s0
	v_add_co_ci_u32_e32 v1, vcc_lo, s1, v1, vcc_lo
	s_delay_alu instid0(VALU_DEP_3) | instskip(NEXT) | instid1(VALU_DEP_1)
	v_sub_f32_e32 v3, v3, v5
	v_sub_f32_e32 v2, v2, v3
	global_store_b32 v[0:1], v2, off
.LBB113_10:
	s_nop 0
	s_sendmsg sendmsg(MSG_DEALLOC_VGPRS)
	s_endpgm
	.section	.rodata,"a",@progbits
	.p2align	6, 0x0
	.amdhsa_kernel _ZN12_GLOBAL__N_120softmax_warp_forwardIN3c104HalfEffLi4ELb1ELb0ELi64EEEvPT0_PKT_iiiPKbib
		.amdhsa_group_segment_fixed_size 0
		.amdhsa_private_segment_fixed_size 0
		.amdhsa_kernarg_size 304
		.amdhsa_user_sgpr_count 15
		.amdhsa_user_sgpr_dispatch_ptr 0
		.amdhsa_user_sgpr_queue_ptr 0
		.amdhsa_user_sgpr_kernarg_segment_ptr 1
		.amdhsa_user_sgpr_dispatch_id 0
		.amdhsa_user_sgpr_private_segment_size 0
		.amdhsa_wavefront_size32 1
		.amdhsa_uses_dynamic_stack 0
		.amdhsa_enable_private_segment 0
		.amdhsa_system_sgpr_workgroup_id_x 1
		.amdhsa_system_sgpr_workgroup_id_y 0
		.amdhsa_system_sgpr_workgroup_id_z 0
		.amdhsa_system_sgpr_workgroup_info 0
		.amdhsa_system_vgpr_workitem_id 1
		.amdhsa_next_free_vgpr 15
		.amdhsa_next_free_sgpr 16
		.amdhsa_reserve_vcc 1
		.amdhsa_float_round_mode_32 0
		.amdhsa_float_round_mode_16_64 0
		.amdhsa_float_denorm_mode_32 3
		.amdhsa_float_denorm_mode_16_64 3
		.amdhsa_dx10_clamp 1
		.amdhsa_ieee_mode 1
		.amdhsa_fp16_overflow 0
		.amdhsa_workgroup_processor_mode 1
		.amdhsa_memory_ordered 1
		.amdhsa_forward_progress 0
		.amdhsa_shared_vgpr_count 0
		.amdhsa_exception_fp_ieee_invalid_op 0
		.amdhsa_exception_fp_denorm_src 0
		.amdhsa_exception_fp_ieee_div_zero 0
		.amdhsa_exception_fp_ieee_overflow 0
		.amdhsa_exception_fp_ieee_underflow 0
		.amdhsa_exception_fp_ieee_inexact 0
		.amdhsa_exception_int_div_zero 0
	.end_amdhsa_kernel
	.section	.text._ZN12_GLOBAL__N_120softmax_warp_forwardIN3c104HalfEffLi4ELb1ELb0ELi64EEEvPT0_PKT_iiiPKbib,"axG",@progbits,_ZN12_GLOBAL__N_120softmax_warp_forwardIN3c104HalfEffLi4ELb1ELb0ELi64EEEvPT0_PKT_iiiPKbib,comdat
.Lfunc_end113:
	.size	_ZN12_GLOBAL__N_120softmax_warp_forwardIN3c104HalfEffLi4ELb1ELb0ELi64EEEvPT0_PKT_iiiPKbib, .Lfunc_end113-_ZN12_GLOBAL__N_120softmax_warp_forwardIN3c104HalfEffLi4ELb1ELb0ELi64EEEvPT0_PKT_iiiPKbib
                                        ; -- End function
	.section	.AMDGPU.csdata,"",@progbits
; Kernel info:
; codeLenInByte = 1348
; NumSgprs: 18
; NumVgprs: 15
; ScratchSize: 0
; MemoryBound: 0
; FloatMode: 240
; IeeeMode: 1
; LDSByteSize: 0 bytes/workgroup (compile time only)
; SGPRBlocks: 2
; VGPRBlocks: 1
; NumSGPRsForWavesPerEU: 18
; NumVGPRsForWavesPerEU: 15
; Occupancy: 16
; WaveLimiterHint : 0
; COMPUTE_PGM_RSRC2:SCRATCH_EN: 0
; COMPUTE_PGM_RSRC2:USER_SGPR: 15
; COMPUTE_PGM_RSRC2:TRAP_HANDLER: 0
; COMPUTE_PGM_RSRC2:TGID_X_EN: 1
; COMPUTE_PGM_RSRC2:TGID_Y_EN: 0
; COMPUTE_PGM_RSRC2:TGID_Z_EN: 0
; COMPUTE_PGM_RSRC2:TIDIG_COMP_CNT: 1
	.section	.text._ZN12_GLOBAL__N_120softmax_warp_forwardIN3c104HalfEffLi4ELb1ELb0ELi32EEEvPT0_PKT_iiiPKbib,"axG",@progbits,_ZN12_GLOBAL__N_120softmax_warp_forwardIN3c104HalfEffLi4ELb1ELb0ELi32EEEvPT0_PKT_iiiPKbib,comdat
	.globl	_ZN12_GLOBAL__N_120softmax_warp_forwardIN3c104HalfEffLi4ELb1ELb0ELi32EEEvPT0_PKT_iiiPKbib ; -- Begin function _ZN12_GLOBAL__N_120softmax_warp_forwardIN3c104HalfEffLi4ELb1ELb0ELi32EEEvPT0_PKT_iiiPKbib
	.p2align	8
	.type	_ZN12_GLOBAL__N_120softmax_warp_forwardIN3c104HalfEffLi4ELb1ELb0ELi32EEEvPT0_PKT_iiiPKbib,@function
_ZN12_GLOBAL__N_120softmax_warp_forwardIN3c104HalfEffLi4ELb1ELb0ELi32EEEvPT0_PKT_iiiPKbib: ; @_ZN12_GLOBAL__N_120softmax_warp_forwardIN3c104HalfEffLi4ELb1ELb0ELi32EEEvPT0_PKT_iiiPKbib
; %bb.0:
	s_clause 0x1
	s_load_b32 s2, s[0:1], 0x3c
	s_load_b256 s[4:11], s[0:1], 0x0
	v_bfe_u32 v1, v0, 10, 10
	v_and_b32_e32 v2, 0x3ff, v0
	v_mov_b32_e32 v5, 0xff800000
	s_waitcnt lgkmcnt(0)
	s_lshr_b32 s0, s2, 16
	s_delay_alu instid0(VALU_DEP_2) | instskip(SKIP_1) | instid1(SALU_CYCLE_1)
	v_cmp_gt_i32_e32 vcc_lo, s10, v2
	s_mul_i32 s15, s15, s0
	v_add_lshl_u32 v3, s15, v1, 1
	s_delay_alu instid0(VALU_DEP_1) | instskip(SKIP_1) | instid1(VALU_DEP_1)
	v_mad_u64_u32 v[0:1], null, v3, s9, v[2:3]
	v_sub_nc_u32_e32 v4, s8, v3
	v_cmp_lt_i32_e64 s0, 0, v4
	s_delay_alu instid0(VALU_DEP_3) | instskip(NEXT) | instid1(VALU_DEP_2)
	v_ashrrev_i32_e32 v1, 31, v0
	s_and_b32 s2, vcc_lo, s0
	s_delay_alu instid0(VALU_DEP_1) | instskip(NEXT) | instid1(VALU_DEP_1)
	v_lshlrev_b64 v[6:7], 1, v[0:1]
	v_add_co_u32 v2, s1, s6, v6
	v_mov_b32_e32 v6, 0xff800000
	s_delay_alu instid0(VALU_DEP_3)
	v_add_co_ci_u32_e64 v3, s1, s7, v7, s1
	s_and_saveexec_b32 s1, s2
	s_cbranch_execz .LBB114_2
; %bb.1:
	global_load_u16 v6, v[2:3], off
	s_waitcnt vmcnt(0)
	v_cvt_f32_f16_e32 v6, v6
.LBB114_2:
	s_or_b32 exec_lo, exec_lo, s1
	v_cmp_lt_i32_e64 s1, 1, v4
	s_delay_alu instid0(VALU_DEP_1) | instskip(NEXT) | instid1(SALU_CYCLE_1)
	s_and_b32 s1, vcc_lo, s1
	s_and_saveexec_b32 s2, s1
	s_cbranch_execz .LBB114_4
; %bb.3:
	s_mov_b32 s11, 0
	s_delay_alu instid0(SALU_CYCLE_1) | instskip(NEXT) | instid1(SALU_CYCLE_1)
	s_lshl_b64 s[6:7], s[10:11], 1
	v_add_co_u32 v2, s1, v2, s6
	s_delay_alu instid0(VALU_DEP_1)
	v_add_co_ci_u32_e64 v3, s1, s7, v3, s1
	global_load_u16 v2, v[2:3], off
	s_waitcnt vmcnt(0)
	v_cvt_f32_f16_e32 v5, v2
.LBB114_4:
	s_or_b32 exec_lo, exec_lo, s2
	v_mbcnt_lo_u32_b32 v2, -1, 0
	s_delay_alu instid0(VALU_DEP_1)
	v_and_b32_e32 v3, 16, v2
	v_xor_b32_e32 v7, 8, v2
	v_xor_b32_e32 v10, 4, v2
	v_xor_b32_e32 v13, 2, v2
	v_xor_b32_e32 v14, 1, v2
	v_add_nc_u32_e32 v3, 16, v3
	s_delay_alu instid0(VALU_DEP_1) | instskip(NEXT) | instid1(VALU_DEP_1)
	v_cmp_lt_i32_e64 s1, v7, v3
	v_cndmask_b32_e64 v7, v2, v7, s1
	v_cmp_lt_i32_e64 s1, v10, v3
	s_delay_alu instid0(VALU_DEP_2) | instskip(NEXT) | instid1(VALU_DEP_2)
	v_lshlrev_b32_e32 v7, 2, v7
	v_cndmask_b32_e64 v10, v2, v10, s1
	ds_bpermute_b32 v8, v7, v6
	ds_bpermute_b32 v9, v7, v5
	v_lshlrev_b32_e32 v10, 2, v10
	s_waitcnt lgkmcnt(1)
	v_cmp_lt_f32_e64 s1, v6, v8
	s_delay_alu instid0(VALU_DEP_1)
	v_cndmask_b32_e64 v8, v6, v8, s1
	s_waitcnt lgkmcnt(0)
	v_cmp_lt_f32_e64 s1, v5, v9
	ds_bpermute_b32 v11, v10, v8
	v_cndmask_b32_e64 v9, v5, v9, s1
	v_cmp_lt_i32_e64 s1, v13, v3
	ds_bpermute_b32 v12, v10, v9
	v_cndmask_b32_e64 v13, v2, v13, s1
	s_delay_alu instid0(VALU_DEP_1) | instskip(SKIP_2) | instid1(VALU_DEP_1)
	v_lshlrev_b32_e32 v13, 2, v13
	s_waitcnt lgkmcnt(1)
	v_cmp_lt_f32_e64 s1, v8, v11
	v_cndmask_b32_e64 v8, v8, v11, s1
	s_waitcnt lgkmcnt(0)
	v_cmp_lt_f32_e64 s1, v9, v12
	ds_bpermute_b32 v11, v13, v8
	v_cndmask_b32_e64 v9, v9, v12, s1
	v_cmp_lt_i32_e64 s1, v14, v3
	ds_bpermute_b32 v12, v13, v9
	v_cndmask_b32_e64 v2, v2, v14, s1
	s_delay_alu instid0(VALU_DEP_1) | instskip(SKIP_2) | instid1(VALU_DEP_1)
	v_lshlrev_b32_e32 v14, 2, v2
	s_waitcnt lgkmcnt(1)
	v_cmp_lt_f32_e64 s1, v8, v11
	v_cndmask_b32_e64 v2, v8, v11, s1
	s_waitcnt lgkmcnt(0)
	v_cmp_lt_f32_e64 s1, v9, v12
	ds_bpermute_b32 v8, v14, v2
	v_cndmask_b32_e64 v3, v9, v12, s1
	ds_bpermute_b32 v9, v14, v3
	s_waitcnt lgkmcnt(1)
	v_cmp_lt_f32_e64 s1, v2, v8
	s_delay_alu instid0(VALU_DEP_1) | instskip(SKIP_2) | instid1(VALU_DEP_1)
	v_cndmask_b32_e64 v2, v2, v8, s1
	s_waitcnt lgkmcnt(0)
	v_cmp_lt_f32_e64 s1, v3, v9
	v_cndmask_b32_e64 v8, v3, v9, s1
	s_delay_alu instid0(VALU_DEP_1) | instskip(NEXT) | instid1(VALU_DEP_1)
	v_dual_sub_f32 v3, v6, v2 :: v_dual_sub_f32 v2, v5, v8
	v_mul_f32_e32 v5, 0x3fb8aa3b, v3
	v_cmp_ngt_f32_e64 s1, 0xc2ce8ed0, v3
	s_delay_alu instid0(VALU_DEP_3) | instskip(NEXT) | instid1(VALU_DEP_3)
	v_mul_f32_e32 v6, 0x3fb8aa3b, v2
	v_fma_f32 v8, 0x3fb8aa3b, v3, -v5
	v_rndne_f32_e32 v9, v5
	s_delay_alu instid0(VALU_DEP_3) | instskip(SKIP_1) | instid1(VALU_DEP_3)
	v_fma_f32 v11, 0x3fb8aa3b, v2, -v6
	v_rndne_f32_e32 v12, v6
	v_dual_sub_f32 v5, v5, v9 :: v_dual_fmac_f32 v8, 0x32a5705f, v3
	s_delay_alu instid0(VALU_DEP_2) | instskip(NEXT) | instid1(VALU_DEP_2)
	v_dual_fmac_f32 v11, 0x32a5705f, v2 :: v_dual_sub_f32 v6, v6, v12
	v_add_f32_e32 v5, v5, v8
	v_cvt_i32_f32_e32 v8, v9
	v_cvt_i32_f32_e32 v9, v12
	s_delay_alu instid0(VALU_DEP_4) | instskip(NEXT) | instid1(VALU_DEP_4)
	v_add_f32_e32 v6, v6, v11
	v_exp_f32_e32 v5, v5
	s_delay_alu instid0(VALU_DEP_1) | instskip(SKIP_3) | instid1(VALU_DEP_2)
	v_exp_f32_e32 v6, v6
	s_waitcnt_depctr 0xfff
	v_ldexp_f32 v5, v5, v8
	v_ldexp_f32 v6, v6, v9
	v_cndmask_b32_e64 v5, 0, v5, s1
	v_cmp_ngt_f32_e64 s1, 0xc2ce8ed0, v2
	s_delay_alu instid0(VALU_DEP_1) | instskip(SKIP_1) | instid1(VALU_DEP_1)
	v_cndmask_b32_e64 v6, 0, v6, s1
	v_cmp_nlt_f32_e64 s1, 0x42b17218, v3
	v_cndmask_b32_e64 v5, 0x7f800000, v5, s1
	v_cmp_nlt_f32_e64 s1, 0x42b17218, v2
	ds_bpermute_b32 v8, v7, v5
	v_cndmask_b32_e64 v6, 0x7f800000, v6, s1
	ds_bpermute_b32 v7, v7, v6
	s_waitcnt lgkmcnt(0)
	v_dual_add_f32 v5, v5, v8 :: v_dual_add_f32 v6, v6, v7
	ds_bpermute_b32 v7, v10, v5
	ds_bpermute_b32 v8, v10, v6
	s_waitcnt lgkmcnt(0)
	v_dual_add_f32 v5, v5, v7 :: v_dual_add_f32 v6, v6, v8
	ds_bpermute_b32 v7, v13, v5
	ds_bpermute_b32 v8, v13, v6
	s_waitcnt lgkmcnt(1)
	v_add_f32_e32 v7, v5, v7
	s_waitcnt lgkmcnt(0)
	v_add_f32_e32 v5, v6, v8
	ds_bpermute_b32 v8, v14, v7
	ds_bpermute_b32 v6, v14, v5
	s_and_saveexec_b32 s1, s0
	s_cbranch_execz .LBB114_10
; %bb.5:
	v_lshlrev_b64 v[0:1], 2, v[0:1]
	s_delay_alu instid0(VALU_DEP_1) | instskip(NEXT) | instid1(VALU_DEP_1)
	v_add_co_u32 v0, s0, s4, v0
	v_add_co_ci_u32_e64 v1, s0, s5, v1, s0
	s_and_saveexec_b32 s2, vcc_lo
	s_cbranch_execz .LBB114_7
; %bb.6:
	s_waitcnt lgkmcnt(1)
	v_add_f32_e32 v7, v7, v8
	s_delay_alu instid0(VALU_DEP_1) | instskip(NEXT) | instid1(VALU_DEP_1)
	v_cmp_gt_f32_e64 s0, 0x800000, v7
	v_cndmask_b32_e64 v8, 1.0, 0x4f800000, s0
	s_delay_alu instid0(VALU_DEP_1) | instskip(NEXT) | instid1(VALU_DEP_1)
	v_mul_f32_e32 v7, v7, v8
	v_log_f32_e32 v7, v7
	s_waitcnt_depctr 0xfff
	v_mul_f32_e32 v8, 0x3f317217, v7
	v_cmp_gt_f32_e64 s1, 0x7f800000, |v7|
	s_delay_alu instid0(VALU_DEP_2) | instskip(NEXT) | instid1(VALU_DEP_1)
	v_fma_f32 v9, 0x3f317217, v7, -v8
	v_fmamk_f32 v9, v7, 0x3377d1cf, v9
	s_delay_alu instid0(VALU_DEP_1) | instskip(NEXT) | instid1(VALU_DEP_1)
	v_add_f32_e32 v8, v8, v9
	v_cndmask_b32_e64 v7, v7, v8, s1
	v_cndmask_b32_e64 v8, 0, 0x41b17218, s0
	s_delay_alu instid0(VALU_DEP_1) | instskip(NEXT) | instid1(VALU_DEP_1)
	v_sub_f32_e32 v7, v7, v8
	v_sub_f32_e32 v3, v3, v7
	global_store_b32 v[0:1], v3, off
.LBB114_7:
	s_or_b32 exec_lo, exec_lo, s2
	v_cmp_ne_u32_e64 s0, 1, v4
	s_delay_alu instid0(VALU_DEP_1)
	s_and_b32 exec_lo, exec_lo, s0
	s_cbranch_execz .LBB114_10
; %bb.8:
	s_and_b32 exec_lo, exec_lo, vcc_lo
	s_cbranch_execz .LBB114_10
; %bb.9:
	s_waitcnt lgkmcnt(0)
	v_add_f32_e32 v3, v5, v6
	s_mov_b32 s11, 0
	s_delay_alu instid0(SALU_CYCLE_1) | instskip(NEXT) | instid1(VALU_DEP_1)
	s_lshl_b64 s[0:1], s[10:11], 2
	v_cmp_gt_f32_e32 vcc_lo, 0x800000, v3
	v_cndmask_b32_e64 v4, 1.0, 0x4f800000, vcc_lo
	s_delay_alu instid0(VALU_DEP_1) | instskip(NEXT) | instid1(VALU_DEP_1)
	v_mul_f32_e32 v3, v3, v4
	v_log_f32_e32 v3, v3
	s_waitcnt_depctr 0xfff
	v_mul_f32_e32 v4, 0x3f317217, v3
	s_delay_alu instid0(VALU_DEP_1) | instskip(NEXT) | instid1(VALU_DEP_1)
	v_fma_f32 v5, 0x3f317217, v3, -v4
	v_fmamk_f32 v5, v3, 0x3377d1cf, v5
	s_delay_alu instid0(VALU_DEP_1) | instskip(SKIP_2) | instid1(VALU_DEP_3)
	v_add_f32_e32 v4, v4, v5
	v_cndmask_b32_e64 v5, 0, 0x41b17218, vcc_lo
	v_cmp_gt_f32_e64 vcc_lo, 0x7f800000, |v3|
	v_cndmask_b32_e32 v3, v3, v4, vcc_lo
	v_add_co_u32 v0, vcc_lo, v0, s0
	v_add_co_ci_u32_e32 v1, vcc_lo, s1, v1, vcc_lo
	s_delay_alu instid0(VALU_DEP_3) | instskip(NEXT) | instid1(VALU_DEP_1)
	v_sub_f32_e32 v3, v3, v5
	v_sub_f32_e32 v2, v2, v3
	global_store_b32 v[0:1], v2, off
.LBB114_10:
	s_nop 0
	s_sendmsg sendmsg(MSG_DEALLOC_VGPRS)
	s_endpgm
	.section	.rodata,"a",@progbits
	.p2align	6, 0x0
	.amdhsa_kernel _ZN12_GLOBAL__N_120softmax_warp_forwardIN3c104HalfEffLi4ELb1ELb0ELi32EEEvPT0_PKT_iiiPKbib
		.amdhsa_group_segment_fixed_size 0
		.amdhsa_private_segment_fixed_size 0
		.amdhsa_kernarg_size 304
		.amdhsa_user_sgpr_count 15
		.amdhsa_user_sgpr_dispatch_ptr 0
		.amdhsa_user_sgpr_queue_ptr 0
		.amdhsa_user_sgpr_kernarg_segment_ptr 1
		.amdhsa_user_sgpr_dispatch_id 0
		.amdhsa_user_sgpr_private_segment_size 0
		.amdhsa_wavefront_size32 1
		.amdhsa_uses_dynamic_stack 0
		.amdhsa_enable_private_segment 0
		.amdhsa_system_sgpr_workgroup_id_x 1
		.amdhsa_system_sgpr_workgroup_id_y 0
		.amdhsa_system_sgpr_workgroup_id_z 0
		.amdhsa_system_sgpr_workgroup_info 0
		.amdhsa_system_vgpr_workitem_id 1
		.amdhsa_next_free_vgpr 15
		.amdhsa_next_free_sgpr 16
		.amdhsa_reserve_vcc 1
		.amdhsa_float_round_mode_32 0
		.amdhsa_float_round_mode_16_64 0
		.amdhsa_float_denorm_mode_32 3
		.amdhsa_float_denorm_mode_16_64 3
		.amdhsa_dx10_clamp 1
		.amdhsa_ieee_mode 1
		.amdhsa_fp16_overflow 0
		.amdhsa_workgroup_processor_mode 1
		.amdhsa_memory_ordered 1
		.amdhsa_forward_progress 0
		.amdhsa_shared_vgpr_count 0
		.amdhsa_exception_fp_ieee_invalid_op 0
		.amdhsa_exception_fp_denorm_src 0
		.amdhsa_exception_fp_ieee_div_zero 0
		.amdhsa_exception_fp_ieee_overflow 0
		.amdhsa_exception_fp_ieee_underflow 0
		.amdhsa_exception_fp_ieee_inexact 0
		.amdhsa_exception_int_div_zero 0
	.end_amdhsa_kernel
	.section	.text._ZN12_GLOBAL__N_120softmax_warp_forwardIN3c104HalfEffLi4ELb1ELb0ELi32EEEvPT0_PKT_iiiPKbib,"axG",@progbits,_ZN12_GLOBAL__N_120softmax_warp_forwardIN3c104HalfEffLi4ELb1ELb0ELi32EEEvPT0_PKT_iiiPKbib,comdat
.Lfunc_end114:
	.size	_ZN12_GLOBAL__N_120softmax_warp_forwardIN3c104HalfEffLi4ELb1ELb0ELi32EEEvPT0_PKT_iiiPKbib, .Lfunc_end114-_ZN12_GLOBAL__N_120softmax_warp_forwardIN3c104HalfEffLi4ELb1ELb0ELi32EEEvPT0_PKT_iiiPKbib
                                        ; -- End function
	.section	.AMDGPU.csdata,"",@progbits
; Kernel info:
; codeLenInByte = 1348
; NumSgprs: 18
; NumVgprs: 15
; ScratchSize: 0
; MemoryBound: 0
; FloatMode: 240
; IeeeMode: 1
; LDSByteSize: 0 bytes/workgroup (compile time only)
; SGPRBlocks: 2
; VGPRBlocks: 1
; NumSGPRsForWavesPerEU: 18
; NumVGPRsForWavesPerEU: 15
; Occupancy: 16
; WaveLimiterHint : 0
; COMPUTE_PGM_RSRC2:SCRATCH_EN: 0
; COMPUTE_PGM_RSRC2:USER_SGPR: 15
; COMPUTE_PGM_RSRC2:TRAP_HANDLER: 0
; COMPUTE_PGM_RSRC2:TGID_X_EN: 1
; COMPUTE_PGM_RSRC2:TGID_Y_EN: 0
; COMPUTE_PGM_RSRC2:TGID_Z_EN: 0
; COMPUTE_PGM_RSRC2:TIDIG_COMP_CNT: 1
	.section	.text._ZN12_GLOBAL__N_120softmax_warp_forwardIN3c104HalfEffLi5ELb1ELb0ELi64EEEvPT0_PKT_iiiPKbib,"axG",@progbits,_ZN12_GLOBAL__N_120softmax_warp_forwardIN3c104HalfEffLi5ELb1ELb0ELi64EEEvPT0_PKT_iiiPKbib,comdat
	.globl	_ZN12_GLOBAL__N_120softmax_warp_forwardIN3c104HalfEffLi5ELb1ELb0ELi64EEEvPT0_PKT_iiiPKbib ; -- Begin function _ZN12_GLOBAL__N_120softmax_warp_forwardIN3c104HalfEffLi5ELb1ELb0ELi64EEEvPT0_PKT_iiiPKbib
	.p2align	8
	.type	_ZN12_GLOBAL__N_120softmax_warp_forwardIN3c104HalfEffLi5ELb1ELb0ELi64EEEvPT0_PKT_iiiPKbib,@function
_ZN12_GLOBAL__N_120softmax_warp_forwardIN3c104HalfEffLi5ELb1ELb0ELi64EEEvPT0_PKT_iiiPKbib: ; @_ZN12_GLOBAL__N_120softmax_warp_forwardIN3c104HalfEffLi5ELb1ELb0ELi64EEEvPT0_PKT_iiiPKbib
; %bb.0:
	s_clause 0x1
	s_load_b32 s2, s[0:1], 0x3c
	s_load_b256 s[4:11], s[0:1], 0x0
	v_bfe_u32 v1, v0, 10, 10
	v_and_b32_e32 v2, 0x3ff, v0
	v_mov_b32_e32 v5, 0xff800000
	s_waitcnt lgkmcnt(0)
	s_lshr_b32 s0, s2, 16
	s_delay_alu instid0(VALU_DEP_2) | instskip(SKIP_1) | instid1(SALU_CYCLE_1)
	v_cmp_gt_i32_e32 vcc_lo, s10, v2
	s_mul_i32 s15, s15, s0
	v_add_lshl_u32 v3, s15, v1, 1
	s_delay_alu instid0(VALU_DEP_1) | instskip(SKIP_1) | instid1(VALU_DEP_1)
	v_mad_u64_u32 v[0:1], null, v3, s9, v[2:3]
	v_sub_nc_u32_e32 v4, s8, v3
	v_cmp_lt_i32_e64 s0, 0, v4
	s_delay_alu instid0(VALU_DEP_3) | instskip(NEXT) | instid1(VALU_DEP_2)
	v_ashrrev_i32_e32 v1, 31, v0
	s_and_b32 s2, vcc_lo, s0
	s_delay_alu instid0(VALU_DEP_1) | instskip(NEXT) | instid1(VALU_DEP_1)
	v_lshlrev_b64 v[6:7], 1, v[0:1]
	v_add_co_u32 v2, s1, s6, v6
	v_mov_b32_e32 v6, 0xff800000
	s_delay_alu instid0(VALU_DEP_3)
	v_add_co_ci_u32_e64 v3, s1, s7, v7, s1
	s_and_saveexec_b32 s1, s2
	s_cbranch_execz .LBB115_2
; %bb.1:
	global_load_u16 v6, v[2:3], off
	s_waitcnt vmcnt(0)
	v_cvt_f32_f16_e32 v6, v6
.LBB115_2:
	s_or_b32 exec_lo, exec_lo, s1
	v_cmp_lt_i32_e64 s1, 1, v4
	s_delay_alu instid0(VALU_DEP_1) | instskip(NEXT) | instid1(SALU_CYCLE_1)
	s_and_b32 s1, vcc_lo, s1
	s_and_saveexec_b32 s2, s1
	s_cbranch_execz .LBB115_4
; %bb.3:
	s_mov_b32 s11, 0
	s_delay_alu instid0(SALU_CYCLE_1) | instskip(NEXT) | instid1(SALU_CYCLE_1)
	s_lshl_b64 s[6:7], s[10:11], 1
	v_add_co_u32 v2, s1, v2, s6
	s_delay_alu instid0(VALU_DEP_1)
	v_add_co_ci_u32_e64 v3, s1, s7, v3, s1
	global_load_u16 v2, v[2:3], off
	s_waitcnt vmcnt(0)
	v_cvt_f32_f16_e32 v5, v2
.LBB115_4:
	s_or_b32 exec_lo, exec_lo, s2
	v_mbcnt_lo_u32_b32 v2, -1, 0
	s_delay_alu instid0(VALU_DEP_1)
	v_xor_b32_e32 v3, 16, v2
	v_xor_b32_e32 v9, 8, v2
	;; [unrolled: 1-line block ×5, first 2 shown]
	v_cmp_gt_i32_e64 s1, 32, v3
	s_delay_alu instid0(VALU_DEP_1) | instskip(SKIP_1) | instid1(VALU_DEP_2)
	v_cndmask_b32_e64 v3, v2, v3, s1
	v_cmp_gt_i32_e64 s1, 32, v9
	v_lshlrev_b32_e32 v7, 2, v3
	s_delay_alu instid0(VALU_DEP_2)
	v_cndmask_b32_e64 v9, v2, v9, s1
	ds_bpermute_b32 v3, v7, v6
	ds_bpermute_b32 v8, v7, v5
	v_lshlrev_b32_e32 v9, 2, v9
	s_waitcnt lgkmcnt(1)
	v_cmp_lt_f32_e64 s1, v6, v3
	s_delay_alu instid0(VALU_DEP_1)
	v_cndmask_b32_e64 v3, v6, v3, s1
	s_waitcnt lgkmcnt(0)
	v_cmp_lt_f32_e64 s1, v5, v8
	ds_bpermute_b32 v10, v9, v3
	v_cndmask_b32_e64 v8, v5, v8, s1
	v_cmp_gt_i32_e64 s1, 32, v12
	ds_bpermute_b32 v11, v9, v8
	v_cndmask_b32_e64 v12, v2, v12, s1
	s_delay_alu instid0(VALU_DEP_1) | instskip(SKIP_2) | instid1(VALU_DEP_1)
	v_lshlrev_b32_e32 v12, 2, v12
	s_waitcnt lgkmcnt(1)
	v_cmp_lt_f32_e64 s1, v3, v10
	v_cndmask_b32_e64 v3, v3, v10, s1
	s_waitcnt lgkmcnt(0)
	v_cmp_lt_f32_e64 s1, v8, v11
	ds_bpermute_b32 v10, v12, v3
	v_cndmask_b32_e64 v8, v8, v11, s1
	v_cmp_gt_i32_e64 s1, 32, v13
	ds_bpermute_b32 v11, v12, v8
	v_cndmask_b32_e64 v13, v2, v13, s1
	s_delay_alu instid0(VALU_DEP_1) | instskip(SKIP_2) | instid1(VALU_DEP_1)
	v_lshlrev_b32_e32 v13, 2, v13
	s_waitcnt lgkmcnt(1)
	v_cmp_lt_f32_e64 s1, v3, v10
	;; [unrolled: 12-line block ×3, first 2 shown]
	v_cndmask_b32_e64 v2, v3, v10, s1
	s_waitcnt lgkmcnt(0)
	v_cmp_lt_f32_e64 s1, v8, v11
	s_delay_alu instid0(VALU_DEP_1) | instskip(SKIP_4) | instid1(VALU_DEP_1)
	v_cndmask_b32_e64 v3, v8, v11, s1
	ds_bpermute_b32 v8, v14, v2
	ds_bpermute_b32 v10, v14, v3
	s_waitcnt lgkmcnt(1)
	v_cmp_lt_f32_e64 s1, v2, v8
	v_cndmask_b32_e64 v2, v2, v8, s1
	s_waitcnt lgkmcnt(0)
	v_cmp_lt_f32_e64 s1, v3, v10
	s_delay_alu instid0(VALU_DEP_1) | instskip(NEXT) | instid1(VALU_DEP_1)
	v_cndmask_b32_e64 v8, v3, v10, s1
	v_dual_sub_f32 v3, v6, v2 :: v_dual_sub_f32 v2, v5, v8
	s_delay_alu instid0(VALU_DEP_1) | instskip(SKIP_1) | instid1(VALU_DEP_3)
	v_mul_f32_e32 v5, 0x3fb8aa3b, v3
	v_cmp_ngt_f32_e64 s1, 0xc2ce8ed0, v3
	v_mul_f32_e32 v6, 0x3fb8aa3b, v2
	s_delay_alu instid0(VALU_DEP_3) | instskip(SKIP_1) | instid1(VALU_DEP_3)
	v_fma_f32 v8, 0x3fb8aa3b, v3, -v5
	v_rndne_f32_e32 v10, v5
	v_fma_f32 v11, 0x3fb8aa3b, v2, -v6
	v_rndne_f32_e32 v15, v6
	s_delay_alu instid0(VALU_DEP_3) | instskip(NEXT) | instid1(VALU_DEP_2)
	v_dual_fmac_f32 v8, 0x32a5705f, v3 :: v_dual_sub_f32 v5, v5, v10
	v_dual_fmac_f32 v11, 0x32a5705f, v2 :: v_dual_sub_f32 v6, v6, v15
	s_delay_alu instid0(VALU_DEP_2) | instskip(SKIP_2) | instid1(VALU_DEP_4)
	v_add_f32_e32 v5, v5, v8
	v_cvt_i32_f32_e32 v8, v10
	v_cvt_i32_f32_e32 v10, v15
	v_add_f32_e32 v6, v6, v11
	s_delay_alu instid0(VALU_DEP_4) | instskip(NEXT) | instid1(VALU_DEP_1)
	v_exp_f32_e32 v5, v5
	v_exp_f32_e32 v6, v6
	s_waitcnt_depctr 0xfff
	v_ldexp_f32 v5, v5, v8
	v_ldexp_f32 v6, v6, v10
	s_delay_alu instid0(VALU_DEP_2) | instskip(SKIP_1) | instid1(VALU_DEP_1)
	v_cndmask_b32_e64 v5, 0, v5, s1
	v_cmp_ngt_f32_e64 s1, 0xc2ce8ed0, v2
	v_cndmask_b32_e64 v6, 0, v6, s1
	v_cmp_nlt_f32_e64 s1, 0x42b17218, v3
	s_delay_alu instid0(VALU_DEP_1)
	v_cndmask_b32_e64 v5, 0x7f800000, v5, s1
	v_cmp_nlt_f32_e64 s1, 0x42b17218, v2
	ds_bpermute_b32 v8, v7, v5
	v_cndmask_b32_e64 v6, 0x7f800000, v6, s1
	ds_bpermute_b32 v7, v7, v6
	s_waitcnt lgkmcnt(0)
	v_dual_add_f32 v5, v5, v8 :: v_dual_add_f32 v6, v6, v7
	ds_bpermute_b32 v7, v9, v5
	ds_bpermute_b32 v8, v9, v6
	s_waitcnt lgkmcnt(0)
	v_dual_add_f32 v5, v5, v7 :: v_dual_add_f32 v6, v6, v8
	ds_bpermute_b32 v7, v12, v5
	;; [unrolled: 4-line block ×3, first 2 shown]
	ds_bpermute_b32 v8, v13, v6
	s_waitcnt lgkmcnt(1)
	v_add_f32_e32 v7, v5, v7
	s_waitcnt lgkmcnt(0)
	v_add_f32_e32 v5, v6, v8
	ds_bpermute_b32 v8, v14, v7
	ds_bpermute_b32 v6, v14, v5
	s_and_saveexec_b32 s1, s0
	s_cbranch_execz .LBB115_10
; %bb.5:
	v_lshlrev_b64 v[0:1], 2, v[0:1]
	s_delay_alu instid0(VALU_DEP_1) | instskip(NEXT) | instid1(VALU_DEP_1)
	v_add_co_u32 v0, s0, s4, v0
	v_add_co_ci_u32_e64 v1, s0, s5, v1, s0
	s_and_saveexec_b32 s2, vcc_lo
	s_cbranch_execz .LBB115_7
; %bb.6:
	s_waitcnt lgkmcnt(1)
	v_add_f32_e32 v7, v7, v8
	s_delay_alu instid0(VALU_DEP_1) | instskip(NEXT) | instid1(VALU_DEP_1)
	v_cmp_gt_f32_e64 s0, 0x800000, v7
	v_cndmask_b32_e64 v8, 1.0, 0x4f800000, s0
	s_delay_alu instid0(VALU_DEP_1) | instskip(NEXT) | instid1(VALU_DEP_1)
	v_mul_f32_e32 v7, v7, v8
	v_log_f32_e32 v7, v7
	s_waitcnt_depctr 0xfff
	v_mul_f32_e32 v8, 0x3f317217, v7
	v_cmp_gt_f32_e64 s1, 0x7f800000, |v7|
	s_delay_alu instid0(VALU_DEP_2) | instskip(NEXT) | instid1(VALU_DEP_1)
	v_fma_f32 v9, 0x3f317217, v7, -v8
	v_fmamk_f32 v9, v7, 0x3377d1cf, v9
	s_delay_alu instid0(VALU_DEP_1) | instskip(NEXT) | instid1(VALU_DEP_1)
	v_add_f32_e32 v8, v8, v9
	v_cndmask_b32_e64 v7, v7, v8, s1
	v_cndmask_b32_e64 v8, 0, 0x41b17218, s0
	s_delay_alu instid0(VALU_DEP_1) | instskip(NEXT) | instid1(VALU_DEP_1)
	v_sub_f32_e32 v7, v7, v8
	v_sub_f32_e32 v3, v3, v7
	global_store_b32 v[0:1], v3, off
.LBB115_7:
	s_or_b32 exec_lo, exec_lo, s2
	v_cmp_ne_u32_e64 s0, 1, v4
	s_delay_alu instid0(VALU_DEP_1)
	s_and_b32 exec_lo, exec_lo, s0
	s_cbranch_execz .LBB115_10
; %bb.8:
	s_and_b32 exec_lo, exec_lo, vcc_lo
	s_cbranch_execz .LBB115_10
; %bb.9:
	s_waitcnt lgkmcnt(0)
	v_add_f32_e32 v3, v5, v6
	s_mov_b32 s11, 0
	s_delay_alu instid0(SALU_CYCLE_1) | instskip(NEXT) | instid1(VALU_DEP_1)
	s_lshl_b64 s[0:1], s[10:11], 2
	v_cmp_gt_f32_e32 vcc_lo, 0x800000, v3
	v_cndmask_b32_e64 v4, 1.0, 0x4f800000, vcc_lo
	s_delay_alu instid0(VALU_DEP_1) | instskip(NEXT) | instid1(VALU_DEP_1)
	v_mul_f32_e32 v3, v3, v4
	v_log_f32_e32 v3, v3
	s_waitcnt_depctr 0xfff
	v_mul_f32_e32 v4, 0x3f317217, v3
	s_delay_alu instid0(VALU_DEP_1) | instskip(NEXT) | instid1(VALU_DEP_1)
	v_fma_f32 v5, 0x3f317217, v3, -v4
	v_fmamk_f32 v5, v3, 0x3377d1cf, v5
	s_delay_alu instid0(VALU_DEP_1) | instskip(SKIP_2) | instid1(VALU_DEP_3)
	v_add_f32_e32 v4, v4, v5
	v_cndmask_b32_e64 v5, 0, 0x41b17218, vcc_lo
	v_cmp_gt_f32_e64 vcc_lo, 0x7f800000, |v3|
	v_cndmask_b32_e32 v3, v3, v4, vcc_lo
	v_add_co_u32 v0, vcc_lo, v0, s0
	v_add_co_ci_u32_e32 v1, vcc_lo, s1, v1, vcc_lo
	s_delay_alu instid0(VALU_DEP_3) | instskip(NEXT) | instid1(VALU_DEP_1)
	v_sub_f32_e32 v3, v3, v5
	v_sub_f32_e32 v2, v2, v3
	global_store_b32 v[0:1], v2, off
.LBB115_10:
	s_nop 0
	s_sendmsg sendmsg(MSG_DEALLOC_VGPRS)
	s_endpgm
	.section	.rodata,"a",@progbits
	.p2align	6, 0x0
	.amdhsa_kernel _ZN12_GLOBAL__N_120softmax_warp_forwardIN3c104HalfEffLi5ELb1ELb0ELi64EEEvPT0_PKT_iiiPKbib
		.amdhsa_group_segment_fixed_size 0
		.amdhsa_private_segment_fixed_size 0
		.amdhsa_kernarg_size 304
		.amdhsa_user_sgpr_count 15
		.amdhsa_user_sgpr_dispatch_ptr 0
		.amdhsa_user_sgpr_queue_ptr 0
		.amdhsa_user_sgpr_kernarg_segment_ptr 1
		.amdhsa_user_sgpr_dispatch_id 0
		.amdhsa_user_sgpr_private_segment_size 0
		.amdhsa_wavefront_size32 1
		.amdhsa_uses_dynamic_stack 0
		.amdhsa_enable_private_segment 0
		.amdhsa_system_sgpr_workgroup_id_x 1
		.amdhsa_system_sgpr_workgroup_id_y 0
		.amdhsa_system_sgpr_workgroup_id_z 0
		.amdhsa_system_sgpr_workgroup_info 0
		.amdhsa_system_vgpr_workitem_id 1
		.amdhsa_next_free_vgpr 16
		.amdhsa_next_free_sgpr 16
		.amdhsa_reserve_vcc 1
		.amdhsa_float_round_mode_32 0
		.amdhsa_float_round_mode_16_64 0
		.amdhsa_float_denorm_mode_32 3
		.amdhsa_float_denorm_mode_16_64 3
		.amdhsa_dx10_clamp 1
		.amdhsa_ieee_mode 1
		.amdhsa_fp16_overflow 0
		.amdhsa_workgroup_processor_mode 1
		.amdhsa_memory_ordered 1
		.amdhsa_forward_progress 0
		.amdhsa_shared_vgpr_count 0
		.amdhsa_exception_fp_ieee_invalid_op 0
		.amdhsa_exception_fp_denorm_src 0
		.amdhsa_exception_fp_ieee_div_zero 0
		.amdhsa_exception_fp_ieee_overflow 0
		.amdhsa_exception_fp_ieee_underflow 0
		.amdhsa_exception_fp_ieee_inexact 0
		.amdhsa_exception_int_div_zero 0
	.end_amdhsa_kernel
	.section	.text._ZN12_GLOBAL__N_120softmax_warp_forwardIN3c104HalfEffLi5ELb1ELb0ELi64EEEvPT0_PKT_iiiPKbib,"axG",@progbits,_ZN12_GLOBAL__N_120softmax_warp_forwardIN3c104HalfEffLi5ELb1ELb0ELi64EEEvPT0_PKT_iiiPKbib,comdat
.Lfunc_end115:
	.size	_ZN12_GLOBAL__N_120softmax_warp_forwardIN3c104HalfEffLi5ELb1ELb0ELi64EEEvPT0_PKT_iiiPKbib, .Lfunc_end115-_ZN12_GLOBAL__N_120softmax_warp_forwardIN3c104HalfEffLi5ELb1ELb0ELi64EEEvPT0_PKT_iiiPKbib
                                        ; -- End function
	.section	.AMDGPU.csdata,"",@progbits
; Kernel info:
; codeLenInByte = 1456
; NumSgprs: 18
; NumVgprs: 16
; ScratchSize: 0
; MemoryBound: 0
; FloatMode: 240
; IeeeMode: 1
; LDSByteSize: 0 bytes/workgroup (compile time only)
; SGPRBlocks: 2
; VGPRBlocks: 1
; NumSGPRsForWavesPerEU: 18
; NumVGPRsForWavesPerEU: 16
; Occupancy: 16
; WaveLimiterHint : 0
; COMPUTE_PGM_RSRC2:SCRATCH_EN: 0
; COMPUTE_PGM_RSRC2:USER_SGPR: 15
; COMPUTE_PGM_RSRC2:TRAP_HANDLER: 0
; COMPUTE_PGM_RSRC2:TGID_X_EN: 1
; COMPUTE_PGM_RSRC2:TGID_Y_EN: 0
; COMPUTE_PGM_RSRC2:TGID_Z_EN: 0
; COMPUTE_PGM_RSRC2:TIDIG_COMP_CNT: 1
	.section	.text._ZN12_GLOBAL__N_120softmax_warp_forwardIN3c104HalfEffLi5ELb1ELb0ELi32EEEvPT0_PKT_iiiPKbib,"axG",@progbits,_ZN12_GLOBAL__N_120softmax_warp_forwardIN3c104HalfEffLi5ELb1ELb0ELi32EEEvPT0_PKT_iiiPKbib,comdat
	.globl	_ZN12_GLOBAL__N_120softmax_warp_forwardIN3c104HalfEffLi5ELb1ELb0ELi32EEEvPT0_PKT_iiiPKbib ; -- Begin function _ZN12_GLOBAL__N_120softmax_warp_forwardIN3c104HalfEffLi5ELb1ELb0ELi32EEEvPT0_PKT_iiiPKbib
	.p2align	8
	.type	_ZN12_GLOBAL__N_120softmax_warp_forwardIN3c104HalfEffLi5ELb1ELb0ELi32EEEvPT0_PKT_iiiPKbib,@function
_ZN12_GLOBAL__N_120softmax_warp_forwardIN3c104HalfEffLi5ELb1ELb0ELi32EEEvPT0_PKT_iiiPKbib: ; @_ZN12_GLOBAL__N_120softmax_warp_forwardIN3c104HalfEffLi5ELb1ELb0ELi32EEEvPT0_PKT_iiiPKbib
; %bb.0:
	s_clause 0x1
	s_load_b32 s2, s[0:1], 0x3c
	s_load_b256 s[4:11], s[0:1], 0x0
	v_bfe_u32 v1, v0, 10, 10
	v_and_b32_e32 v2, 0x3ff, v0
	v_mov_b32_e32 v5, 0xff800000
	s_waitcnt lgkmcnt(0)
	s_lshr_b32 s0, s2, 16
	s_delay_alu instid0(VALU_DEP_2) | instskip(SKIP_1) | instid1(SALU_CYCLE_1)
	v_cmp_gt_i32_e32 vcc_lo, s10, v2
	s_mul_i32 s15, s15, s0
	v_add_lshl_u32 v3, s15, v1, 1
	s_delay_alu instid0(VALU_DEP_1) | instskip(SKIP_1) | instid1(VALU_DEP_1)
	v_mad_u64_u32 v[0:1], null, v3, s9, v[2:3]
	v_sub_nc_u32_e32 v4, s8, v3
	v_cmp_lt_i32_e64 s0, 0, v4
	s_delay_alu instid0(VALU_DEP_3) | instskip(NEXT) | instid1(VALU_DEP_2)
	v_ashrrev_i32_e32 v1, 31, v0
	s_and_b32 s2, vcc_lo, s0
	s_delay_alu instid0(VALU_DEP_1) | instskip(NEXT) | instid1(VALU_DEP_1)
	v_lshlrev_b64 v[6:7], 1, v[0:1]
	v_add_co_u32 v2, s1, s6, v6
	v_mov_b32_e32 v6, 0xff800000
	s_delay_alu instid0(VALU_DEP_3)
	v_add_co_ci_u32_e64 v3, s1, s7, v7, s1
	s_and_saveexec_b32 s1, s2
	s_cbranch_execz .LBB116_2
; %bb.1:
	global_load_u16 v6, v[2:3], off
	s_waitcnt vmcnt(0)
	v_cvt_f32_f16_e32 v6, v6
.LBB116_2:
	s_or_b32 exec_lo, exec_lo, s1
	v_cmp_lt_i32_e64 s1, 1, v4
	s_delay_alu instid0(VALU_DEP_1) | instskip(NEXT) | instid1(SALU_CYCLE_1)
	s_and_b32 s1, vcc_lo, s1
	s_and_saveexec_b32 s2, s1
	s_cbranch_execz .LBB116_4
; %bb.3:
	s_mov_b32 s11, 0
	s_delay_alu instid0(SALU_CYCLE_1) | instskip(NEXT) | instid1(SALU_CYCLE_1)
	s_lshl_b64 s[6:7], s[10:11], 1
	v_add_co_u32 v2, s1, v2, s6
	s_delay_alu instid0(VALU_DEP_1)
	v_add_co_ci_u32_e64 v3, s1, s7, v3, s1
	global_load_u16 v2, v[2:3], off
	s_waitcnt vmcnt(0)
	v_cvt_f32_f16_e32 v5, v2
.LBB116_4:
	s_or_b32 exec_lo, exec_lo, s2
	v_mbcnt_lo_u32_b32 v2, -1, 0
	s_delay_alu instid0(VALU_DEP_1)
	v_xor_b32_e32 v3, 16, v2
	v_xor_b32_e32 v9, 8, v2
	;; [unrolled: 1-line block ×5, first 2 shown]
	v_cmp_gt_i32_e64 s1, 32, v3
	s_delay_alu instid0(VALU_DEP_1) | instskip(SKIP_1) | instid1(VALU_DEP_2)
	v_cndmask_b32_e64 v3, v2, v3, s1
	v_cmp_gt_i32_e64 s1, 32, v9
	v_lshlrev_b32_e32 v7, 2, v3
	s_delay_alu instid0(VALU_DEP_2)
	v_cndmask_b32_e64 v9, v2, v9, s1
	ds_bpermute_b32 v3, v7, v6
	ds_bpermute_b32 v8, v7, v5
	v_lshlrev_b32_e32 v9, 2, v9
	s_waitcnt lgkmcnt(1)
	v_cmp_lt_f32_e64 s1, v6, v3
	s_delay_alu instid0(VALU_DEP_1)
	v_cndmask_b32_e64 v3, v6, v3, s1
	s_waitcnt lgkmcnt(0)
	v_cmp_lt_f32_e64 s1, v5, v8
	ds_bpermute_b32 v10, v9, v3
	v_cndmask_b32_e64 v8, v5, v8, s1
	v_cmp_gt_i32_e64 s1, 32, v12
	ds_bpermute_b32 v11, v9, v8
	v_cndmask_b32_e64 v12, v2, v12, s1
	s_delay_alu instid0(VALU_DEP_1) | instskip(SKIP_2) | instid1(VALU_DEP_1)
	v_lshlrev_b32_e32 v12, 2, v12
	s_waitcnt lgkmcnt(1)
	v_cmp_lt_f32_e64 s1, v3, v10
	v_cndmask_b32_e64 v3, v3, v10, s1
	s_waitcnt lgkmcnt(0)
	v_cmp_lt_f32_e64 s1, v8, v11
	ds_bpermute_b32 v10, v12, v3
	v_cndmask_b32_e64 v8, v8, v11, s1
	v_cmp_gt_i32_e64 s1, 32, v13
	ds_bpermute_b32 v11, v12, v8
	v_cndmask_b32_e64 v13, v2, v13, s1
	s_delay_alu instid0(VALU_DEP_1) | instskip(SKIP_2) | instid1(VALU_DEP_1)
	v_lshlrev_b32_e32 v13, 2, v13
	s_waitcnt lgkmcnt(1)
	v_cmp_lt_f32_e64 s1, v3, v10
	;; [unrolled: 12-line block ×3, first 2 shown]
	v_cndmask_b32_e64 v2, v3, v10, s1
	s_waitcnt lgkmcnt(0)
	v_cmp_lt_f32_e64 s1, v8, v11
	s_delay_alu instid0(VALU_DEP_1) | instskip(SKIP_4) | instid1(VALU_DEP_1)
	v_cndmask_b32_e64 v3, v8, v11, s1
	ds_bpermute_b32 v8, v14, v2
	ds_bpermute_b32 v10, v14, v3
	s_waitcnt lgkmcnt(1)
	v_cmp_lt_f32_e64 s1, v2, v8
	v_cndmask_b32_e64 v2, v2, v8, s1
	s_waitcnt lgkmcnt(0)
	v_cmp_lt_f32_e64 s1, v3, v10
	s_delay_alu instid0(VALU_DEP_1) | instskip(NEXT) | instid1(VALU_DEP_1)
	v_cndmask_b32_e64 v8, v3, v10, s1
	v_dual_sub_f32 v3, v6, v2 :: v_dual_sub_f32 v2, v5, v8
	s_delay_alu instid0(VALU_DEP_1) | instskip(SKIP_1) | instid1(VALU_DEP_3)
	v_mul_f32_e32 v5, 0x3fb8aa3b, v3
	v_cmp_ngt_f32_e64 s1, 0xc2ce8ed0, v3
	v_mul_f32_e32 v6, 0x3fb8aa3b, v2
	s_delay_alu instid0(VALU_DEP_3) | instskip(SKIP_1) | instid1(VALU_DEP_3)
	v_fma_f32 v8, 0x3fb8aa3b, v3, -v5
	v_rndne_f32_e32 v10, v5
	v_fma_f32 v11, 0x3fb8aa3b, v2, -v6
	v_rndne_f32_e32 v15, v6
	s_delay_alu instid0(VALU_DEP_3) | instskip(NEXT) | instid1(VALU_DEP_2)
	v_dual_fmac_f32 v8, 0x32a5705f, v3 :: v_dual_sub_f32 v5, v5, v10
	v_dual_fmac_f32 v11, 0x32a5705f, v2 :: v_dual_sub_f32 v6, v6, v15
	s_delay_alu instid0(VALU_DEP_2) | instskip(SKIP_2) | instid1(VALU_DEP_4)
	v_add_f32_e32 v5, v5, v8
	v_cvt_i32_f32_e32 v8, v10
	v_cvt_i32_f32_e32 v10, v15
	v_add_f32_e32 v6, v6, v11
	s_delay_alu instid0(VALU_DEP_4) | instskip(NEXT) | instid1(VALU_DEP_1)
	v_exp_f32_e32 v5, v5
	v_exp_f32_e32 v6, v6
	s_waitcnt_depctr 0xfff
	v_ldexp_f32 v5, v5, v8
	v_ldexp_f32 v6, v6, v10
	s_delay_alu instid0(VALU_DEP_2) | instskip(SKIP_1) | instid1(VALU_DEP_1)
	v_cndmask_b32_e64 v5, 0, v5, s1
	v_cmp_ngt_f32_e64 s1, 0xc2ce8ed0, v2
	v_cndmask_b32_e64 v6, 0, v6, s1
	v_cmp_nlt_f32_e64 s1, 0x42b17218, v3
	s_delay_alu instid0(VALU_DEP_1)
	v_cndmask_b32_e64 v5, 0x7f800000, v5, s1
	v_cmp_nlt_f32_e64 s1, 0x42b17218, v2
	ds_bpermute_b32 v8, v7, v5
	v_cndmask_b32_e64 v6, 0x7f800000, v6, s1
	ds_bpermute_b32 v7, v7, v6
	s_waitcnt lgkmcnt(0)
	v_dual_add_f32 v5, v5, v8 :: v_dual_add_f32 v6, v6, v7
	ds_bpermute_b32 v7, v9, v5
	ds_bpermute_b32 v8, v9, v6
	s_waitcnt lgkmcnt(0)
	v_dual_add_f32 v5, v5, v7 :: v_dual_add_f32 v6, v6, v8
	ds_bpermute_b32 v7, v12, v5
	;; [unrolled: 4-line block ×3, first 2 shown]
	ds_bpermute_b32 v8, v13, v6
	s_waitcnt lgkmcnt(1)
	v_add_f32_e32 v7, v5, v7
	s_waitcnt lgkmcnt(0)
	v_add_f32_e32 v5, v6, v8
	ds_bpermute_b32 v8, v14, v7
	ds_bpermute_b32 v6, v14, v5
	s_and_saveexec_b32 s1, s0
	s_cbranch_execz .LBB116_10
; %bb.5:
	v_lshlrev_b64 v[0:1], 2, v[0:1]
	s_delay_alu instid0(VALU_DEP_1) | instskip(NEXT) | instid1(VALU_DEP_1)
	v_add_co_u32 v0, s0, s4, v0
	v_add_co_ci_u32_e64 v1, s0, s5, v1, s0
	s_and_saveexec_b32 s2, vcc_lo
	s_cbranch_execz .LBB116_7
; %bb.6:
	s_waitcnt lgkmcnt(1)
	v_add_f32_e32 v7, v7, v8
	s_delay_alu instid0(VALU_DEP_1) | instskip(NEXT) | instid1(VALU_DEP_1)
	v_cmp_gt_f32_e64 s0, 0x800000, v7
	v_cndmask_b32_e64 v8, 1.0, 0x4f800000, s0
	s_delay_alu instid0(VALU_DEP_1) | instskip(NEXT) | instid1(VALU_DEP_1)
	v_mul_f32_e32 v7, v7, v8
	v_log_f32_e32 v7, v7
	s_waitcnt_depctr 0xfff
	v_mul_f32_e32 v8, 0x3f317217, v7
	v_cmp_gt_f32_e64 s1, 0x7f800000, |v7|
	s_delay_alu instid0(VALU_DEP_2) | instskip(NEXT) | instid1(VALU_DEP_1)
	v_fma_f32 v9, 0x3f317217, v7, -v8
	v_fmamk_f32 v9, v7, 0x3377d1cf, v9
	s_delay_alu instid0(VALU_DEP_1) | instskip(NEXT) | instid1(VALU_DEP_1)
	v_add_f32_e32 v8, v8, v9
	v_cndmask_b32_e64 v7, v7, v8, s1
	v_cndmask_b32_e64 v8, 0, 0x41b17218, s0
	s_delay_alu instid0(VALU_DEP_1) | instskip(NEXT) | instid1(VALU_DEP_1)
	v_sub_f32_e32 v7, v7, v8
	v_sub_f32_e32 v3, v3, v7
	global_store_b32 v[0:1], v3, off
.LBB116_7:
	s_or_b32 exec_lo, exec_lo, s2
	v_cmp_ne_u32_e64 s0, 1, v4
	s_delay_alu instid0(VALU_DEP_1)
	s_and_b32 exec_lo, exec_lo, s0
	s_cbranch_execz .LBB116_10
; %bb.8:
	s_and_b32 exec_lo, exec_lo, vcc_lo
	s_cbranch_execz .LBB116_10
; %bb.9:
	s_waitcnt lgkmcnt(0)
	v_add_f32_e32 v3, v5, v6
	s_mov_b32 s11, 0
	s_delay_alu instid0(SALU_CYCLE_1) | instskip(NEXT) | instid1(VALU_DEP_1)
	s_lshl_b64 s[0:1], s[10:11], 2
	v_cmp_gt_f32_e32 vcc_lo, 0x800000, v3
	v_cndmask_b32_e64 v4, 1.0, 0x4f800000, vcc_lo
	s_delay_alu instid0(VALU_DEP_1) | instskip(NEXT) | instid1(VALU_DEP_1)
	v_mul_f32_e32 v3, v3, v4
	v_log_f32_e32 v3, v3
	s_waitcnt_depctr 0xfff
	v_mul_f32_e32 v4, 0x3f317217, v3
	s_delay_alu instid0(VALU_DEP_1) | instskip(NEXT) | instid1(VALU_DEP_1)
	v_fma_f32 v5, 0x3f317217, v3, -v4
	v_fmamk_f32 v5, v3, 0x3377d1cf, v5
	s_delay_alu instid0(VALU_DEP_1) | instskip(SKIP_2) | instid1(VALU_DEP_3)
	v_add_f32_e32 v4, v4, v5
	v_cndmask_b32_e64 v5, 0, 0x41b17218, vcc_lo
	v_cmp_gt_f32_e64 vcc_lo, 0x7f800000, |v3|
	v_cndmask_b32_e32 v3, v3, v4, vcc_lo
	v_add_co_u32 v0, vcc_lo, v0, s0
	v_add_co_ci_u32_e32 v1, vcc_lo, s1, v1, vcc_lo
	s_delay_alu instid0(VALU_DEP_3) | instskip(NEXT) | instid1(VALU_DEP_1)
	v_sub_f32_e32 v3, v3, v5
	v_sub_f32_e32 v2, v2, v3
	global_store_b32 v[0:1], v2, off
.LBB116_10:
	s_nop 0
	s_sendmsg sendmsg(MSG_DEALLOC_VGPRS)
	s_endpgm
	.section	.rodata,"a",@progbits
	.p2align	6, 0x0
	.amdhsa_kernel _ZN12_GLOBAL__N_120softmax_warp_forwardIN3c104HalfEffLi5ELb1ELb0ELi32EEEvPT0_PKT_iiiPKbib
		.amdhsa_group_segment_fixed_size 0
		.amdhsa_private_segment_fixed_size 0
		.amdhsa_kernarg_size 304
		.amdhsa_user_sgpr_count 15
		.amdhsa_user_sgpr_dispatch_ptr 0
		.amdhsa_user_sgpr_queue_ptr 0
		.amdhsa_user_sgpr_kernarg_segment_ptr 1
		.amdhsa_user_sgpr_dispatch_id 0
		.amdhsa_user_sgpr_private_segment_size 0
		.amdhsa_wavefront_size32 1
		.amdhsa_uses_dynamic_stack 0
		.amdhsa_enable_private_segment 0
		.amdhsa_system_sgpr_workgroup_id_x 1
		.amdhsa_system_sgpr_workgroup_id_y 0
		.amdhsa_system_sgpr_workgroup_id_z 0
		.amdhsa_system_sgpr_workgroup_info 0
		.amdhsa_system_vgpr_workitem_id 1
		.amdhsa_next_free_vgpr 16
		.amdhsa_next_free_sgpr 16
		.amdhsa_reserve_vcc 1
		.amdhsa_float_round_mode_32 0
		.amdhsa_float_round_mode_16_64 0
		.amdhsa_float_denorm_mode_32 3
		.amdhsa_float_denorm_mode_16_64 3
		.amdhsa_dx10_clamp 1
		.amdhsa_ieee_mode 1
		.amdhsa_fp16_overflow 0
		.amdhsa_workgroup_processor_mode 1
		.amdhsa_memory_ordered 1
		.amdhsa_forward_progress 0
		.amdhsa_shared_vgpr_count 0
		.amdhsa_exception_fp_ieee_invalid_op 0
		.amdhsa_exception_fp_denorm_src 0
		.amdhsa_exception_fp_ieee_div_zero 0
		.amdhsa_exception_fp_ieee_overflow 0
		.amdhsa_exception_fp_ieee_underflow 0
		.amdhsa_exception_fp_ieee_inexact 0
		.amdhsa_exception_int_div_zero 0
	.end_amdhsa_kernel
	.section	.text._ZN12_GLOBAL__N_120softmax_warp_forwardIN3c104HalfEffLi5ELb1ELb0ELi32EEEvPT0_PKT_iiiPKbib,"axG",@progbits,_ZN12_GLOBAL__N_120softmax_warp_forwardIN3c104HalfEffLi5ELb1ELb0ELi32EEEvPT0_PKT_iiiPKbib,comdat
.Lfunc_end116:
	.size	_ZN12_GLOBAL__N_120softmax_warp_forwardIN3c104HalfEffLi5ELb1ELb0ELi32EEEvPT0_PKT_iiiPKbib, .Lfunc_end116-_ZN12_GLOBAL__N_120softmax_warp_forwardIN3c104HalfEffLi5ELb1ELb0ELi32EEEvPT0_PKT_iiiPKbib
                                        ; -- End function
	.section	.AMDGPU.csdata,"",@progbits
; Kernel info:
; codeLenInByte = 1456
; NumSgprs: 18
; NumVgprs: 16
; ScratchSize: 0
; MemoryBound: 0
; FloatMode: 240
; IeeeMode: 1
; LDSByteSize: 0 bytes/workgroup (compile time only)
; SGPRBlocks: 2
; VGPRBlocks: 1
; NumSGPRsForWavesPerEU: 18
; NumVGPRsForWavesPerEU: 16
; Occupancy: 16
; WaveLimiterHint : 0
; COMPUTE_PGM_RSRC2:SCRATCH_EN: 0
; COMPUTE_PGM_RSRC2:USER_SGPR: 15
; COMPUTE_PGM_RSRC2:TRAP_HANDLER: 0
; COMPUTE_PGM_RSRC2:TGID_X_EN: 1
; COMPUTE_PGM_RSRC2:TGID_Y_EN: 0
; COMPUTE_PGM_RSRC2:TGID_Z_EN: 0
; COMPUTE_PGM_RSRC2:TIDIG_COMP_CNT: 1
	.section	.text._ZN12_GLOBAL__N_120softmax_warp_forwardIN3c104HalfEffLi6ELb1ELb0ELi64EEEvPT0_PKT_iiiPKbib,"axG",@progbits,_ZN12_GLOBAL__N_120softmax_warp_forwardIN3c104HalfEffLi6ELb1ELb0ELi64EEEvPT0_PKT_iiiPKbib,comdat
	.globl	_ZN12_GLOBAL__N_120softmax_warp_forwardIN3c104HalfEffLi6ELb1ELb0ELi64EEEvPT0_PKT_iiiPKbib ; -- Begin function _ZN12_GLOBAL__N_120softmax_warp_forwardIN3c104HalfEffLi6ELb1ELb0ELi64EEEvPT0_PKT_iiiPKbib
	.p2align	8
	.type	_ZN12_GLOBAL__N_120softmax_warp_forwardIN3c104HalfEffLi6ELb1ELb0ELi64EEEvPT0_PKT_iiiPKbib,@function
_ZN12_GLOBAL__N_120softmax_warp_forwardIN3c104HalfEffLi6ELb1ELb0ELi64EEEvPT0_PKT_iiiPKbib: ; @_ZN12_GLOBAL__N_120softmax_warp_forwardIN3c104HalfEffLi6ELb1ELb0ELi64EEEvPT0_PKT_iiiPKbib
; %bb.0:
	s_clause 0x1
	s_load_b32 s2, s[0:1], 0x3c
	s_load_b256 s[4:11], s[0:1], 0x0
	v_bfe_u32 v1, v0, 10, 10
	v_and_b32_e32 v2, 0x3ff, v0
	v_mov_b32_e32 v5, 0xff800000
	s_waitcnt lgkmcnt(0)
	s_lshr_b32 s0, s2, 16
	s_delay_alu instid0(VALU_DEP_2) | instskip(SKIP_1) | instid1(SALU_CYCLE_1)
	v_cmp_gt_i32_e32 vcc_lo, s10, v2
	s_mul_i32 s15, s15, s0
	v_add_lshl_u32 v3, s15, v1, 1
	s_delay_alu instid0(VALU_DEP_1) | instskip(SKIP_1) | instid1(VALU_DEP_1)
	v_mad_u64_u32 v[0:1], null, v3, s9, v[2:3]
	v_sub_nc_u32_e32 v4, s8, v3
	v_cmp_lt_i32_e64 s0, 0, v4
	s_delay_alu instid0(VALU_DEP_3) | instskip(NEXT) | instid1(VALU_DEP_2)
	v_ashrrev_i32_e32 v1, 31, v0
	s_and_b32 s2, vcc_lo, s0
	s_delay_alu instid0(VALU_DEP_1) | instskip(NEXT) | instid1(VALU_DEP_1)
	v_lshlrev_b64 v[6:7], 1, v[0:1]
	v_add_co_u32 v2, s1, s6, v6
	v_mov_b32_e32 v6, 0xff800000
	s_delay_alu instid0(VALU_DEP_3)
	v_add_co_ci_u32_e64 v3, s1, s7, v7, s1
	s_and_saveexec_b32 s1, s2
	s_cbranch_execz .LBB117_2
; %bb.1:
	global_load_u16 v6, v[2:3], off
	s_waitcnt vmcnt(0)
	v_cvt_f32_f16_e32 v6, v6
.LBB117_2:
	s_or_b32 exec_lo, exec_lo, s1
	v_cmp_lt_i32_e64 s1, 1, v4
	s_delay_alu instid0(VALU_DEP_1) | instskip(NEXT) | instid1(SALU_CYCLE_1)
	s_and_b32 s1, vcc_lo, s1
	s_and_saveexec_b32 s2, s1
	s_cbranch_execz .LBB117_4
; %bb.3:
	s_mov_b32 s11, 0
	s_delay_alu instid0(SALU_CYCLE_1) | instskip(NEXT) | instid1(SALU_CYCLE_1)
	s_lshl_b64 s[6:7], s[10:11], 1
	v_add_co_u32 v2, s1, v2, s6
	s_delay_alu instid0(VALU_DEP_1)
	v_add_co_ci_u32_e64 v3, s1, s7, v3, s1
	global_load_u16 v2, v[2:3], off
	s_waitcnt vmcnt(0)
	v_cvt_f32_f16_e32 v5, v2
.LBB117_4:
	s_or_b32 exec_lo, exec_lo, s2
	v_mbcnt_lo_u32_b32 v2, -1, 0
	s_delay_alu instid0(VALU_DEP_1)
	v_or_b32_e32 v3, 32, v2
	v_xor_b32_e32 v9, 16, v2
	v_xor_b32_e32 v12, 8, v2
	;; [unrolled: 1-line block ×4, first 2 shown]
	v_cmp_gt_i32_e64 s1, 64, v3
	v_xor_b32_e32 v15, 1, v2
	s_delay_alu instid0(VALU_DEP_2) | instskip(SKIP_1) | instid1(VALU_DEP_2)
	v_cndmask_b32_e64 v3, v2, v3, s1
	v_cmp_gt_i32_e64 s1, 64, v9
	v_lshlrev_b32_e32 v7, 2, v3
	s_delay_alu instid0(VALU_DEP_2)
	v_cndmask_b32_e64 v9, v2, v9, s1
	ds_bpermute_b32 v3, v7, v6
	ds_bpermute_b32 v8, v7, v5
	v_lshlrev_b32_e32 v9, 2, v9
	s_waitcnt lgkmcnt(1)
	v_cmp_lt_f32_e64 s1, v6, v3
	s_delay_alu instid0(VALU_DEP_1)
	v_cndmask_b32_e64 v3, v6, v3, s1
	s_waitcnt lgkmcnt(0)
	v_cmp_lt_f32_e64 s1, v5, v8
	ds_bpermute_b32 v10, v9, v3
	v_cndmask_b32_e64 v8, v5, v8, s1
	v_cmp_gt_i32_e64 s1, 64, v12
	ds_bpermute_b32 v11, v9, v8
	v_cndmask_b32_e64 v12, v2, v12, s1
	s_delay_alu instid0(VALU_DEP_1) | instskip(SKIP_2) | instid1(VALU_DEP_1)
	v_lshlrev_b32_e32 v12, 2, v12
	s_waitcnt lgkmcnt(1)
	v_cmp_lt_f32_e64 s1, v3, v10
	v_cndmask_b32_e64 v3, v3, v10, s1
	s_waitcnt lgkmcnt(0)
	v_cmp_lt_f32_e64 s1, v8, v11
	ds_bpermute_b32 v10, v12, v3
	v_cndmask_b32_e64 v8, v8, v11, s1
	v_cmp_gt_i32_e64 s1, 64, v13
	ds_bpermute_b32 v11, v12, v8
	v_cndmask_b32_e64 v13, v2, v13, s1
	s_delay_alu instid0(VALU_DEP_1) | instskip(SKIP_2) | instid1(VALU_DEP_1)
	v_lshlrev_b32_e32 v13, 2, v13
	s_waitcnt lgkmcnt(1)
	v_cmp_lt_f32_e64 s1, v3, v10
	;; [unrolled: 12-line block ×4, first 2 shown]
	v_cndmask_b32_e64 v2, v3, v10, s1
	s_waitcnt lgkmcnt(0)
	v_cmp_lt_f32_e64 s1, v8, v11
	s_delay_alu instid0(VALU_DEP_1) | instskip(SKIP_4) | instid1(VALU_DEP_1)
	v_cndmask_b32_e64 v3, v8, v11, s1
	ds_bpermute_b32 v8, v15, v2
	ds_bpermute_b32 v10, v15, v3
	s_waitcnt lgkmcnt(1)
	v_cmp_lt_f32_e64 s1, v2, v8
	v_cndmask_b32_e64 v2, v2, v8, s1
	s_waitcnt lgkmcnt(0)
	v_cmp_lt_f32_e64 s1, v3, v10
	s_delay_alu instid0(VALU_DEP_1) | instskip(NEXT) | instid1(VALU_DEP_1)
	v_cndmask_b32_e64 v8, v3, v10, s1
	v_dual_sub_f32 v3, v6, v2 :: v_dual_sub_f32 v2, v5, v8
	s_delay_alu instid0(VALU_DEP_1) | instskip(SKIP_1) | instid1(VALU_DEP_3)
	v_mul_f32_e32 v5, 0x3fb8aa3b, v3
	v_cmp_ngt_f32_e64 s1, 0xc2ce8ed0, v3
	v_mul_f32_e32 v6, 0x3fb8aa3b, v2
	s_delay_alu instid0(VALU_DEP_3) | instskip(SKIP_1) | instid1(VALU_DEP_3)
	v_fma_f32 v8, 0x3fb8aa3b, v3, -v5
	v_rndne_f32_e32 v10, v5
	v_fma_f32 v11, 0x3fb8aa3b, v2, -v6
	v_rndne_f32_e32 v16, v6
	s_delay_alu instid0(VALU_DEP_2) | instskip(NEXT) | instid1(VALU_DEP_2)
	v_dual_fmac_f32 v8, 0x32a5705f, v3 :: v_dual_fmac_f32 v11, 0x32a5705f, v2
	v_dual_sub_f32 v6, v6, v16 :: v_dual_sub_f32 v5, v5, v10
	s_delay_alu instid0(VALU_DEP_1) | instskip(SKIP_2) | instid1(VALU_DEP_3)
	v_dual_add_f32 v6, v6, v11 :: v_dual_add_f32 v5, v5, v8
	v_cvt_i32_f32_e32 v8, v10
	v_cvt_i32_f32_e32 v10, v16
	v_exp_f32_e32 v6, v6
	s_delay_alu instid0(VALU_DEP_3) | instskip(SKIP_3) | instid1(VALU_DEP_1)
	v_exp_f32_e32 v5, v5
	s_waitcnt_depctr 0xfff
	v_ldexp_f32 v6, v6, v10
	v_ldexp_f32 v5, v5, v8
	v_cndmask_b32_e64 v5, 0, v5, s1
	v_cmp_ngt_f32_e64 s1, 0xc2ce8ed0, v2
	s_delay_alu instid0(VALU_DEP_1) | instskip(SKIP_1) | instid1(VALU_DEP_1)
	v_cndmask_b32_e64 v6, 0, v6, s1
	v_cmp_nlt_f32_e64 s1, 0x42b17218, v3
	v_cndmask_b32_e64 v5, 0x7f800000, v5, s1
	v_cmp_nlt_f32_e64 s1, 0x42b17218, v2
	ds_bpermute_b32 v8, v7, v5
	v_cndmask_b32_e64 v6, 0x7f800000, v6, s1
	ds_bpermute_b32 v7, v7, v6
	s_waitcnt lgkmcnt(0)
	v_dual_add_f32 v5, v5, v8 :: v_dual_add_f32 v6, v6, v7
	ds_bpermute_b32 v7, v9, v5
	ds_bpermute_b32 v8, v9, v6
	s_waitcnt lgkmcnt(0)
	v_dual_add_f32 v5, v5, v7 :: v_dual_add_f32 v6, v6, v8
	ds_bpermute_b32 v7, v12, v5
	;; [unrolled: 4-line block ×4, first 2 shown]
	ds_bpermute_b32 v8, v14, v6
	s_waitcnt lgkmcnt(1)
	v_add_f32_e32 v7, v5, v7
	s_waitcnt lgkmcnt(0)
	v_add_f32_e32 v5, v6, v8
	ds_bpermute_b32 v8, v15, v7
	ds_bpermute_b32 v6, v15, v5
	s_and_saveexec_b32 s1, s0
	s_cbranch_execz .LBB117_10
; %bb.5:
	v_lshlrev_b64 v[0:1], 2, v[0:1]
	s_delay_alu instid0(VALU_DEP_1) | instskip(NEXT) | instid1(VALU_DEP_1)
	v_add_co_u32 v0, s0, s4, v0
	v_add_co_ci_u32_e64 v1, s0, s5, v1, s0
	s_and_saveexec_b32 s2, vcc_lo
	s_cbranch_execz .LBB117_7
; %bb.6:
	s_waitcnt lgkmcnt(1)
	v_add_f32_e32 v7, v7, v8
	s_delay_alu instid0(VALU_DEP_1) | instskip(NEXT) | instid1(VALU_DEP_1)
	v_cmp_gt_f32_e64 s0, 0x800000, v7
	v_cndmask_b32_e64 v8, 1.0, 0x4f800000, s0
	s_delay_alu instid0(VALU_DEP_1) | instskip(NEXT) | instid1(VALU_DEP_1)
	v_mul_f32_e32 v7, v7, v8
	v_log_f32_e32 v7, v7
	s_waitcnt_depctr 0xfff
	v_mul_f32_e32 v8, 0x3f317217, v7
	v_cmp_gt_f32_e64 s1, 0x7f800000, |v7|
	s_delay_alu instid0(VALU_DEP_2) | instskip(NEXT) | instid1(VALU_DEP_1)
	v_fma_f32 v9, 0x3f317217, v7, -v8
	v_fmamk_f32 v9, v7, 0x3377d1cf, v9
	s_delay_alu instid0(VALU_DEP_1) | instskip(NEXT) | instid1(VALU_DEP_1)
	v_add_f32_e32 v8, v8, v9
	v_cndmask_b32_e64 v7, v7, v8, s1
	v_cndmask_b32_e64 v8, 0, 0x41b17218, s0
	s_delay_alu instid0(VALU_DEP_1) | instskip(NEXT) | instid1(VALU_DEP_1)
	v_sub_f32_e32 v7, v7, v8
	v_sub_f32_e32 v3, v3, v7
	global_store_b32 v[0:1], v3, off
.LBB117_7:
	s_or_b32 exec_lo, exec_lo, s2
	v_cmp_ne_u32_e64 s0, 1, v4
	s_delay_alu instid0(VALU_DEP_1)
	s_and_b32 exec_lo, exec_lo, s0
	s_cbranch_execz .LBB117_10
; %bb.8:
	s_and_b32 exec_lo, exec_lo, vcc_lo
	s_cbranch_execz .LBB117_10
; %bb.9:
	s_waitcnt lgkmcnt(0)
	v_add_f32_e32 v3, v5, v6
	s_mov_b32 s11, 0
	s_delay_alu instid0(SALU_CYCLE_1) | instskip(NEXT) | instid1(VALU_DEP_1)
	s_lshl_b64 s[0:1], s[10:11], 2
	v_cmp_gt_f32_e32 vcc_lo, 0x800000, v3
	v_cndmask_b32_e64 v4, 1.0, 0x4f800000, vcc_lo
	s_delay_alu instid0(VALU_DEP_1) | instskip(NEXT) | instid1(VALU_DEP_1)
	v_mul_f32_e32 v3, v3, v4
	v_log_f32_e32 v3, v3
	s_waitcnt_depctr 0xfff
	v_mul_f32_e32 v4, 0x3f317217, v3
	s_delay_alu instid0(VALU_DEP_1) | instskip(NEXT) | instid1(VALU_DEP_1)
	v_fma_f32 v5, 0x3f317217, v3, -v4
	v_fmamk_f32 v5, v3, 0x3377d1cf, v5
	s_delay_alu instid0(VALU_DEP_1) | instskip(SKIP_2) | instid1(VALU_DEP_3)
	v_add_f32_e32 v4, v4, v5
	v_cndmask_b32_e64 v5, 0, 0x41b17218, vcc_lo
	v_cmp_gt_f32_e64 vcc_lo, 0x7f800000, |v3|
	v_cndmask_b32_e32 v3, v3, v4, vcc_lo
	v_add_co_u32 v0, vcc_lo, v0, s0
	v_add_co_ci_u32_e32 v1, vcc_lo, s1, v1, vcc_lo
	s_delay_alu instid0(VALU_DEP_3) | instskip(NEXT) | instid1(VALU_DEP_1)
	v_sub_f32_e32 v3, v3, v5
	v_sub_f32_e32 v2, v2, v3
	global_store_b32 v[0:1], v2, off
.LBB117_10:
	s_nop 0
	s_sendmsg sendmsg(MSG_DEALLOC_VGPRS)
	s_endpgm
	.section	.rodata,"a",@progbits
	.p2align	6, 0x0
	.amdhsa_kernel _ZN12_GLOBAL__N_120softmax_warp_forwardIN3c104HalfEffLi6ELb1ELb0ELi64EEEvPT0_PKT_iiiPKbib
		.amdhsa_group_segment_fixed_size 0
		.amdhsa_private_segment_fixed_size 0
		.amdhsa_kernarg_size 304
		.amdhsa_user_sgpr_count 15
		.amdhsa_user_sgpr_dispatch_ptr 0
		.amdhsa_user_sgpr_queue_ptr 0
		.amdhsa_user_sgpr_kernarg_segment_ptr 1
		.amdhsa_user_sgpr_dispatch_id 0
		.amdhsa_user_sgpr_private_segment_size 0
		.amdhsa_wavefront_size32 1
		.amdhsa_uses_dynamic_stack 0
		.amdhsa_enable_private_segment 0
		.amdhsa_system_sgpr_workgroup_id_x 1
		.amdhsa_system_sgpr_workgroup_id_y 0
		.amdhsa_system_sgpr_workgroup_id_z 0
		.amdhsa_system_sgpr_workgroup_info 0
		.amdhsa_system_vgpr_workitem_id 1
		.amdhsa_next_free_vgpr 17
		.amdhsa_next_free_sgpr 16
		.amdhsa_reserve_vcc 1
		.amdhsa_float_round_mode_32 0
		.amdhsa_float_round_mode_16_64 0
		.amdhsa_float_denorm_mode_32 3
		.amdhsa_float_denorm_mode_16_64 3
		.amdhsa_dx10_clamp 1
		.amdhsa_ieee_mode 1
		.amdhsa_fp16_overflow 0
		.amdhsa_workgroup_processor_mode 1
		.amdhsa_memory_ordered 1
		.amdhsa_forward_progress 0
		.amdhsa_shared_vgpr_count 0
		.amdhsa_exception_fp_ieee_invalid_op 0
		.amdhsa_exception_fp_denorm_src 0
		.amdhsa_exception_fp_ieee_div_zero 0
		.amdhsa_exception_fp_ieee_overflow 0
		.amdhsa_exception_fp_ieee_underflow 0
		.amdhsa_exception_fp_ieee_inexact 0
		.amdhsa_exception_int_div_zero 0
	.end_amdhsa_kernel
	.section	.text._ZN12_GLOBAL__N_120softmax_warp_forwardIN3c104HalfEffLi6ELb1ELb0ELi64EEEvPT0_PKT_iiiPKbib,"axG",@progbits,_ZN12_GLOBAL__N_120softmax_warp_forwardIN3c104HalfEffLi6ELb1ELb0ELi64EEEvPT0_PKT_iiiPKbib,comdat
.Lfunc_end117:
	.size	_ZN12_GLOBAL__N_120softmax_warp_forwardIN3c104HalfEffLi6ELb1ELb0ELi64EEEvPT0_PKT_iiiPKbib, .Lfunc_end117-_ZN12_GLOBAL__N_120softmax_warp_forwardIN3c104HalfEffLi6ELb1ELb0ELi64EEEvPT0_PKT_iiiPKbib
                                        ; -- End function
	.section	.AMDGPU.csdata,"",@progbits
; Kernel info:
; codeLenInByte = 1560
; NumSgprs: 18
; NumVgprs: 17
; ScratchSize: 0
; MemoryBound: 0
; FloatMode: 240
; IeeeMode: 1
; LDSByteSize: 0 bytes/workgroup (compile time only)
; SGPRBlocks: 2
; VGPRBlocks: 2
; NumSGPRsForWavesPerEU: 18
; NumVGPRsForWavesPerEU: 17
; Occupancy: 16
; WaveLimiterHint : 0
; COMPUTE_PGM_RSRC2:SCRATCH_EN: 0
; COMPUTE_PGM_RSRC2:USER_SGPR: 15
; COMPUTE_PGM_RSRC2:TRAP_HANDLER: 0
; COMPUTE_PGM_RSRC2:TGID_X_EN: 1
; COMPUTE_PGM_RSRC2:TGID_Y_EN: 0
; COMPUTE_PGM_RSRC2:TGID_Z_EN: 0
; COMPUTE_PGM_RSRC2:TIDIG_COMP_CNT: 1
	.section	.text._ZN12_GLOBAL__N_120softmax_warp_forwardIN3c104HalfEffLi6ELb1ELb0ELi32EEEvPT0_PKT_iiiPKbib,"axG",@progbits,_ZN12_GLOBAL__N_120softmax_warp_forwardIN3c104HalfEffLi6ELb1ELb0ELi32EEEvPT0_PKT_iiiPKbib,comdat
	.globl	_ZN12_GLOBAL__N_120softmax_warp_forwardIN3c104HalfEffLi6ELb1ELb0ELi32EEEvPT0_PKT_iiiPKbib ; -- Begin function _ZN12_GLOBAL__N_120softmax_warp_forwardIN3c104HalfEffLi6ELb1ELb0ELi32EEEvPT0_PKT_iiiPKbib
	.p2align	8
	.type	_ZN12_GLOBAL__N_120softmax_warp_forwardIN3c104HalfEffLi6ELb1ELb0ELi32EEEvPT0_PKT_iiiPKbib,@function
_ZN12_GLOBAL__N_120softmax_warp_forwardIN3c104HalfEffLi6ELb1ELb0ELi32EEEvPT0_PKT_iiiPKbib: ; @_ZN12_GLOBAL__N_120softmax_warp_forwardIN3c104HalfEffLi6ELb1ELb0ELi32EEEvPT0_PKT_iiiPKbib
; %bb.0:
	s_clause 0x1
	s_load_b32 s2, s[0:1], 0x3c
	s_load_b256 s[4:11], s[0:1], 0x0
	v_bfe_u32 v1, v0, 10, 10
	v_and_b32_e32 v4, 0x3ff, v0
	v_dual_mov_b32 v6, 0xff800000 :: v_dual_mov_b32 v7, 0xff800000
	s_waitcnt lgkmcnt(0)
	s_lshr_b32 s0, s2, 16
	s_delay_alu instid0(SALU_CYCLE_1) | instskip(SKIP_2) | instid1(VALU_DEP_1)
	s_mul_i32 s15, s15, s0
	v_cmp_gt_i32_e64 s0, s10, v4
	v_add_lshl_u32 v2, s15, v1, 1
	v_mad_u64_u32 v[0:1], null, v2, s9, v[4:5]
	v_sub_nc_u32_e32 v5, s8, v2
	s_delay_alu instid0(VALU_DEP_1) | instskip(NEXT) | instid1(VALU_DEP_3)
	v_cmp_lt_i32_e64 s1, 0, v5
	v_ashrrev_i32_e32 v1, 31, v0
	s_delay_alu instid0(VALU_DEP_2) | instskip(NEXT) | instid1(VALU_DEP_1)
	s_and_b32 s3, s1, s0
	v_lshlrev_b64 v[2:3], 1, v[0:1]
	s_delay_alu instid0(VALU_DEP_1) | instskip(NEXT) | instid1(VALU_DEP_2)
	v_add_co_u32 v2, vcc_lo, s6, v2
	v_add_co_ci_u32_e32 v3, vcc_lo, s7, v3, vcc_lo
	s_and_saveexec_b32 s2, s3
	s_cbranch_execz .LBB118_2
; %bb.1:
	global_load_u16 v7, v[2:3], off
	s_waitcnt vmcnt(0)
	v_cvt_f32_f16_e32 v7, v7
.LBB118_2:
	s_or_b32 exec_lo, exec_lo, s2
	v_add_nc_u32_e32 v4, 32, v4
	s_delay_alu instid0(VALU_DEP_1) | instskip(SKIP_1) | instid1(SALU_CYCLE_1)
	v_cmp_gt_i32_e32 vcc_lo, s10, v4
	s_and_b32 s3, s1, vcc_lo
	s_and_saveexec_b32 s2, s3
	s_cbranch_execz .LBB118_4
; %bb.3:
	global_load_u16 v4, v[2:3], off offset:64
	s_waitcnt vmcnt(0)
	v_cvt_f32_f16_e32 v6, v4
.LBB118_4:
	s_or_b32 exec_lo, exec_lo, s2
	v_cmp_lt_i32_e64 s2, 1, v5
	v_mov_b32_e32 v4, 0xff800000
	v_mov_b32_e32 v8, 0xff800000
	s_delay_alu instid0(VALU_DEP_3) | instskip(NEXT) | instid1(SALU_CYCLE_1)
	s_and_b32 s3, s2, s0
	s_and_saveexec_b32 s6, s3
	s_cbranch_execz .LBB118_6
; %bb.5:
	s_mov_b32 s11, 0
	s_delay_alu instid0(SALU_CYCLE_1) | instskip(NEXT) | instid1(SALU_CYCLE_1)
	s_lshl_b64 s[8:9], s[10:11], 1
	v_add_co_u32 v8, s3, v2, s8
	s_delay_alu instid0(VALU_DEP_1)
	v_add_co_ci_u32_e64 v9, s3, s9, v3, s3
	global_load_u16 v8, v[8:9], off
	s_waitcnt vmcnt(0)
	v_cvt_f32_f16_e32 v8, v8
.LBB118_6:
	s_or_b32 exec_lo, exec_lo, s6
	s_and_b32 s2, s2, vcc_lo
	s_delay_alu instid0(SALU_CYCLE_1)
	s_and_saveexec_b32 s3, s2
	s_cbranch_execz .LBB118_8
; %bb.7:
	s_mov_b32 s11, 0
	s_delay_alu instid0(SALU_CYCLE_1) | instskip(NEXT) | instid1(SALU_CYCLE_1)
	s_lshl_b64 s[6:7], s[10:11], 1
	v_add_co_u32 v2, s2, v2, s6
	s_delay_alu instid0(VALU_DEP_1)
	v_add_co_ci_u32_e64 v3, s2, s7, v3, s2
	global_load_u16 v2, v[2:3], off offset:64
	s_waitcnt vmcnt(0)
	v_cvt_f32_f16_e32 v4, v2
.LBB118_8:
	s_or_b32 exec_lo, exec_lo, s3
	v_mbcnt_lo_u32_b32 v2, -1, 0
	s_delay_alu instid0(VALU_DEP_1)
	v_xor_b32_e32 v3, 16, v2
	v_xor_b32_e32 v13, 8, v2
	v_xor_b32_e32 v14, 4, v2
	v_xor_b32_e32 v15, 2, v2
	v_xor_b32_e32 v16, 1, v2
	v_cmp_gt_i32_e64 s2, 32, v3
	s_delay_alu instid0(VALU_DEP_1) | instskip(SKIP_1) | instid1(VALU_DEP_2)
	v_cndmask_b32_e64 v3, v2, v3, s2
	v_cmp_gt_f32_e64 s2, v7, v6
	v_lshlrev_b32_e32 v10, 2, v3
	s_delay_alu instid0(VALU_DEP_2)
	v_cndmask_b32_e64 v9, v6, v7, s2
	v_cmp_gt_f32_e64 s2, v8, v4
	ds_bpermute_b32 v11, v10, v9
	v_cndmask_b32_e64 v3, v4, v8, s2
	v_cmp_gt_i32_e64 s2, 32, v13
	ds_bpermute_b32 v12, v10, v3
	v_cndmask_b32_e64 v13, v2, v13, s2
	s_delay_alu instid0(VALU_DEP_1) | instskip(SKIP_2) | instid1(VALU_DEP_1)
	v_lshlrev_b32_e32 v13, 2, v13
	s_waitcnt lgkmcnt(1)
	v_cmp_lt_f32_e64 s2, v9, v11
	v_cndmask_b32_e64 v9, v9, v11, s2
	s_waitcnt lgkmcnt(0)
	v_cmp_lt_f32_e64 s2, v3, v12
	ds_bpermute_b32 v11, v13, v9
	v_cndmask_b32_e64 v3, v3, v12, s2
	v_cmp_gt_i32_e64 s2, 32, v14
	ds_bpermute_b32 v12, v13, v3
	v_cndmask_b32_e64 v14, v2, v14, s2
	s_delay_alu instid0(VALU_DEP_1) | instskip(SKIP_2) | instid1(VALU_DEP_1)
	v_lshlrev_b32_e32 v14, 2, v14
	s_waitcnt lgkmcnt(1)
	v_cmp_lt_f32_e64 s2, v9, v11
	v_cndmask_b32_e64 v9, v9, v11, s2
	s_waitcnt lgkmcnt(0)
	v_cmp_lt_f32_e64 s2, v3, v12
	;; [unrolled: 12-line block ×4, first 2 shown]
	ds_bpermute_b32 v9, v16, v2
	v_cndmask_b32_e64 v3, v3, v12, s2
	ds_bpermute_b32 v11, v16, v3
	s_waitcnt lgkmcnt(1)
	v_cmp_lt_f32_e64 s2, v2, v9
	s_delay_alu instid0(VALU_DEP_1) | instskip(SKIP_2) | instid1(VALU_DEP_2)
	v_cndmask_b32_e64 v2, v2, v9, s2
	s_waitcnt lgkmcnt(0)
	v_cmp_lt_f32_e64 s2, v3, v11
	v_sub_f32_e32 v7, v7, v2
	s_delay_alu instid0(VALU_DEP_2) | instskip(SKIP_1) | instid1(VALU_DEP_3)
	v_cndmask_b32_e64 v3, v3, v11, s2
	v_sub_f32_e32 v6, v6, v2
	v_cmp_ngt_f32_e64 s2, 0xc2ce8ed0, v7
	s_delay_alu instid0(VALU_DEP_3) | instskip(SKIP_3) | instid1(VALU_DEP_4)
	v_sub_f32_e32 v2, v8, v3
	v_sub_f32_e32 v3, v4, v3
	v_mul_f32_e32 v4, 0x3fb8aa3b, v7
	v_mul_f32_e32 v8, 0x3fb8aa3b, v6
	;; [unrolled: 1-line block ×3, first 2 shown]
	s_delay_alu instid0(VALU_DEP_4) | instskip(NEXT) | instid1(VALU_DEP_4)
	v_mul_f32_e32 v11, 0x3fb8aa3b, v3
	v_fma_f32 v12, 0x3fb8aa3b, v7, -v4
	v_rndne_f32_e32 v17, v4
	v_fma_f32 v18, 0x3fb8aa3b, v6, -v8
	v_fma_f32 v20, 0x3fb8aa3b, v2, -v9
	v_rndne_f32_e32 v21, v9
	v_rndne_f32_e32 v19, v8
	v_fma_f32 v22, 0x3fb8aa3b, v3, -v11
	v_rndne_f32_e32 v23, v11
	v_sub_f32_e32 v4, v4, v17
	v_dual_sub_f32 v9, v9, v21 :: v_dual_fmac_f32 v20, 0x32a5705f, v2
	v_fmac_f32_e32 v12, 0x32a5705f, v7
	v_fmac_f32_e32 v18, 0x32a5705f, v6
	;; [unrolled: 1-line block ×3, first 2 shown]
	v_sub_f32_e32 v11, v11, v23
	v_dual_sub_f32 v8, v8, v19 :: v_dual_add_f32 v9, v9, v20
	v_add_f32_e32 v4, v4, v12
	v_cvt_i32_f32_e32 v12, v17
	s_delay_alu instid0(VALU_DEP_4) | instskip(NEXT) | instid1(VALU_DEP_4)
	v_add_f32_e32 v11, v11, v22
	v_add_f32_e32 v8, v8, v18
	v_exp_f32_e32 v9, v9
	v_exp_f32_e32 v4, v4
	v_cvt_i32_f32_e32 v17, v19
	v_exp_f32_e32 v11, v11
	v_exp_f32_e32 v8, v8
	v_cvt_i32_f32_e32 v18, v21
	v_cvt_i32_f32_e32 v19, v23
	s_delay_alu instid0(VALU_DEP_2) | instskip(NEXT) | instid1(TRANS32_DEP_3)
	v_ldexp_f32 v9, v9, v18
	v_ldexp_f32 v4, v4, v12
	s_waitcnt_depctr 0xfff
	v_ldexp_f32 v11, v11, v19
	v_ldexp_f32 v8, v8, v17
	v_cndmask_b32_e64 v4, 0, v4, s2
	v_cmp_ngt_f32_e64 s2, 0xc2ce8ed0, v6
	s_delay_alu instid0(VALU_DEP_1) | instskip(SKIP_1) | instid1(VALU_DEP_1)
	v_cndmask_b32_e64 v8, 0, v8, s2
	v_cmp_ngt_f32_e64 s2, 0xc2ce8ed0, v2
	v_cndmask_b32_e64 v9, 0, v9, s2
	v_cmp_ngt_f32_e64 s2, 0xc2ce8ed0, v3
	s_delay_alu instid0(VALU_DEP_1) | instskip(SKIP_1) | instid1(VALU_DEP_1)
	v_cndmask_b32_e64 v11, 0, v11, s2
	v_cmp_nlt_f32_e64 s2, 0x42b17218, v7
	v_cndmask_b32_e64 v4, 0x7f800000, v4, s2
	v_cmp_nlt_f32_e64 s2, 0x42b17218, v6
	s_delay_alu instid0(VALU_DEP_1) | instskip(SKIP_1) | instid1(VALU_DEP_2)
	v_cndmask_b32_e64 v8, 0x7f800000, v8, s2
	v_cmp_nlt_f32_e64 s2, 0x42b17218, v2
	v_add_f32_e32 v4, v4, v8
	s_delay_alu instid0(VALU_DEP_2) | instskip(SKIP_1) | instid1(VALU_DEP_1)
	v_cndmask_b32_e64 v9, 0x7f800000, v9, s2
	v_cmp_nlt_f32_e64 s2, 0x42b17218, v3
	v_cndmask_b32_e64 v11, 0x7f800000, v11, s2
	s_delay_alu instid0(VALU_DEP_1)
	v_add_f32_e32 v8, v9, v11
	ds_bpermute_b32 v9, v10, v4
	ds_bpermute_b32 v10, v10, v8
	s_waitcnt lgkmcnt(1)
	v_add_f32_e32 v4, v4, v9
	s_waitcnt lgkmcnt(0)
	v_add_f32_e32 v8, v8, v10
	ds_bpermute_b32 v9, v13, v4
	ds_bpermute_b32 v10, v13, v8
	s_waitcnt lgkmcnt(1)
	v_add_f32_e32 v4, v4, v9
	s_waitcnt lgkmcnt(0)
	;; [unrolled: 6-line block ×4, first 2 shown]
	v_add_f32_e32 v4, v8, v10
	ds_bpermute_b32 v10, v16, v9
	ds_bpermute_b32 v8, v16, v4
	s_and_saveexec_b32 s2, s1
	s_cbranch_execz .LBB118_16
; %bb.9:
	v_lshlrev_b64 v[0:1], 2, v[0:1]
	s_delay_alu instid0(VALU_DEP_1) | instskip(NEXT) | instid1(VALU_DEP_1)
	v_add_co_u32 v0, s1, s4, v0
	v_add_co_ci_u32_e64 v1, s1, s5, v1, s1
	s_and_saveexec_b32 s3, s0
	s_cbranch_execz .LBB118_12
; %bb.10:
	s_waitcnt lgkmcnt(1)
	v_add_f32_e32 v9, v9, v10
	s_delay_alu instid0(VALU_DEP_1) | instskip(NEXT) | instid1(VALU_DEP_1)
	v_cmp_gt_f32_e64 s1, 0x800000, v9
	v_cndmask_b32_e64 v10, 1.0, 0x4f800000, s1
	s_delay_alu instid0(VALU_DEP_1) | instskip(NEXT) | instid1(VALU_DEP_1)
	v_mul_f32_e32 v9, v9, v10
	v_log_f32_e32 v9, v9
	s_waitcnt_depctr 0xfff
	v_mul_f32_e32 v10, 0x3f317217, v9
	v_cmp_gt_f32_e64 s2, 0x7f800000, |v9|
	s_delay_alu instid0(VALU_DEP_2) | instskip(NEXT) | instid1(VALU_DEP_1)
	v_fma_f32 v11, 0x3f317217, v9, -v10
	v_fmamk_f32 v11, v9, 0x3377d1cf, v11
	s_delay_alu instid0(VALU_DEP_1) | instskip(NEXT) | instid1(VALU_DEP_1)
	v_add_f32_e32 v10, v10, v11
	v_cndmask_b32_e64 v9, v9, v10, s2
	v_cndmask_b32_e64 v10, 0, 0x41b17218, s1
	s_delay_alu instid0(VALU_DEP_1) | instskip(NEXT) | instid1(VALU_DEP_1)
	v_sub_f32_e32 v9, v9, v10
	v_sub_f32_e32 v7, v7, v9
	global_store_b32 v[0:1], v7, off
	s_and_b32 exec_lo, exec_lo, vcc_lo
	s_cbranch_execz .LBB118_12
; %bb.11:
	v_sub_f32_e32 v6, v6, v9
	global_store_b32 v[0:1], v6, off offset:128
.LBB118_12:
	s_or_b32 exec_lo, exec_lo, s3
	v_cmp_ne_u32_e64 s1, 1, v5
	s_delay_alu instid0(VALU_DEP_1)
	s_and_b32 exec_lo, exec_lo, s1
	s_cbranch_execz .LBB118_16
; %bb.13:
	s_and_b32 exec_lo, exec_lo, s0
	s_cbranch_execz .LBB118_16
; %bb.14:
	s_waitcnt lgkmcnt(0)
	v_add_f32_e32 v4, v4, v8
	s_mov_b32 s11, 0
	s_delay_alu instid0(VALU_DEP_1) | instskip(NEXT) | instid1(VALU_DEP_1)
	v_cmp_gt_f32_e64 s0, 0x800000, v4
	v_cndmask_b32_e64 v5, 1.0, 0x4f800000, s0
	s_delay_alu instid0(VALU_DEP_1) | instskip(NEXT) | instid1(VALU_DEP_1)
	v_mul_f32_e32 v4, v4, v5
	v_log_f32_e32 v4, v4
	s_waitcnt_depctr 0xfff
	v_mul_f32_e32 v5, 0x3f317217, v4
	s_delay_alu instid0(VALU_DEP_1) | instskip(NEXT) | instid1(VALU_DEP_1)
	v_fma_f32 v6, 0x3f317217, v4, -v5
	v_fmamk_f32 v6, v4, 0x3377d1cf, v6
	s_delay_alu instid0(VALU_DEP_1) | instskip(SKIP_2) | instid1(VALU_DEP_1)
	v_add_f32_e32 v5, v5, v6
	v_cndmask_b32_e64 v6, 0, 0x41b17218, s0
	v_cmp_gt_f32_e64 s0, 0x7f800000, |v4|
	v_cndmask_b32_e64 v4, v4, v5, s0
	s_lshl_b64 s[0:1], s[10:11], 2
	s_delay_alu instid0(SALU_CYCLE_1) | instskip(NEXT) | instid1(VALU_DEP_2)
	v_add_co_u32 v5, s0, v0, s0
	v_sub_f32_e32 v4, v4, v6
	v_add_co_ci_u32_e64 v6, s0, s1, v1, s0
	s_delay_alu instid0(VALU_DEP_2)
	v_sub_f32_e32 v2, v2, v4
	global_store_b32 v[5:6], v2, off
	s_and_b32 exec_lo, exec_lo, vcc_lo
	s_cbranch_execz .LBB118_16
; %bb.15:
	s_ashr_i32 s11, s10, 31
	v_sub_f32_e32 v2, v3, v4
	s_lshl_b64 s[0:1], s[10:11], 2
	s_delay_alu instid0(SALU_CYCLE_1)
	v_add_co_u32 v0, vcc_lo, v0, s0
	v_add_co_ci_u32_e32 v1, vcc_lo, s1, v1, vcc_lo
	global_store_b32 v[0:1], v2, off offset:128
.LBB118_16:
	s_nop 0
	s_sendmsg sendmsg(MSG_DEALLOC_VGPRS)
	s_endpgm
	.section	.rodata,"a",@progbits
	.p2align	6, 0x0
	.amdhsa_kernel _ZN12_GLOBAL__N_120softmax_warp_forwardIN3c104HalfEffLi6ELb1ELb0ELi32EEEvPT0_PKT_iiiPKbib
		.amdhsa_group_segment_fixed_size 0
		.amdhsa_private_segment_fixed_size 0
		.amdhsa_kernarg_size 304
		.amdhsa_user_sgpr_count 15
		.amdhsa_user_sgpr_dispatch_ptr 0
		.amdhsa_user_sgpr_queue_ptr 0
		.amdhsa_user_sgpr_kernarg_segment_ptr 1
		.amdhsa_user_sgpr_dispatch_id 0
		.amdhsa_user_sgpr_private_segment_size 0
		.amdhsa_wavefront_size32 1
		.amdhsa_uses_dynamic_stack 0
		.amdhsa_enable_private_segment 0
		.amdhsa_system_sgpr_workgroup_id_x 1
		.amdhsa_system_sgpr_workgroup_id_y 0
		.amdhsa_system_sgpr_workgroup_id_z 0
		.amdhsa_system_sgpr_workgroup_info 0
		.amdhsa_system_vgpr_workitem_id 1
		.amdhsa_next_free_vgpr 24
		.amdhsa_next_free_sgpr 16
		.amdhsa_reserve_vcc 1
		.amdhsa_float_round_mode_32 0
		.amdhsa_float_round_mode_16_64 0
		.amdhsa_float_denorm_mode_32 3
		.amdhsa_float_denorm_mode_16_64 3
		.amdhsa_dx10_clamp 1
		.amdhsa_ieee_mode 1
		.amdhsa_fp16_overflow 0
		.amdhsa_workgroup_processor_mode 1
		.amdhsa_memory_ordered 1
		.amdhsa_forward_progress 0
		.amdhsa_shared_vgpr_count 0
		.amdhsa_exception_fp_ieee_invalid_op 0
		.amdhsa_exception_fp_denorm_src 0
		.amdhsa_exception_fp_ieee_div_zero 0
		.amdhsa_exception_fp_ieee_overflow 0
		.amdhsa_exception_fp_ieee_underflow 0
		.amdhsa_exception_fp_ieee_inexact 0
		.amdhsa_exception_int_div_zero 0
	.end_amdhsa_kernel
	.section	.text._ZN12_GLOBAL__N_120softmax_warp_forwardIN3c104HalfEffLi6ELb1ELb0ELi32EEEvPT0_PKT_iiiPKbib,"axG",@progbits,_ZN12_GLOBAL__N_120softmax_warp_forwardIN3c104HalfEffLi6ELb1ELb0ELi32EEEvPT0_PKT_iiiPKbib,comdat
.Lfunc_end118:
	.size	_ZN12_GLOBAL__N_120softmax_warp_forwardIN3c104HalfEffLi6ELb1ELb0ELi32EEEvPT0_PKT_iiiPKbib, .Lfunc_end118-_ZN12_GLOBAL__N_120softmax_warp_forwardIN3c104HalfEffLi6ELb1ELb0ELi32EEEvPT0_PKT_iiiPKbib
                                        ; -- End function
	.section	.AMDGPU.csdata,"",@progbits
; Kernel info:
; codeLenInByte = 1924
; NumSgprs: 18
; NumVgprs: 24
; ScratchSize: 0
; MemoryBound: 0
; FloatMode: 240
; IeeeMode: 1
; LDSByteSize: 0 bytes/workgroup (compile time only)
; SGPRBlocks: 2
; VGPRBlocks: 2
; NumSGPRsForWavesPerEU: 18
; NumVGPRsForWavesPerEU: 24
; Occupancy: 16
; WaveLimiterHint : 0
; COMPUTE_PGM_RSRC2:SCRATCH_EN: 0
; COMPUTE_PGM_RSRC2:USER_SGPR: 15
; COMPUTE_PGM_RSRC2:TRAP_HANDLER: 0
; COMPUTE_PGM_RSRC2:TGID_X_EN: 1
; COMPUTE_PGM_RSRC2:TGID_Y_EN: 0
; COMPUTE_PGM_RSRC2:TGID_Z_EN: 0
; COMPUTE_PGM_RSRC2:TIDIG_COMP_CNT: 1
	.section	.text._ZN12_GLOBAL__N_120softmax_warp_forwardIN3c104HalfEffLi7ELb1ELb0ELi64EEEvPT0_PKT_iiiPKbib,"axG",@progbits,_ZN12_GLOBAL__N_120softmax_warp_forwardIN3c104HalfEffLi7ELb1ELb0ELi64EEEvPT0_PKT_iiiPKbib,comdat
	.globl	_ZN12_GLOBAL__N_120softmax_warp_forwardIN3c104HalfEffLi7ELb1ELb0ELi64EEEvPT0_PKT_iiiPKbib ; -- Begin function _ZN12_GLOBAL__N_120softmax_warp_forwardIN3c104HalfEffLi7ELb1ELb0ELi64EEEvPT0_PKT_iiiPKbib
	.p2align	8
	.type	_ZN12_GLOBAL__N_120softmax_warp_forwardIN3c104HalfEffLi7ELb1ELb0ELi64EEEvPT0_PKT_iiiPKbib,@function
_ZN12_GLOBAL__N_120softmax_warp_forwardIN3c104HalfEffLi7ELb1ELb0ELi64EEEvPT0_PKT_iiiPKbib: ; @_ZN12_GLOBAL__N_120softmax_warp_forwardIN3c104HalfEffLi7ELb1ELb0ELi64EEEvPT0_PKT_iiiPKbib
; %bb.0:
	s_clause 0x1
	s_load_b32 s2, s[0:1], 0x3c
	s_load_b256 s[4:11], s[0:1], 0x0
	v_bfe_u32 v1, v0, 10, 10
	v_and_b32_e32 v4, 0x3ff, v0
	v_dual_mov_b32 v6, 0xff800000 :: v_dual_mov_b32 v7, 0xff800000
	s_waitcnt lgkmcnt(0)
	s_lshr_b32 s0, s2, 16
	s_delay_alu instid0(SALU_CYCLE_1) | instskip(SKIP_2) | instid1(VALU_DEP_1)
	s_mul_i32 s15, s15, s0
	v_cmp_gt_i32_e64 s0, s10, v4
	v_add_lshl_u32 v2, s15, v1, 1
	v_mad_u64_u32 v[0:1], null, v2, s9, v[4:5]
	v_sub_nc_u32_e32 v5, s8, v2
	s_delay_alu instid0(VALU_DEP_1) | instskip(NEXT) | instid1(VALU_DEP_3)
	v_cmp_lt_i32_e64 s1, 0, v5
	v_ashrrev_i32_e32 v1, 31, v0
	s_delay_alu instid0(VALU_DEP_2) | instskip(NEXT) | instid1(VALU_DEP_1)
	s_and_b32 s3, s1, s0
	v_lshlrev_b64 v[2:3], 1, v[0:1]
	s_delay_alu instid0(VALU_DEP_1) | instskip(NEXT) | instid1(VALU_DEP_2)
	v_add_co_u32 v2, vcc_lo, s6, v2
	v_add_co_ci_u32_e32 v3, vcc_lo, s7, v3, vcc_lo
	s_and_saveexec_b32 s2, s3
	s_cbranch_execz .LBB119_2
; %bb.1:
	global_load_u16 v7, v[2:3], off
	s_waitcnt vmcnt(0)
	v_cvt_f32_f16_e32 v7, v7
.LBB119_2:
	s_or_b32 exec_lo, exec_lo, s2
	v_add_nc_u32_e32 v4, 64, v4
	s_delay_alu instid0(VALU_DEP_1) | instskip(SKIP_1) | instid1(SALU_CYCLE_1)
	v_cmp_gt_i32_e32 vcc_lo, s10, v4
	s_and_b32 s3, s1, vcc_lo
	s_and_saveexec_b32 s2, s3
	s_cbranch_execz .LBB119_4
; %bb.3:
	global_load_u16 v4, v[2:3], off offset:128
	s_waitcnt vmcnt(0)
	v_cvt_f32_f16_e32 v6, v4
.LBB119_4:
	s_or_b32 exec_lo, exec_lo, s2
	v_cmp_lt_i32_e64 s2, 1, v5
	v_mov_b32_e32 v4, 0xff800000
	v_mov_b32_e32 v8, 0xff800000
	s_delay_alu instid0(VALU_DEP_3) | instskip(NEXT) | instid1(SALU_CYCLE_1)
	s_and_b32 s3, s2, s0
	s_and_saveexec_b32 s6, s3
	s_cbranch_execz .LBB119_6
; %bb.5:
	s_mov_b32 s11, 0
	s_delay_alu instid0(SALU_CYCLE_1) | instskip(NEXT) | instid1(SALU_CYCLE_1)
	s_lshl_b64 s[8:9], s[10:11], 1
	v_add_co_u32 v8, s3, v2, s8
	s_delay_alu instid0(VALU_DEP_1)
	v_add_co_ci_u32_e64 v9, s3, s9, v3, s3
	global_load_u16 v8, v[8:9], off
	s_waitcnt vmcnt(0)
	v_cvt_f32_f16_e32 v8, v8
.LBB119_6:
	s_or_b32 exec_lo, exec_lo, s6
	s_and_b32 s2, s2, vcc_lo
	s_delay_alu instid0(SALU_CYCLE_1)
	s_and_saveexec_b32 s3, s2
	s_cbranch_execz .LBB119_8
; %bb.7:
	s_mov_b32 s11, 0
	s_delay_alu instid0(SALU_CYCLE_1) | instskip(NEXT) | instid1(SALU_CYCLE_1)
	s_lshl_b64 s[6:7], s[10:11], 1
	v_add_co_u32 v2, s2, v2, s6
	s_delay_alu instid0(VALU_DEP_1)
	v_add_co_ci_u32_e64 v3, s2, s7, v3, s2
	global_load_u16 v2, v[2:3], off offset:128
	s_waitcnt vmcnt(0)
	v_cvt_f32_f16_e32 v4, v2
.LBB119_8:
	s_or_b32 exec_lo, exec_lo, s3
	v_mbcnt_lo_u32_b32 v2, -1, 0
	s_delay_alu instid0(VALU_DEP_1)
	v_or_b32_e32 v3, 32, v2
	v_xor_b32_e32 v13, 16, v2
	v_xor_b32_e32 v14, 8, v2
	;; [unrolled: 1-line block ×4, first 2 shown]
	v_cmp_gt_i32_e64 s2, 64, v3
	v_xor_b32_e32 v17, 1, v2
	s_delay_alu instid0(VALU_DEP_2) | instskip(SKIP_1) | instid1(VALU_DEP_2)
	v_cndmask_b32_e64 v3, v2, v3, s2
	v_cmp_gt_f32_e64 s2, v7, v6
	v_lshlrev_b32_e32 v10, 2, v3
	s_delay_alu instid0(VALU_DEP_2)
	v_cndmask_b32_e64 v9, v6, v7, s2
	v_cmp_gt_f32_e64 s2, v8, v4
	ds_bpermute_b32 v11, v10, v9
	v_cndmask_b32_e64 v3, v4, v8, s2
	v_cmp_gt_i32_e64 s2, 64, v13
	ds_bpermute_b32 v12, v10, v3
	v_cndmask_b32_e64 v13, v2, v13, s2
	s_delay_alu instid0(VALU_DEP_1) | instskip(SKIP_2) | instid1(VALU_DEP_1)
	v_lshlrev_b32_e32 v13, 2, v13
	s_waitcnt lgkmcnt(1)
	v_cmp_lt_f32_e64 s2, v9, v11
	v_cndmask_b32_e64 v9, v9, v11, s2
	s_waitcnt lgkmcnt(0)
	v_cmp_lt_f32_e64 s2, v3, v12
	ds_bpermute_b32 v11, v13, v9
	v_cndmask_b32_e64 v3, v3, v12, s2
	v_cmp_gt_i32_e64 s2, 64, v14
	ds_bpermute_b32 v12, v13, v3
	v_cndmask_b32_e64 v14, v2, v14, s2
	s_delay_alu instid0(VALU_DEP_1) | instskip(SKIP_2) | instid1(VALU_DEP_1)
	v_lshlrev_b32_e32 v14, 2, v14
	s_waitcnt lgkmcnt(1)
	v_cmp_lt_f32_e64 s2, v9, v11
	v_cndmask_b32_e64 v9, v9, v11, s2
	s_waitcnt lgkmcnt(0)
	v_cmp_lt_f32_e64 s2, v3, v12
	;; [unrolled: 12-line block ×5, first 2 shown]
	ds_bpermute_b32 v9, v17, v2
	v_cndmask_b32_e64 v3, v3, v12, s2
	ds_bpermute_b32 v11, v17, v3
	s_waitcnt lgkmcnt(1)
	v_cmp_lt_f32_e64 s2, v2, v9
	s_delay_alu instid0(VALU_DEP_1) | instskip(SKIP_2) | instid1(VALU_DEP_2)
	v_cndmask_b32_e64 v2, v2, v9, s2
	s_waitcnt lgkmcnt(0)
	v_cmp_lt_f32_e64 s2, v3, v11
	v_sub_f32_e32 v7, v7, v2
	s_delay_alu instid0(VALU_DEP_2) | instskip(SKIP_1) | instid1(VALU_DEP_3)
	v_cndmask_b32_e64 v3, v3, v11, s2
	v_sub_f32_e32 v6, v6, v2
	v_cmp_ngt_f32_e64 s2, 0xc2ce8ed0, v7
	s_delay_alu instid0(VALU_DEP_3) | instskip(NEXT) | instid1(VALU_DEP_3)
	v_sub_f32_e32 v2, v8, v3
	v_dual_sub_f32 v3, v4, v3 :: v_dual_mul_f32 v8, 0x3fb8aa3b, v6
	s_delay_alu instid0(VALU_DEP_2) | instskip(NEXT) | instid1(VALU_DEP_2)
	v_mul_f32_e32 v9, 0x3fb8aa3b, v2
	v_fma_f32 v19, 0x3fb8aa3b, v6, -v8
	v_rndne_f32_e32 v20, v8
	s_delay_alu instid0(VALU_DEP_3) | instskip(SKIP_2) | instid1(VALU_DEP_4)
	v_rndne_f32_e32 v22, v9
	v_mul_f32_e32 v4, 0x3fb8aa3b, v7
	v_fma_f32 v21, 0x3fb8aa3b, v2, -v9
	v_dual_sub_f32 v8, v8, v20 :: v_dual_fmac_f32 v19, 0x32a5705f, v6
	s_delay_alu instid0(VALU_DEP_4) | instskip(NEXT) | instid1(VALU_DEP_4)
	v_sub_f32_e32 v9, v9, v22
	v_fma_f32 v12, 0x3fb8aa3b, v7, -v4
	s_delay_alu instid0(VALU_DEP_4) | instskip(SKIP_3) | instid1(VALU_DEP_4)
	v_fmac_f32_e32 v21, 0x32a5705f, v2
	v_rndne_f32_e32 v18, v4
	v_mul_f32_e32 v11, 0x3fb8aa3b, v3
	v_add_f32_e32 v8, v8, v19
	v_dual_fmac_f32 v12, 0x32a5705f, v7 :: v_dual_add_f32 v9, v9, v21
	s_delay_alu instid0(VALU_DEP_4) | instskip(NEXT) | instid1(VALU_DEP_4)
	v_sub_f32_e32 v4, v4, v18
	v_fma_f32 v23, 0x3fb8aa3b, v3, -v11
	v_rndne_f32_e32 v24, v11
	v_cvt_i32_f32_e32 v19, v22
	v_exp_f32_e32 v9, v9
	s_delay_alu instid0(VALU_DEP_3) | instskip(NEXT) | instid1(VALU_DEP_3)
	v_dual_add_f32 v4, v4, v12 :: v_dual_fmac_f32 v23, 0x32a5705f, v3
	v_sub_f32_e32 v11, v11, v24
	v_exp_f32_e32 v8, v8
	v_cvt_i32_f32_e32 v12, v18
	s_delay_alu instid0(VALU_DEP_3) | instskip(SKIP_3) | instid1(TRANS32_DEP_3)
	v_exp_f32_e32 v4, v4
	v_cvt_i32_f32_e32 v18, v20
	v_add_f32_e32 v11, v11, v23
	v_cvt_i32_f32_e32 v20, v24
	v_ldexp_f32 v9, v9, v19
	s_delay_alu instid0(VALU_DEP_3) | instskip(NEXT) | instid1(TRANS32_DEP_3)
	v_exp_f32_e32 v11, v11
	v_ldexp_f32 v8, v8, v18
	s_delay_alu instid0(TRANS32_DEP_2) | instskip(NEXT) | instid1(VALU_DEP_1)
	v_ldexp_f32 v4, v4, v12
	v_cndmask_b32_e64 v4, 0, v4, s2
	v_cmp_ngt_f32_e64 s2, 0xc2ce8ed0, v6
	s_waitcnt_depctr 0xfff
	v_ldexp_f32 v11, v11, v20
	v_cndmask_b32_e64 v8, 0, v8, s2
	v_cmp_ngt_f32_e64 s2, 0xc2ce8ed0, v2
	s_delay_alu instid0(VALU_DEP_1) | instskip(SKIP_1) | instid1(VALU_DEP_1)
	v_cndmask_b32_e64 v9, 0, v9, s2
	v_cmp_ngt_f32_e64 s2, 0xc2ce8ed0, v3
	v_cndmask_b32_e64 v11, 0, v11, s2
	v_cmp_nlt_f32_e64 s2, 0x42b17218, v7
	s_delay_alu instid0(VALU_DEP_1) | instskip(SKIP_1) | instid1(VALU_DEP_1)
	v_cndmask_b32_e64 v4, 0x7f800000, v4, s2
	v_cmp_nlt_f32_e64 s2, 0x42b17218, v6
	v_cndmask_b32_e64 v8, 0x7f800000, v8, s2
	v_cmp_nlt_f32_e64 s2, 0x42b17218, v2
	s_delay_alu instid0(VALU_DEP_2) | instskip(NEXT) | instid1(VALU_DEP_2)
	v_add_f32_e32 v4, v4, v8
	v_cndmask_b32_e64 v9, 0x7f800000, v9, s2
	v_cmp_nlt_f32_e64 s2, 0x42b17218, v3
	s_delay_alu instid0(VALU_DEP_1) | instskip(NEXT) | instid1(VALU_DEP_1)
	v_cndmask_b32_e64 v11, 0x7f800000, v11, s2
	v_add_f32_e32 v8, v9, v11
	ds_bpermute_b32 v9, v10, v4
	s_waitcnt lgkmcnt(0)
	v_add_f32_e32 v4, v4, v9
	ds_bpermute_b32 v9, v13, v4
	s_waitcnt lgkmcnt(0)
	;; [unrolled: 3-line block ×10, first 2 shown]
	v_add_f32_e32 v4, v8, v10
	ds_bpermute_b32 v10, v17, v9
	ds_bpermute_b32 v8, v17, v4
	s_and_saveexec_b32 s2, s1
	s_cbranch_execz .LBB119_16
; %bb.9:
	v_lshlrev_b64 v[0:1], 2, v[0:1]
	s_delay_alu instid0(VALU_DEP_1) | instskip(NEXT) | instid1(VALU_DEP_1)
	v_add_co_u32 v0, s1, s4, v0
	v_add_co_ci_u32_e64 v1, s1, s5, v1, s1
	s_and_saveexec_b32 s3, s0
	s_cbranch_execz .LBB119_12
; %bb.10:
	s_waitcnt lgkmcnt(1)
	v_add_f32_e32 v9, v9, v10
	s_delay_alu instid0(VALU_DEP_1) | instskip(NEXT) | instid1(VALU_DEP_1)
	v_cmp_gt_f32_e64 s1, 0x800000, v9
	v_cndmask_b32_e64 v10, 1.0, 0x4f800000, s1
	s_delay_alu instid0(VALU_DEP_1) | instskip(NEXT) | instid1(VALU_DEP_1)
	v_mul_f32_e32 v9, v9, v10
	v_log_f32_e32 v9, v9
	s_waitcnt_depctr 0xfff
	v_mul_f32_e32 v10, 0x3f317217, v9
	v_cmp_gt_f32_e64 s2, 0x7f800000, |v9|
	s_delay_alu instid0(VALU_DEP_2) | instskip(NEXT) | instid1(VALU_DEP_1)
	v_fma_f32 v11, 0x3f317217, v9, -v10
	v_fmamk_f32 v11, v9, 0x3377d1cf, v11
	s_delay_alu instid0(VALU_DEP_1) | instskip(NEXT) | instid1(VALU_DEP_1)
	v_add_f32_e32 v10, v10, v11
	v_cndmask_b32_e64 v9, v9, v10, s2
	v_cndmask_b32_e64 v10, 0, 0x41b17218, s1
	s_delay_alu instid0(VALU_DEP_1) | instskip(NEXT) | instid1(VALU_DEP_1)
	v_sub_f32_e32 v9, v9, v10
	v_sub_f32_e32 v7, v7, v9
	global_store_b32 v[0:1], v7, off
	s_and_b32 exec_lo, exec_lo, vcc_lo
	s_cbranch_execz .LBB119_12
; %bb.11:
	v_sub_f32_e32 v6, v6, v9
	global_store_b32 v[0:1], v6, off offset:256
.LBB119_12:
	s_or_b32 exec_lo, exec_lo, s3
	v_cmp_ne_u32_e64 s1, 1, v5
	s_delay_alu instid0(VALU_DEP_1)
	s_and_b32 exec_lo, exec_lo, s1
	s_cbranch_execz .LBB119_16
; %bb.13:
	s_and_b32 exec_lo, exec_lo, s0
	s_cbranch_execz .LBB119_16
; %bb.14:
	s_waitcnt lgkmcnt(0)
	v_add_f32_e32 v4, v4, v8
	s_mov_b32 s11, 0
	s_delay_alu instid0(VALU_DEP_1) | instskip(NEXT) | instid1(VALU_DEP_1)
	v_cmp_gt_f32_e64 s0, 0x800000, v4
	v_cndmask_b32_e64 v5, 1.0, 0x4f800000, s0
	s_delay_alu instid0(VALU_DEP_1) | instskip(NEXT) | instid1(VALU_DEP_1)
	v_mul_f32_e32 v4, v4, v5
	v_log_f32_e32 v4, v4
	s_waitcnt_depctr 0xfff
	v_mul_f32_e32 v5, 0x3f317217, v4
	s_delay_alu instid0(VALU_DEP_1) | instskip(NEXT) | instid1(VALU_DEP_1)
	v_fma_f32 v6, 0x3f317217, v4, -v5
	v_fmamk_f32 v6, v4, 0x3377d1cf, v6
	s_delay_alu instid0(VALU_DEP_1) | instskip(SKIP_2) | instid1(VALU_DEP_1)
	v_add_f32_e32 v5, v5, v6
	v_cndmask_b32_e64 v6, 0, 0x41b17218, s0
	v_cmp_gt_f32_e64 s0, 0x7f800000, |v4|
	v_cndmask_b32_e64 v4, v4, v5, s0
	s_lshl_b64 s[0:1], s[10:11], 2
	s_delay_alu instid0(SALU_CYCLE_1) | instskip(NEXT) | instid1(VALU_DEP_2)
	v_add_co_u32 v5, s0, v0, s0
	v_sub_f32_e32 v4, v4, v6
	v_add_co_ci_u32_e64 v6, s0, s1, v1, s0
	s_delay_alu instid0(VALU_DEP_2)
	v_sub_f32_e32 v2, v2, v4
	global_store_b32 v[5:6], v2, off
	s_and_b32 exec_lo, exec_lo, vcc_lo
	s_cbranch_execz .LBB119_16
; %bb.15:
	s_ashr_i32 s11, s10, 31
	v_sub_f32_e32 v2, v3, v4
	s_lshl_b64 s[0:1], s[10:11], 2
	s_delay_alu instid0(SALU_CYCLE_1)
	v_add_co_u32 v0, vcc_lo, v0, s0
	v_add_co_ci_u32_e32 v1, vcc_lo, s1, v1, vcc_lo
	global_store_b32 v[0:1], v2, off offset:256
.LBB119_16:
	s_nop 0
	s_sendmsg sendmsg(MSG_DEALLOC_VGPRS)
	s_endpgm
	.section	.rodata,"a",@progbits
	.p2align	6, 0x0
	.amdhsa_kernel _ZN12_GLOBAL__N_120softmax_warp_forwardIN3c104HalfEffLi7ELb1ELb0ELi64EEEvPT0_PKT_iiiPKbib
		.amdhsa_group_segment_fixed_size 0
		.amdhsa_private_segment_fixed_size 0
		.amdhsa_kernarg_size 304
		.amdhsa_user_sgpr_count 15
		.amdhsa_user_sgpr_dispatch_ptr 0
		.amdhsa_user_sgpr_queue_ptr 0
		.amdhsa_user_sgpr_kernarg_segment_ptr 1
		.amdhsa_user_sgpr_dispatch_id 0
		.amdhsa_user_sgpr_private_segment_size 0
		.amdhsa_wavefront_size32 1
		.amdhsa_uses_dynamic_stack 0
		.amdhsa_enable_private_segment 0
		.amdhsa_system_sgpr_workgroup_id_x 1
		.amdhsa_system_sgpr_workgroup_id_y 0
		.amdhsa_system_sgpr_workgroup_id_z 0
		.amdhsa_system_sgpr_workgroup_info 0
		.amdhsa_system_vgpr_workitem_id 1
		.amdhsa_next_free_vgpr 25
		.amdhsa_next_free_sgpr 16
		.amdhsa_reserve_vcc 1
		.amdhsa_float_round_mode_32 0
		.amdhsa_float_round_mode_16_64 0
		.amdhsa_float_denorm_mode_32 3
		.amdhsa_float_denorm_mode_16_64 3
		.amdhsa_dx10_clamp 1
		.amdhsa_ieee_mode 1
		.amdhsa_fp16_overflow 0
		.amdhsa_workgroup_processor_mode 1
		.amdhsa_memory_ordered 1
		.amdhsa_forward_progress 0
		.amdhsa_shared_vgpr_count 0
		.amdhsa_exception_fp_ieee_invalid_op 0
		.amdhsa_exception_fp_denorm_src 0
		.amdhsa_exception_fp_ieee_div_zero 0
		.amdhsa_exception_fp_ieee_overflow 0
		.amdhsa_exception_fp_ieee_underflow 0
		.amdhsa_exception_fp_ieee_inexact 0
		.amdhsa_exception_int_div_zero 0
	.end_amdhsa_kernel
	.section	.text._ZN12_GLOBAL__N_120softmax_warp_forwardIN3c104HalfEffLi7ELb1ELb0ELi64EEEvPT0_PKT_iiiPKbib,"axG",@progbits,_ZN12_GLOBAL__N_120softmax_warp_forwardIN3c104HalfEffLi7ELb1ELb0ELi64EEEvPT0_PKT_iiiPKbib,comdat
.Lfunc_end119:
	.size	_ZN12_GLOBAL__N_120softmax_warp_forwardIN3c104HalfEffLi7ELb1ELb0ELi64EEEvPT0_PKT_iiiPKbib, .Lfunc_end119-_ZN12_GLOBAL__N_120softmax_warp_forwardIN3c104HalfEffLi7ELb1ELb0ELi64EEEvPT0_PKT_iiiPKbib
                                        ; -- End function
	.section	.AMDGPU.csdata,"",@progbits
; Kernel info:
; codeLenInByte = 2060
; NumSgprs: 18
; NumVgprs: 25
; ScratchSize: 0
; MemoryBound: 0
; FloatMode: 240
; IeeeMode: 1
; LDSByteSize: 0 bytes/workgroup (compile time only)
; SGPRBlocks: 2
; VGPRBlocks: 3
; NumSGPRsForWavesPerEU: 18
; NumVGPRsForWavesPerEU: 25
; Occupancy: 16
; WaveLimiterHint : 0
; COMPUTE_PGM_RSRC2:SCRATCH_EN: 0
; COMPUTE_PGM_RSRC2:USER_SGPR: 15
; COMPUTE_PGM_RSRC2:TRAP_HANDLER: 0
; COMPUTE_PGM_RSRC2:TGID_X_EN: 1
; COMPUTE_PGM_RSRC2:TGID_Y_EN: 0
; COMPUTE_PGM_RSRC2:TGID_Z_EN: 0
; COMPUTE_PGM_RSRC2:TIDIG_COMP_CNT: 1
	.section	.text._ZN12_GLOBAL__N_120softmax_warp_forwardIN3c104HalfEffLi7ELb1ELb0ELi32EEEvPT0_PKT_iiiPKbib,"axG",@progbits,_ZN12_GLOBAL__N_120softmax_warp_forwardIN3c104HalfEffLi7ELb1ELb0ELi32EEEvPT0_PKT_iiiPKbib,comdat
	.globl	_ZN12_GLOBAL__N_120softmax_warp_forwardIN3c104HalfEffLi7ELb1ELb0ELi32EEEvPT0_PKT_iiiPKbib ; -- Begin function _ZN12_GLOBAL__N_120softmax_warp_forwardIN3c104HalfEffLi7ELb1ELb0ELi32EEEvPT0_PKT_iiiPKbib
	.p2align	8
	.type	_ZN12_GLOBAL__N_120softmax_warp_forwardIN3c104HalfEffLi7ELb1ELb0ELi32EEEvPT0_PKT_iiiPKbib,@function
_ZN12_GLOBAL__N_120softmax_warp_forwardIN3c104HalfEffLi7ELb1ELb0ELi32EEEvPT0_PKT_iiiPKbib: ; @_ZN12_GLOBAL__N_120softmax_warp_forwardIN3c104HalfEffLi7ELb1ELb0ELi32EEEvPT0_PKT_iiiPKbib
; %bb.0:
	s_clause 0x1
	s_load_b32 s2, s[0:1], 0x3c
	s_load_b256 s[16:23], s[0:1], 0x0
	v_bfe_u32 v1, v0, 10, 10
	v_and_b32_e32 v4, 0x3ff, v0
	v_mov_b32_e32 v6, 0xff800000
	v_mov_b32_e32 v8, 0xff800000
	s_waitcnt lgkmcnt(0)
	s_lshr_b32 s0, s2, 16
	v_cmp_gt_i32_e64 s1, s22, v4
	s_mul_i32 s15, s15, s0
	s_delay_alu instid0(SALU_CYCLE_1) | instskip(NEXT) | instid1(VALU_DEP_1)
	v_add_lshl_u32 v2, s15, v1, 1
	v_mad_u64_u32 v[0:1], null, v2, s21, v[4:5]
	v_sub_nc_u32_e32 v5, s20, v2
	s_delay_alu instid0(VALU_DEP_1) | instskip(NEXT) | instid1(VALU_DEP_3)
	v_cmp_lt_i32_e64 s3, 0, v5
	v_ashrrev_i32_e32 v1, 31, v0
	s_delay_alu instid0(VALU_DEP_2) | instskip(NEXT) | instid1(VALU_DEP_1)
	s_and_b32 s2, s3, s1
	v_lshlrev_b64 v[2:3], 1, v[0:1]
	s_delay_alu instid0(VALU_DEP_1) | instskip(NEXT) | instid1(VALU_DEP_2)
	v_add_co_u32 v2, vcc_lo, s18, v2
	v_add_co_ci_u32_e32 v3, vcc_lo, s19, v3, vcc_lo
	s_and_saveexec_b32 s0, s2
	s_cbranch_execz .LBB120_2
; %bb.1:
	global_load_u16 v7, v[2:3], off
	s_waitcnt vmcnt(0)
	v_cvt_f32_f16_e32 v8, v7
.LBB120_2:
	s_or_b32 exec_lo, exec_lo, s0
	v_add_nc_u32_e32 v7, 32, v4
	s_delay_alu instid0(VALU_DEP_1) | instskip(SKIP_1) | instid1(SALU_CYCLE_1)
	v_cmp_gt_i32_e32 vcc_lo, s22, v7
	s_and_b32 s2, s3, vcc_lo
	s_and_saveexec_b32 s0, s2
	s_cbranch_execz .LBB120_4
; %bb.3:
	global_load_u16 v6, v[2:3], off offset:64
	s_waitcnt vmcnt(0)
	v_cvt_f32_f16_e32 v6, v6
.LBB120_4:
	s_or_b32 exec_lo, exec_lo, s0
	v_add_nc_u32_e32 v7, 64, v4
	v_mov_b32_e32 v9, 0xff800000
	s_delay_alu instid0(VALU_DEP_2) | instskip(SKIP_1) | instid1(VALU_DEP_2)
	v_cmp_gt_i32_e64 s0, s22, v7
	v_mov_b32_e32 v7, 0xff800000
	s_and_b32 s4, s3, s0
	s_delay_alu instid0(SALU_CYCLE_1)
	s_and_saveexec_b32 s2, s4
	s_cbranch_execz .LBB120_6
; %bb.5:
	global_load_u16 v9, v[2:3], off offset:128
	s_waitcnt vmcnt(0)
	v_cvt_f32_f16_e32 v9, v9
.LBB120_6:
	s_or_b32 exec_lo, exec_lo, s2
	v_add_nc_u32_e32 v4, 0x60, v4
	s_delay_alu instid0(VALU_DEP_1) | instskip(NEXT) | instid1(VALU_DEP_1)
	v_cmp_gt_i32_e64 s2, s22, v4
	s_and_b32 s5, s3, s2
	s_delay_alu instid0(SALU_CYCLE_1)
	s_and_saveexec_b32 s4, s5
	s_cbranch_execz .LBB120_8
; %bb.7:
	global_load_u16 v4, v[2:3], off offset:192
	s_waitcnt vmcnt(0)
	v_cvt_f32_f16_e32 v7, v4
.LBB120_8:
	s_or_b32 exec_lo, exec_lo, s4
	v_cmp_lt_i32_e64 s4, 1, v5
	v_mov_b32_e32 v4, 0xff800000
	v_mov_b32_e32 v12, 0xff800000
	s_delay_alu instid0(VALU_DEP_3) | instskip(NEXT) | instid1(SALU_CYCLE_1)
	s_and_b32 s5, s4, s1
	s_and_saveexec_b32 s6, s5
	s_cbranch_execz .LBB120_10
; %bb.9:
	s_mov_b32 s23, 0
	s_delay_alu instid0(SALU_CYCLE_1) | instskip(NEXT) | instid1(SALU_CYCLE_1)
	s_lshl_b64 s[8:9], s[22:23], 1
	v_add_co_u32 v10, s5, v2, s8
	s_delay_alu instid0(VALU_DEP_1)
	v_add_co_ci_u32_e64 v11, s5, s9, v3, s5
	global_load_u16 v10, v[10:11], off
	s_waitcnt vmcnt(0)
	v_cvt_f32_f16_e32 v12, v10
.LBB120_10:
	s_or_b32 exec_lo, exec_lo, s6
	s_and_b32 s5, s4, vcc_lo
	s_delay_alu instid0(SALU_CYCLE_1)
	s_and_saveexec_b32 s6, s5
	s_cbranch_execz .LBB120_12
; %bb.11:
	s_mov_b32 s23, 0
	s_delay_alu instid0(SALU_CYCLE_1) | instskip(NEXT) | instid1(SALU_CYCLE_1)
	s_lshl_b64 s[8:9], s[22:23], 1
	v_add_co_u32 v10, s5, v2, s8
	s_delay_alu instid0(VALU_DEP_1)
	v_add_co_ci_u32_e64 v11, s5, s9, v3, s5
	global_load_u16 v4, v[10:11], off offset:64
	s_waitcnt vmcnt(0)
	v_cvt_f32_f16_e32 v4, v4
.LBB120_12:
	s_or_b32 exec_lo, exec_lo, s6
	v_mov_b32_e32 v11, 0xff800000
	v_mov_b32_e32 v13, 0xff800000
	s_and_b32 s5, s4, s0
	s_delay_alu instid0(SALU_CYCLE_1)
	s_and_saveexec_b32 s6, s5
	s_cbranch_execz .LBB120_14
; %bb.13:
	s_mov_b32 s23, 0
	s_delay_alu instid0(SALU_CYCLE_1) | instskip(NEXT) | instid1(SALU_CYCLE_1)
	s_lshl_b64 s[8:9], s[22:23], 1
	v_add_co_u32 v13, s5, v2, s8
	s_delay_alu instid0(VALU_DEP_1)
	v_add_co_ci_u32_e64 v14, s5, s9, v3, s5
	global_load_u16 v10, v[13:14], off offset:128
	s_waitcnt vmcnt(0)
	v_cvt_f32_f16_e32 v13, v10
.LBB120_14:
	s_or_b32 exec_lo, exec_lo, s6
	s_and_b32 s4, s4, s2
	s_delay_alu instid0(SALU_CYCLE_1)
	s_and_saveexec_b32 s5, s4
	s_cbranch_execz .LBB120_16
; %bb.15:
	s_mov_b32 s23, 0
	s_delay_alu instid0(SALU_CYCLE_1) | instskip(NEXT) | instid1(SALU_CYCLE_1)
	s_lshl_b64 s[6:7], s[22:23], 1
	v_add_co_u32 v2, s4, v2, s6
	s_delay_alu instid0(VALU_DEP_1)
	v_add_co_ci_u32_e64 v3, s4, s7, v3, s4
	global_load_u16 v2, v[2:3], off offset:192
	s_waitcnt vmcnt(0)
	v_cvt_f32_f16_e32 v11, v2
.LBB120_16:
	s_or_b32 exec_lo, exec_lo, s5
	v_cmp_gt_f32_e64 s4, v8, v6
	v_mbcnt_lo_u32_b32 v2, -1, 0
	s_delay_alu instid0(VALU_DEP_2) | instskip(SKIP_1) | instid1(VALU_DEP_3)
	v_cndmask_b32_e64 v3, v6, v8, s4
	v_cmp_gt_f32_e64 s4, v12, v4
	v_xor_b32_e32 v10, 16, v2
	v_xor_b32_e32 v17, 8, v2
	;; [unrolled: 1-line block ×4, first 2 shown]
	v_cndmask_b32_e64 v14, v4, v12, s4
	v_cmp_gt_f32_e64 s4, v3, v9
	v_xor_b32_e32 v20, 1, v2
	s_delay_alu instid0(VALU_DEP_2) | instskip(SKIP_1) | instid1(VALU_DEP_1)
	v_cndmask_b32_e64 v3, v9, v3, s4
	v_cmp_gt_i32_e64 s4, 32, v10
	v_cndmask_b32_e64 v10, v2, v10, s4
	v_cmp_gt_f32_e64 s4, v14, v13
	s_delay_alu instid0(VALU_DEP_2) | instskip(NEXT) | instid1(VALU_DEP_2)
	v_lshlrev_b32_e32 v15, 2, v10
	v_cndmask_b32_e64 v14, v13, v14, s4
	v_cmp_gt_f32_e64 s4, v3, v7
	s_delay_alu instid0(VALU_DEP_1) | instskip(NEXT) | instid1(VALU_DEP_3)
	v_cndmask_b32_e64 v3, v7, v3, s4
	v_cmp_gt_f32_e64 s4, v14, v11
	s_delay_alu instid0(VALU_DEP_1) | instskip(SKIP_4) | instid1(VALU_DEP_1)
	v_cndmask_b32_e64 v10, v11, v14, s4
	ds_bpermute_b32 v14, v15, v3
	v_cmp_gt_i32_e64 s4, 32, v17
	ds_bpermute_b32 v16, v15, v10
	v_cndmask_b32_e64 v17, v2, v17, s4
	v_lshlrev_b32_e32 v17, 2, v17
	s_waitcnt lgkmcnt(1)
	v_cmp_lt_f32_e64 s4, v3, v14
	s_delay_alu instid0(VALU_DEP_1)
	v_cndmask_b32_e64 v3, v3, v14, s4
	s_waitcnt lgkmcnt(0)
	v_cmp_lt_f32_e64 s4, v10, v16
	ds_bpermute_b32 v14, v17, v3
	v_cndmask_b32_e64 v10, v10, v16, s4
	v_cmp_gt_i32_e64 s4, 32, v18
	ds_bpermute_b32 v16, v17, v10
	v_cndmask_b32_e64 v18, v2, v18, s4
	s_delay_alu instid0(VALU_DEP_1) | instskip(SKIP_2) | instid1(VALU_DEP_1)
	v_lshlrev_b32_e32 v18, 2, v18
	s_waitcnt lgkmcnt(1)
	v_cmp_lt_f32_e64 s4, v3, v14
	v_cndmask_b32_e64 v3, v3, v14, s4
	s_waitcnt lgkmcnt(0)
	v_cmp_lt_f32_e64 s4, v10, v16
	ds_bpermute_b32 v14, v18, v3
	v_cndmask_b32_e64 v10, v10, v16, s4
	v_cmp_gt_i32_e64 s4, 32, v19
	ds_bpermute_b32 v16, v18, v10
	v_cndmask_b32_e64 v19, v2, v19, s4
	s_delay_alu instid0(VALU_DEP_1) | instskip(SKIP_2) | instid1(VALU_DEP_1)
	v_lshlrev_b32_e32 v19, 2, v19
	s_waitcnt lgkmcnt(1)
	v_cmp_lt_f32_e64 s4, v3, v14
	;; [unrolled: 12-line block ×3, first 2 shown]
	v_cndmask_b32_e64 v2, v3, v14, s4
	s_waitcnt lgkmcnt(0)
	v_cmp_lt_f32_e64 s4, v10, v16
	s_delay_alu instid0(VALU_DEP_1) | instskip(SKIP_4) | instid1(VALU_DEP_1)
	v_cndmask_b32_e64 v3, v10, v16, s4
	ds_bpermute_b32 v10, v20, v2
	ds_bpermute_b32 v14, v20, v3
	s_waitcnt lgkmcnt(1)
	v_cmp_lt_f32_e64 s4, v2, v10
	v_cndmask_b32_e64 v10, v2, v10, s4
	s_waitcnt lgkmcnt(0)
	v_cmp_lt_f32_e64 s4, v3, v14
	s_delay_alu instid0(VALU_DEP_2) | instskip(NEXT) | instid1(VALU_DEP_2)
	v_sub_f32_e32 v2, v8, v10
	v_cndmask_b32_e64 v14, v3, v14, s4
	v_sub_f32_e32 v8, v9, v10
	v_sub_f32_e32 v6, v6, v10
	;; [unrolled: 1-line block ×3, first 2 shown]
	v_cmp_ngt_f32_e64 s4, 0xc2ce8ed0, v2
	v_sub_f32_e32 v9, v11, v14
	v_sub_f32_e32 v7, v13, v14
	v_mul_f32_e32 v11, 0x3fb8aa3b, v2
	v_sub_f32_e32 v3, v12, v14
	s_delay_alu instid0(VALU_DEP_4) | instskip(SKIP_1) | instid1(VALU_DEP_4)
	v_mul_f32_e32 v23, 0x3fb8aa3b, v9
	v_mul_f32_e32 v13, 0x3fb8aa3b, v8
	v_rndne_f32_e32 v25, v11
	v_sub_f32_e32 v4, v4, v14
	s_delay_alu instid0(VALU_DEP_4) | instskip(NEXT) | instid1(VALU_DEP_4)
	v_rndne_f32_e32 v39, v23
	v_rndne_f32_e32 v29, v13
	v_fma_f32 v28, 0x3fb8aa3b, v8, -v13
	s_delay_alu instid0(VALU_DEP_2) | instskip(NEXT) | instid1(VALU_DEP_2)
	v_dual_sub_f32 v13, v13, v29 :: v_dual_mul_f32 v14, 0x3fb8aa3b, v10
	v_fmac_f32_e32 v28, 0x32a5705f, v8
	v_fma_f32 v38, 0x3fb8aa3b, v9, -v23
	v_sub_f32_e32 v23, v23, v39
	v_cvt_i32_f32_e32 v29, v29
	v_rndne_f32_e32 v31, v14
	v_fma_f32 v30, 0x3fb8aa3b, v10, -v14
	v_dual_add_f32 v13, v13, v28 :: v_dual_fmac_f32 v38, 0x32a5705f, v9
	s_delay_alu instid0(VALU_DEP_3)
	v_sub_f32_e32 v14, v14, v31
	v_fma_f32 v24, 0x3fb8aa3b, v2, -v11
	v_sub_f32_e32 v11, v11, v25
	v_mul_f32_e32 v21, 0x3fb8aa3b, v4
	v_cvt_i32_f32_e32 v25, v25
	v_fmac_f32_e32 v30, 0x32a5705f, v10
	v_fmac_f32_e32 v24, 0x32a5705f, v2
	v_exp_f32_e32 v13, v13
	v_rndne_f32_e32 v35, v21
	v_mul_f32_e32 v12, 0x3fb8aa3b, v6
	v_fma_f32 v34, 0x3fb8aa3b, v4, -v21
	v_dual_add_f32 v11, v11, v24 :: v_dual_add_f32 v14, v14, v30
	s_delay_alu instid0(VALU_DEP_4) | instskip(NEXT) | instid1(VALU_DEP_4)
	v_sub_f32_e32 v21, v21, v35
	v_fma_f32 v26, 0x3fb8aa3b, v6, -v12
	v_rndne_f32_e32 v27, v12
	s_delay_alu instid0(VALU_DEP_4) | instskip(SKIP_1) | instid1(VALU_DEP_3)
	v_exp_f32_e32 v11, v11
	v_dual_fmac_f32 v34, 0x32a5705f, v4 :: v_dual_add_f32 v23, v23, v38
	v_fmac_f32_e32 v26, 0x32a5705f, v6
	s_delay_alu instid0(VALU_DEP_3)
	v_sub_f32_e32 v12, v12, v27
	v_mul_f32_e32 v22, 0x3fb8aa3b, v7
	v_mul_f32_e32 v16, 0x3fb8aa3b, v3
	v_cvt_i32_f32_e32 v27, v27
	v_add_f32_e32 v21, v21, v34
	v_add_f32_e32 v12, v12, v26
	s_delay_alu instid0(TRANS32_DEP_1)
	v_ldexp_f32 v11, v11, v25
	v_fma_f32 v32, 0x3fb8aa3b, v3, -v16
	v_rndne_f32_e32 v33, v16
	v_fma_f32 v36, 0x3fb8aa3b, v7, -v22
	v_exp_f32_e32 v12, v12
	v_rndne_f32_e32 v37, v22
	v_fmac_f32_e32 v32, 0x32a5705f, v3
	v_sub_f32_e32 v16, v16, v33
	v_exp_f32_e32 v14, v14
	v_cndmask_b32_e64 v11, 0, v11, s4
	v_cmp_ngt_f32_e64 s4, 0xc2ce8ed0, v6
	v_cvt_i32_f32_e32 v31, v31
	v_add_f32_e32 v16, v16, v32
	v_fmac_f32_e32 v36, 0x32a5705f, v7
	v_ldexp_f32 v12, v12, v27
	v_sub_f32_e32 v22, v22, v37
	v_ldexp_f32 v13, v13, v29
	v_exp_f32_e32 v16, v16
	v_cvt_i32_f32_e32 v33, v33
	v_cndmask_b32_e64 v12, 0, v12, s4
	v_cmp_ngt_f32_e64 s4, 0xc2ce8ed0, v8
	v_add_f32_e32 v22, v22, v36
	v_exp_f32_e32 v21, v21
	v_ldexp_f32 v14, v14, v31
	v_cvt_i32_f32_e32 v35, v35
	v_cndmask_b32_e64 v13, 0, v13, s4
	v_cmp_ngt_f32_e64 s4, 0xc2ce8ed0, v10
	v_exp_f32_e32 v22, v22
	v_ldexp_f32 v16, v16, v33
	v_exp_f32_e32 v23, v23
	v_cvt_i32_f32_e32 v24, v37
	v_cndmask_b32_e64 v14, 0, v14, s4
	v_cmp_ngt_f32_e64 s4, 0xc2ce8ed0, v3
	v_ldexp_f32 v21, v21, v35
	v_cvt_i32_f32_e32 v26, v39
	s_delay_alu instid0(VALU_DEP_3)
	v_cndmask_b32_e64 v16, 0, v16, s4
	v_cmp_ngt_f32_e64 s4, 0xc2ce8ed0, v4
	v_ldexp_f32 v22, v22, v24
	s_delay_alu instid0(TRANS32_DEP_1) | instid1(VALU_DEP_4)
	v_ldexp_f32 v23, v23, v26
	s_delay_alu instid0(VALU_DEP_3) | instskip(SKIP_1) | instid1(VALU_DEP_1)
	v_cndmask_b32_e64 v21, 0, v21, s4
	v_cmp_ngt_f32_e64 s4, 0xc2ce8ed0, v7
	v_cndmask_b32_e64 v22, 0, v22, s4
	v_cmp_ngt_f32_e64 s4, 0xc2ce8ed0, v9
	s_delay_alu instid0(VALU_DEP_1) | instskip(SKIP_1) | instid1(VALU_DEP_1)
	v_cndmask_b32_e64 v23, 0, v23, s4
	v_cmp_nlt_f32_e64 s4, 0x42b17218, v2
	v_cndmask_b32_e64 v11, 0x7f800000, v11, s4
	v_cmp_nlt_f32_e64 s4, 0x42b17218, v6
	s_delay_alu instid0(VALU_DEP_1) | instskip(SKIP_1) | instid1(VALU_DEP_2)
	v_cndmask_b32_e64 v12, 0x7f800000, v12, s4
	v_cmp_nlt_f32_e64 s4, 0x42b17218, v3
	v_add_f32_e32 v11, v11, v12
	s_delay_alu instid0(VALU_DEP_2) | instskip(SKIP_1) | instid1(VALU_DEP_1)
	v_cndmask_b32_e64 v16, 0x7f800000, v16, s4
	v_cmp_nlt_f32_e64 s4, 0x42b17218, v4
	v_cndmask_b32_e64 v21, 0x7f800000, v21, s4
	v_cmp_nlt_f32_e64 s4, 0x42b17218, v8
	s_delay_alu instid0(VALU_DEP_2) | instskip(NEXT) | instid1(VALU_DEP_2)
	v_add_f32_e32 v12, v16, v21
	v_cndmask_b32_e64 v13, 0x7f800000, v13, s4
	v_cmp_nlt_f32_e64 s4, 0x42b17218, v7
	s_delay_alu instid0(VALU_DEP_2) | instskip(NEXT) | instid1(VALU_DEP_2)
	v_add_f32_e32 v11, v11, v13
	;; [unrolled: 4-line block ×4, first 2 shown]
	v_cndmask_b32_e64 v16, 0x7f800000, v23, s4
	ds_bpermute_b32 v13, v15, v11
	v_add_f32_e32 v12, v12, v16
	ds_bpermute_b32 v14, v15, v12
	s_waitcnt lgkmcnt(1)
	v_add_f32_e32 v11, v11, v13
	ds_bpermute_b32 v13, v17, v11
	s_waitcnt lgkmcnt(1)
	;; [unrolled: 3-line block ×7, first 2 shown]
	v_add_f32_e32 v13, v11, v13
	s_waitcnt lgkmcnt(0)
	v_add_f32_e32 v11, v12, v14
	ds_bpermute_b32 v14, v20, v13
	ds_bpermute_b32 v12, v20, v11
	s_and_saveexec_b32 s4, s3
	s_cbranch_execz .LBB120_28
; %bb.17:
	v_lshlrev_b64 v[0:1], 2, v[0:1]
	s_delay_alu instid0(VALU_DEP_1) | instskip(NEXT) | instid1(VALU_DEP_1)
	v_add_co_u32 v0, s3, s16, v0
	v_add_co_ci_u32_e64 v1, s3, s17, v1, s3
	s_and_saveexec_b32 s5, s1
	s_cbranch_execz .LBB120_22
; %bb.18:
	s_waitcnt lgkmcnt(1)
	v_add_f32_e32 v13, v13, v14
	s_delay_alu instid0(VALU_DEP_1) | instskip(NEXT) | instid1(VALU_DEP_1)
	v_cmp_gt_f32_e64 s3, 0x800000, v13
	v_cndmask_b32_e64 v14, 1.0, 0x4f800000, s3
	s_delay_alu instid0(VALU_DEP_1) | instskip(NEXT) | instid1(VALU_DEP_1)
	v_mul_f32_e32 v13, v13, v14
	v_log_f32_e32 v13, v13
	s_waitcnt_depctr 0xfff
	v_mul_f32_e32 v14, 0x3f317217, v13
	v_cmp_gt_f32_e64 s4, 0x7f800000, |v13|
	s_delay_alu instid0(VALU_DEP_2) | instskip(NEXT) | instid1(VALU_DEP_1)
	v_fma_f32 v15, 0x3f317217, v13, -v14
	v_fmamk_f32 v15, v13, 0x3377d1cf, v15
	s_delay_alu instid0(VALU_DEP_1) | instskip(NEXT) | instid1(VALU_DEP_1)
	v_add_f32_e32 v14, v14, v15
	v_cndmask_b32_e64 v13, v13, v14, s4
	v_cndmask_b32_e64 v14, 0, 0x41b17218, s3
	s_delay_alu instid0(VALU_DEP_1) | instskip(NEXT) | instid1(VALU_DEP_1)
	v_sub_f32_e32 v13, v13, v14
	v_sub_f32_e32 v2, v2, v13
	global_store_b32 v[0:1], v2, off
	s_and_b32 exec_lo, exec_lo, vcc_lo
	s_cbranch_execz .LBB120_22
; %bb.19:
	v_sub_f32_e32 v2, v6, v13
	global_store_b32 v[0:1], v2, off offset:128
	s_and_b32 exec_lo, exec_lo, s0
	s_cbranch_execz .LBB120_22
; %bb.20:
	v_sub_f32_e32 v2, v8, v13
	global_store_b32 v[0:1], v2, off offset:256
	s_and_b32 exec_lo, exec_lo, s2
	s_cbranch_execz .LBB120_22
; %bb.21:
	v_sub_f32_e32 v2, v10, v13
	global_store_b32 v[0:1], v2, off offset:384
.LBB120_22:
	s_or_b32 exec_lo, exec_lo, s5
	v_cmp_ne_u32_e64 s3, 1, v5
	s_delay_alu instid0(VALU_DEP_1)
	s_and_b32 exec_lo, exec_lo, s3
	s_cbranch_execz .LBB120_28
; %bb.23:
	s_and_b32 exec_lo, exec_lo, s1
	s_cbranch_execz .LBB120_28
; %bb.24:
	s_waitcnt lgkmcnt(0)
	v_add_f32_e32 v2, v11, v12
	s_ashr_i32 s23, s22, 31
	s_delay_alu instid0(SALU_CYCLE_1) | instskip(NEXT) | instid1(VALU_DEP_1)
	s_lshl_b64 s[4:5], s[22:23], 2
	v_cmp_gt_f32_e64 s1, 0x800000, v2
	s_delay_alu instid0(VALU_DEP_1) | instskip(NEXT) | instid1(VALU_DEP_1)
	v_cndmask_b32_e64 v5, 1.0, 0x4f800000, s1
	v_mul_f32_e32 v2, v2, v5
	s_delay_alu instid0(VALU_DEP_1) | instskip(SKIP_2) | instid1(VALU_DEP_1)
	v_log_f32_e32 v2, v2
	s_waitcnt_depctr 0xfff
	v_mul_f32_e32 v5, 0x3f317217, v2
	v_fma_f32 v6, 0x3f317217, v2, -v5
	s_delay_alu instid0(VALU_DEP_1) | instskip(NEXT) | instid1(VALU_DEP_1)
	v_fmamk_f32 v6, v2, 0x3377d1cf, v6
	v_add_f32_e32 v5, v5, v6
	v_cndmask_b32_e64 v6, 0, 0x41b17218, s1
	v_cmp_gt_f32_e64 s1, 0x7f800000, |v2|
	s_delay_alu instid0(VALU_DEP_1) | instskip(SKIP_1) | instid1(VALU_DEP_1)
	v_cndmask_b32_e64 v2, v2, v5, s1
	v_add_co_u32 v0, s1, v0, s4
	v_add_co_ci_u32_e64 v1, s1, s5, v1, s1
	s_delay_alu instid0(VALU_DEP_3) | instskip(NEXT) | instid1(VALU_DEP_1)
	v_sub_f32_e32 v2, v2, v6
	v_sub_f32_e32 v3, v3, v2
	global_store_b32 v[0:1], v3, off
	s_and_b32 exec_lo, exec_lo, vcc_lo
	s_cbranch_execz .LBB120_28
; %bb.25:
	v_sub_f32_e32 v3, v4, v2
	global_store_b32 v[0:1], v3, off offset:128
	s_and_b32 exec_lo, exec_lo, s0
	s_cbranch_execz .LBB120_28
; %bb.26:
	v_sub_f32_e32 v3, v7, v2
	global_store_b32 v[0:1], v3, off offset:256
	s_and_b32 exec_lo, exec_lo, s2
	s_cbranch_execz .LBB120_28
; %bb.27:
	v_sub_f32_e32 v2, v9, v2
	global_store_b32 v[0:1], v2, off offset:384
.LBB120_28:
	s_nop 0
	s_sendmsg sendmsg(MSG_DEALLOC_VGPRS)
	s_endpgm
	.section	.rodata,"a",@progbits
	.p2align	6, 0x0
	.amdhsa_kernel _ZN12_GLOBAL__N_120softmax_warp_forwardIN3c104HalfEffLi7ELb1ELb0ELi32EEEvPT0_PKT_iiiPKbib
		.amdhsa_group_segment_fixed_size 0
		.amdhsa_private_segment_fixed_size 0
		.amdhsa_kernarg_size 304
		.amdhsa_user_sgpr_count 15
		.amdhsa_user_sgpr_dispatch_ptr 0
		.amdhsa_user_sgpr_queue_ptr 0
		.amdhsa_user_sgpr_kernarg_segment_ptr 1
		.amdhsa_user_sgpr_dispatch_id 0
		.amdhsa_user_sgpr_private_segment_size 0
		.amdhsa_wavefront_size32 1
		.amdhsa_uses_dynamic_stack 0
		.amdhsa_enable_private_segment 0
		.amdhsa_system_sgpr_workgroup_id_x 1
		.amdhsa_system_sgpr_workgroup_id_y 0
		.amdhsa_system_sgpr_workgroup_id_z 0
		.amdhsa_system_sgpr_workgroup_info 0
		.amdhsa_system_vgpr_workitem_id 1
		.amdhsa_next_free_vgpr 40
		.amdhsa_next_free_sgpr 24
		.amdhsa_reserve_vcc 1
		.amdhsa_float_round_mode_32 0
		.amdhsa_float_round_mode_16_64 0
		.amdhsa_float_denorm_mode_32 3
		.amdhsa_float_denorm_mode_16_64 3
		.amdhsa_dx10_clamp 1
		.amdhsa_ieee_mode 1
		.amdhsa_fp16_overflow 0
		.amdhsa_workgroup_processor_mode 1
		.amdhsa_memory_ordered 1
		.amdhsa_forward_progress 0
		.amdhsa_shared_vgpr_count 0
		.amdhsa_exception_fp_ieee_invalid_op 0
		.amdhsa_exception_fp_denorm_src 0
		.amdhsa_exception_fp_ieee_div_zero 0
		.amdhsa_exception_fp_ieee_overflow 0
		.amdhsa_exception_fp_ieee_underflow 0
		.amdhsa_exception_fp_ieee_inexact 0
		.amdhsa_exception_int_div_zero 0
	.end_amdhsa_kernel
	.section	.text._ZN12_GLOBAL__N_120softmax_warp_forwardIN3c104HalfEffLi7ELb1ELb0ELi32EEEvPT0_PKT_iiiPKbib,"axG",@progbits,_ZN12_GLOBAL__N_120softmax_warp_forwardIN3c104HalfEffLi7ELb1ELb0ELi32EEEvPT0_PKT_iiiPKbib,comdat
.Lfunc_end120:
	.size	_ZN12_GLOBAL__N_120softmax_warp_forwardIN3c104HalfEffLi7ELb1ELb0ELi32EEEvPT0_PKT_iiiPKbib, .Lfunc_end120-_ZN12_GLOBAL__N_120softmax_warp_forwardIN3c104HalfEffLi7ELb1ELb0ELi32EEEvPT0_PKT_iiiPKbib
                                        ; -- End function
	.section	.AMDGPU.csdata,"",@progbits
; Kernel info:
; codeLenInByte = 2796
; NumSgprs: 26
; NumVgprs: 40
; ScratchSize: 0
; MemoryBound: 0
; FloatMode: 240
; IeeeMode: 1
; LDSByteSize: 0 bytes/workgroup (compile time only)
; SGPRBlocks: 3
; VGPRBlocks: 4
; NumSGPRsForWavesPerEU: 26
; NumVGPRsForWavesPerEU: 40
; Occupancy: 16
; WaveLimiterHint : 0
; COMPUTE_PGM_RSRC2:SCRATCH_EN: 0
; COMPUTE_PGM_RSRC2:USER_SGPR: 15
; COMPUTE_PGM_RSRC2:TRAP_HANDLER: 0
; COMPUTE_PGM_RSRC2:TGID_X_EN: 1
; COMPUTE_PGM_RSRC2:TGID_Y_EN: 0
; COMPUTE_PGM_RSRC2:TGID_Z_EN: 0
; COMPUTE_PGM_RSRC2:TIDIG_COMP_CNT: 1
	.section	.text._ZN12_GLOBAL__N_120softmax_warp_forwardIN3c104HalfEffLi8ELb1ELb0ELi64EEEvPT0_PKT_iiiPKbib,"axG",@progbits,_ZN12_GLOBAL__N_120softmax_warp_forwardIN3c104HalfEffLi8ELb1ELb0ELi64EEEvPT0_PKT_iiiPKbib,comdat
	.globl	_ZN12_GLOBAL__N_120softmax_warp_forwardIN3c104HalfEffLi8ELb1ELb0ELi64EEEvPT0_PKT_iiiPKbib ; -- Begin function _ZN12_GLOBAL__N_120softmax_warp_forwardIN3c104HalfEffLi8ELb1ELb0ELi64EEEvPT0_PKT_iiiPKbib
	.p2align	8
	.type	_ZN12_GLOBAL__N_120softmax_warp_forwardIN3c104HalfEffLi8ELb1ELb0ELi64EEEvPT0_PKT_iiiPKbib,@function
_ZN12_GLOBAL__N_120softmax_warp_forwardIN3c104HalfEffLi8ELb1ELb0ELi64EEEvPT0_PKT_iiiPKbib: ; @_ZN12_GLOBAL__N_120softmax_warp_forwardIN3c104HalfEffLi8ELb1ELb0ELi64EEEvPT0_PKT_iiiPKbib
; %bb.0:
	s_clause 0x1
	s_load_b32 s2, s[0:1], 0x3c
	s_load_b256 s[4:11], s[0:1], 0x0
	v_bfe_u32 v1, v0, 10, 10
	v_mov_b32_e32 v6, 0xff800000
	v_mov_b32_e32 v8, 0xff800000
	s_waitcnt lgkmcnt(0)
	s_lshr_b32 s0, s2, 16
	s_delay_alu instid0(SALU_CYCLE_1) | instskip(SKIP_1) | instid1(VALU_DEP_1)
	v_mad_u64_u32 v[3:4], null, s15, s0, v[1:2]
	v_and_b32_e32 v2, 0x3ff, v0
	v_cmp_gt_i32_e64 s0, s10, v2
	s_delay_alu instid0(VALU_DEP_3) | instskip(SKIP_1) | instid1(VALU_DEP_1)
	v_mad_u64_u32 v[0:1], null, v3, s9, v[2:3]
	v_sub_nc_u32_e32 v5, s8, v3
	v_cmp_lt_i32_e64 s3, 0, v5
	s_delay_alu instid0(VALU_DEP_3) | instskip(NEXT) | instid1(VALU_DEP_2)
	v_ashrrev_i32_e32 v1, 31, v0
	s_and_b32 s2, s3, s0
	s_delay_alu instid0(VALU_DEP_1) | instskip(NEXT) | instid1(VALU_DEP_1)
	v_lshlrev_b64 v[3:4], 1, v[0:1]
	v_add_co_u32 v3, vcc_lo, s6, v3
	s_delay_alu instid0(VALU_DEP_2)
	v_add_co_ci_u32_e32 v4, vcc_lo, s7, v4, vcc_lo
	s_and_saveexec_b32 s1, s2
	s_cbranch_execz .LBB121_2
; %bb.1:
	global_load_u16 v7, v[3:4], off
	s_waitcnt vmcnt(0)
	v_cvt_f32_f16_e32 v8, v7
.LBB121_2:
	s_or_b32 exec_lo, exec_lo, s1
	v_add_nc_u32_e32 v7, 64, v2
	s_delay_alu instid0(VALU_DEP_1) | instskip(SKIP_1) | instid1(SALU_CYCLE_1)
	v_cmp_gt_i32_e32 vcc_lo, s10, v7
	s_and_b32 s2, s3, vcc_lo
	s_and_saveexec_b32 s1, s2
	s_cbranch_execz .LBB121_4
; %bb.3:
	global_load_u16 v6, v[3:4], off offset:128
	s_waitcnt vmcnt(0)
	v_cvt_f32_f16_e32 v6, v6
.LBB121_4:
	s_or_b32 exec_lo, exec_lo, s1
	v_add_nc_u32_e32 v7, 0x80, v2
	v_mov_b32_e32 v9, 0xff800000
	s_delay_alu instid0(VALU_DEP_2) | instskip(SKIP_1) | instid1(VALU_DEP_2)
	v_cmp_gt_i32_e64 s1, s10, v7
	v_mov_b32_e32 v7, 0xff800000
	s_and_b32 s6, s3, s1
	s_delay_alu instid0(SALU_CYCLE_1)
	s_and_saveexec_b32 s2, s6
	s_cbranch_execz .LBB121_6
; %bb.5:
	global_load_u16 v9, v[3:4], off offset:256
	s_waitcnt vmcnt(0)
	v_cvt_f32_f16_e32 v9, v9
.LBB121_6:
	s_or_b32 exec_lo, exec_lo, s2
	v_add_nc_u32_e32 v2, 0xc0, v2
	s_delay_alu instid0(VALU_DEP_1) | instskip(NEXT) | instid1(VALU_DEP_1)
	v_cmp_gt_i32_e64 s2, s10, v2
	s_and_b32 s6, s3, s2
	s_delay_alu instid0(SALU_CYCLE_1)
	s_and_saveexec_b32 s3, s6
	s_cbranch_execz .LBB121_8
; %bb.7:
	global_load_u16 v2, v[3:4], off offset:384
	s_waitcnt vmcnt(0)
	v_cvt_f32_f16_e32 v7, v2
.LBB121_8:
	s_or_b32 exec_lo, exec_lo, s3
	v_cmp_gt_f32_e64 s3, v8, v6
	v_mbcnt_lo_u32_b32 v2, -1, 0
	s_mov_b32 s6, exec_lo
	s_delay_alu instid0(VALU_DEP_2) | instskip(NEXT) | instid1(VALU_DEP_2)
	v_cndmask_b32_e64 v3, v6, v8, s3
	v_or_b32_e32 v4, 32, v2
	v_xor_b32_e32 v11, 16, v2
	v_xor_b32_e32 v12, 8, v2
	;; [unrolled: 1-line block ×3, first 2 shown]
	v_cmp_gt_f32_e64 s3, v3, v9
	v_xor_b32_e32 v14, 2, v2
	v_xor_b32_e32 v15, 1, v2
	s_delay_alu instid0(VALU_DEP_3) | instskip(SKIP_1) | instid1(VALU_DEP_1)
	v_cndmask_b32_e64 v3, v9, v3, s3
	v_cmp_gt_i32_e64 s3, 64, v4
	v_cndmask_b32_e64 v4, v2, v4, s3
	s_delay_alu instid0(VALU_DEP_3) | instskip(NEXT) | instid1(VALU_DEP_2)
	v_cmp_gt_f32_e64 s3, v3, v7
	v_lshlrev_b32_e32 v10, 2, v4
	s_delay_alu instid0(VALU_DEP_2) | instskip(SKIP_3) | instid1(VALU_DEP_1)
	v_cndmask_b32_e64 v3, v7, v3, s3
	v_cmp_gt_i32_e64 s3, 64, v11
	ds_bpermute_b32 v4, v10, v3
	v_cndmask_b32_e64 v11, v2, v11, s3
	v_lshlrev_b32_e32 v11, 2, v11
	s_waitcnt lgkmcnt(0)
	v_cmp_lt_f32_e64 s3, v3, v4
	s_delay_alu instid0(VALU_DEP_1) | instskip(SKIP_3) | instid1(VALU_DEP_1)
	v_cndmask_b32_e64 v3, v3, v4, s3
	v_cmp_gt_i32_e64 s3, 64, v12
	ds_bpermute_b32 v4, v11, v3
	v_cndmask_b32_e64 v12, v2, v12, s3
	v_lshlrev_b32_e32 v12, 2, v12
	s_waitcnt lgkmcnt(0)
	v_cmp_lt_f32_e64 s3, v3, v4
	s_delay_alu instid0(VALU_DEP_1) | instskip(SKIP_3) | instid1(VALU_DEP_1)
	;; [unrolled: 8-line block ×5, first 2 shown]
	v_cndmask_b32_e64 v2, v3, v4, s3
	ds_bpermute_b32 v3, v15, v2
	s_waitcnt lgkmcnt(0)
	v_cmp_lt_f32_e64 s3, v2, v3
	v_cndmask_b32_e64 v16, v2, v3, s3
	s_delay_alu instid0(VALU_DEP_1) | instskip(SKIP_2) | instid1(VALU_DEP_3)
	v_sub_f32_e32 v2, v8, v16
	v_sub_f32_e32 v3, v6, v16
	;; [unrolled: 1-line block ×3, first 2 shown]
	v_dual_sub_f32 v4, v9, v16 :: v_dual_mul_f32 v7, 0x3fb8aa3b, v2
	s_delay_alu instid0(VALU_DEP_3) | instskip(SKIP_1) | instid1(VALU_DEP_3)
	v_mul_f32_e32 v8, 0x3fb8aa3b, v3
	v_cmp_ngt_f32_e64 s3, 0xc2ce8ed0, v2
	v_mul_f32_e32 v9, 0x3fb8aa3b, v4
	s_delay_alu instid0(VALU_DEP_4)
	v_fma_f32 v17, 0x3fb8aa3b, v2, -v7
	v_rndne_f32_e32 v18, v7
	v_rndne_f32_e32 v20, v8
	v_fma_f32 v19, 0x3fb8aa3b, v3, -v8
	v_fma_f32 v21, 0x3fb8aa3b, v4, -v9
	v_fmac_f32_e32 v17, 0x32a5705f, v2
	s_delay_alu instid0(VALU_DEP_4) | instskip(SKIP_3) | instid1(VALU_DEP_4)
	v_dual_sub_f32 v7, v7, v18 :: v_dual_sub_f32 v8, v8, v20
	v_mul_f32_e32 v16, 0x3fb8aa3b, v6
	v_rndne_f32_e32 v22, v9
	v_cvt_i32_f32_e32 v18, v18
	v_add_f32_e32 v7, v7, v17
	s_delay_alu instid0(VALU_DEP_4) | instskip(SKIP_2) | instid1(VALU_DEP_4)
	v_fma_f32 v23, 0x3fb8aa3b, v6, -v16
	v_rndne_f32_e32 v17, v16
	v_fmac_f32_e32 v19, 0x32a5705f, v3
	v_exp_f32_e32 v7, v7
	s_delay_alu instid0(VALU_DEP_2) | instskip(NEXT) | instid1(VALU_DEP_2)
	v_dual_fmac_f32 v23, 0x32a5705f, v6 :: v_dual_sub_f32 v16, v16, v17
	v_dual_fmac_f32 v21, 0x32a5705f, v4 :: v_dual_add_f32 v8, v8, v19
	v_sub_f32_e32 v9, v9, v22
	v_cvt_i32_f32_e32 v19, v20
	s_delay_alu instid0(VALU_DEP_4) | instskip(SKIP_3) | instid1(TRANS32_DEP_2)
	v_add_f32_e32 v16, v16, v23
	v_cvt_i32_f32_e32 v20, v22
	v_exp_f32_e32 v8, v8
	v_add_f32_e32 v9, v9, v21
	v_ldexp_f32 v7, v7, v18
	v_exp_f32_e32 v16, v16
	v_cvt_i32_f32_e32 v17, v17
	s_delay_alu instid0(VALU_DEP_3) | instskip(NEXT) | instid1(VALU_DEP_2)
	v_exp_f32_e32 v9, v9
	v_cndmask_b32_e64 v7, 0, v7, s3
	v_cmp_ngt_f32_e64 s3, 0xc2ce8ed0, v3
	s_delay_alu instid0(TRANS32_DEP_3)
	v_ldexp_f32 v8, v8, v19
	s_waitcnt_depctr 0xfff
	v_ldexp_f32 v16, v16, v17
	v_cndmask_b32_e64 v8, 0, v8, s3
	v_ldexp_f32 v9, v9, v20
	v_cmp_ngt_f32_e64 s3, 0xc2ce8ed0, v4
	s_delay_alu instid0(VALU_DEP_1) | instskip(SKIP_1) | instid1(VALU_DEP_1)
	v_cndmask_b32_e64 v9, 0, v9, s3
	v_cmp_nlt_f32_e64 s3, 0x42b17218, v2
	v_cndmask_b32_e64 v7, 0x7f800000, v7, s3
	v_cmp_nlt_f32_e64 s3, 0x42b17218, v3
	s_delay_alu instid0(VALU_DEP_1) | instskip(SKIP_1) | instid1(VALU_DEP_2)
	v_cndmask_b32_e64 v8, 0x7f800000, v8, s3
	v_cmp_nlt_f32_e64 s3, 0x42b17218, v4
	v_add_f32_e32 v7, v7, v8
	s_delay_alu instid0(VALU_DEP_2) | instskip(SKIP_1) | instid1(VALU_DEP_2)
	v_cndmask_b32_e64 v9, 0x7f800000, v9, s3
	v_cmp_ngt_f32_e64 s3, 0xc2ce8ed0, v6
	v_add_f32_e32 v7, v7, v9
	s_delay_alu instid0(VALU_DEP_2) | instskip(SKIP_1) | instid1(VALU_DEP_1)
	v_cndmask_b32_e64 v8, 0, v16, s3
	v_cmp_nlt_f32_e64 s3, 0x42b17218, v6
	v_cndmask_b32_e64 v8, 0x7f800000, v8, s3
	s_delay_alu instid0(VALU_DEP_1)
	v_add_f32_e32 v7, v7, v8
	ds_bpermute_b32 v8, v10, v7
	s_waitcnt lgkmcnt(0)
	v_add_f32_e32 v7, v7, v8
	ds_bpermute_b32 v8, v11, v7
	s_waitcnt lgkmcnt(0)
	;; [unrolled: 3-line block ×5, first 2 shown]
	v_add_f32_e32 v7, v7, v8
	ds_bpermute_b32 v8, v15, v7
	v_cmpx_lt_i32_e32 0, v5
	s_cbranch_execz .LBB121_14
; %bb.9:
	s_and_b32 exec_lo, exec_lo, s0
	s_cbranch_execz .LBB121_14
; %bb.10:
	s_waitcnt lgkmcnt(0)
	v_add_f32_e32 v5, v7, v8
	v_lshlrev_b64 v[0:1], 2, v[0:1]
	s_delay_alu instid0(VALU_DEP_2) | instskip(NEXT) | instid1(VALU_DEP_1)
	v_cmp_gt_f32_e64 s0, 0x800000, v5
	v_cndmask_b32_e64 v7, 1.0, 0x4f800000, s0
	s_delay_alu instid0(VALU_DEP_1) | instskip(NEXT) | instid1(VALU_DEP_1)
	v_mul_f32_e32 v5, v5, v7
	v_log_f32_e32 v5, v5
	s_waitcnt_depctr 0xfff
	v_mul_f32_e32 v7, 0x3f317217, v5
	v_cmp_gt_f32_e64 s3, 0x7f800000, |v5|
	s_delay_alu instid0(VALU_DEP_2) | instskip(NEXT) | instid1(VALU_DEP_1)
	v_fma_f32 v8, 0x3f317217, v5, -v7
	v_fmamk_f32 v8, v5, 0x3377d1cf, v8
	s_delay_alu instid0(VALU_DEP_1) | instskip(NEXT) | instid1(VALU_DEP_1)
	v_add_f32_e32 v7, v7, v8
	v_cndmask_b32_e64 v5, v5, v7, s3
	v_cndmask_b32_e64 v7, 0, 0x41b17218, s0
	v_add_co_u32 v0, s0, s4, v0
	s_delay_alu instid0(VALU_DEP_1) | instskip(NEXT) | instid1(VALU_DEP_3)
	v_add_co_ci_u32_e64 v1, s0, s5, v1, s0
	v_sub_f32_e32 v5, v5, v7
	s_delay_alu instid0(VALU_DEP_1)
	v_sub_f32_e32 v2, v2, v5
	global_store_b32 v[0:1], v2, off
	s_and_b32 exec_lo, exec_lo, vcc_lo
	s_cbranch_execz .LBB121_14
; %bb.11:
	v_sub_f32_e32 v2, v3, v5
	global_store_b32 v[0:1], v2, off offset:256
	s_and_b32 exec_lo, exec_lo, s1
	s_cbranch_execz .LBB121_14
; %bb.12:
	v_sub_f32_e32 v2, v4, v5
	global_store_b32 v[0:1], v2, off offset:512
	s_and_b32 exec_lo, exec_lo, s2
	s_cbranch_execz .LBB121_14
; %bb.13:
	v_sub_f32_e32 v2, v6, v5
	global_store_b32 v[0:1], v2, off offset:768
.LBB121_14:
	s_nop 0
	s_sendmsg sendmsg(MSG_DEALLOC_VGPRS)
	s_endpgm
	.section	.rodata,"a",@progbits
	.p2align	6, 0x0
	.amdhsa_kernel _ZN12_GLOBAL__N_120softmax_warp_forwardIN3c104HalfEffLi8ELb1ELb0ELi64EEEvPT0_PKT_iiiPKbib
		.amdhsa_group_segment_fixed_size 0
		.amdhsa_private_segment_fixed_size 0
		.amdhsa_kernarg_size 304
		.amdhsa_user_sgpr_count 15
		.amdhsa_user_sgpr_dispatch_ptr 0
		.amdhsa_user_sgpr_queue_ptr 0
		.amdhsa_user_sgpr_kernarg_segment_ptr 1
		.amdhsa_user_sgpr_dispatch_id 0
		.amdhsa_user_sgpr_private_segment_size 0
		.amdhsa_wavefront_size32 1
		.amdhsa_uses_dynamic_stack 0
		.amdhsa_enable_private_segment 0
		.amdhsa_system_sgpr_workgroup_id_x 1
		.amdhsa_system_sgpr_workgroup_id_y 0
		.amdhsa_system_sgpr_workgroup_id_z 0
		.amdhsa_system_sgpr_workgroup_info 0
		.amdhsa_system_vgpr_workitem_id 1
		.amdhsa_next_free_vgpr 24
		.amdhsa_next_free_sgpr 16
		.amdhsa_reserve_vcc 1
		.amdhsa_float_round_mode_32 0
		.amdhsa_float_round_mode_16_64 0
		.amdhsa_float_denorm_mode_32 3
		.amdhsa_float_denorm_mode_16_64 3
		.amdhsa_dx10_clamp 1
		.amdhsa_ieee_mode 1
		.amdhsa_fp16_overflow 0
		.amdhsa_workgroup_processor_mode 1
		.amdhsa_memory_ordered 1
		.amdhsa_forward_progress 0
		.amdhsa_shared_vgpr_count 0
		.amdhsa_exception_fp_ieee_invalid_op 0
		.amdhsa_exception_fp_denorm_src 0
		.amdhsa_exception_fp_ieee_div_zero 0
		.amdhsa_exception_fp_ieee_overflow 0
		.amdhsa_exception_fp_ieee_underflow 0
		.amdhsa_exception_fp_ieee_inexact 0
		.amdhsa_exception_int_div_zero 0
	.end_amdhsa_kernel
	.section	.text._ZN12_GLOBAL__N_120softmax_warp_forwardIN3c104HalfEffLi8ELb1ELb0ELi64EEEvPT0_PKT_iiiPKbib,"axG",@progbits,_ZN12_GLOBAL__N_120softmax_warp_forwardIN3c104HalfEffLi8ELb1ELb0ELi64EEEvPT0_PKT_iiiPKbib,comdat
.Lfunc_end121:
	.size	_ZN12_GLOBAL__N_120softmax_warp_forwardIN3c104HalfEffLi8ELb1ELb0ELi64EEEvPT0_PKT_iiiPKbib, .Lfunc_end121-_ZN12_GLOBAL__N_120softmax_warp_forwardIN3c104HalfEffLi8ELb1ELb0ELi64EEEvPT0_PKT_iiiPKbib
                                        ; -- End function
	.section	.AMDGPU.csdata,"",@progbits
; Kernel info:
; codeLenInByte = 1588
; NumSgprs: 18
; NumVgprs: 24
; ScratchSize: 0
; MemoryBound: 0
; FloatMode: 240
; IeeeMode: 1
; LDSByteSize: 0 bytes/workgroup (compile time only)
; SGPRBlocks: 2
; VGPRBlocks: 2
; NumSGPRsForWavesPerEU: 18
; NumVGPRsForWavesPerEU: 24
; Occupancy: 16
; WaveLimiterHint : 0
; COMPUTE_PGM_RSRC2:SCRATCH_EN: 0
; COMPUTE_PGM_RSRC2:USER_SGPR: 15
; COMPUTE_PGM_RSRC2:TRAP_HANDLER: 0
; COMPUTE_PGM_RSRC2:TGID_X_EN: 1
; COMPUTE_PGM_RSRC2:TGID_Y_EN: 0
; COMPUTE_PGM_RSRC2:TGID_Z_EN: 0
; COMPUTE_PGM_RSRC2:TIDIG_COMP_CNT: 1
	.section	.text._ZN12_GLOBAL__N_120softmax_warp_forwardIN3c104HalfEffLi8ELb1ELb0ELi32EEEvPT0_PKT_iiiPKbib,"axG",@progbits,_ZN12_GLOBAL__N_120softmax_warp_forwardIN3c104HalfEffLi8ELb1ELb0ELi32EEEvPT0_PKT_iiiPKbib,comdat
	.globl	_ZN12_GLOBAL__N_120softmax_warp_forwardIN3c104HalfEffLi8ELb1ELb0ELi32EEEvPT0_PKT_iiiPKbib ; -- Begin function _ZN12_GLOBAL__N_120softmax_warp_forwardIN3c104HalfEffLi8ELb1ELb0ELi32EEEvPT0_PKT_iiiPKbib
	.p2align	8
	.type	_ZN12_GLOBAL__N_120softmax_warp_forwardIN3c104HalfEffLi8ELb1ELb0ELi32EEEvPT0_PKT_iiiPKbib,@function
_ZN12_GLOBAL__N_120softmax_warp_forwardIN3c104HalfEffLi8ELb1ELb0ELi32EEEvPT0_PKT_iiiPKbib: ; @_ZN12_GLOBAL__N_120softmax_warp_forwardIN3c104HalfEffLi8ELb1ELb0ELi32EEEvPT0_PKT_iiiPKbib
; %bb.0:
	s_clause 0x1
	s_load_b32 s2, s[0:1], 0x3c
	s_load_b256 s[16:23], s[0:1], 0x0
	v_bfe_u32 v1, v0, 10, 10
	v_dual_mov_b32 v6, 0xff800000 :: v_dual_mov_b32 v9, 0xff800000
	s_waitcnt lgkmcnt(0)
	s_lshr_b32 s0, s2, 16
	s_delay_alu instid0(VALU_DEP_2) | instid1(SALU_CYCLE_1)
	v_mad_u64_u32 v[3:4], null, s15, s0, v[1:2]
	v_and_b32_e32 v2, 0x3ff, v0
	s_delay_alu instid0(VALU_DEP_1) | instskip(NEXT) | instid1(VALU_DEP_3)
	v_cmp_gt_i32_e64 s0, s22, v2
	v_mad_u64_u32 v[0:1], null, v3, s21, v[2:3]
	v_sub_nc_u32_e32 v5, s20, v3
	s_delay_alu instid0(VALU_DEP_1) | instskip(NEXT) | instid1(VALU_DEP_3)
	v_cmp_lt_i32_e64 s7, 0, v5
	v_ashrrev_i32_e32 v1, 31, v0
	s_delay_alu instid0(VALU_DEP_2) | instskip(NEXT) | instid1(VALU_DEP_1)
	s_and_b32 s2, s7, s0
	v_lshlrev_b64 v[3:4], 1, v[0:1]
	s_delay_alu instid0(VALU_DEP_1) | instskip(NEXT) | instid1(VALU_DEP_2)
	v_add_co_u32 v3, vcc_lo, s18, v3
	v_add_co_ci_u32_e32 v4, vcc_lo, s19, v4, vcc_lo
	s_and_saveexec_b32 s1, s2
	s_cbranch_execz .LBB122_2
; %bb.1:
	global_load_u16 v7, v[3:4], off
	s_waitcnt vmcnt(0)
	v_cvt_f32_f16_e32 v9, v7
.LBB122_2:
	s_or_b32 exec_lo, exec_lo, s1
	v_add_nc_u32_e32 v7, 32, v2
	s_delay_alu instid0(VALU_DEP_1) | instskip(SKIP_1) | instid1(SALU_CYCLE_1)
	v_cmp_gt_i32_e32 vcc_lo, s22, v7
	s_and_b32 s2, s7, vcc_lo
	s_and_saveexec_b32 s1, s2
	s_cbranch_execz .LBB122_4
; %bb.3:
	global_load_u16 v6, v[3:4], off offset:64
	s_waitcnt vmcnt(0)
	v_cvt_f32_f16_e32 v6, v6
.LBB122_4:
	s_or_b32 exec_lo, exec_lo, s1
	v_add_nc_u32_e32 v7, 64, v2
	v_mov_b32_e32 v11, 0xff800000
	s_delay_alu instid0(VALU_DEP_2) | instskip(SKIP_1) | instid1(VALU_DEP_2)
	v_cmp_gt_i32_e64 s1, s22, v7
	v_mov_b32_e32 v7, 0xff800000
	s_and_b32 s3, s7, s1
	s_delay_alu instid0(SALU_CYCLE_1)
	s_and_saveexec_b32 s2, s3
	s_cbranch_execz .LBB122_6
; %bb.5:
	global_load_u16 v8, v[3:4], off offset:128
	s_waitcnt vmcnt(0)
	v_cvt_f32_f16_e32 v11, v8
.LBB122_6:
	s_or_b32 exec_lo, exec_lo, s2
	v_add_nc_u32_e32 v8, 0x60, v2
	s_delay_alu instid0(VALU_DEP_1) | instskip(NEXT) | instid1(VALU_DEP_1)
	v_cmp_gt_i32_e64 s2, s22, v8
	s_and_b32 s4, s7, s2
	s_delay_alu instid0(SALU_CYCLE_1)
	s_and_saveexec_b32 s3, s4
	s_cbranch_execz .LBB122_8
; %bb.7:
	global_load_u16 v7, v[3:4], off offset:192
	s_waitcnt vmcnt(0)
	v_cvt_f32_f16_e32 v7, v7
.LBB122_8:
	s_or_b32 exec_lo, exec_lo, s3
	v_add_nc_u32_e32 v8, 0x80, v2
	v_mov_b32_e32 v12, 0xff800000
	s_delay_alu instid0(VALU_DEP_2) | instskip(SKIP_1) | instid1(VALU_DEP_2)
	v_cmp_gt_i32_e64 s3, s22, v8
	v_mov_b32_e32 v8, 0xff800000
	s_and_b32 s5, s7, s3
	s_delay_alu instid0(SALU_CYCLE_1)
	s_and_saveexec_b32 s4, s5
	s_cbranch_execz .LBB122_10
; %bb.9:
	global_load_u16 v10, v[3:4], off offset:256
	s_waitcnt vmcnt(0)
	v_cvt_f32_f16_e32 v12, v10
.LBB122_10:
	s_or_b32 exec_lo, exec_lo, s4
	v_add_nc_u32_e32 v10, 0xa0, v2
	s_delay_alu instid0(VALU_DEP_1) | instskip(NEXT) | instid1(VALU_DEP_1)
	v_cmp_gt_i32_e64 s4, s22, v10
	s_and_b32 s6, s7, s4
	s_delay_alu instid0(SALU_CYCLE_1)
	;; [unrolled: 28-line block ×3, first 2 shown]
	s_and_saveexec_b32 s7, s8
	s_cbranch_execz .LBB122_16
; %bb.15:
	global_load_u16 v2, v[3:4], off offset:448
	s_waitcnt vmcnt(0)
	v_cvt_f32_f16_e32 v10, v2
.LBB122_16:
	s_or_b32 exec_lo, exec_lo, s7
	v_cmp_gt_f32_e64 s7, v9, v6
	v_mbcnt_lo_u32_b32 v3, -1, 0
	s_mov_b32 s8, exec_lo
	s_delay_alu instid0(VALU_DEP_2) | instskip(NEXT) | instid1(VALU_DEP_2)
	v_cndmask_b32_e64 v2, v6, v9, s7
	v_xor_b32_e32 v4, 16, v3
	v_xor_b32_e32 v15, 8, v3
	v_xor_b32_e32 v16, 4, v3
	v_xor_b32_e32 v17, 2, v3
	v_cmp_gt_f32_e64 s7, v2, v11
	v_xor_b32_e32 v18, 1, v3
	s_delay_alu instid0(VALU_DEP_2) | instskip(NEXT) | instid1(VALU_DEP_1)
	v_cndmask_b32_e64 v2, v11, v2, s7
	v_cmp_gt_f32_e64 s7, v2, v7
	s_delay_alu instid0(VALU_DEP_1) | instskip(NEXT) | instid1(VALU_DEP_1)
	v_cndmask_b32_e64 v2, v7, v2, s7
	v_cmp_gt_f32_e64 s7, v2, v12
	s_delay_alu instid0(VALU_DEP_1) | instskip(NEXT) | instid1(VALU_DEP_1)
	v_cndmask_b32_e64 v2, v12, v2, s7
	v_cmp_gt_f32_e64 s7, v2, v8
	s_delay_alu instid0(VALU_DEP_1) | instskip(SKIP_1) | instid1(VALU_DEP_1)
	v_cndmask_b32_e64 v2, v8, v2, s7
	v_cmp_gt_i32_e64 s7, 32, v4
	v_cndmask_b32_e64 v4, v3, v4, s7
	s_delay_alu instid0(VALU_DEP_3) | instskip(NEXT) | instid1(VALU_DEP_2)
	v_cmp_gt_f32_e64 s7, v2, v13
	v_lshlrev_b32_e32 v14, 2, v4
	s_delay_alu instid0(VALU_DEP_2) | instskip(NEXT) | instid1(VALU_DEP_1)
	v_cndmask_b32_e64 v2, v13, v2, s7
	v_cmp_gt_f32_e64 s7, v2, v10
	s_delay_alu instid0(VALU_DEP_1) | instskip(SKIP_3) | instid1(VALU_DEP_1)
	v_cndmask_b32_e64 v2, v10, v2, s7
	v_cmp_gt_i32_e64 s7, 32, v15
	ds_bpermute_b32 v4, v14, v2
	v_cndmask_b32_e64 v15, v3, v15, s7
	v_lshlrev_b32_e32 v15, 2, v15
	s_waitcnt lgkmcnt(0)
	v_cmp_lt_f32_e64 s7, v2, v4
	s_delay_alu instid0(VALU_DEP_1) | instskip(SKIP_3) | instid1(VALU_DEP_1)
	v_cndmask_b32_e64 v2, v2, v4, s7
	v_cmp_gt_i32_e64 s7, 32, v16
	ds_bpermute_b32 v4, v15, v2
	v_cndmask_b32_e64 v16, v3, v16, s7
	v_lshlrev_b32_e32 v16, 2, v16
	s_waitcnt lgkmcnt(0)
	v_cmp_lt_f32_e64 s7, v2, v4
	;; [unrolled: 8-line block ×4, first 2 shown]
	s_delay_alu instid0(VALU_DEP_1) | instskip(SKIP_3) | instid1(VALU_DEP_1)
	v_cndmask_b32_e64 v2, v2, v4, s7
	ds_bpermute_b32 v3, v18, v2
	s_waitcnt lgkmcnt(0)
	v_cmp_lt_f32_e64 s7, v2, v3
	v_cndmask_b32_e64 v19, v2, v3, s7
	s_delay_alu instid0(VALU_DEP_1)
	v_sub_f32_e32 v2, v9, v19
	v_sub_f32_e32 v3, v6, v19
	;; [unrolled: 1-line block ×5, first 2 shown]
	v_dual_mul_f32 v11, 0x3fb8aa3b, v2 :: v_dual_sub_f32 v10, v10, v19
	v_sub_f32_e32 v8, v8, v19
	v_cmp_ngt_f32_e64 s7, 0xc2ce8ed0, v2
	s_delay_alu instid0(VALU_DEP_3) | instskip(NEXT) | instid1(VALU_DEP_4)
	v_fma_f32 v24, 0x3fb8aa3b, v2, -v11
	v_mul_f32_e32 v23, 0x3fb8aa3b, v10
	v_sub_f32_e32 v9, v13, v19
	v_mul_f32_e32 v19, 0x3fb8aa3b, v6
	v_mul_f32_e32 v13, 0x3fb8aa3b, v4
	v_fmac_f32_e32 v24, 0x32a5705f, v2
	v_rndne_f32_e32 v25, v11
	v_mul_f32_e32 v12, 0x3fb8aa3b, v3
	v_rndne_f32_e32 v31, v19
	v_fma_f32 v28, 0x3fb8aa3b, v4, -v13
	v_rndne_f32_e32 v29, v13
	v_sub_f32_e32 v11, v11, v25
	v_fma_f32 v26, 0x3fb8aa3b, v3, -v12
	v_rndne_f32_e32 v27, v12
	s_delay_alu instid0(VALU_DEP_4) | instskip(SKIP_1) | instid1(VALU_DEP_4)
	v_dual_mul_f32 v20, 0x3fb8aa3b, v7 :: v_dual_sub_f32 v13, v13, v29
	v_fma_f32 v30, 0x3fb8aa3b, v6, -v19
	v_dual_fmac_f32 v26, 0x32a5705f, v3 :: v_dual_add_f32 v11, v11, v24
	v_dual_fmac_f32 v28, 0x32a5705f, v4 :: v_dual_sub_f32 v19, v19, v31
	v_sub_f32_e32 v12, v12, v27
	v_cvt_i32_f32_e32 v25, v25
	s_delay_alu instid0(VALU_DEP_4) | instskip(NEXT) | instid1(VALU_DEP_3)
	v_exp_f32_e32 v11, v11
	v_add_f32_e32 v13, v13, v28
	s_delay_alu instid0(VALU_DEP_3) | instskip(SKIP_2) | instid1(VALU_DEP_4)
	v_dual_mul_f32 v21, 0x3fb8aa3b, v8 :: v_dual_add_f32 v12, v12, v26
	v_cvt_i32_f32_e32 v27, v27
	v_fma_f32 v32, 0x3fb8aa3b, v7, -v20
	v_exp_f32_e32 v13, v13
	s_delay_alu instid0(VALU_DEP_3) | instskip(SKIP_2) | instid1(TRANS32_DEP_3)
	v_rndne_f32_e32 v35, v21
	v_exp_f32_e32 v12, v12
	v_cvt_i32_f32_e32 v29, v29
	v_ldexp_f32 v11, v11, v25
	v_fmac_f32_e32 v30, 0x32a5705f, v6
	v_fma_f32 v34, 0x3fb8aa3b, v8, -v21
	v_sub_f32_e32 v21, v21, v35
	v_fmac_f32_e32 v32, 0x32a5705f, v7
	v_cndmask_b32_e64 v11, 0, v11, s7
	v_add_f32_e32 v19, v19, v30
	v_cmp_ngt_f32_e64 s7, 0xc2ce8ed0, v3
	v_ldexp_f32 v12, v12, v27
	v_ldexp_f32 v13, v13, v29
	v_cvt_i32_f32_e32 v31, v31
	v_exp_f32_e32 v19, v19
	v_mul_f32_e32 v22, 0x3fb8aa3b, v9
	v_cndmask_b32_e64 v12, 0, v12, s7
	v_cmp_ngt_f32_e64 s7, 0xc2ce8ed0, v4
	v_rndne_f32_e32 v33, v20
	v_rndne_f32_e32 v39, v23
	;; [unrolled: 1-line block ×3, first 2 shown]
	v_fma_f32 v36, 0x3fb8aa3b, v9, -v22
	v_cndmask_b32_e64 v13, 0, v13, s7
	v_cmp_nlt_f32_e64 s7, 0x42b17218, v2
	v_ldexp_f32 v19, v19, v31
	v_sub_f32_e32 v20, v20, v33
	v_fma_f32 v38, 0x3fb8aa3b, v10, -v23
	v_sub_f32_e32 v23, v23, v39
	v_cndmask_b32_e64 v11, 0x7f800000, v11, s7
	v_cmp_nlt_f32_e64 s7, 0x42b17218, v3
	v_add_f32_e32 v20, v20, v32
	v_cvt_i32_f32_e32 v33, v33
	v_cvt_i32_f32_e32 v35, v35
	;; [unrolled: 1-line block ×3, first 2 shown]
	v_cndmask_b32_e64 v12, 0x7f800000, v12, s7
	v_cmp_ngt_f32_e64 s7, 0xc2ce8ed0, v6
	v_sub_f32_e32 v22, v22, v37
	v_exp_f32_e32 v20, v20
	v_cvt_i32_f32_e32 v26, v39
	v_add_f32_e32 v11, v11, v12
	v_cndmask_b32_e64 v19, 0, v19, s7
	v_cmp_nlt_f32_e64 s7, 0x42b17218, v4
	s_delay_alu instid0(VALU_DEP_1) | instskip(SKIP_1) | instid1(TRANS32_DEP_1)
	v_cndmask_b32_e64 v13, 0x7f800000, v13, s7
	v_fmac_f32_e32 v38, 0x32a5705f, v10
	v_ldexp_f32 v20, v20, v33
	v_cmp_ngt_f32_e64 s7, 0xc2ce8ed0, v7
	s_delay_alu instid0(VALU_DEP_4) | instskip(NEXT) | instid1(VALU_DEP_4)
	v_dual_add_f32 v11, v11, v13 :: v_dual_fmac_f32 v34, 0x32a5705f, v8
	v_dual_add_f32 v23, v23, v38 :: v_dual_fmac_f32 v36, 0x32a5705f, v9
	s_delay_alu instid0(VALU_DEP_3) | instskip(SKIP_1) | instid1(VALU_DEP_4)
	v_cndmask_b32_e64 v12, 0, v20, s7
	v_cmp_nlt_f32_e64 s7, 0x42b17218, v6
	v_add_f32_e32 v21, v21, v34
	s_delay_alu instid0(VALU_DEP_4) | instskip(SKIP_1) | instid1(VALU_DEP_3)
	v_exp_f32_e32 v23, v23
	v_add_f32_e32 v22, v22, v36
	v_cndmask_b32_e64 v19, 0x7f800000, v19, s7
	s_delay_alu instid0(VALU_DEP_3) | instskip(SKIP_1) | instid1(VALU_DEP_3)
	v_exp_f32_e32 v21, v21
	v_cmp_ngt_f32_e64 s7, 0xc2ce8ed0, v8
	v_exp_f32_e32 v22, v22
	s_delay_alu instid0(VALU_DEP_2) | instskip(SKIP_3) | instid1(VALU_DEP_2)
	v_add_f32_e32 v11, v11, v19
	s_waitcnt_depctr 0xfff
	v_ldexp_f32 v21, v21, v35
	v_ldexp_f32 v22, v22, v24
	v_cndmask_b32_e64 v13, 0, v21, s7
	v_cmp_nlt_f32_e64 s7, 0x42b17218, v7
	s_delay_alu instid0(VALU_DEP_1) | instskip(SKIP_1) | instid1(VALU_DEP_2)
	v_cndmask_b32_e64 v12, 0x7f800000, v12, s7
	v_cmp_ngt_f32_e64 s7, 0xc2ce8ed0, v9
	v_add_f32_e32 v11, v11, v12
	s_delay_alu instid0(VALU_DEP_2) | instskip(SKIP_2) | instid1(VALU_DEP_2)
	v_cndmask_b32_e64 v19, 0, v22, s7
	v_cmp_nlt_f32_e64 s7, 0x42b17218, v8
	v_ldexp_f32 v12, v23, v26
	v_cndmask_b32_e64 v13, 0x7f800000, v13, s7
	v_cmp_nlt_f32_e64 s7, 0x42b17218, v9
	s_delay_alu instid0(VALU_DEP_2) | instskip(NEXT) | instid1(VALU_DEP_2)
	v_add_f32_e32 v11, v11, v13
	v_cndmask_b32_e64 v19, 0x7f800000, v19, s7
	v_cmp_ngt_f32_e64 s7, 0xc2ce8ed0, v10
	s_delay_alu instid0(VALU_DEP_2) | instskip(NEXT) | instid1(VALU_DEP_2)
	v_add_f32_e32 v11, v11, v19
	v_cndmask_b32_e64 v12, 0, v12, s7
	v_cmp_nlt_f32_e64 s7, 0x42b17218, v10
	s_delay_alu instid0(VALU_DEP_1) | instskip(NEXT) | instid1(VALU_DEP_1)
	v_cndmask_b32_e64 v12, 0x7f800000, v12, s7
	v_add_f32_e32 v11, v11, v12
	ds_bpermute_b32 v12, v14, v11
	s_waitcnt lgkmcnt(0)
	v_add_f32_e32 v11, v11, v12
	ds_bpermute_b32 v12, v15, v11
	s_waitcnt lgkmcnt(0)
	;; [unrolled: 3-line block ×4, first 2 shown]
	v_add_f32_e32 v11, v11, v12
	ds_bpermute_b32 v12, v18, v11
	v_cmpx_lt_i32_e32 0, v5
	s_cbranch_execz .LBB122_26
; %bb.17:
	s_and_b32 exec_lo, exec_lo, s0
	s_cbranch_execz .LBB122_26
; %bb.18:
	s_waitcnt lgkmcnt(0)
	v_add_f32_e32 v5, v11, v12
	v_lshlrev_b64 v[0:1], 2, v[0:1]
	s_delay_alu instid0(VALU_DEP_2) | instskip(NEXT) | instid1(VALU_DEP_1)
	v_cmp_gt_f32_e64 s0, 0x800000, v5
	v_cndmask_b32_e64 v11, 1.0, 0x4f800000, s0
	s_delay_alu instid0(VALU_DEP_1) | instskip(NEXT) | instid1(VALU_DEP_1)
	v_mul_f32_e32 v5, v5, v11
	v_log_f32_e32 v5, v5
	s_waitcnt_depctr 0xfff
	v_mul_f32_e32 v11, 0x3f317217, v5
	v_cmp_gt_f32_e64 s7, 0x7f800000, |v5|
	s_delay_alu instid0(VALU_DEP_2) | instskip(NEXT) | instid1(VALU_DEP_1)
	v_fma_f32 v12, 0x3f317217, v5, -v11
	v_fmamk_f32 v12, v5, 0x3377d1cf, v12
	s_delay_alu instid0(VALU_DEP_1) | instskip(NEXT) | instid1(VALU_DEP_1)
	v_add_f32_e32 v11, v11, v12
	v_cndmask_b32_e64 v5, v5, v11, s7
	v_cndmask_b32_e64 v11, 0, 0x41b17218, s0
	v_add_co_u32 v0, s0, s16, v0
	s_delay_alu instid0(VALU_DEP_1) | instskip(NEXT) | instid1(VALU_DEP_3)
	v_add_co_ci_u32_e64 v1, s0, s17, v1, s0
	v_sub_f32_e32 v5, v5, v11
	s_delay_alu instid0(VALU_DEP_1)
	v_sub_f32_e32 v2, v2, v5
	global_store_b32 v[0:1], v2, off
	s_and_b32 exec_lo, exec_lo, vcc_lo
	s_cbranch_execz .LBB122_26
; %bb.19:
	v_sub_f32_e32 v2, v3, v5
	global_store_b32 v[0:1], v2, off offset:128
	s_and_b32 exec_lo, exec_lo, s1
	s_cbranch_execz .LBB122_26
; %bb.20:
	v_sub_f32_e32 v2, v4, v5
	global_store_b32 v[0:1], v2, off offset:256
	s_and_b32 exec_lo, exec_lo, s2
	;; [unrolled: 5-line block ×6, first 2 shown]
	s_cbranch_execz .LBB122_26
; %bb.25:
	v_sub_f32_e32 v2, v10, v5
	global_store_b32 v[0:1], v2, off offset:896
.LBB122_26:
	s_nop 0
	s_sendmsg sendmsg(MSG_DEALLOC_VGPRS)
	s_endpgm
	.section	.rodata,"a",@progbits
	.p2align	6, 0x0
	.amdhsa_kernel _ZN12_GLOBAL__N_120softmax_warp_forwardIN3c104HalfEffLi8ELb1ELb0ELi32EEEvPT0_PKT_iiiPKbib
		.amdhsa_group_segment_fixed_size 0
		.amdhsa_private_segment_fixed_size 0
		.amdhsa_kernarg_size 304
		.amdhsa_user_sgpr_count 15
		.amdhsa_user_sgpr_dispatch_ptr 0
		.amdhsa_user_sgpr_queue_ptr 0
		.amdhsa_user_sgpr_kernarg_segment_ptr 1
		.amdhsa_user_sgpr_dispatch_id 0
		.amdhsa_user_sgpr_private_segment_size 0
		.amdhsa_wavefront_size32 1
		.amdhsa_uses_dynamic_stack 0
		.amdhsa_enable_private_segment 0
		.amdhsa_system_sgpr_workgroup_id_x 1
		.amdhsa_system_sgpr_workgroup_id_y 0
		.amdhsa_system_sgpr_workgroup_id_z 0
		.amdhsa_system_sgpr_workgroup_info 0
		.amdhsa_system_vgpr_workitem_id 1
		.amdhsa_next_free_vgpr 40
		.amdhsa_next_free_sgpr 24
		.amdhsa_reserve_vcc 1
		.amdhsa_float_round_mode_32 0
		.amdhsa_float_round_mode_16_64 0
		.amdhsa_float_denorm_mode_32 3
		.amdhsa_float_denorm_mode_16_64 3
		.amdhsa_dx10_clamp 1
		.amdhsa_ieee_mode 1
		.amdhsa_fp16_overflow 0
		.amdhsa_workgroup_processor_mode 1
		.amdhsa_memory_ordered 1
		.amdhsa_forward_progress 0
		.amdhsa_shared_vgpr_count 0
		.amdhsa_exception_fp_ieee_invalid_op 0
		.amdhsa_exception_fp_denorm_src 0
		.amdhsa_exception_fp_ieee_div_zero 0
		.amdhsa_exception_fp_ieee_overflow 0
		.amdhsa_exception_fp_ieee_underflow 0
		.amdhsa_exception_fp_ieee_inexact 0
		.amdhsa_exception_int_div_zero 0
	.end_amdhsa_kernel
	.section	.text._ZN12_GLOBAL__N_120softmax_warp_forwardIN3c104HalfEffLi8ELb1ELb0ELi32EEEvPT0_PKT_iiiPKbib,"axG",@progbits,_ZN12_GLOBAL__N_120softmax_warp_forwardIN3c104HalfEffLi8ELb1ELb0ELi32EEEvPT0_PKT_iiiPKbib,comdat
.Lfunc_end122:
	.size	_ZN12_GLOBAL__N_120softmax_warp_forwardIN3c104HalfEffLi8ELb1ELb0ELi32EEEvPT0_PKT_iiiPKbib, .Lfunc_end122-_ZN12_GLOBAL__N_120softmax_warp_forwardIN3c104HalfEffLi8ELb1ELb0ELi32EEEvPT0_PKT_iiiPKbib
                                        ; -- End function
	.section	.AMDGPU.csdata,"",@progbits
; Kernel info:
; codeLenInByte = 2368
; NumSgprs: 26
; NumVgprs: 40
; ScratchSize: 0
; MemoryBound: 0
; FloatMode: 240
; IeeeMode: 1
; LDSByteSize: 0 bytes/workgroup (compile time only)
; SGPRBlocks: 3
; VGPRBlocks: 4
; NumSGPRsForWavesPerEU: 26
; NumVGPRsForWavesPerEU: 40
; Occupancy: 16
; WaveLimiterHint : 0
; COMPUTE_PGM_RSRC2:SCRATCH_EN: 0
; COMPUTE_PGM_RSRC2:USER_SGPR: 15
; COMPUTE_PGM_RSRC2:TRAP_HANDLER: 0
; COMPUTE_PGM_RSRC2:TGID_X_EN: 1
; COMPUTE_PGM_RSRC2:TGID_Y_EN: 0
; COMPUTE_PGM_RSRC2:TGID_Z_EN: 0
; COMPUTE_PGM_RSRC2:TIDIG_COMP_CNT: 1
	.section	.text._ZN12_GLOBAL__N_120softmax_warp_forwardIN3c104HalfEffLi9ELb1ELb0ELi64EEEvPT0_PKT_iiiPKbib,"axG",@progbits,_ZN12_GLOBAL__N_120softmax_warp_forwardIN3c104HalfEffLi9ELb1ELb0ELi64EEEvPT0_PKT_iiiPKbib,comdat
	.globl	_ZN12_GLOBAL__N_120softmax_warp_forwardIN3c104HalfEffLi9ELb1ELb0ELi64EEEvPT0_PKT_iiiPKbib ; -- Begin function _ZN12_GLOBAL__N_120softmax_warp_forwardIN3c104HalfEffLi9ELb1ELb0ELi64EEEvPT0_PKT_iiiPKbib
	.p2align	8
	.type	_ZN12_GLOBAL__N_120softmax_warp_forwardIN3c104HalfEffLi9ELb1ELb0ELi64EEEvPT0_PKT_iiiPKbib,@function
_ZN12_GLOBAL__N_120softmax_warp_forwardIN3c104HalfEffLi9ELb1ELb0ELi64EEEvPT0_PKT_iiiPKbib: ; @_ZN12_GLOBAL__N_120softmax_warp_forwardIN3c104HalfEffLi9ELb1ELb0ELi64EEEvPT0_PKT_iiiPKbib
; %bb.0:
	s_clause 0x1
	s_load_b32 s2, s[0:1], 0x3c
	s_load_b256 s[16:23], s[0:1], 0x0
	v_bfe_u32 v1, v0, 10, 10
	v_dual_mov_b32 v6, 0xff800000 :: v_dual_mov_b32 v9, 0xff800000
	s_waitcnt lgkmcnt(0)
	s_lshr_b32 s0, s2, 16
	s_delay_alu instid0(VALU_DEP_2) | instid1(SALU_CYCLE_1)
	v_mad_u64_u32 v[3:4], null, s15, s0, v[1:2]
	v_and_b32_e32 v2, 0x3ff, v0
	s_delay_alu instid0(VALU_DEP_1) | instskip(NEXT) | instid1(VALU_DEP_3)
	v_cmp_gt_i32_e64 s0, s22, v2
	v_mad_u64_u32 v[0:1], null, v3, s21, v[2:3]
	v_sub_nc_u32_e32 v5, s20, v3
	s_delay_alu instid0(VALU_DEP_1) | instskip(NEXT) | instid1(VALU_DEP_3)
	v_cmp_lt_i32_e64 s7, 0, v5
	v_ashrrev_i32_e32 v1, 31, v0
	s_delay_alu instid0(VALU_DEP_2) | instskip(NEXT) | instid1(VALU_DEP_1)
	s_and_b32 s2, s7, s0
	v_lshlrev_b64 v[3:4], 1, v[0:1]
	s_delay_alu instid0(VALU_DEP_1) | instskip(NEXT) | instid1(VALU_DEP_2)
	v_add_co_u32 v3, vcc_lo, s18, v3
	v_add_co_ci_u32_e32 v4, vcc_lo, s19, v4, vcc_lo
	s_and_saveexec_b32 s1, s2
	s_cbranch_execz .LBB123_2
; %bb.1:
	global_load_u16 v7, v[3:4], off
	s_waitcnt vmcnt(0)
	v_cvt_f32_f16_e32 v9, v7
.LBB123_2:
	s_or_b32 exec_lo, exec_lo, s1
	v_add_nc_u32_e32 v7, 64, v2
	s_delay_alu instid0(VALU_DEP_1) | instskip(SKIP_1) | instid1(SALU_CYCLE_1)
	v_cmp_gt_i32_e32 vcc_lo, s22, v7
	s_and_b32 s2, s7, vcc_lo
	s_and_saveexec_b32 s1, s2
	s_cbranch_execz .LBB123_4
; %bb.3:
	global_load_u16 v6, v[3:4], off offset:128
	s_waitcnt vmcnt(0)
	v_cvt_f32_f16_e32 v6, v6
.LBB123_4:
	s_or_b32 exec_lo, exec_lo, s1
	v_add_nc_u32_e32 v7, 0x80, v2
	v_mov_b32_e32 v11, 0xff800000
	s_delay_alu instid0(VALU_DEP_2) | instskip(SKIP_1) | instid1(VALU_DEP_2)
	v_cmp_gt_i32_e64 s1, s22, v7
	v_mov_b32_e32 v7, 0xff800000
	s_and_b32 s3, s7, s1
	s_delay_alu instid0(SALU_CYCLE_1)
	s_and_saveexec_b32 s2, s3
	s_cbranch_execz .LBB123_6
; %bb.5:
	global_load_u16 v8, v[3:4], off offset:256
	s_waitcnt vmcnt(0)
	v_cvt_f32_f16_e32 v11, v8
.LBB123_6:
	s_or_b32 exec_lo, exec_lo, s2
	v_add_nc_u32_e32 v8, 0xc0, v2
	s_delay_alu instid0(VALU_DEP_1) | instskip(NEXT) | instid1(VALU_DEP_1)
	v_cmp_gt_i32_e64 s2, s22, v8
	s_and_b32 s4, s7, s2
	s_delay_alu instid0(SALU_CYCLE_1)
	s_and_saveexec_b32 s3, s4
	s_cbranch_execz .LBB123_8
; %bb.7:
	global_load_u16 v7, v[3:4], off offset:384
	s_waitcnt vmcnt(0)
	v_cvt_f32_f16_e32 v7, v7
.LBB123_8:
	s_or_b32 exec_lo, exec_lo, s3
	v_add_nc_u32_e32 v8, 0x100, v2
	v_mov_b32_e32 v12, 0xff800000
	s_delay_alu instid0(VALU_DEP_2) | instskip(SKIP_1) | instid1(VALU_DEP_2)
	v_cmp_gt_i32_e64 s3, s22, v8
	v_mov_b32_e32 v8, 0xff800000
	s_and_b32 s5, s7, s3
	s_delay_alu instid0(SALU_CYCLE_1)
	s_and_saveexec_b32 s4, s5
	s_cbranch_execz .LBB123_10
; %bb.9:
	global_load_u16 v10, v[3:4], off offset:512
	s_waitcnt vmcnt(0)
	v_cvt_f32_f16_e32 v12, v10
.LBB123_10:
	s_or_b32 exec_lo, exec_lo, s4
	v_add_nc_u32_e32 v10, 0x140, v2
	s_delay_alu instid0(VALU_DEP_1) | instskip(NEXT) | instid1(VALU_DEP_1)
	v_cmp_gt_i32_e64 s4, s22, v10
	s_and_b32 s6, s7, s4
	s_delay_alu instid0(SALU_CYCLE_1)
	;; [unrolled: 28-line block ×3, first 2 shown]
	s_and_saveexec_b32 s7, s8
	s_cbranch_execz .LBB123_16
; %bb.15:
	global_load_u16 v2, v[3:4], off offset:896
	s_waitcnt vmcnt(0)
	v_cvt_f32_f16_e32 v10, v2
.LBB123_16:
	s_or_b32 exec_lo, exec_lo, s7
	v_cmp_gt_f32_e64 s7, v9, v6
	v_mbcnt_lo_u32_b32 v3, -1, 0
	s_mov_b32 s8, exec_lo
	s_delay_alu instid0(VALU_DEP_2) | instskip(NEXT) | instid1(VALU_DEP_2)
	v_cndmask_b32_e64 v2, v6, v9, s7
	v_or_b32_e32 v4, 32, v3
	v_xor_b32_e32 v15, 16, v3
	v_xor_b32_e32 v16, 8, v3
	;; [unrolled: 1-line block ×3, first 2 shown]
	v_cmp_gt_f32_e64 s7, v2, v11
	v_xor_b32_e32 v18, 2, v3
	v_xor_b32_e32 v19, 1, v3
	s_delay_alu instid0(VALU_DEP_3) | instskip(NEXT) | instid1(VALU_DEP_1)
	v_cndmask_b32_e64 v2, v11, v2, s7
	v_cmp_gt_f32_e64 s7, v2, v7
	s_delay_alu instid0(VALU_DEP_1) | instskip(NEXT) | instid1(VALU_DEP_1)
	v_cndmask_b32_e64 v2, v7, v2, s7
	v_cmp_gt_f32_e64 s7, v2, v12
	s_delay_alu instid0(VALU_DEP_1) | instskip(NEXT) | instid1(VALU_DEP_1)
	v_cndmask_b32_e64 v2, v12, v2, s7
	v_cmp_gt_f32_e64 s7, v2, v8
	s_delay_alu instid0(VALU_DEP_1) | instskip(SKIP_1) | instid1(VALU_DEP_1)
	v_cndmask_b32_e64 v2, v8, v2, s7
	v_cmp_gt_i32_e64 s7, 64, v4
	v_cndmask_b32_e64 v4, v3, v4, s7
	s_delay_alu instid0(VALU_DEP_3) | instskip(NEXT) | instid1(VALU_DEP_2)
	v_cmp_gt_f32_e64 s7, v2, v13
	v_lshlrev_b32_e32 v14, 2, v4
	s_delay_alu instid0(VALU_DEP_2) | instskip(NEXT) | instid1(VALU_DEP_1)
	v_cndmask_b32_e64 v2, v13, v2, s7
	v_cmp_gt_f32_e64 s7, v2, v10
	s_delay_alu instid0(VALU_DEP_1) | instskip(SKIP_3) | instid1(VALU_DEP_1)
	v_cndmask_b32_e64 v2, v10, v2, s7
	v_cmp_gt_i32_e64 s7, 64, v15
	ds_bpermute_b32 v4, v14, v2
	v_cndmask_b32_e64 v15, v3, v15, s7
	v_lshlrev_b32_e32 v15, 2, v15
	s_waitcnt lgkmcnt(0)
	v_cmp_lt_f32_e64 s7, v2, v4
	s_delay_alu instid0(VALU_DEP_1) | instskip(SKIP_3) | instid1(VALU_DEP_1)
	v_cndmask_b32_e64 v2, v2, v4, s7
	v_cmp_gt_i32_e64 s7, 64, v16
	ds_bpermute_b32 v4, v15, v2
	v_cndmask_b32_e64 v16, v3, v16, s7
	v_lshlrev_b32_e32 v16, 2, v16
	s_waitcnt lgkmcnt(0)
	v_cmp_lt_f32_e64 s7, v2, v4
	;; [unrolled: 8-line block ×5, first 2 shown]
	s_delay_alu instid0(VALU_DEP_1) | instskip(SKIP_3) | instid1(VALU_DEP_1)
	v_cndmask_b32_e64 v2, v2, v4, s7
	ds_bpermute_b32 v3, v19, v2
	s_waitcnt lgkmcnt(0)
	v_cmp_lt_f32_e64 s7, v2, v3
	v_cndmask_b32_e64 v20, v2, v3, s7
	s_delay_alu instid0(VALU_DEP_1) | instskip(SKIP_4) | instid1(VALU_DEP_4)
	v_sub_f32_e32 v2, v9, v20
	v_sub_f32_e32 v3, v6, v20
	;; [unrolled: 1-line block ×5, first 2 shown]
	v_dual_mul_f32 v11, 0x3fb8aa3b, v2 :: v_dual_mul_f32 v12, 0x3fb8aa3b, v3
	v_sub_f32_e32 v9, v13, v20
	s_delay_alu instid0(VALU_DEP_3) | instskip(NEXT) | instid1(VALU_DEP_3)
	v_dual_sub_f32 v8, v8, v20 :: v_dual_mul_f32 v21, 0x3fb8aa3b, v7
	v_fma_f32 v25, 0x3fb8aa3b, v2, -v11
	v_rndne_f32_e32 v26, v11
	v_sub_f32_e32 v10, v10, v20
	v_dual_mul_f32 v20, 0x3fb8aa3b, v6 :: v_dual_mul_f32 v23, 0x3fb8aa3b, v9
	s_delay_alu instid0(VALU_DEP_4) | instskip(NEXT) | instid1(VALU_DEP_3)
	v_fmac_f32_e32 v25, 0x32a5705f, v2
	v_dual_mul_f32 v13, 0x3fb8aa3b, v4 :: v_dual_mul_f32 v24, 0x3fb8aa3b, v10
	v_dual_mul_f32 v22, 0x3fb8aa3b, v8 :: v_dual_sub_f32 v11, v11, v26
	v_fma_f32 v27, 0x3fb8aa3b, v3, -v12
	v_rndne_f32_e32 v28, v12
	s_delay_alu instid0(VALU_DEP_4) | instskip(SKIP_2) | instid1(VALU_DEP_4)
	v_fma_f32 v29, 0x3fb8aa3b, v4, -v13
	v_rndne_f32_e32 v30, v13
	v_add_f32_e32 v11, v11, v25
	v_dual_fmac_f32 v27, 0x32a5705f, v3 :: v_dual_sub_f32 v12, v12, v28
	v_rndne_f32_e32 v32, v20
	v_fmac_f32_e32 v29, 0x32a5705f, v4
	v_sub_f32_e32 v13, v13, v30
	v_exp_f32_e32 v11, v11
	v_add_f32_e32 v12, v12, v27
	v_fma_f32 v31, 0x3fb8aa3b, v6, -v20
	v_sub_f32_e32 v20, v20, v32
	v_cvt_i32_f32_e32 v26, v26
	v_add_f32_e32 v13, v13, v29
	v_exp_f32_e32 v12, v12
	v_cvt_i32_f32_e32 v28, v28
	v_cmp_ngt_f32_e64 s7, 0xc2ce8ed0, v2
	v_rndne_f32_e32 v34, v21
	v_exp_f32_e32 v13, v13
	v_ldexp_f32 v11, v11, v26
	v_rndne_f32_e32 v36, v22
	v_cvt_i32_f32_e32 v30, v30
	v_fmac_f32_e32 v31, 0x32a5705f, v6
	v_fma_f32 v33, 0x3fb8aa3b, v7, -v21
	v_ldexp_f32 v12, v12, v28
	v_cndmask_b32_e64 v11, 0, v11, s7
	v_cmp_ngt_f32_e64 s7, 0xc2ce8ed0, v3
	v_fma_f32 v35, 0x3fb8aa3b, v8, -v22
	v_dual_sub_f32 v22, v22, v36 :: v_dual_sub_f32 v21, v21, v34
	v_add_f32_e32 v20, v20, v31
	v_ldexp_f32 v13, v13, v30
	v_cndmask_b32_e64 v12, 0, v12, s7
	v_cmp_ngt_f32_e64 s7, 0xc2ce8ed0, v4
	v_rndne_f32_e32 v40, v24
	v_fmac_f32_e32 v33, 0x32a5705f, v7
	v_exp_f32_e32 v20, v20
	v_fma_f32 v39, 0x3fb8aa3b, v10, -v24
	v_cndmask_b32_e64 v13, 0, v13, s7
	v_sub_f32_e32 v24, v24, v40
	v_cmp_nlt_f32_e64 s7, 0x42b17218, v2
	v_cvt_i32_f32_e32 v32, v32
	v_add_f32_e32 v21, v21, v33
	v_fma_f32 v37, 0x3fb8aa3b, v9, -v23
	v_fmac_f32_e32 v39, 0x32a5705f, v10
	v_cndmask_b32_e64 v11, 0x7f800000, v11, s7
	v_cmp_nlt_f32_e64 s7, 0x42b17218, v3
	v_fmac_f32_e32 v35, 0x32a5705f, v8
	v_exp_f32_e32 v21, v21
	v_add_f32_e32 v24, v24, v39
	v_ldexp_f32 v20, v20, v32
	v_cndmask_b32_e64 v12, 0x7f800000, v12, s7
	v_cmp_ngt_f32_e64 s7, 0xc2ce8ed0, v6
	v_rndne_f32_e32 v38, v23
	v_cvt_i32_f32_e32 v34, v34
	v_dual_fmac_f32 v37, 0x32a5705f, v9 :: v_dual_add_f32 v22, v22, v35
	s_delay_alu instid0(VALU_DEP_4)
	v_cndmask_b32_e64 v20, 0, v20, s7
	v_cmp_nlt_f32_e64 s7, 0x42b17218, v4
	v_sub_f32_e32 v23, v23, v38
	v_ldexp_f32 v21, v21, v34
	v_exp_f32_e32 v22, v22
	v_cvt_i32_f32_e32 v36, v36
	v_cndmask_b32_e64 v13, 0x7f800000, v13, s7
	v_cmp_ngt_f32_e64 s7, 0xc2ce8ed0, v7
	v_add_f32_e32 v23, v23, v37
	v_add_f32_e32 v11, v11, v12
	v_cvt_i32_f32_e32 v25, v38
	v_exp_f32_e32 v24, v24
	v_cndmask_b32_e64 v12, 0, v21, s7
	v_cmp_nlt_f32_e64 s7, 0x42b17218, v6
	v_exp_f32_e32 v23, v23
	v_ldexp_f32 v22, v22, v36
	v_add_f32_e32 v11, v11, v13
	v_cvt_i32_f32_e32 v27, v40
	v_cndmask_b32_e64 v20, 0x7f800000, v20, s7
	v_cmp_ngt_f32_e64 s7, 0xc2ce8ed0, v8
	s_delay_alu instid0(VALU_DEP_2) | instskip(NEXT) | instid1(VALU_DEP_2)
	v_add_f32_e32 v11, v11, v20
	v_cndmask_b32_e64 v13, 0, v22, s7
	v_cmp_nlt_f32_e64 s7, 0x42b17218, v7
	s_delay_alu instid0(TRANS32_DEP_1) | instskip(NEXT) | instid1(VALU_DEP_2)
	v_ldexp_f32 v23, v23, v25
	v_cndmask_b32_e64 v12, 0x7f800000, v12, s7
	v_cmp_ngt_f32_e64 s7, 0xc2ce8ed0, v9
	s_delay_alu instid0(VALU_DEP_2) | instskip(NEXT) | instid1(VALU_DEP_2)
	v_add_f32_e32 v11, v11, v12
	v_cndmask_b32_e64 v20, 0, v23, s7
	v_cmp_nlt_f32_e64 s7, 0x42b17218, v8
	v_ldexp_f32 v12, v24, v27
	s_delay_alu instid0(VALU_DEP_2) | instskip(SKIP_1) | instid1(VALU_DEP_2)
	v_cndmask_b32_e64 v13, 0x7f800000, v13, s7
	v_cmp_nlt_f32_e64 s7, 0x42b17218, v9
	v_add_f32_e32 v11, v11, v13
	s_delay_alu instid0(VALU_DEP_2) | instskip(SKIP_1) | instid1(VALU_DEP_2)
	v_cndmask_b32_e64 v20, 0x7f800000, v20, s7
	v_cmp_ngt_f32_e64 s7, 0xc2ce8ed0, v10
	v_add_f32_e32 v11, v11, v20
	s_delay_alu instid0(VALU_DEP_2) | instskip(SKIP_1) | instid1(VALU_DEP_1)
	v_cndmask_b32_e64 v12, 0, v12, s7
	v_cmp_nlt_f32_e64 s7, 0x42b17218, v10
	v_cndmask_b32_e64 v12, 0x7f800000, v12, s7
	s_delay_alu instid0(VALU_DEP_1)
	v_add_f32_e32 v11, v11, v12
	ds_bpermute_b32 v12, v14, v11
	s_waitcnt lgkmcnt(0)
	v_add_f32_e32 v11, v11, v12
	ds_bpermute_b32 v12, v15, v11
	s_waitcnt lgkmcnt(0)
	;; [unrolled: 3-line block ×5, first 2 shown]
	v_add_f32_e32 v11, v11, v12
	ds_bpermute_b32 v12, v19, v11
	v_cmpx_lt_i32_e32 0, v5
	s_cbranch_execz .LBB123_26
; %bb.17:
	s_and_b32 exec_lo, exec_lo, s0
	s_cbranch_execz .LBB123_26
; %bb.18:
	s_waitcnt lgkmcnt(0)
	v_add_f32_e32 v5, v11, v12
	v_lshlrev_b64 v[0:1], 2, v[0:1]
	s_delay_alu instid0(VALU_DEP_2) | instskip(NEXT) | instid1(VALU_DEP_1)
	v_cmp_gt_f32_e64 s0, 0x800000, v5
	v_cndmask_b32_e64 v11, 1.0, 0x4f800000, s0
	s_delay_alu instid0(VALU_DEP_1) | instskip(NEXT) | instid1(VALU_DEP_1)
	v_mul_f32_e32 v5, v5, v11
	v_log_f32_e32 v5, v5
	s_waitcnt_depctr 0xfff
	v_mul_f32_e32 v11, 0x3f317217, v5
	v_cmp_gt_f32_e64 s7, 0x7f800000, |v5|
	s_delay_alu instid0(VALU_DEP_2) | instskip(NEXT) | instid1(VALU_DEP_1)
	v_fma_f32 v12, 0x3f317217, v5, -v11
	v_fmamk_f32 v12, v5, 0x3377d1cf, v12
	s_delay_alu instid0(VALU_DEP_1) | instskip(NEXT) | instid1(VALU_DEP_1)
	v_add_f32_e32 v11, v11, v12
	v_cndmask_b32_e64 v5, v5, v11, s7
	v_cndmask_b32_e64 v11, 0, 0x41b17218, s0
	v_add_co_u32 v0, s0, s16, v0
	s_delay_alu instid0(VALU_DEP_1) | instskip(NEXT) | instid1(VALU_DEP_3)
	v_add_co_ci_u32_e64 v1, s0, s17, v1, s0
	v_sub_f32_e32 v5, v5, v11
	s_delay_alu instid0(VALU_DEP_1)
	v_sub_f32_e32 v2, v2, v5
	global_store_b32 v[0:1], v2, off
	s_and_b32 exec_lo, exec_lo, vcc_lo
	s_cbranch_execz .LBB123_26
; %bb.19:
	v_sub_f32_e32 v2, v3, v5
	global_store_b32 v[0:1], v2, off offset:256
	s_and_b32 exec_lo, exec_lo, s1
	s_cbranch_execz .LBB123_26
; %bb.20:
	v_sub_f32_e32 v2, v4, v5
	global_store_b32 v[0:1], v2, off offset:512
	s_and_b32 exec_lo, exec_lo, s2
	;; [unrolled: 5-line block ×6, first 2 shown]
	s_cbranch_execz .LBB123_26
; %bb.25:
	v_sub_f32_e32 v2, v10, v5
	global_store_b32 v[0:1], v2, off offset:1792
.LBB123_26:
	s_nop 0
	s_sendmsg sendmsg(MSG_DEALLOC_VGPRS)
	s_endpgm
	.section	.rodata,"a",@progbits
	.p2align	6, 0x0
	.amdhsa_kernel _ZN12_GLOBAL__N_120softmax_warp_forwardIN3c104HalfEffLi9ELb1ELb0ELi64EEEvPT0_PKT_iiiPKbib
		.amdhsa_group_segment_fixed_size 0
		.amdhsa_private_segment_fixed_size 0
		.amdhsa_kernarg_size 304
		.amdhsa_user_sgpr_count 15
		.amdhsa_user_sgpr_dispatch_ptr 0
		.amdhsa_user_sgpr_queue_ptr 0
		.amdhsa_user_sgpr_kernarg_segment_ptr 1
		.amdhsa_user_sgpr_dispatch_id 0
		.amdhsa_user_sgpr_private_segment_size 0
		.amdhsa_wavefront_size32 1
		.amdhsa_uses_dynamic_stack 0
		.amdhsa_enable_private_segment 0
		.amdhsa_system_sgpr_workgroup_id_x 1
		.amdhsa_system_sgpr_workgroup_id_y 0
		.amdhsa_system_sgpr_workgroup_id_z 0
		.amdhsa_system_sgpr_workgroup_info 0
		.amdhsa_system_vgpr_workitem_id 1
		.amdhsa_next_free_vgpr 41
		.amdhsa_next_free_sgpr 24
		.amdhsa_reserve_vcc 1
		.amdhsa_float_round_mode_32 0
		.amdhsa_float_round_mode_16_64 0
		.amdhsa_float_denorm_mode_32 3
		.amdhsa_float_denorm_mode_16_64 3
		.amdhsa_dx10_clamp 1
		.amdhsa_ieee_mode 1
		.amdhsa_fp16_overflow 0
		.amdhsa_workgroup_processor_mode 1
		.amdhsa_memory_ordered 1
		.amdhsa_forward_progress 0
		.amdhsa_shared_vgpr_count 0
		.amdhsa_exception_fp_ieee_invalid_op 0
		.amdhsa_exception_fp_denorm_src 0
		.amdhsa_exception_fp_ieee_div_zero 0
		.amdhsa_exception_fp_ieee_overflow 0
		.amdhsa_exception_fp_ieee_underflow 0
		.amdhsa_exception_fp_ieee_inexact 0
		.amdhsa_exception_int_div_zero 0
	.end_amdhsa_kernel
	.section	.text._ZN12_GLOBAL__N_120softmax_warp_forwardIN3c104HalfEffLi9ELb1ELb0ELi64EEEvPT0_PKT_iiiPKbib,"axG",@progbits,_ZN12_GLOBAL__N_120softmax_warp_forwardIN3c104HalfEffLi9ELb1ELb0ELi64EEEvPT0_PKT_iiiPKbib,comdat
.Lfunc_end123:
	.size	_ZN12_GLOBAL__N_120softmax_warp_forwardIN3c104HalfEffLi9ELb1ELb0ELi64EEEvPT0_PKT_iiiPKbib, .Lfunc_end123-_ZN12_GLOBAL__N_120softmax_warp_forwardIN3c104HalfEffLi9ELb1ELb0ELi64EEEvPT0_PKT_iiiPKbib
                                        ; -- End function
	.section	.AMDGPU.csdata,"",@progbits
; Kernel info:
; codeLenInByte = 2408
; NumSgprs: 26
; NumVgprs: 41
; ScratchSize: 0
; MemoryBound: 0
; FloatMode: 240
; IeeeMode: 1
; LDSByteSize: 0 bytes/workgroup (compile time only)
; SGPRBlocks: 3
; VGPRBlocks: 5
; NumSGPRsForWavesPerEU: 26
; NumVGPRsForWavesPerEU: 41
; Occupancy: 16
; WaveLimiterHint : 0
; COMPUTE_PGM_RSRC2:SCRATCH_EN: 0
; COMPUTE_PGM_RSRC2:USER_SGPR: 15
; COMPUTE_PGM_RSRC2:TRAP_HANDLER: 0
; COMPUTE_PGM_RSRC2:TGID_X_EN: 1
; COMPUTE_PGM_RSRC2:TGID_Y_EN: 0
; COMPUTE_PGM_RSRC2:TGID_Z_EN: 0
; COMPUTE_PGM_RSRC2:TIDIG_COMP_CNT: 1
	.section	.text._ZN12_GLOBAL__N_120softmax_warp_forwardIN3c104HalfEffLi9ELb1ELb0ELi32EEEvPT0_PKT_iiiPKbib,"axG",@progbits,_ZN12_GLOBAL__N_120softmax_warp_forwardIN3c104HalfEffLi9ELb1ELb0ELi32EEEvPT0_PKT_iiiPKbib,comdat
	.globl	_ZN12_GLOBAL__N_120softmax_warp_forwardIN3c104HalfEffLi9ELb1ELb0ELi32EEEvPT0_PKT_iiiPKbib ; -- Begin function _ZN12_GLOBAL__N_120softmax_warp_forwardIN3c104HalfEffLi9ELb1ELb0ELi32EEEvPT0_PKT_iiiPKbib
	.p2align	8
	.type	_ZN12_GLOBAL__N_120softmax_warp_forwardIN3c104HalfEffLi9ELb1ELb0ELi32EEEvPT0_PKT_iiiPKbib,@function
_ZN12_GLOBAL__N_120softmax_warp_forwardIN3c104HalfEffLi9ELb1ELb0ELi32EEEvPT0_PKT_iiiPKbib: ; @_ZN12_GLOBAL__N_120softmax_warp_forwardIN3c104HalfEffLi9ELb1ELb0ELi32EEEvPT0_PKT_iiiPKbib
; %bb.0:
	s_clause 0x1
	s_load_b32 s2, s[0:1], 0x3c
	s_load_b256 s[16:23], s[0:1], 0x0
	v_bfe_u32 v1, v0, 10, 10
	v_mov_b32_e32 v6, 0xff800000
	v_mov_b32_e32 v8, 0xff800000
	s_waitcnt lgkmcnt(0)
	s_lshr_b32 s0, s2, 16
	s_delay_alu instid0(SALU_CYCLE_1) | instskip(SKIP_1) | instid1(VALU_DEP_1)
	v_mad_u64_u32 v[3:4], null, s15, s0, v[1:2]
	v_and_b32_e32 v2, 0x3ff, v0
	v_cmp_gt_i32_e64 s0, s22, v2
	s_delay_alu instid0(VALU_DEP_3) | instskip(SKIP_1) | instid1(VALU_DEP_1)
	v_mad_u64_u32 v[0:1], null, v3, s21, v[2:3]
	v_sub_nc_u32_e32 v5, s20, v3
	v_cmp_lt_i32_e64 s15, 0, v5
	s_delay_alu instid0(VALU_DEP_3) | instskip(NEXT) | instid1(VALU_DEP_2)
	v_ashrrev_i32_e32 v1, 31, v0
	s_and_b32 s2, s15, s0
	s_delay_alu instid0(VALU_DEP_1) | instskip(NEXT) | instid1(VALU_DEP_1)
	v_lshlrev_b64 v[3:4], 1, v[0:1]
	v_add_co_u32 v3, vcc_lo, s18, v3
	s_delay_alu instid0(VALU_DEP_2)
	v_add_co_ci_u32_e32 v4, vcc_lo, s19, v4, vcc_lo
	s_and_saveexec_b32 s1, s2
	s_cbranch_execz .LBB124_2
; %bb.1:
	global_load_u16 v7, v[3:4], off
	s_waitcnt vmcnt(0)
	v_cvt_f32_f16_e32 v8, v7
.LBB124_2:
	s_or_b32 exec_lo, exec_lo, s1
	v_add_nc_u32_e32 v7, 32, v2
	s_delay_alu instid0(VALU_DEP_1) | instskip(SKIP_1) | instid1(SALU_CYCLE_1)
	v_cmp_gt_i32_e32 vcc_lo, s22, v7
	s_and_b32 s2, s15, vcc_lo
	s_and_saveexec_b32 s1, s2
	s_cbranch_execz .LBB124_4
; %bb.3:
	global_load_u16 v6, v[3:4], off offset:64
	s_waitcnt vmcnt(0)
	v_cvt_f32_f16_e32 v6, v6
.LBB124_4:
	s_or_b32 exec_lo, exec_lo, s1
	v_dual_mov_b32 v10, 0xff800000 :: v_dual_add_nc_u32 v7, 64, v2
	v_mov_b32_e32 v12, 0xff800000
	s_delay_alu instid0(VALU_DEP_2) | instskip(NEXT) | instid1(VALU_DEP_1)
	v_cmp_gt_i32_e64 s1, s22, v7
	s_and_b32 s3, s15, s1
	s_delay_alu instid0(SALU_CYCLE_1)
	s_and_saveexec_b32 s2, s3
	s_cbranch_execz .LBB124_6
; %bb.5:
	global_load_u16 v7, v[3:4], off offset:128
	s_waitcnt vmcnt(0)
	v_cvt_f32_f16_e32 v12, v7
.LBB124_6:
	s_or_b32 exec_lo, exec_lo, s2
	v_add_nc_u32_e32 v7, 0x60, v2
	s_delay_alu instid0(VALU_DEP_1) | instskip(NEXT) | instid1(VALU_DEP_1)
	v_cmp_gt_i32_e64 s2, s22, v7
	s_and_b32 s4, s15, s2
	s_delay_alu instid0(SALU_CYCLE_1)
	s_and_saveexec_b32 s3, s4
	s_cbranch_execz .LBB124_8
; %bb.7:
	global_load_u16 v7, v[3:4], off offset:192
	s_waitcnt vmcnt(0)
	v_cvt_f32_f16_e32 v10, v7
.LBB124_8:
	s_or_b32 exec_lo, exec_lo, s3
	v_add_nc_u32_e32 v7, 0x80, v2
	v_dual_mov_b32 v13, 0xff800000 :: v_dual_mov_b32 v14, 0xff800000
	s_delay_alu instid0(VALU_DEP_2) | instskip(NEXT) | instid1(VALU_DEP_1)
	v_cmp_gt_i32_e64 s3, s22, v7
	s_and_b32 s5, s15, s3
	s_delay_alu instid0(SALU_CYCLE_1)
	s_and_saveexec_b32 s4, s5
	s_cbranch_execz .LBB124_10
; %bb.9:
	global_load_u16 v7, v[3:4], off offset:256
	s_waitcnt vmcnt(0)
	v_cvt_f32_f16_e32 v14, v7
.LBB124_10:
	s_or_b32 exec_lo, exec_lo, s4
	v_add_nc_u32_e32 v7, 0xa0, v2
	s_delay_alu instid0(VALU_DEP_1) | instskip(NEXT) | instid1(VALU_DEP_1)
	v_cmp_gt_i32_e64 s4, s22, v7
	s_and_b32 s6, s15, s4
	s_delay_alu instid0(SALU_CYCLE_1)
	s_and_saveexec_b32 s5, s6
	s_cbranch_execz .LBB124_12
; %bb.11:
	global_load_u16 v7, v[3:4], off offset:320
	s_waitcnt vmcnt(0)
	v_cvt_f32_f16_e32 v13, v7
.LBB124_12:
	s_or_b32 exec_lo, exec_lo, s5
	v_add_nc_u32_e32 v7, 0xc0, v2
	v_dual_mov_b32 v15, 0xff800000 :: v_dual_mov_b32 v16, 0xff800000
	;; [unrolled: 27-line block ×6, first 2 shown]
	s_delay_alu instid0(VALU_DEP_2) | instskip(NEXT) | instid1(VALU_DEP_1)
	v_cmp_gt_i32_e64 s13, s22, v7
	s_and_b32 s18, s15, s13
	s_delay_alu instid0(SALU_CYCLE_1)
	s_and_saveexec_b32 s14, s18
	s_cbranch_execz .LBB124_30
; %bb.29:
	global_load_u16 v7, v[3:4], off offset:896
	s_waitcnt vmcnt(0)
	v_cvt_f32_f16_e32 v24, v7
.LBB124_30:
	s_or_b32 exec_lo, exec_lo, s14
	v_add_nc_u32_e32 v2, 0x1e0, v2
	s_delay_alu instid0(VALU_DEP_1) | instskip(NEXT) | instid1(VALU_DEP_1)
	v_cmp_gt_i32_e64 s14, s22, v2
	s_and_b32 s18, s15, s14
	s_delay_alu instid0(SALU_CYCLE_1)
	s_and_saveexec_b32 s15, s18
	s_cbranch_execz .LBB124_32
; %bb.31:
	global_load_u16 v2, v[3:4], off offset:960
	s_waitcnt vmcnt(0)
	v_cvt_f32_f16_e32 v23, v2
.LBB124_32:
	s_or_b32 exec_lo, exec_lo, s15
	v_cmp_gt_f32_e64 s15, v8, v6
	v_mbcnt_lo_u32_b32 v3, -1, 0
	s_mov_b32 s18, exec_lo
	s_delay_alu instid0(VALU_DEP_2) | instskip(NEXT) | instid1(VALU_DEP_2)
	v_cndmask_b32_e64 v2, v6, v8, s15
	v_xor_b32_e32 v4, 16, v3
	s_delay_alu instid0(VALU_DEP_2) | instskip(NEXT) | instid1(VALU_DEP_1)
	v_cmp_gt_f32_e64 s15, v2, v12
	v_cndmask_b32_e64 v2, v12, v2, s15
	s_delay_alu instid0(VALU_DEP_1) | instskip(NEXT) | instid1(VALU_DEP_1)
	v_cmp_gt_f32_e64 s15, v2, v10
	v_cndmask_b32_e64 v2, v10, v2, s15
	s_delay_alu instid0(VALU_DEP_1) | instskip(NEXT) | instid1(VALU_DEP_1)
	;; [unrolled: 3-line block ×11, first 2 shown]
	v_cmp_gt_f32_e64 s15, v2, v21
	v_cndmask_b32_e64 v2, v21, v2, s15
	v_cmp_gt_i32_e64 s15, 32, v4
	s_delay_alu instid0(VALU_DEP_1) | instskip(NEXT) | instid1(VALU_DEP_3)
	v_cndmask_b32_e64 v4, v3, v4, s15
	v_cmp_gt_f32_e64 s15, v2, v24
	s_delay_alu instid0(VALU_DEP_1) | instskip(NEXT) | instid1(VALU_DEP_3)
	v_cndmask_b32_e64 v7, v24, v2, s15
	v_lshlrev_b32_e32 v2, 2, v4
	v_xor_b32_e32 v4, 8, v3
	s_delay_alu instid0(VALU_DEP_3) | instskip(NEXT) | instid1(VALU_DEP_1)
	v_cmp_gt_f32_e64 s15, v7, v23
	v_cndmask_b32_e64 v7, v23, v7, s15
	s_delay_alu instid0(VALU_DEP_3) | instskip(SKIP_2) | instid1(VALU_DEP_1)
	v_cmp_gt_i32_e64 s15, 32, v4
	ds_bpermute_b32 v9, v2, v7
	v_cndmask_b32_e64 v4, v3, v4, s15
	v_lshlrev_b32_e32 v4, 2, v4
	s_waitcnt lgkmcnt(0)
	v_cmp_lt_f32_e64 s15, v7, v9
	s_delay_alu instid0(VALU_DEP_1) | instskip(SKIP_3) | instid1(VALU_DEP_1)
	v_cndmask_b32_e64 v9, v7, v9, s15
	v_xor_b32_e32 v7, 4, v3
	ds_bpermute_b32 v11, v4, v9
	v_cmp_gt_i32_e64 s15, 32, v7
	v_cndmask_b32_e64 v7, v3, v7, s15
	s_delay_alu instid0(VALU_DEP_1) | instskip(SKIP_2) | instid1(VALU_DEP_1)
	v_lshlrev_b32_e32 v7, 2, v7
	s_waitcnt lgkmcnt(0)
	v_cmp_lt_f32_e64 s15, v9, v11
	v_cndmask_b32_e64 v11, v9, v11, s15
	v_xor_b32_e32 v9, 2, v3
	ds_bpermute_b32 v25, v7, v11
	v_cmp_gt_i32_e64 s15, 32, v9
	s_delay_alu instid0(VALU_DEP_1) | instskip(NEXT) | instid1(VALU_DEP_1)
	v_cndmask_b32_e64 v9, v3, v9, s15
	v_lshlrev_b32_e32 v9, 2, v9
	s_waitcnt lgkmcnt(0)
	v_cmp_lt_f32_e64 s15, v11, v25
	s_delay_alu instid0(VALU_DEP_1) | instskip(SKIP_3) | instid1(VALU_DEP_1)
	v_cndmask_b32_e64 v25, v11, v25, s15
	v_xor_b32_e32 v11, 1, v3
	ds_bpermute_b32 v26, v9, v25
	v_cmp_gt_i32_e64 s15, 32, v11
	v_cndmask_b32_e64 v3, v3, v11, s15
	s_delay_alu instid0(VALU_DEP_1) | instskip(SKIP_2) | instid1(VALU_DEP_1)
	v_lshlrev_b32_e32 v11, 2, v3
	s_waitcnt lgkmcnt(0)
	v_cmp_lt_f32_e64 s15, v25, v26
	v_cndmask_b32_e64 v3, v25, v26, s15
	ds_bpermute_b32 v25, v11, v3
	s_waitcnt lgkmcnt(0)
	v_cmp_lt_f32_e64 s15, v3, v25
	s_delay_alu instid0(VALU_DEP_1) | instskip(NEXT) | instid1(VALU_DEP_1)
	v_cndmask_b32_e64 v25, v3, v25, s15
	v_sub_f32_e32 v3, v8, v25
	v_sub_f32_e32 v8, v12, v25
	;; [unrolled: 1-line block ×6, first 2 shown]
	v_mul_f32_e32 v26, 0x3fb8aa3b, v8
	v_dual_sub_f32 v14, v16, v25 :: v_dual_mul_f32 v31, 0x3fb8aa3b, v15
	v_sub_f32_e32 v19, v19, v25
	v_sub_f32_e32 v13, v13, v25
	;; [unrolled: 1-line block ×3, first 2 shown]
	s_delay_alu instid0(VALU_DEP_4) | instskip(NEXT) | instid1(VALU_DEP_4)
	v_dual_sub_f32 v23, v23, v25 :: v_dual_mul_f32 v30, 0x3fb8aa3b, v14
	v_dual_sub_f32 v16, v18, v25 :: v_dual_mul_f32 v35, 0x3fb8aa3b, v19
	s_delay_alu instid0(VALU_DEP_2) | instskip(SKIP_1) | instid1(VALU_DEP_3)
	v_dual_sub_f32 v18, v20, v25 :: v_dual_mul_f32 v39, 0x3fb8aa3b, v23
	v_sub_f32_e32 v20, v22, v25
	v_dual_sub_f32 v21, v21, v25 :: v_dual_mul_f32 v32, 0x3fb8aa3b, v16
	v_dual_sub_f32 v22, v24, v25 :: v_dual_mul_f32 v25, 0x3fb8aa3b, v6
	v_dual_mul_f32 v24, 0x3fb8aa3b, v3 :: v_dual_mul_f32 v27, 0x3fb8aa3b, v10
	v_rndne_f32_e32 v55, v31
	v_fma_f32 v54, 0x3fb8aa3b, v15, -v31
	s_delay_alu instid0(VALU_DEP_4) | instskip(NEXT) | instid1(VALU_DEP_4)
	v_rndne_f32_e32 v43, v25
	v_fma_f32 v40, 0x3fb8aa3b, v3, -v24
	v_rndne_f32_e32 v41, v24
	v_fma_f32 v42, 0x3fb8aa3b, v6, -v25
	v_rndne_f32_e32 v47, v27
	v_sub_f32_e32 v25, v25, v43
	v_dual_mul_f32 v29, 0x3fb8aa3b, v13 :: v_dual_mul_f32 v36, 0x3fb8aa3b, v20
	s_delay_alu instid0(VALU_DEP_4) | instskip(SKIP_1) | instid1(VALU_DEP_3)
	v_dual_fmac_f32 v42, 0x32a5705f, v6 :: v_dual_sub_f32 v31, v31, v55
	v_fmac_f32_e32 v40, 0x32a5705f, v3
	v_rndne_f32_e32 v51, v29
	v_sub_f32_e32 v24, v24, v41
	v_mul_f32_e32 v28, 0x3fb8aa3b, v12
	v_fma_f32 v44, 0x3fb8aa3b, v8, -v26
	v_rndne_f32_e32 v45, v26
	v_fma_f32 v46, 0x3fb8aa3b, v10, -v27
	v_fma_f32 v50, 0x3fb8aa3b, v13, -v29
	v_sub_f32_e32 v29, v29, v51
	v_sub_f32_e32 v27, v27, v47
	v_dual_mul_f32 v33, 0x3fb8aa3b, v17 :: v_dual_mul_f32 v38, 0x3fb8aa3b, v22
	v_add_f32_e32 v25, v25, v42
	v_dual_mul_f32 v37, 0x3fb8aa3b, v21 :: v_dual_add_f32 v24, v24, v40
	s_delay_alu instid0(VALU_DEP_3)
	v_rndne_f32_e32 v59, v33
	v_rndne_f32_e32 v63, v35
	v_fmac_f32_e32 v44, 0x32a5705f, v8
	v_sub_f32_e32 v26, v26, v45
	v_exp_f32_e32 v24, v24
	v_fma_f32 v58, 0x3fb8aa3b, v17, -v33
	v_fma_f32 v62, 0x3fb8aa3b, v19, -v35
	v_sub_f32_e32 v35, v35, v63
	v_cvt_i32_f32_e32 v41, v41
	v_dual_sub_f32 v33, v33, v59 :: v_dual_add_f32 v26, v26, v44
	v_exp_f32_e32 v25, v25
	v_cvt_i32_f32_e32 v43, v43
	v_cmp_ngt_f32_e64 s15, 0xc2ce8ed0, v3
	s_delay_alu instid0(TRANS32_DEP_2)
	v_ldexp_f32 v24, v24, v41
	v_exp_f32_e32 v26, v26
	v_rndne_f32_e32 v49, v28
	v_rndne_f32_e32 v67, v37
	v_cvt_i32_f32_e32 v45, v45
	v_fmac_f32_e32 v46, 0x32a5705f, v10
	v_cndmask_b32_e64 v24, 0, v24, s15
	v_ldexp_f32 v25, v25, v43
	v_cmp_ngt_f32_e64 s15, 0xc2ce8ed0, v6
	v_fma_f32 v48, 0x3fb8aa3b, v12, -v28
	v_fma_f32 v66, 0x3fb8aa3b, v21, -v37
	v_dual_sub_f32 v37, v37, v67 :: v_dual_sub_f32 v28, v28, v49
	v_add_f32_e32 v27, v27, v46
	v_ldexp_f32 v26, v26, v45
	v_cndmask_b32_e64 v25, 0, v25, s15
	v_cmp_ngt_f32_e64 s15, 0xc2ce8ed0, v8
	v_mul_f32_e32 v34, 0x3fb8aa3b, v18
	v_fma_f32 v70, 0x3fb8aa3b, v23, -v39
	v_rndne_f32_e32 v71, v39
	v_fmac_f32_e32 v48, 0x32a5705f, v12
	v_exp_f32_e32 v27, v27
	v_cndmask_b32_e64 v26, 0, v26, s15
	v_cmp_nlt_f32_e64 s15, 0x42b17218, v3
	v_sub_f32_e32 v39, v39, v71
	v_cvt_i32_f32_e32 v47, v47
	v_fmac_f32_e32 v70, 0x32a5705f, v23
	v_fmac_f32_e32 v58, 0x32a5705f, v17
	v_add_f32_e32 v28, v28, v48
	v_cndmask_b32_e64 v24, 0x7f800000, v24, s15
	v_cmp_nlt_f32_e64 s15, 0x42b17218, v6
	v_add_f32_e32 v39, v39, v70
	v_rndne_f32_e32 v53, v30
	v_dual_fmac_f32 v54, 0x32a5705f, v15 :: v_dual_add_f32 v33, v33, v58
	v_fmac_f32_e32 v50, 0x32a5705f, v13
	v_exp_f32_e32 v28, v28
	v_ldexp_f32 v27, v27, v47
	s_delay_alu instid0(VALU_DEP_3)
	v_add_f32_e32 v31, v31, v54
	v_cndmask_b32_e64 v25, 0x7f800000, v25, s15
	v_cmp_ngt_f32_e64 s15, 0xc2ce8ed0, v10
	v_fma_f32 v52, 0x3fb8aa3b, v14, -v30
	v_cvt_i32_f32_e32 v49, v49
	v_dual_sub_f32 v30, v30, v53 :: v_dual_add_f32 v29, v29, v50
	s_delay_alu instid0(VALU_DEP_4)
	v_cndmask_b32_e64 v27, 0, v27, s15
	v_cmp_nlt_f32_e64 s15, 0x42b17218, v8
	v_fmac_f32_e32 v52, 0x32a5705f, v14
	v_ldexp_f32 v28, v28, v49
	v_exp_f32_e32 v29, v29
	v_cvt_i32_f32_e32 v51, v51
	v_cndmask_b32_e64 v26, 0x7f800000, v26, s15
	v_cmp_ngt_f32_e64 s15, 0xc2ce8ed0, v12
	v_add_f32_e32 v30, v30, v52
	v_add_f32_e32 v24, v24, v25
	v_fma_f32 v56, 0x3fb8aa3b, v16, -v32
	v_rndne_f32_e32 v57, v32
	v_cndmask_b32_e64 v25, 0, v28, s15
	v_cmp_nlt_f32_e64 s15, 0x42b17218, v10
	v_exp_f32_e32 v30, v30
	v_ldexp_f32 v29, v29, v51
	v_cvt_i32_f32_e32 v53, v53
	v_add_f32_e32 v24, v24, v26
	v_cndmask_b32_e64 v27, 0x7f800000, v27, s15
	v_cmp_ngt_f32_e64 s15, 0xc2ce8ed0, v13
	v_fmac_f32_e32 v62, 0x32a5705f, v19
	v_fmac_f32_e32 v56, 0x32a5705f, v16
	;; [unrolled: 1-line block ×3, first 2 shown]
	v_sub_f32_e32 v32, v32, v57
	v_cndmask_b32_e64 v26, 0, v29, s15
	v_cmp_nlt_f32_e64 s15, 0x42b17218, v12
	v_exp_f32_e32 v31, v31
	v_add_f32_e32 v37, v37, v66
	v_ldexp_f32 v30, v30, v53
	v_cvt_i32_f32_e32 v55, v55
	v_cndmask_b32_e64 v25, 0x7f800000, v25, s15
	v_cmp_ngt_f32_e64 s15, 0xc2ce8ed0, v14
	v_dual_add_f32 v35, v35, v62 :: v_dual_add_f32 v32, v32, v56
	v_add_f32_e32 v24, v24, v27
	v_fma_f32 v60, 0x3fb8aa3b, v18, -v34
	s_delay_alu instid0(VALU_DEP_4)
	v_cndmask_b32_e64 v27, 0, v30, s15
	v_cmp_nlt_f32_e64 s15, 0x42b17218, v13
	v_exp_f32_e32 v32, v32
	v_ldexp_f32 v31, v31, v55
	v_rndne_f32_e32 v61, v34
	v_cvt_i32_f32_e32 v57, v57
	v_cndmask_b32_e64 v26, 0x7f800000, v26, s15
	v_cmp_ngt_f32_e64 s15, 0xc2ce8ed0, v15
	v_add_f32_e32 v24, v24, v25
	v_fmac_f32_e32 v60, 0x32a5705f, v18
	v_sub_f32_e32 v34, v34, v61
	v_exp_f32_e32 v33, v33
	v_cndmask_b32_e64 v25, 0, v31, s15
	v_cmp_nlt_f32_e64 s15, 0x42b17218, v14
	v_ldexp_f32 v32, v32, v57
	v_cvt_i32_f32_e32 v59, v59
	v_add_f32_e32 v34, v34, v60
	v_add_f32_e32 v24, v24, v26
	v_cndmask_b32_e64 v27, 0x7f800000, v27, s15
	v_cmp_ngt_f32_e64 s15, 0xc2ce8ed0, v16
	v_fma_f32 v64, 0x3fb8aa3b, v20, -v36
	v_exp_f32_e32 v34, v34
	v_ldexp_f32 v33, v33, v59
	v_rndne_f32_e32 v65, v36
	v_cndmask_b32_e64 v26, 0, v32, s15
	v_cmp_nlt_f32_e64 s15, 0x42b17218, v15
	v_cvt_i32_f32_e32 v61, v61
	v_add_f32_e32 v24, v24, v27
	v_fmac_f32_e32 v64, 0x32a5705f, v20
	v_sub_f32_e32 v36, v36, v65
	v_cndmask_b32_e64 v25, 0x7f800000, v25, s15
	v_cmp_ngt_f32_e64 s15, 0xc2ce8ed0, v17
	v_exp_f32_e32 v35, v35
	v_ldexp_f32 v34, v34, v61
	v_cvt_i32_f32_e32 v63, v63
	v_add_f32_e32 v36, v36, v64
	v_cndmask_b32_e64 v27, 0, v33, s15
	v_cmp_nlt_f32_e64 s15, 0x42b17218, v16
	v_add_f32_e32 v24, v24, v25
	v_fma_f32 v68, 0x3fb8aa3b, v22, -v38
	v_exp_f32_e32 v36, v36
	v_rndne_f32_e32 v69, v38
	v_cndmask_b32_e64 v26, 0x7f800000, v26, s15
	v_cmp_ngt_f32_e64 s15, 0xc2ce8ed0, v18
	v_ldexp_f32 v35, v35, v63
	v_cvt_i32_f32_e32 v65, v65
	v_fmac_f32_e32 v68, 0x32a5705f, v22
	v_add_f32_e32 v24, v24, v26
	v_cndmask_b32_e64 v25, 0, v34, s15
	v_cmp_nlt_f32_e64 s15, 0x42b17218, v17
	v_sub_f32_e32 v38, v38, v69
	v_exp_f32_e32 v37, v37
	v_ldexp_f32 v36, v36, v65
	v_cvt_i32_f32_e32 v67, v67
	v_cndmask_b32_e64 v27, 0x7f800000, v27, s15
	v_cmp_ngt_f32_e64 s15, 0xc2ce8ed0, v19
	v_add_f32_e32 v38, v38, v68
	v_cvt_i32_f32_e32 v69, v69
	v_exp_f32_e32 v39, v39
	v_add_f32_e32 v24, v24, v27
	v_cndmask_b32_e64 v26, 0, v35, s15
	v_cmp_nlt_f32_e64 s15, 0x42b17218, v18
	v_exp_f32_e32 v38, v38
	v_ldexp_f32 v37, v37, v67
	v_cvt_i32_f32_e32 v71, v71
	s_delay_alu instid0(VALU_DEP_3) | instskip(SKIP_1) | instid1(VALU_DEP_2)
	v_cndmask_b32_e64 v25, 0x7f800000, v25, s15
	v_cmp_ngt_f32_e64 s15, 0xc2ce8ed0, v20
	v_add_f32_e32 v24, v24, v25
	s_delay_alu instid0(VALU_DEP_2) | instskip(SKIP_1) | instid1(TRANS32_DEP_1)
	v_cndmask_b32_e64 v27, 0, v36, s15
	v_cmp_nlt_f32_e64 s15, 0x42b17218, v19
	v_ldexp_f32 v38, v38, v69
	s_delay_alu instid0(VALU_DEP_2) | instskip(SKIP_1) | instid1(VALU_DEP_2)
	v_cndmask_b32_e64 v26, 0x7f800000, v26, s15
	v_cmp_ngt_f32_e64 s15, 0xc2ce8ed0, v21
	v_add_f32_e32 v24, v24, v26
	s_delay_alu instid0(VALU_DEP_2) | instskip(SKIP_1) | instid1(VALU_DEP_1)
	v_cndmask_b32_e64 v25, 0, v37, s15
	v_cmp_nlt_f32_e64 s15, 0x42b17218, v20
	v_cndmask_b32_e64 v27, 0x7f800000, v27, s15
	v_cmp_ngt_f32_e64 s15, 0xc2ce8ed0, v22
	s_delay_alu instid0(VALU_DEP_2) | instskip(NEXT) | instid1(VALU_DEP_2)
	v_add_f32_e32 v24, v24, v27
	v_cndmask_b32_e64 v26, 0, v38, s15
	v_cmp_nlt_f32_e64 s15, 0x42b17218, v21
	v_ldexp_f32 v27, v39, v71
	s_delay_alu instid0(VALU_DEP_2) | instskip(SKIP_1) | instid1(VALU_DEP_2)
	v_cndmask_b32_e64 v25, 0x7f800000, v25, s15
	v_cmp_nlt_f32_e64 s15, 0x42b17218, v22
	v_add_f32_e32 v24, v24, v25
	s_delay_alu instid0(VALU_DEP_2) | instskip(SKIP_1) | instid1(VALU_DEP_2)
	v_cndmask_b32_e64 v26, 0x7f800000, v26, s15
	v_cmp_ngt_f32_e64 s15, 0xc2ce8ed0, v23
	v_add_f32_e32 v24, v24, v26
	s_delay_alu instid0(VALU_DEP_2) | instskip(SKIP_1) | instid1(VALU_DEP_1)
	v_cndmask_b32_e64 v25, 0, v27, s15
	v_cmp_nlt_f32_e64 s15, 0x42b17218, v23
	v_cndmask_b32_e64 v25, 0x7f800000, v25, s15
	s_delay_alu instid0(VALU_DEP_1)
	v_add_f32_e32 v24, v24, v25
	ds_bpermute_b32 v2, v2, v24
	s_waitcnt lgkmcnt(0)
	v_add_f32_e32 v2, v24, v2
	ds_bpermute_b32 v4, v4, v2
	s_waitcnt lgkmcnt(0)
	;; [unrolled: 3-line block ×4, first 2 shown]
	v_add_f32_e32 v2, v2, v4
	ds_bpermute_b32 v4, v11, v2
	v_cmpx_lt_i32_e32 0, v5
	s_cbranch_execz .LBB124_50
; %bb.33:
	s_and_b32 exec_lo, exec_lo, s0
	s_cbranch_execz .LBB124_50
; %bb.34:
	s_waitcnt lgkmcnt(0)
	v_add_f32_e32 v2, v2, v4
	v_lshlrev_b64 v[0:1], 2, v[0:1]
	s_delay_alu instid0(VALU_DEP_2) | instskip(NEXT) | instid1(VALU_DEP_1)
	v_cmp_gt_f32_e64 s0, 0x800000, v2
	v_cndmask_b32_e64 v4, 1.0, 0x4f800000, s0
	s_delay_alu instid0(VALU_DEP_1) | instskip(NEXT) | instid1(VALU_DEP_1)
	v_mul_f32_e32 v2, v2, v4
	v_log_f32_e32 v2, v2
	s_waitcnt_depctr 0xfff
	v_mul_f32_e32 v4, 0x3f317217, v2
	v_cmp_gt_f32_e64 s15, 0x7f800000, |v2|
	s_delay_alu instid0(VALU_DEP_2) | instskip(NEXT) | instid1(VALU_DEP_1)
	v_fma_f32 v5, 0x3f317217, v2, -v4
	v_fmamk_f32 v5, v2, 0x3377d1cf, v5
	s_delay_alu instid0(VALU_DEP_1) | instskip(NEXT) | instid1(VALU_DEP_1)
	v_add_f32_e32 v4, v4, v5
	v_cndmask_b32_e64 v2, v2, v4, s15
	v_cndmask_b32_e64 v4, 0, 0x41b17218, s0
	v_add_co_u32 v0, s0, s16, v0
	s_delay_alu instid0(VALU_DEP_1) | instskip(NEXT) | instid1(VALU_DEP_3)
	v_add_co_ci_u32_e64 v1, s0, s17, v1, s0
	v_sub_f32_e32 v2, v2, v4
	s_delay_alu instid0(VALU_DEP_1)
	v_sub_f32_e32 v3, v3, v2
	global_store_b32 v[0:1], v3, off
	s_and_b32 exec_lo, exec_lo, vcc_lo
	s_cbranch_execz .LBB124_50
; %bb.35:
	v_sub_f32_e32 v3, v6, v2
	global_store_b32 v[0:1], v3, off offset:128
	s_and_b32 exec_lo, exec_lo, s1
	s_cbranch_execz .LBB124_50
; %bb.36:
	v_sub_f32_e32 v3, v8, v2
	global_store_b32 v[0:1], v3, off offset:256
	s_and_b32 exec_lo, exec_lo, s2
	;; [unrolled: 5-line block ×14, first 2 shown]
	s_cbranch_execz .LBB124_50
; %bb.49:
	v_sub_f32_e32 v2, v23, v2
	global_store_b32 v[0:1], v2, off offset:1920
.LBB124_50:
	s_nop 0
	s_sendmsg sendmsg(MSG_DEALLOC_VGPRS)
	s_endpgm
	.section	.rodata,"a",@progbits
	.p2align	6, 0x0
	.amdhsa_kernel _ZN12_GLOBAL__N_120softmax_warp_forwardIN3c104HalfEffLi9ELb1ELb0ELi32EEEvPT0_PKT_iiiPKbib
		.amdhsa_group_segment_fixed_size 0
		.amdhsa_private_segment_fixed_size 0
		.amdhsa_kernarg_size 304
		.amdhsa_user_sgpr_count 15
		.amdhsa_user_sgpr_dispatch_ptr 0
		.amdhsa_user_sgpr_queue_ptr 0
		.amdhsa_user_sgpr_kernarg_segment_ptr 1
		.amdhsa_user_sgpr_dispatch_id 0
		.amdhsa_user_sgpr_private_segment_size 0
		.amdhsa_wavefront_size32 1
		.amdhsa_uses_dynamic_stack 0
		.amdhsa_enable_private_segment 0
		.amdhsa_system_sgpr_workgroup_id_x 1
		.amdhsa_system_sgpr_workgroup_id_y 0
		.amdhsa_system_sgpr_workgroup_id_z 0
		.amdhsa_system_sgpr_workgroup_info 0
		.amdhsa_system_vgpr_workitem_id 1
		.amdhsa_next_free_vgpr 72
		.amdhsa_next_free_sgpr 24
		.amdhsa_reserve_vcc 1
		.amdhsa_float_round_mode_32 0
		.amdhsa_float_round_mode_16_64 0
		.amdhsa_float_denorm_mode_32 3
		.amdhsa_float_denorm_mode_16_64 3
		.amdhsa_dx10_clamp 1
		.amdhsa_ieee_mode 1
		.amdhsa_fp16_overflow 0
		.amdhsa_workgroup_processor_mode 1
		.amdhsa_memory_ordered 1
		.amdhsa_forward_progress 0
		.amdhsa_shared_vgpr_count 0
		.amdhsa_exception_fp_ieee_invalid_op 0
		.amdhsa_exception_fp_denorm_src 0
		.amdhsa_exception_fp_ieee_div_zero 0
		.amdhsa_exception_fp_ieee_overflow 0
		.amdhsa_exception_fp_ieee_underflow 0
		.amdhsa_exception_fp_ieee_inexact 0
		.amdhsa_exception_int_div_zero 0
	.end_amdhsa_kernel
	.section	.text._ZN12_GLOBAL__N_120softmax_warp_forwardIN3c104HalfEffLi9ELb1ELb0ELi32EEEvPT0_PKT_iiiPKbib,"axG",@progbits,_ZN12_GLOBAL__N_120softmax_warp_forwardIN3c104HalfEffLi9ELb1ELb0ELi32EEEvPT0_PKT_iiiPKbib,comdat
.Lfunc_end124:
	.size	_ZN12_GLOBAL__N_120softmax_warp_forwardIN3c104HalfEffLi9ELb1ELb0ELi32EEEvPT0_PKT_iiiPKbib, .Lfunc_end124-_ZN12_GLOBAL__N_120softmax_warp_forwardIN3c104HalfEffLi9ELb1ELb0ELi32EEEvPT0_PKT_iiiPKbib
                                        ; -- End function
	.section	.AMDGPU.csdata,"",@progbits
; Kernel info:
; codeLenInByte = 4044
; NumSgprs: 26
; NumVgprs: 72
; ScratchSize: 0
; MemoryBound: 0
; FloatMode: 240
; IeeeMode: 1
; LDSByteSize: 0 bytes/workgroup (compile time only)
; SGPRBlocks: 3
; VGPRBlocks: 8
; NumSGPRsForWavesPerEU: 26
; NumVGPRsForWavesPerEU: 72
; Occupancy: 16
; WaveLimiterHint : 0
; COMPUTE_PGM_RSRC2:SCRATCH_EN: 0
; COMPUTE_PGM_RSRC2:USER_SGPR: 15
; COMPUTE_PGM_RSRC2:TRAP_HANDLER: 0
; COMPUTE_PGM_RSRC2:TGID_X_EN: 1
; COMPUTE_PGM_RSRC2:TGID_Y_EN: 0
; COMPUTE_PGM_RSRC2:TGID_Z_EN: 0
; COMPUTE_PGM_RSRC2:TIDIG_COMP_CNT: 1
	.section	.text._ZN12_GLOBAL__N_120softmax_warp_forwardIN3c104HalfEffLi10ELb1ELb0ELi64EEEvPT0_PKT_iiiPKbib,"axG",@progbits,_ZN12_GLOBAL__N_120softmax_warp_forwardIN3c104HalfEffLi10ELb1ELb0ELi64EEEvPT0_PKT_iiiPKbib,comdat
	.globl	_ZN12_GLOBAL__N_120softmax_warp_forwardIN3c104HalfEffLi10ELb1ELb0ELi64EEEvPT0_PKT_iiiPKbib ; -- Begin function _ZN12_GLOBAL__N_120softmax_warp_forwardIN3c104HalfEffLi10ELb1ELb0ELi64EEEvPT0_PKT_iiiPKbib
	.p2align	8
	.type	_ZN12_GLOBAL__N_120softmax_warp_forwardIN3c104HalfEffLi10ELb1ELb0ELi64EEEvPT0_PKT_iiiPKbib,@function
_ZN12_GLOBAL__N_120softmax_warp_forwardIN3c104HalfEffLi10ELb1ELb0ELi64EEEvPT0_PKT_iiiPKbib: ; @_ZN12_GLOBAL__N_120softmax_warp_forwardIN3c104HalfEffLi10ELb1ELb0ELi64EEEvPT0_PKT_iiiPKbib
; %bb.0:
	s_clause 0x1
	s_load_b32 s2, s[0:1], 0x3c
	s_load_b256 s[16:23], s[0:1], 0x0
	v_bfe_u32 v1, v0, 10, 10
	v_mov_b32_e32 v7, 0xff800000
	v_mov_b32_e32 v9, 0xff800000
	s_waitcnt lgkmcnt(0)
	s_lshr_b32 s0, s2, 16
	s_delay_alu instid0(SALU_CYCLE_1) | instskip(SKIP_1) | instid1(VALU_DEP_1)
	v_mad_u64_u32 v[3:4], null, s15, s0, v[1:2]
	v_and_b32_e32 v2, 0x3ff, v0
	v_cmp_gt_i32_e64 s0, s22, v2
	s_delay_alu instid0(VALU_DEP_3) | instskip(SKIP_1) | instid1(VALU_DEP_1)
	v_mad_u64_u32 v[0:1], null, v3, s21, v[2:3]
	v_sub_nc_u32_e32 v5, s20, v3
	v_cmp_lt_i32_e64 s15, 0, v5
	s_delay_alu instid0(VALU_DEP_3) | instskip(NEXT) | instid1(VALU_DEP_2)
	v_ashrrev_i32_e32 v1, 31, v0
	s_and_b32 s2, s15, s0
	s_delay_alu instid0(VALU_DEP_1) | instskip(NEXT) | instid1(VALU_DEP_1)
	v_lshlrev_b64 v[3:4], 1, v[0:1]
	v_add_co_u32 v3, vcc_lo, s18, v3
	s_delay_alu instid0(VALU_DEP_2)
	v_add_co_ci_u32_e32 v4, vcc_lo, s19, v4, vcc_lo
	s_and_saveexec_b32 s1, s2
	s_cbranch_execz .LBB125_2
; %bb.1:
	global_load_u16 v6, v[3:4], off
	s_waitcnt vmcnt(0)
	v_cvt_f32_f16_e32 v9, v6
.LBB125_2:
	s_or_b32 exec_lo, exec_lo, s1
	v_add_nc_u32_e32 v6, 64, v2
	s_delay_alu instid0(VALU_DEP_1) | instskip(SKIP_1) | instid1(SALU_CYCLE_1)
	v_cmp_gt_i32_e32 vcc_lo, s22, v6
	s_and_b32 s2, s15, vcc_lo
	s_and_saveexec_b32 s1, s2
	s_cbranch_execz .LBB125_4
; %bb.3:
	global_load_u16 v6, v[3:4], off offset:128
	s_waitcnt vmcnt(0)
	v_cvt_f32_f16_e32 v7, v6
.LBB125_4:
	s_or_b32 exec_lo, exec_lo, s1
	v_add_nc_u32_e32 v6, 0x80, v2
	v_mov_b32_e32 v11, 0xff800000
	v_mov_b32_e32 v13, 0xff800000
	s_delay_alu instid0(VALU_DEP_3) | instskip(NEXT) | instid1(VALU_DEP_1)
	v_cmp_gt_i32_e64 s1, s22, v6
	s_and_b32 s3, s15, s1
	s_delay_alu instid0(SALU_CYCLE_1)
	s_and_saveexec_b32 s2, s3
	s_cbranch_execz .LBB125_6
; %bb.5:
	global_load_u16 v6, v[3:4], off offset:256
	s_waitcnt vmcnt(0)
	v_cvt_f32_f16_e32 v13, v6
.LBB125_6:
	s_or_b32 exec_lo, exec_lo, s2
	v_add_nc_u32_e32 v6, 0xc0, v2
	s_delay_alu instid0(VALU_DEP_1) | instskip(NEXT) | instid1(VALU_DEP_1)
	v_cmp_gt_i32_e64 s2, s22, v6
	s_and_b32 s4, s15, s2
	s_delay_alu instid0(SALU_CYCLE_1)
	s_and_saveexec_b32 s3, s4
	s_cbranch_execz .LBB125_8
; %bb.7:
	global_load_u16 v6, v[3:4], off offset:384
	s_waitcnt vmcnt(0)
	v_cvt_f32_f16_e32 v11, v6
.LBB125_8:
	s_or_b32 exec_lo, exec_lo, s3
	v_add_nc_u32_e32 v6, 0x100, v2
	v_dual_mov_b32 v14, 0xff800000 :: v_dual_mov_b32 v15, 0xff800000
	s_delay_alu instid0(VALU_DEP_2) | instskip(NEXT) | instid1(VALU_DEP_1)
	v_cmp_gt_i32_e64 s3, s22, v6
	s_and_b32 s5, s15, s3
	s_delay_alu instid0(SALU_CYCLE_1)
	s_and_saveexec_b32 s4, s5
	s_cbranch_execz .LBB125_10
; %bb.9:
	global_load_u16 v6, v[3:4], off offset:512
	s_waitcnt vmcnt(0)
	v_cvt_f32_f16_e32 v15, v6
.LBB125_10:
	s_or_b32 exec_lo, exec_lo, s4
	v_add_nc_u32_e32 v6, 0x140, v2
	s_delay_alu instid0(VALU_DEP_1) | instskip(NEXT) | instid1(VALU_DEP_1)
	v_cmp_gt_i32_e64 s4, s22, v6
	s_and_b32 s6, s15, s4
	s_delay_alu instid0(SALU_CYCLE_1)
	s_and_saveexec_b32 s5, s6
	s_cbranch_execz .LBB125_12
; %bb.11:
	global_load_u16 v6, v[3:4], off offset:640
	s_waitcnt vmcnt(0)
	v_cvt_f32_f16_e32 v14, v6
.LBB125_12:
	s_or_b32 exec_lo, exec_lo, s5
	v_add_nc_u32_e32 v6, 0x180, v2
	v_dual_mov_b32 v16, 0xff800000 :: v_dual_mov_b32 v17, 0xff800000
	s_delay_alu instid0(VALU_DEP_2) | instskip(NEXT) | instid1(VALU_DEP_1)
	;; [unrolled: 27-line block ×6, first 2 shown]
	v_cmp_gt_i32_e64 s13, s22, v6
	s_and_b32 s18, s15, s13
	s_delay_alu instid0(SALU_CYCLE_1)
	s_and_saveexec_b32 s14, s18
	s_cbranch_execz .LBB125_30
; %bb.29:
	global_load_u16 v6, v[3:4], off offset:1792
	s_waitcnt vmcnt(0)
	v_cvt_f32_f16_e32 v25, v6
.LBB125_30:
	s_or_b32 exec_lo, exec_lo, s14
	v_add_nc_u32_e32 v2, 0x3c0, v2
	s_delay_alu instid0(VALU_DEP_1) | instskip(NEXT) | instid1(VALU_DEP_1)
	v_cmp_gt_i32_e64 s14, s22, v2
	s_and_b32 s18, s15, s14
	s_delay_alu instid0(SALU_CYCLE_1)
	s_and_saveexec_b32 s15, s18
	s_cbranch_execz .LBB125_32
; %bb.31:
	global_load_u16 v2, v[3:4], off offset:1920
	s_waitcnt vmcnt(0)
	v_cvt_f32_f16_e32 v24, v2
.LBB125_32:
	s_or_b32 exec_lo, exec_lo, s15
	v_cmp_gt_f32_e64 s15, v9, v7
	v_mbcnt_lo_u32_b32 v4, -1, 0
	s_mov_b32 s18, exec_lo
	s_delay_alu instid0(VALU_DEP_2) | instskip(NEXT) | instid1(VALU_DEP_2)
	v_cndmask_b32_e64 v2, v7, v9, s15
	v_or_b32_e32 v3, 32, v4
	s_delay_alu instid0(VALU_DEP_2) | instskip(NEXT) | instid1(VALU_DEP_1)
	v_cmp_gt_f32_e64 s15, v2, v13
	v_cndmask_b32_e64 v2, v13, v2, s15
	s_delay_alu instid0(VALU_DEP_1) | instskip(NEXT) | instid1(VALU_DEP_1)
	v_cmp_gt_f32_e64 s15, v2, v11
	v_cndmask_b32_e64 v2, v11, v2, s15
	s_delay_alu instid0(VALU_DEP_1) | instskip(NEXT) | instid1(VALU_DEP_1)
	v_cmp_gt_f32_e64 s15, v2, v15
	v_cndmask_b32_e64 v2, v15, v2, s15
	s_delay_alu instid0(VALU_DEP_1) | instskip(NEXT) | instid1(VALU_DEP_1)
	v_cmp_gt_f32_e64 s15, v2, v14
	v_cndmask_b32_e64 v2, v14, v2, s15
	s_delay_alu instid0(VALU_DEP_1) | instskip(NEXT) | instid1(VALU_DEP_1)
	v_cmp_gt_f32_e64 s15, v2, v17
	v_cndmask_b32_e64 v2, v17, v2, s15
	s_delay_alu instid0(VALU_DEP_1) | instskip(NEXT) | instid1(VALU_DEP_1)
	v_cmp_gt_f32_e64 s15, v2, v16
	v_cndmask_b32_e64 v2, v16, v2, s15
	s_delay_alu instid0(VALU_DEP_1) | instskip(NEXT) | instid1(VALU_DEP_1)
	v_cmp_gt_f32_e64 s15, v2, v19
	v_cndmask_b32_e64 v2, v19, v2, s15
	s_delay_alu instid0(VALU_DEP_1) | instskip(NEXT) | instid1(VALU_DEP_1)
	v_cmp_gt_f32_e64 s15, v2, v18
	v_cndmask_b32_e64 v2, v18, v2, s15
	s_delay_alu instid0(VALU_DEP_1) | instskip(NEXT) | instid1(VALU_DEP_1)
	v_cmp_gt_f32_e64 s15, v2, v21
	v_cndmask_b32_e64 v2, v21, v2, s15
	s_delay_alu instid0(VALU_DEP_1) | instskip(NEXT) | instid1(VALU_DEP_1)
	v_cmp_gt_f32_e64 s15, v2, v20
	v_cndmask_b32_e64 v2, v20, v2, s15
	s_delay_alu instid0(VALU_DEP_1) | instskip(NEXT) | instid1(VALU_DEP_1)
	v_cmp_gt_f32_e64 s15, v2, v23
	v_cndmask_b32_e64 v2, v23, v2, s15
	s_delay_alu instid0(VALU_DEP_1) | instskip(NEXT) | instid1(VALU_DEP_1)
	v_cmp_gt_f32_e64 s15, v2, v22
	v_cndmask_b32_e64 v2, v22, v2, s15
	v_cmp_gt_i32_e64 s15, 64, v3
	s_delay_alu instid0(VALU_DEP_1) | instskip(NEXT) | instid1(VALU_DEP_3)
	v_cndmask_b32_e64 v3, v4, v3, s15
	v_cmp_gt_f32_e64 s15, v2, v25
	s_delay_alu instid0(VALU_DEP_1) | instskip(NEXT) | instid1(VALU_DEP_3)
	v_cndmask_b32_e64 v6, v25, v2, s15
	v_lshlrev_b32_e32 v2, 2, v3
	v_xor_b32_e32 v3, 16, v4
	s_delay_alu instid0(VALU_DEP_3) | instskip(NEXT) | instid1(VALU_DEP_1)
	v_cmp_gt_f32_e64 s15, v6, v24
	v_cndmask_b32_e64 v6, v24, v6, s15
	s_delay_alu instid0(VALU_DEP_3) | instskip(SKIP_2) | instid1(VALU_DEP_1)
	v_cmp_gt_i32_e64 s15, 64, v3
	ds_bpermute_b32 v8, v2, v6
	v_cndmask_b32_e64 v3, v4, v3, s15
	v_lshlrev_b32_e32 v3, 2, v3
	s_waitcnt lgkmcnt(0)
	v_cmp_lt_f32_e64 s15, v6, v8
	s_delay_alu instid0(VALU_DEP_1) | instskip(SKIP_3) | instid1(VALU_DEP_1)
	v_cndmask_b32_e64 v8, v6, v8, s15
	v_xor_b32_e32 v6, 8, v4
	ds_bpermute_b32 v10, v3, v8
	v_cmp_gt_i32_e64 s15, 64, v6
	v_cndmask_b32_e64 v6, v4, v6, s15
	s_delay_alu instid0(VALU_DEP_1) | instskip(SKIP_2) | instid1(VALU_DEP_1)
	v_lshlrev_b32_e32 v6, 2, v6
	s_waitcnt lgkmcnt(0)
	v_cmp_lt_f32_e64 s15, v8, v10
	v_cndmask_b32_e64 v10, v8, v10, s15
	v_xor_b32_e32 v8, 4, v4
	ds_bpermute_b32 v12, v6, v10
	v_cmp_gt_i32_e64 s15, 64, v8
	s_delay_alu instid0(VALU_DEP_1) | instskip(NEXT) | instid1(VALU_DEP_1)
	v_cndmask_b32_e64 v8, v4, v8, s15
	v_lshlrev_b32_e32 v8, 2, v8
	s_waitcnt lgkmcnt(0)
	v_cmp_lt_f32_e64 s15, v10, v12
	s_delay_alu instid0(VALU_DEP_1) | instskip(SKIP_3) | instid1(VALU_DEP_1)
	v_cndmask_b32_e64 v12, v10, v12, s15
	v_xor_b32_e32 v10, 2, v4
	ds_bpermute_b32 v26, v8, v12
	v_cmp_gt_i32_e64 s15, 64, v10
	v_cndmask_b32_e64 v10, v4, v10, s15
	s_delay_alu instid0(VALU_DEP_1) | instskip(SKIP_2) | instid1(VALU_DEP_1)
	v_lshlrev_b32_e32 v10, 2, v10
	s_waitcnt lgkmcnt(0)
	v_cmp_lt_f32_e64 s15, v12, v26
	v_cndmask_b32_e64 v26, v12, v26, s15
	v_xor_b32_e32 v12, 1, v4
	ds_bpermute_b32 v27, v10, v26
	v_cmp_gt_i32_e64 s15, 64, v12
	s_delay_alu instid0(VALU_DEP_1) | instskip(NEXT) | instid1(VALU_DEP_1)
	v_cndmask_b32_e64 v4, v4, v12, s15
	v_lshlrev_b32_e32 v12, 2, v4
	s_waitcnt lgkmcnt(0)
	v_cmp_lt_f32_e64 s15, v26, v27
	s_delay_alu instid0(VALU_DEP_1) | instskip(SKIP_3) | instid1(VALU_DEP_1)
	v_cndmask_b32_e64 v4, v26, v27, s15
	ds_bpermute_b32 v26, v12, v4
	s_waitcnt lgkmcnt(0)
	v_cmp_lt_f32_e64 s15, v4, v26
	v_cndmask_b32_e64 v26, v4, v26, s15
	s_delay_alu instid0(VALU_DEP_1)
	v_sub_f32_e32 v11, v11, v26
	v_sub_f32_e32 v4, v9, v26
	;; [unrolled: 1-line block ×5, first 2 shown]
	v_dual_sub_f32 v15, v17, v26 :: v_dual_mul_f32 v28, 0x3fb8aa3b, v11
	v_sub_f32_e32 v16, v16, v26
	v_sub_f32_e32 v24, v24, v26
	;; [unrolled: 1-line block ×3, first 2 shown]
	s_delay_alu instid0(VALU_DEP_4) | instskip(NEXT) | instid1(VALU_DEP_4)
	v_dual_sub_f32 v20, v20, v26 :: v_dual_mul_f32 v31, 0x3fb8aa3b, v15
	v_dual_sub_f32 v17, v19, v26 :: v_dual_mul_f32 v32, 0x3fb8aa3b, v16
	v_sub_f32_e32 v18, v18, v26
	s_delay_alu instid0(VALU_DEP_3)
	v_dual_sub_f32 v19, v21, v26 :: v_dual_mul_f32 v36, 0x3fb8aa3b, v20
	v_dual_sub_f32 v21, v23, v26 :: v_dual_mul_f32 v40, 0x3fb8aa3b, v24
	v_sub_f32_e32 v22, v22, v26
	v_sub_f32_e32 v23, v25, v26
	v_dual_mul_f32 v25, 0x3fb8aa3b, v4 :: v_dual_mul_f32 v26, 0x3fb8aa3b, v7
	v_mul_f32_e32 v27, 0x3fb8aa3b, v9
	v_rndne_f32_e32 v48, v28
	v_mul_f32_e32 v29, 0x3fb8aa3b, v13
	s_delay_alu instid0(VALU_DEP_4)
	v_fma_f32 v41, 0x3fb8aa3b, v4, -v25
	v_rndne_f32_e32 v42, v25
	v_fma_f32 v43, 0x3fb8aa3b, v7, -v26
	v_rndne_f32_e32 v44, v26
	;; [unrolled: 2-line block ×3, first 2 shown]
	v_sub_f32_e32 v25, v25, v42
	s_delay_alu instid0(VALU_DEP_4)
	v_dual_fmac_f32 v43, 0x32a5705f, v7 :: v_dual_sub_f32 v26, v26, v44
	v_fmac_f32_e32 v41, 0x32a5705f, v4
	v_fma_f32 v47, 0x3fb8aa3b, v11, -v28
	v_sub_f32_e32 v28, v28, v48
	v_rndne_f32_e32 v56, v32
	v_add_f32_e32 v26, v26, v43
	v_dual_mul_f32 v30, 0x3fb8aa3b, v14 :: v_dual_add_f32 v25, v25, v41
	v_fmac_f32_e32 v45, 0x32a5705f, v9
	v_sub_f32_e32 v27, v27, v46
	v_mul_f32_e32 v33, 0x3fb8aa3b, v17
	v_fma_f32 v55, 0x3fb8aa3b, v16, -v32
	v_exp_f32_e32 v25, v25
	v_cvt_i32_f32_e32 v42, v42
	v_sub_f32_e32 v32, v32, v56
	v_dual_mul_f32 v34, 0x3fb8aa3b, v18 :: v_dual_add_f32 v27, v27, v45
	v_exp_f32_e32 v26, v26
	v_cvt_i32_f32_e32 v44, v44
	v_cmp_ngt_f32_e64 s15, 0xc2ce8ed0, v4
	v_fma_f32 v51, 0x3fb8aa3b, v14, -v30
	v_exp_f32_e32 v27, v27
	s_delay_alu instid0(TRANS32_DEP_3)
	v_ldexp_f32 v25, v25, v42
	v_rndne_f32_e32 v64, v36
	v_cvt_i32_f32_e32 v46, v46
	v_fmac_f32_e32 v47, 0x32a5705f, v11
	v_mul_f32_e32 v35, 0x3fb8aa3b, v19
	v_ldexp_f32 v26, v26, v44
	v_cndmask_b32_e64 v25, 0, v25, s15
	v_cmp_ngt_f32_e64 s15, 0xc2ce8ed0, v7
	v_fma_f32 v49, 0x3fb8aa3b, v13, -v29
	v_rndne_f32_e32 v50, v29
	v_fma_f32 v63, 0x3fb8aa3b, v20, -v36
	v_dual_sub_f32 v36, v36, v64 :: v_dual_fmac_f32 v51, 0x32a5705f, v14
	v_add_f32_e32 v28, v28, v47
	v_ldexp_f32 v27, v27, v46
	v_cndmask_b32_e64 v26, 0, v26, s15
	v_cmp_ngt_f32_e64 s15, 0xc2ce8ed0, v9
	v_rndne_f32_e32 v72, v40
	v_fmac_f32_e32 v49, 0x32a5705f, v13
	v_sub_f32_e32 v29, v29, v50
	v_exp_f32_e32 v28, v28
	v_cndmask_b32_e64 v27, 0, v27, s15
	v_cmp_nlt_f32_e64 s15, 0x42b17218, v4
	v_mul_f32_e32 v37, 0x3fb8aa3b, v21
	v_mul_f32_e32 v39, 0x3fb8aa3b, v23
	v_rndne_f32_e32 v52, v30
	v_fma_f32 v71, 0x3fb8aa3b, v24, -v40
	v_sub_f32_e32 v40, v40, v72
	v_dual_mul_f32 v38, 0x3fb8aa3b, v22 :: v_dual_add_f32 v29, v29, v49
	v_cvt_i32_f32_e32 v48, v48
	v_cndmask_b32_e64 v25, 0x7f800000, v25, s15
	v_cmp_nlt_f32_e64 s15, 0x42b17218, v7
	v_rndne_f32_e32 v54, v31
	v_sub_f32_e32 v30, v30, v52
	v_exp_f32_e32 v29, v29
	v_ldexp_f32 v28, v28, v48
	v_cndmask_b32_e64 v26, 0x7f800000, v26, s15
	v_cmp_ngt_f32_e64 s15, 0xc2ce8ed0, v11
	v_fma_f32 v53, 0x3fb8aa3b, v15, -v31
	v_cvt_i32_f32_e32 v50, v50
	v_dual_sub_f32 v31, v31, v54 :: v_dual_add_f32 v30, v30, v51
	s_delay_alu instid0(VALU_DEP_4)
	v_cndmask_b32_e64 v28, 0, v28, s15
	v_cmp_nlt_f32_e64 s15, 0x42b17218, v9
	v_fma_f32 v67, 0x3fb8aa3b, v22, -v38
	v_rndne_f32_e32 v68, v38
	v_fmac_f32_e32 v53, 0x32a5705f, v15
	v_exp_f32_e32 v30, v30
	v_ldexp_f32 v29, v29, v50
	v_cndmask_b32_e64 v27, 0x7f800000, v27, s15
	v_cmp_ngt_f32_e64 s15, 0xc2ce8ed0, v13
	v_fma_f32 v59, 0x3fb8aa3b, v18, -v34
	v_rndne_f32_e32 v60, v34
	v_cvt_i32_f32_e32 v52, v52
	v_dual_fmac_f32 v67, 0x32a5705f, v22 :: v_dual_sub_f32 v38, v38, v68
	v_add_f32_e32 v31, v31, v53
	v_add_f32_e32 v25, v25, v26
	v_cndmask_b32_e64 v26, 0, v29, s15
	v_cmp_nlt_f32_e64 s15, 0x42b17218, v11
	v_fma_f32 v57, 0x3fb8aa3b, v17, -v33
	v_dual_fmac_f32 v59, 0x32a5705f, v18 :: v_dual_add_f32 v38, v38, v67
	v_sub_f32_e32 v34, v34, v60
	v_fmac_f32_e32 v55, 0x32a5705f, v16
	v_exp_f32_e32 v31, v31
	v_ldexp_f32 v30, v30, v52
	v_cndmask_b32_e64 v28, 0x7f800000, v28, s15
	v_add_f32_e32 v34, v34, v59
	v_cmp_ngt_f32_e64 s15, 0xc2ce8ed0, v14
	v_rndne_f32_e32 v58, v33
	v_cvt_i32_f32_e32 v54, v54
	v_dual_fmac_f32 v57, 0x32a5705f, v17 :: v_dual_add_f32 v32, v32, v55
	v_add_f32_e32 v25, v25, v27
	v_cndmask_b32_e64 v27, 0, v30, s15
	v_cmp_nlt_f32_e64 s15, 0x42b17218, v13
	v_fmac_f32_e32 v63, 0x32a5705f, v20
	v_sub_f32_e32 v33, v33, v58
	v_exp_f32_e32 v32, v32
	v_ldexp_f32 v31, v31, v54
	v_cndmask_b32_e64 v26, 0x7f800000, v26, s15
	v_add_f32_e32 v36, v36, v63
	v_cmp_ngt_f32_e64 s15, 0xc2ce8ed0, v15
	v_cvt_i32_f32_e32 v56, v56
	v_add_f32_e32 v33, v33, v57
	v_add_f32_e32 v25, v25, v28
	v_fma_f32 v61, 0x3fb8aa3b, v19, -v35
	v_cndmask_b32_e64 v28, 0, v31, s15
	v_cmp_nlt_f32_e64 s15, 0x42b17218, v14
	v_exp_f32_e32 v33, v33
	v_ldexp_f32 v32, v32, v56
	v_rndne_f32_e32 v62, v35
	v_cvt_i32_f32_e32 v58, v58
	v_cndmask_b32_e64 v27, 0x7f800000, v27, s15
	v_cmp_ngt_f32_e64 s15, 0xc2ce8ed0, v16
	v_add_f32_e32 v25, v25, v26
	v_fmac_f32_e32 v61, 0x32a5705f, v19
	v_fmac_f32_e32 v71, 0x32a5705f, v24
	v_sub_f32_e32 v35, v35, v62
	v_cndmask_b32_e64 v26, 0, v32, s15
	v_cmp_nlt_f32_e64 s15, 0x42b17218, v15
	v_exp_f32_e32 v34, v34
	v_add_f32_e32 v40, v40, v71
	v_ldexp_f32 v33, v33, v58
	v_cvt_i32_f32_e32 v60, v60
	v_cndmask_b32_e64 v28, 0x7f800000, v28, s15
	v_cmp_ngt_f32_e64 s15, 0xc2ce8ed0, v17
	v_add_f32_e32 v35, v35, v61
	v_add_f32_e32 v25, v25, v27
	v_fma_f32 v65, 0x3fb8aa3b, v21, -v37
	v_rndne_f32_e32 v66, v37
	v_cndmask_b32_e64 v27, 0, v33, s15
	v_cmp_nlt_f32_e64 s15, 0x42b17218, v16
	v_exp_f32_e32 v35, v35
	v_ldexp_f32 v34, v34, v60
	v_cvt_i32_f32_e32 v62, v62
	v_add_f32_e32 v25, v25, v28
	v_cndmask_b32_e64 v26, 0x7f800000, v26, s15
	v_cmp_ngt_f32_e64 s15, 0xc2ce8ed0, v18
	v_fmac_f32_e32 v65, 0x32a5705f, v21
	v_sub_f32_e32 v37, v37, v66
	v_exp_f32_e32 v36, v36
	v_cvt_i32_f32_e32 v64, v64
	v_cndmask_b32_e64 v28, 0, v34, s15
	v_cmp_nlt_f32_e64 s15, 0x42b17218, v17
	v_ldexp_f32 v35, v35, v62
	v_add_f32_e32 v37, v37, v65
	v_add_f32_e32 v25, v25, v26
	v_fma_f32 v69, 0x3fb8aa3b, v23, -v39
	v_cndmask_b32_e64 v27, 0x7f800000, v27, s15
	v_cmp_ngt_f32_e64 s15, 0xc2ce8ed0, v19
	v_exp_f32_e32 v37, v37
	v_ldexp_f32 v36, v36, v64
	v_rndne_f32_e32 v70, v39
	v_cvt_i32_f32_e32 v66, v66
	v_cndmask_b32_e64 v26, 0, v35, s15
	v_cmp_nlt_f32_e64 s15, 0x42b17218, v18
	v_add_f32_e32 v25, v25, v27
	v_fmac_f32_e32 v69, 0x32a5705f, v23
	v_sub_f32_e32 v39, v39, v70
	v_exp_f32_e32 v38, v38
	v_cndmask_b32_e64 v28, 0x7f800000, v28, s15
	v_cmp_ngt_f32_e64 s15, 0xc2ce8ed0, v20
	v_ldexp_f32 v37, v37, v66
	v_cvt_i32_f32_e32 v68, v68
	v_add_f32_e32 v39, v39, v69
	v_add_f32_e32 v25, v25, v28
	v_cndmask_b32_e64 v27, 0, v36, s15
	v_cmp_nlt_f32_e64 s15, 0x42b17218, v19
	v_cvt_i32_f32_e32 v70, v70
	v_exp_f32_e32 v39, v39
	v_ldexp_f32 v38, v38, v68
	v_exp_f32_e32 v40, v40
	v_cndmask_b32_e64 v26, 0x7f800000, v26, s15
	v_cmp_ngt_f32_e64 s15, 0xc2ce8ed0, v21
	v_cvt_i32_f32_e32 v72, v72
	s_delay_alu instid0(VALU_DEP_3) | instskip(NEXT) | instid1(VALU_DEP_3)
	v_add_f32_e32 v25, v25, v26
	v_cndmask_b32_e64 v28, 0, v37, s15
	v_cmp_nlt_f32_e64 s15, 0x42b17218, v20
	s_delay_alu instid0(TRANS32_DEP_2) | instskip(NEXT) | instid1(VALU_DEP_2)
	v_ldexp_f32 v39, v39, v70
	v_cndmask_b32_e64 v27, 0x7f800000, v27, s15
	v_cmp_ngt_f32_e64 s15, 0xc2ce8ed0, v22
	s_delay_alu instid0(VALU_DEP_2) | instskip(NEXT) | instid1(VALU_DEP_2)
	v_add_f32_e32 v25, v25, v27
	v_cndmask_b32_e64 v26, 0, v38, s15
	v_cmp_nlt_f32_e64 s15, 0x42b17218, v21
	s_delay_alu instid0(VALU_DEP_1) | instskip(SKIP_1) | instid1(VALU_DEP_2)
	v_cndmask_b32_e64 v28, 0x7f800000, v28, s15
	v_cmp_ngt_f32_e64 s15, 0xc2ce8ed0, v23
	v_add_f32_e32 v25, v25, v28
	s_delay_alu instid0(VALU_DEP_2) | instskip(SKIP_2) | instid1(VALU_DEP_2)
	v_cndmask_b32_e64 v27, 0, v39, s15
	v_cmp_nlt_f32_e64 s15, 0x42b17218, v22
	v_ldexp_f32 v28, v40, v72
	v_cndmask_b32_e64 v26, 0x7f800000, v26, s15
	v_cmp_nlt_f32_e64 s15, 0x42b17218, v23
	s_delay_alu instid0(VALU_DEP_2) | instskip(NEXT) | instid1(VALU_DEP_2)
	v_add_f32_e32 v25, v25, v26
	v_cndmask_b32_e64 v27, 0x7f800000, v27, s15
	v_cmp_ngt_f32_e64 s15, 0xc2ce8ed0, v24
	s_delay_alu instid0(VALU_DEP_2) | instskip(NEXT) | instid1(VALU_DEP_2)
	v_add_f32_e32 v25, v25, v27
	v_cndmask_b32_e64 v26, 0, v28, s15
	v_cmp_nlt_f32_e64 s15, 0x42b17218, v24
	s_delay_alu instid0(VALU_DEP_1) | instskip(NEXT) | instid1(VALU_DEP_1)
	v_cndmask_b32_e64 v26, 0x7f800000, v26, s15
	v_add_f32_e32 v25, v25, v26
	ds_bpermute_b32 v2, v2, v25
	s_waitcnt lgkmcnt(0)
	v_add_f32_e32 v2, v25, v2
	ds_bpermute_b32 v3, v3, v2
	s_waitcnt lgkmcnt(0)
	;; [unrolled: 3-line block ×5, first 2 shown]
	v_add_f32_e32 v2, v2, v3
	ds_bpermute_b32 v3, v12, v2
	v_cmpx_lt_i32_e32 0, v5
	s_cbranch_execz .LBB125_50
; %bb.33:
	s_and_b32 exec_lo, exec_lo, s0
	s_cbranch_execz .LBB125_50
; %bb.34:
	s_waitcnt lgkmcnt(0)
	v_add_f32_e32 v2, v2, v3
	v_lshlrev_b64 v[0:1], 2, v[0:1]
	s_delay_alu instid0(VALU_DEP_2) | instskip(NEXT) | instid1(VALU_DEP_1)
	v_cmp_gt_f32_e64 s0, 0x800000, v2
	v_cndmask_b32_e64 v3, 1.0, 0x4f800000, s0
	s_delay_alu instid0(VALU_DEP_1) | instskip(NEXT) | instid1(VALU_DEP_1)
	v_mul_f32_e32 v2, v2, v3
	v_log_f32_e32 v2, v2
	s_waitcnt_depctr 0xfff
	v_mul_f32_e32 v3, 0x3f317217, v2
	v_cmp_gt_f32_e64 s15, 0x7f800000, |v2|
	s_delay_alu instid0(VALU_DEP_2) | instskip(NEXT) | instid1(VALU_DEP_1)
	v_fma_f32 v5, 0x3f317217, v2, -v3
	v_fmamk_f32 v5, v2, 0x3377d1cf, v5
	s_delay_alu instid0(VALU_DEP_1) | instskip(NEXT) | instid1(VALU_DEP_1)
	v_add_f32_e32 v3, v3, v5
	v_cndmask_b32_e64 v2, v2, v3, s15
	v_cndmask_b32_e64 v3, 0, 0x41b17218, s0
	v_add_co_u32 v0, s0, s16, v0
	s_delay_alu instid0(VALU_DEP_1) | instskip(NEXT) | instid1(VALU_DEP_3)
	v_add_co_ci_u32_e64 v1, s0, s17, v1, s0
	v_sub_f32_e32 v2, v2, v3
	s_delay_alu instid0(VALU_DEP_1)
	v_sub_f32_e32 v3, v4, v2
	global_store_b32 v[0:1], v3, off
	s_and_b32 exec_lo, exec_lo, vcc_lo
	s_cbranch_execz .LBB125_50
; %bb.35:
	v_sub_f32_e32 v3, v7, v2
	global_store_b32 v[0:1], v3, off offset:256
	s_and_b32 exec_lo, exec_lo, s1
	s_cbranch_execz .LBB125_50
; %bb.36:
	v_sub_f32_e32 v3, v9, v2
	global_store_b32 v[0:1], v3, off offset:512
	s_and_b32 exec_lo, exec_lo, s2
	;; [unrolled: 5-line block ×14, first 2 shown]
	s_cbranch_execz .LBB125_50
; %bb.49:
	v_sub_f32_e32 v2, v24, v2
	global_store_b32 v[0:1], v2, off offset:3840
.LBB125_50:
	s_nop 0
	s_sendmsg sendmsg(MSG_DEALLOC_VGPRS)
	s_endpgm
	.section	.rodata,"a",@progbits
	.p2align	6, 0x0
	.amdhsa_kernel _ZN12_GLOBAL__N_120softmax_warp_forwardIN3c104HalfEffLi10ELb1ELb0ELi64EEEvPT0_PKT_iiiPKbib
		.amdhsa_group_segment_fixed_size 0
		.amdhsa_private_segment_fixed_size 0
		.amdhsa_kernarg_size 304
		.amdhsa_user_sgpr_count 15
		.amdhsa_user_sgpr_dispatch_ptr 0
		.amdhsa_user_sgpr_queue_ptr 0
		.amdhsa_user_sgpr_kernarg_segment_ptr 1
		.amdhsa_user_sgpr_dispatch_id 0
		.amdhsa_user_sgpr_private_segment_size 0
		.amdhsa_wavefront_size32 1
		.amdhsa_uses_dynamic_stack 0
		.amdhsa_enable_private_segment 0
		.amdhsa_system_sgpr_workgroup_id_x 1
		.amdhsa_system_sgpr_workgroup_id_y 0
		.amdhsa_system_sgpr_workgroup_id_z 0
		.amdhsa_system_sgpr_workgroup_info 0
		.amdhsa_system_vgpr_workitem_id 1
		.amdhsa_next_free_vgpr 73
		.amdhsa_next_free_sgpr 24
		.amdhsa_reserve_vcc 1
		.amdhsa_float_round_mode_32 0
		.amdhsa_float_round_mode_16_64 0
		.amdhsa_float_denorm_mode_32 3
		.amdhsa_float_denorm_mode_16_64 3
		.amdhsa_dx10_clamp 1
		.amdhsa_ieee_mode 1
		.amdhsa_fp16_overflow 0
		.amdhsa_workgroup_processor_mode 1
		.amdhsa_memory_ordered 1
		.amdhsa_forward_progress 0
		.amdhsa_shared_vgpr_count 0
		.amdhsa_exception_fp_ieee_invalid_op 0
		.amdhsa_exception_fp_denorm_src 0
		.amdhsa_exception_fp_ieee_div_zero 0
		.amdhsa_exception_fp_ieee_overflow 0
		.amdhsa_exception_fp_ieee_underflow 0
		.amdhsa_exception_fp_ieee_inexact 0
		.amdhsa_exception_int_div_zero 0
	.end_amdhsa_kernel
	.section	.text._ZN12_GLOBAL__N_120softmax_warp_forwardIN3c104HalfEffLi10ELb1ELb0ELi64EEEvPT0_PKT_iiiPKbib,"axG",@progbits,_ZN12_GLOBAL__N_120softmax_warp_forwardIN3c104HalfEffLi10ELb1ELb0ELi64EEEvPT0_PKT_iiiPKbib,comdat
.Lfunc_end125:
	.size	_ZN12_GLOBAL__N_120softmax_warp_forwardIN3c104HalfEffLi10ELb1ELb0ELi64EEEvPT0_PKT_iiiPKbib, .Lfunc_end125-_ZN12_GLOBAL__N_120softmax_warp_forwardIN3c104HalfEffLi10ELb1ELb0ELi64EEEvPT0_PKT_iiiPKbib
                                        ; -- End function
	.section	.AMDGPU.csdata,"",@progbits
; Kernel info:
; codeLenInByte = 4116
; NumSgprs: 26
; NumVgprs: 73
; ScratchSize: 0
; MemoryBound: 0
; FloatMode: 240
; IeeeMode: 1
; LDSByteSize: 0 bytes/workgroup (compile time only)
; SGPRBlocks: 3
; VGPRBlocks: 9
; NumSGPRsForWavesPerEU: 26
; NumVGPRsForWavesPerEU: 73
; Occupancy: 16
; WaveLimiterHint : 0
; COMPUTE_PGM_RSRC2:SCRATCH_EN: 0
; COMPUTE_PGM_RSRC2:USER_SGPR: 15
; COMPUTE_PGM_RSRC2:TRAP_HANDLER: 0
; COMPUTE_PGM_RSRC2:TGID_X_EN: 1
; COMPUTE_PGM_RSRC2:TGID_Y_EN: 0
; COMPUTE_PGM_RSRC2:TGID_Z_EN: 0
; COMPUTE_PGM_RSRC2:TIDIG_COMP_CNT: 1
	.section	.text._ZN12_GLOBAL__N_120softmax_warp_forwardIN3c104HalfEffLi10ELb1ELb0ELi32EEEvPT0_PKT_iiiPKbib,"axG",@progbits,_ZN12_GLOBAL__N_120softmax_warp_forwardIN3c104HalfEffLi10ELb1ELb0ELi32EEEvPT0_PKT_iiiPKbib,comdat
	.globl	_ZN12_GLOBAL__N_120softmax_warp_forwardIN3c104HalfEffLi10ELb1ELb0ELi32EEEvPT0_PKT_iiiPKbib ; -- Begin function _ZN12_GLOBAL__N_120softmax_warp_forwardIN3c104HalfEffLi10ELb1ELb0ELi32EEEvPT0_PKT_iiiPKbib
	.p2align	8
	.type	_ZN12_GLOBAL__N_120softmax_warp_forwardIN3c104HalfEffLi10ELb1ELb0ELi32EEEvPT0_PKT_iiiPKbib,@function
_ZN12_GLOBAL__N_120softmax_warp_forwardIN3c104HalfEffLi10ELb1ELb0ELi32EEEvPT0_PKT_iiiPKbib: ; @_ZN12_GLOBAL__N_120softmax_warp_forwardIN3c104HalfEffLi10ELb1ELb0ELi32EEEvPT0_PKT_iiiPKbib
; %bb.0:
	s_clause 0x1
	s_load_b32 s2, s[0:1], 0x3c
	s_load_b256 s[36:43], s[0:1], 0x0
	v_bfe_u32 v1, v0, 10, 10
	v_dual_mov_b32 v12, 0xff800000 :: v_dual_mov_b32 v15, 0xff800000
	s_waitcnt lgkmcnt(0)
	s_lshr_b32 s0, s2, 16
	s_delay_alu instid0(VALU_DEP_2) | instid1(SALU_CYCLE_1)
	v_mad_u64_u32 v[3:4], null, s15, s0, v[1:2]
	v_and_b32_e32 v2, 0x3ff, v0
	s_delay_alu instid0(VALU_DEP_1) | instskip(NEXT) | instid1(VALU_DEP_3)
	v_cmp_gt_i32_e64 s0, s42, v2
	v_mad_u64_u32 v[0:1], null, v3, s41, v[2:3]
	v_sub_nc_u32_e32 v5, s40, v3
	s_delay_alu instid0(VALU_DEP_1) | instskip(NEXT) | instid1(VALU_DEP_3)
	v_cmp_lt_i32_e64 s31, 0, v5
	v_ashrrev_i32_e32 v1, 31, v0
	s_delay_alu instid0(VALU_DEP_2) | instskip(NEXT) | instid1(VALU_DEP_1)
	s_and_b32 s2, s31, s0
	v_lshlrev_b64 v[3:4], 1, v[0:1]
	s_delay_alu instid0(VALU_DEP_1) | instskip(NEXT) | instid1(VALU_DEP_2)
	v_add_co_u32 v3, vcc_lo, s38, v3
	v_add_co_ci_u32_e32 v4, vcc_lo, s39, v4, vcc_lo
	s_and_saveexec_b32 s1, s2
	s_cbranch_execz .LBB126_2
; %bb.1:
	global_load_u16 v6, v[3:4], off
	s_waitcnt vmcnt(0)
	v_cvt_f32_f16_e32 v15, v6
.LBB126_2:
	s_or_b32 exec_lo, exec_lo, s1
	v_add_nc_u32_e32 v6, 32, v2
	s_delay_alu instid0(VALU_DEP_1) | instskip(SKIP_1) | instid1(SALU_CYCLE_1)
	v_cmp_gt_i32_e32 vcc_lo, s42, v6
	s_and_b32 s2, s31, vcc_lo
	s_and_saveexec_b32 s1, s2
	s_cbranch_execz .LBB126_4
; %bb.3:
	global_load_u16 v6, v[3:4], off offset:64
	s_waitcnt vmcnt(0)
	v_cvt_f32_f16_e32 v12, v6
.LBB126_4:
	s_or_b32 exec_lo, exec_lo, s1
	v_dual_mov_b32 v19, 0xff800000 :: v_dual_add_nc_u32 v6, 64, v2
	v_mov_b32_e32 v21, 0xff800000
	s_delay_alu instid0(VALU_DEP_2) | instskip(NEXT) | instid1(VALU_DEP_1)
	v_cmp_gt_i32_e64 s1, s42, v6
	s_and_b32 s3, s31, s1
	s_delay_alu instid0(SALU_CYCLE_1)
	s_and_saveexec_b32 s2, s3
	s_cbranch_execz .LBB126_6
; %bb.5:
	global_load_u16 v6, v[3:4], off offset:128
	s_waitcnt vmcnt(0)
	v_cvt_f32_f16_e32 v21, v6
.LBB126_6:
	s_or_b32 exec_lo, exec_lo, s2
	v_add_nc_u32_e32 v6, 0x60, v2
	s_delay_alu instid0(VALU_DEP_1) | instskip(NEXT) | instid1(VALU_DEP_1)
	v_cmp_gt_i32_e64 s2, s42, v6
	s_and_b32 s4, s31, s2
	s_delay_alu instid0(SALU_CYCLE_1)
	s_and_saveexec_b32 s3, s4
	s_cbranch_execz .LBB126_8
; %bb.7:
	global_load_u16 v6, v[3:4], off offset:192
	s_waitcnt vmcnt(0)
	v_cvt_f32_f16_e32 v19, v6
.LBB126_8:
	s_or_b32 exec_lo, exec_lo, s3
	v_add_nc_u32_e32 v6, 0x80, v2
	v_dual_mov_b32 v22, 0xff800000 :: v_dual_mov_b32 v23, 0xff800000
	s_delay_alu instid0(VALU_DEP_2) | instskip(NEXT) | instid1(VALU_DEP_1)
	v_cmp_gt_i32_e64 s3, s42, v6
	s_and_b32 s5, s31, s3
	s_delay_alu instid0(SALU_CYCLE_1)
	s_and_saveexec_b32 s4, s5
	s_cbranch_execz .LBB126_10
; %bb.9:
	global_load_u16 v6, v[3:4], off offset:256
	s_waitcnt vmcnt(0)
	v_cvt_f32_f16_e32 v23, v6
.LBB126_10:
	s_or_b32 exec_lo, exec_lo, s4
	v_add_nc_u32_e32 v6, 0xa0, v2
	s_delay_alu instid0(VALU_DEP_1) | instskip(NEXT) | instid1(VALU_DEP_1)
	v_cmp_gt_i32_e64 s4, s42, v6
	s_and_b32 s6, s31, s4
	s_delay_alu instid0(SALU_CYCLE_1)
	s_and_saveexec_b32 s5, s6
	s_cbranch_execz .LBB126_12
; %bb.11:
	global_load_u16 v6, v[3:4], off offset:320
	s_waitcnt vmcnt(0)
	v_cvt_f32_f16_e32 v22, v6
.LBB126_12:
	s_or_b32 exec_lo, exec_lo, s5
	v_add_nc_u32_e32 v6, 0xc0, v2
	v_dual_mov_b32 v24, 0xff800000 :: v_dual_mov_b32 v25, 0xff800000
	;; [unrolled: 27-line block ×3, first 2 shown]
	s_delay_alu instid0(VALU_DEP_2) | instskip(NEXT) | instid1(VALU_DEP_1)
	v_cmp_gt_i32_e64 s7, s42, v6
	s_and_b32 s9, s31, s7
	s_delay_alu instid0(SALU_CYCLE_1)
	s_and_saveexec_b32 s8, s9
	s_cbranch_execz .LBB126_18
; %bb.17:
	global_load_u16 v6, v[3:4], off offset:512
	s_waitcnt vmcnt(0)
	v_cvt_f32_f16_e32 v27, v6
.LBB126_18:
	s_or_b32 exec_lo, exec_lo, s8
	v_add_nc_u32_e32 v6, 0x120, v2
	s_delay_alu instid0(VALU_DEP_1) | instskip(NEXT) | instid1(VALU_DEP_1)
	v_cmp_gt_i32_e64 s8, s42, v6
	s_and_b32 s10, s31, s8
	s_delay_alu instid0(SALU_CYCLE_1)
	s_and_saveexec_b32 s9, s10
	s_cbranch_execz .LBB126_20
; %bb.19:
	global_load_u16 v6, v[3:4], off offset:576
	s_waitcnt vmcnt(0)
	v_cvt_f32_f16_e32 v26, v6
.LBB126_20:
	s_or_b32 exec_lo, exec_lo, s9
	v_add_nc_u32_e32 v6, 0x140, v2
	v_mov_b32_e32 v28, 0xff800000
	v_mov_b32_e32 v30, 0xff800000
	s_delay_alu instid0(VALU_DEP_3) | instskip(NEXT) | instid1(VALU_DEP_1)
	v_cmp_gt_i32_e64 s9, s42, v6
	s_and_b32 s11, s31, s9
	s_delay_alu instid0(SALU_CYCLE_1)
	s_and_saveexec_b32 s10, s11
	s_cbranch_execz .LBB126_22
; %bb.21:
	global_load_u16 v6, v[3:4], off offset:640
	s_waitcnt vmcnt(0)
	v_cvt_f32_f16_e32 v30, v6
.LBB126_22:
	s_or_b32 exec_lo, exec_lo, s10
	v_add_nc_u32_e32 v6, 0x160, v2
	s_delay_alu instid0(VALU_DEP_1) | instskip(NEXT) | instid1(VALU_DEP_1)
	v_cmp_gt_i32_e64 s10, s42, v6
	s_and_b32 s12, s31, s10
	s_delay_alu instid0(SALU_CYCLE_1)
	s_and_saveexec_b32 s11, s12
	s_cbranch_execz .LBB126_24
; %bb.23:
	global_load_u16 v6, v[3:4], off offset:704
	s_waitcnt vmcnt(0)
	v_cvt_f32_f16_e32 v28, v6
.LBB126_24:
	s_or_b32 exec_lo, exec_lo, s11
	v_add_nc_u32_e32 v6, 0x180, v2
	v_dual_mov_b32 v31, 0xff800000 :: v_dual_mov_b32 v32, 0xff800000
	s_delay_alu instid0(VALU_DEP_2) | instskip(NEXT) | instid1(VALU_DEP_1)
	v_cmp_gt_i32_e64 s11, s42, v6
	s_and_b32 s13, s31, s11
	s_delay_alu instid0(SALU_CYCLE_1)
	s_and_saveexec_b32 s12, s13
	s_cbranch_execz .LBB126_26
; %bb.25:
	global_load_u16 v6, v[3:4], off offset:768
	s_waitcnt vmcnt(0)
	v_cvt_f32_f16_e32 v32, v6
.LBB126_26:
	s_or_b32 exec_lo, exec_lo, s12
	v_add_nc_u32_e32 v6, 0x1a0, v2
	s_delay_alu instid0(VALU_DEP_1) | instskip(NEXT) | instid1(VALU_DEP_1)
	v_cmp_gt_i32_e64 s12, s42, v6
	s_and_b32 s14, s31, s12
	s_delay_alu instid0(SALU_CYCLE_1)
	s_and_saveexec_b32 s13, s14
	s_cbranch_execz .LBB126_28
; %bb.27:
	global_load_u16 v6, v[3:4], off offset:832
	s_waitcnt vmcnt(0)
	v_cvt_f32_f16_e32 v31, v6
.LBB126_28:
	s_or_b32 exec_lo, exec_lo, s13
	v_add_nc_u32_e32 v6, 0x1c0, v2
	v_dual_mov_b32 v33, 0xff800000 :: v_dual_mov_b32 v34, 0xff800000
	s_delay_alu instid0(VALU_DEP_2) | instskip(NEXT) | instid1(VALU_DEP_1)
	;; [unrolled: 27-line block ×8, first 2 shown]
	v_cmp_gt_i32_e64 s25, s42, v6
	s_and_b32 s27, s31, s25
	s_delay_alu instid0(SALU_CYCLE_1)
	s_and_saveexec_b32 s26, s27
	s_cbranch_execz .LBB126_54
; %bb.53:
	global_load_u16 v6, v[3:4], off offset:1664
	s_waitcnt vmcnt(0)
	v_cvt_f32_f16_e32 v13, v6
.LBB126_54:
	s_or_b32 exec_lo, exec_lo, s26
	v_add_nc_u32_e32 v6, 0x360, v2
	s_delay_alu instid0(VALU_DEP_1) | instskip(NEXT) | instid1(VALU_DEP_1)
	v_cmp_gt_i32_e64 s26, s42, v6
	s_and_b32 s28, s31, s26
	s_delay_alu instid0(SALU_CYCLE_1)
	s_and_saveexec_b32 s27, s28
	s_cbranch_execz .LBB126_56
; %bb.55:
	global_load_u16 v6, v[3:4], off offset:1728
	s_waitcnt vmcnt(0)
	v_cvt_f32_f16_e32 v10, v6
.LBB126_56:
	s_or_b32 exec_lo, exec_lo, s27
	v_add_nc_u32_e32 v6, 0x380, v2
	v_mov_b32_e32 v7, 0xff800000
	v_mov_b32_e32 v9, 0xff800000
	s_delay_alu instid0(VALU_DEP_3) | instskip(NEXT) | instid1(VALU_DEP_1)
	v_cmp_gt_i32_e64 s27, s42, v6
	s_and_b32 s29, s31, s27
	s_delay_alu instid0(SALU_CYCLE_1)
	s_and_saveexec_b32 s28, s29
	s_cbranch_execz .LBB126_58
; %bb.57:
	global_load_u16 v6, v[3:4], off offset:1792
	s_waitcnt vmcnt(0)
	v_cvt_f32_f16_e32 v9, v6
.LBB126_58:
	s_or_b32 exec_lo, exec_lo, s28
	v_add_nc_u32_e32 v6, 0x3a0, v2
	s_delay_alu instid0(VALU_DEP_1) | instskip(NEXT) | instid1(VALU_DEP_1)
	v_cmp_gt_i32_e64 s28, s42, v6
	s_and_b32 s30, s31, s28
	s_delay_alu instid0(SALU_CYCLE_1)
	s_and_saveexec_b32 s29, s30
	s_cbranch_execz .LBB126_60
; %bb.59:
	global_load_u16 v6, v[3:4], off offset:1856
	s_waitcnt vmcnt(0)
	v_cvt_f32_f16_e32 v7, v6
.LBB126_60:
	s_or_b32 exec_lo, exec_lo, s29
	v_add_nc_u32_e32 v6, 0x3c0, v2
	v_mov_b32_e32 v8, 0xff800000
	s_delay_alu instid0(VALU_DEP_2) | instskip(SKIP_1) | instid1(VALU_DEP_2)
	v_cmp_gt_i32_e64 s29, s42, v6
	v_mov_b32_e32 v6, 0xff800000
	s_and_b32 s33, s31, s29
	s_delay_alu instid0(SALU_CYCLE_1)
	s_and_saveexec_b32 s30, s33
	s_cbranch_execz .LBB126_62
; %bb.61:
	global_load_u16 v8, v[3:4], off offset:1920
	s_waitcnt vmcnt(0)
	v_cvt_f32_f16_e32 v8, v8
.LBB126_62:
	s_or_b32 exec_lo, exec_lo, s30
	v_add_nc_u32_e32 v2, 0x3e0, v2
	s_delay_alu instid0(VALU_DEP_1) | instskip(NEXT) | instid1(VALU_DEP_1)
	v_cmp_gt_i32_e64 s30, s42, v2
	s_and_b32 s33, s31, s30
	s_delay_alu instid0(SALU_CYCLE_1)
	s_and_saveexec_b32 s31, s33
	s_cbranch_execz .LBB126_64
; %bb.63:
	global_load_u16 v2, v[3:4], off offset:1984
	s_waitcnt vmcnt(0)
	v_cvt_f32_f16_e32 v6, v2
.LBB126_64:
	s_or_b32 exec_lo, exec_lo, s31
	v_cmp_gt_f32_e64 s31, v15, v12
	v_mbcnt_lo_u32_b32 v3, -1, 0
	s_mov_b32 s33, exec_lo
	s_delay_alu instid0(VALU_DEP_2) | instskip(NEXT) | instid1(VALU_DEP_2)
	v_cndmask_b32_e64 v2, v12, v15, s31
	v_xor_b32_e32 v4, 16, v3
	s_delay_alu instid0(VALU_DEP_2) | instskip(NEXT) | instid1(VALU_DEP_1)
	v_cmp_gt_f32_e64 s31, v2, v21
	v_cndmask_b32_e64 v2, v21, v2, s31
	s_delay_alu instid0(VALU_DEP_1) | instskip(NEXT) | instid1(VALU_DEP_1)
	v_cmp_gt_f32_e64 s31, v2, v19
	v_cndmask_b32_e64 v2, v19, v2, s31
	s_delay_alu instid0(VALU_DEP_1) | instskip(NEXT) | instid1(VALU_DEP_1)
	;; [unrolled: 3-line block ×27, first 2 shown]
	v_cmp_gt_f32_e64 s31, v2, v7
	v_cndmask_b32_e64 v2, v7, v2, s31
	v_cmp_gt_i32_e64 s31, 32, v4
	s_delay_alu instid0(VALU_DEP_1) | instskip(NEXT) | instid1(VALU_DEP_3)
	v_cndmask_b32_e64 v4, v3, v4, s31
	v_cmp_gt_f32_e64 s31, v2, v8
	s_delay_alu instid0(VALU_DEP_1) | instskip(NEXT) | instid1(VALU_DEP_3)
	v_cndmask_b32_e64 v14, v8, v2, s31
	v_lshlrev_b32_e32 v2, 2, v4
	v_xor_b32_e32 v4, 8, v3
	s_delay_alu instid0(VALU_DEP_3) | instskip(NEXT) | instid1(VALU_DEP_1)
	v_cmp_gt_f32_e64 s31, v14, v6
	v_cndmask_b32_e64 v14, v6, v14, s31
	s_delay_alu instid0(VALU_DEP_3) | instskip(SKIP_2) | instid1(VALU_DEP_1)
	v_cmp_gt_i32_e64 s31, 32, v4
	ds_bpermute_b32 v17, v2, v14
	v_cndmask_b32_e64 v4, v3, v4, s31
	v_lshlrev_b32_e32 v4, 2, v4
	s_waitcnt lgkmcnt(0)
	v_cmp_lt_f32_e64 s31, v14, v17
	s_delay_alu instid0(VALU_DEP_1) | instskip(SKIP_3) | instid1(VALU_DEP_1)
	v_cndmask_b32_e64 v17, v14, v17, s31
	v_xor_b32_e32 v14, 4, v3
	ds_bpermute_b32 v20, v4, v17
	v_cmp_gt_i32_e64 s31, 32, v14
	v_cndmask_b32_e64 v14, v3, v14, s31
	s_delay_alu instid0(VALU_DEP_1) | instskip(SKIP_2) | instid1(VALU_DEP_1)
	v_lshlrev_b32_e32 v14, 2, v14
	s_waitcnt lgkmcnt(0)
	v_cmp_lt_f32_e64 s31, v17, v20
	v_cndmask_b32_e64 v20, v17, v20, s31
	v_xor_b32_e32 v17, 2, v3
	ds_bpermute_b32 v29, v14, v20
	v_cmp_gt_i32_e64 s31, 32, v17
	s_delay_alu instid0(VALU_DEP_1) | instskip(NEXT) | instid1(VALU_DEP_1)
	v_cndmask_b32_e64 v17, v3, v17, s31
	v_lshlrev_b32_e32 v17, 2, v17
	s_waitcnt lgkmcnt(0)
	v_cmp_lt_f32_e64 s31, v20, v29
	s_delay_alu instid0(VALU_DEP_1) | instskip(SKIP_3) | instid1(VALU_DEP_1)
	v_cndmask_b32_e64 v29, v20, v29, s31
	v_xor_b32_e32 v20, 1, v3
	ds_bpermute_b32 v42, v17, v29
	v_cmp_gt_i32_e64 s31, 32, v20
	v_cndmask_b32_e64 v3, v3, v20, s31
	s_delay_alu instid0(VALU_DEP_1) | instskip(SKIP_2) | instid1(VALU_DEP_1)
	v_lshlrev_b32_e32 v20, 2, v3
	s_waitcnt lgkmcnt(0)
	v_cmp_lt_f32_e64 s31, v29, v42
	v_cndmask_b32_e64 v3, v29, v42, s31
	ds_bpermute_b32 v29, v20, v3
	s_waitcnt lgkmcnt(0)
	v_cmp_lt_f32_e64 s31, v3, v29
	s_delay_alu instid0(VALU_DEP_1) | instskip(NEXT) | instid1(VALU_DEP_1)
	v_cndmask_b32_e64 v29, v3, v29, s31
	v_sub_f32_e32 v3, v15, v29
	v_sub_f32_e32 v15, v21, v29
	;; [unrolled: 1-line block ×6, first 2 shown]
	v_dual_mul_f32 v43, 0x3fb8aa3b, v15 :: v_dual_sub_f32 v12, v12, v29
	s_delay_alu instid0(VALU_DEP_4) | instskip(NEXT) | instid1(VALU_DEP_4)
	v_dual_sub_f32 v25, v27, v29 :: v_dual_mul_f32 v46, 0x3fb8aa3b, v22
	v_mul_f32_e32 v44, 0x3fb8aa3b, v19
	s_delay_alu instid0(VALU_DEP_3)
	v_fma_f32 v68, 0x3fb8aa3b, v15, -v43
	v_rndne_f32_e32 v69, v43
	v_dual_sub_f32 v24, v24, v29 :: v_dual_mul_f32 v47, 0x3fb8aa3b, v23
	v_sub_f32_e32 v27, v30, v29
	v_sub_f32_e32 v30, v32, v29
	;; [unrolled: 1-line block ×6, first 2 shown]
	v_dual_fmac_f32 v68, 0x32a5705f, v15 :: v_dual_sub_f32 v43, v43, v69
	v_dual_sub_f32 v40, v41, v29 :: v_dual_mul_f32 v41, 0x3fb8aa3b, v3
	v_mul_f32_e32 v42, 0x3fb8aa3b, v12
	v_cmp_ngt_f32_e64 s31, 0xc2ce8ed0, v3
	s_delay_alu instid0(VALU_DEP_4) | instskip(NEXT) | instid1(VALU_DEP_4)
	v_add_f32_e32 v43, v43, v68
	v_mul_f32_e32 v63, 0x3fb8aa3b, v40
	v_fma_f32 v64, 0x3fb8aa3b, v3, -v41
	v_rndne_f32_e32 v65, v41
	v_sub_f32_e32 v39, v39, v29
	v_mul_f32_e32 v61, 0x3fb8aa3b, v38
	v_mul_f32_e32 v59, 0x3fb8aa3b, v36
	v_fmac_f32_e32 v64, 0x32a5705f, v3
	v_mul_f32_e32 v57, 0x3fb8aa3b, v34
	v_dual_mul_f32 v55, 0x3fb8aa3b, v32 :: v_dual_sub_f32 v28, v28, v29
	v_mul_f32_e32 v53, 0x3fb8aa3b, v30
	v_sub_f32_e32 v33, v33, v29
	v_fma_f32 v66, 0x3fb8aa3b, v12, -v42
	v_rndne_f32_e32 v67, v42
	v_dual_mul_f32 v52, 0x3fb8aa3b, v28 :: v_dual_sub_f32 v41, v41, v65
	v_dual_mul_f32 v45, 0x3fb8aa3b, v21 :: v_dual_mul_f32 v62, 0x3fb8aa3b, v39
	s_delay_alu instid0(VALU_DEP_3) | instskip(SKIP_1) | instid1(VALU_DEP_4)
	v_dual_mul_f32 v49, 0x3fb8aa3b, v25 :: v_dual_sub_f32 v42, v42, v67
	v_fmac_f32_e32 v66, 0x32a5705f, v12
	v_dual_mul_f32 v56, 0x3fb8aa3b, v33 :: v_dual_add_f32 v41, v41, v64
	s_delay_alu instid0(VALU_DEP_4) | instskip(SKIP_1) | instid1(VALU_DEP_4)
	v_rndne_f32_e32 v73, v45
	v_fma_f32 v72, 0x3fb8aa3b, v21, -v45
	v_add_f32_e32 v42, v42, v66
	v_cvt_i32_f32_e32 v65, v65
	v_exp_f32_e32 v41, v41
	v_sub_f32_e32 v45, v45, v73
	v_cvt_i32_f32_e32 v67, v67
	v_exp_f32_e32 v42, v42
	v_exp_f32_e32 v43, v43
	v_cvt_i32_f32_e32 v69, v69
	v_mul_f32_e32 v48, 0x3fb8aa3b, v24
	v_dual_sub_f32 v26, v26, v29 :: v_dual_mul_f32 v51, 0x3fb8aa3b, v27
	v_fma_f32 v70, 0x3fb8aa3b, v19, -v44
	s_delay_alu instid0(TRANS32_DEP_3) | instskip(SKIP_2) | instid1(TRANS32_DEP_2)
	v_ldexp_f32 v41, v41, v65
	v_rndne_f32_e32 v71, v44
	v_fma_f32 v86, 0x3fb8aa3b, v28, -v52
	v_ldexp_f32 v42, v42, v67
	s_delay_alu instid0(TRANS32_DEP_1)
	v_ldexp_f32 v43, v43, v69
	v_cndmask_b32_e64 v41, 0, v41, s31
	v_cmp_ngt_f32_e64 s31, 0xc2ce8ed0, v12
	v_rndne_f32_e32 v87, v52
	v_rndne_f32_e32 v75, v46
	;; [unrolled: 1-line block ×4, first 2 shown]
	v_cndmask_b32_e64 v42, 0, v42, s31
	v_cmp_ngt_f32_e64 s31, 0xc2ce8ed0, v15
	v_fma_f32 v84, 0x3fb8aa3b, v27, -v51
	v_rndne_f32_e32 v85, v51
	v_fmac_f32_e32 v70, 0x32a5705f, v19
	v_sub_f32_e32 v44, v44, v71
	v_cndmask_b32_e64 v43, 0, v43, s31
	v_cmp_nlt_f32_e64 s31, 0x42b17218, v3
	v_dual_sub_f32 v52, v52, v87 :: v_dual_sub_f32 v31, v31, v29
	v_mul_f32_e32 v50, 0x3fb8aa3b, v26
	v_fma_f32 v74, 0x3fb8aa3b, v22, -v46
	s_delay_alu instid0(VALU_DEP_4)
	v_cndmask_b32_e64 v41, 0x7f800000, v41, s31
	v_cmp_nlt_f32_e64 s31, 0x42b17218, v12
	v_fma_f32 v76, 0x3fb8aa3b, v23, -v47
	v_fma_f32 v80, 0x3fb8aa3b, v25, -v49
	v_rndne_f32_e32 v93, v55
	v_dual_sub_f32 v46, v46, v75 :: v_dual_sub_f32 v51, v51, v85
	v_cndmask_b32_e64 v42, 0x7f800000, v42, s31
	v_dual_fmac_f32 v86, 0x32a5705f, v28 :: v_dual_sub_f32 v47, v47, v77
	v_sub_f32_e32 v49, v49, v81
	v_dual_sub_f32 v35, v35, v29 :: v_dual_mul_f32 v54, 0x3fb8aa3b, v31
	s_delay_alu instid0(VALU_DEP_4) | instskip(NEXT) | instid1(VALU_DEP_4)
	v_add_f32_e32 v41, v41, v42
	v_add_f32_e32 v52, v52, v86
	v_rndne_f32_e32 v86, v61
	v_fmac_f32_e32 v84, 0x32a5705f, v27
	v_dual_add_f32 v44, v44, v70 :: v_dual_sub_f32 v37, v37, v29
	v_mul_f32_e32 v58, 0x3fb8aa3b, v35
	v_fma_f32 v92, 0x3fb8aa3b, v32, -v55
	v_dual_fmac_f32 v76, 0x32a5705f, v23 :: v_dual_sub_f32 v55, v55, v93
	v_dual_fmac_f32 v72, 0x32a5705f, v21 :: v_dual_add_f32 v51, v51, v84
	v_exp_f32_e32 v44, v44
	s_delay_alu instid0(VALU_DEP_2) | instskip(NEXT) | instid1(VALU_DEP_2)
	v_dual_add_f32 v47, v47, v76 :: v_dual_mul_f32 v60, 0x3fb8aa3b, v37
	v_add_f32_e32 v45, v45, v72
	v_fmac_f32_e32 v92, 0x32a5705f, v32
	v_cvt_i32_f32_e32 v71, v71
	v_fmac_f32_e32 v80, 0x32a5705f, v25
	v_cmp_ngt_f32_e64 s31, 0xc2ce8ed0, v19
	v_exp_f32_e32 v45, v45
	v_dual_add_f32 v55, v55, v92 :: v_dual_fmac_f32 v74, 0x32a5705f, v22
	s_delay_alu instid0(VALU_DEP_3)
	v_add_f32_e32 v49, v49, v80
	v_ldexp_f32 v44, v44, v71
	v_fma_f32 v78, 0x3fb8aa3b, v24, -v48
	v_rndne_f32_e32 v79, v48
	v_fma_f32 v88, 0x3fb8aa3b, v30, -v53
	v_rndne_f32_e32 v89, v53
	v_add_f32_e32 v46, v46, v74
	v_cvt_i32_f32_e32 v73, v73
	v_cndmask_b32_e64 v44, 0, v44, s31
	v_cmp_nlt_f32_e64 s31, 0x42b17218, v15
	v_sub_f32_e32 v53, v53, v89
	v_fma_f32 v68, 0x3fb8aa3b, v34, -v57
	v_rndne_f32_e32 v70, v57
	v_fmac_f32_e32 v78, 0x32a5705f, v24
	v_fmac_f32_e32 v88, 0x32a5705f, v30
	v_sub_f32_e32 v48, v48, v79
	v_exp_f32_e32 v46, v46
	v_ldexp_f32 v45, v45, v73
	v_cndmask_b32_e64 v43, 0x7f800000, v43, s31
	v_add_f32_e32 v53, v53, v88
	v_cmp_ngt_f32_e64 s31, 0xc2ce8ed0, v21
	v_fma_f32 v82, 0x3fb8aa3b, v26, -v50
	v_rndne_f32_e32 v83, v50
	v_fma_f32 v76, 0x3fb8aa3b, v36, -v59
	v_cvt_i32_f32_e32 v75, v75
	v_fmac_f32_e32 v68, 0x32a5705f, v34
	v_sub_f32_e32 v57, v57, v70
	v_add_f32_e32 v48, v48, v78
	v_rndne_f32_e32 v78, v59
	v_cndmask_b32_e64 v42, 0, v45, s31
	v_cmp_nlt_f32_e64 s31, 0x42b17218, v19
	v_dual_add_f32 v57, v57, v68 :: v_dual_sub_f32 v50, v50, v83
	s_delay_alu instid0(VALU_DEP_4)
	v_dual_sub_f32 v59, v59, v78 :: v_dual_fmac_f32 v76, 0x32a5705f, v36
	v_fmac_f32_e32 v82, 0x32a5705f, v26
	v_exp_f32_e32 v47, v47
	v_ldexp_f32 v46, v46, v75
	v_cndmask_b32_e64 v44, 0x7f800000, v44, s31
	v_add_f32_e32 v59, v59, v76
	v_cmp_ngt_f32_e64 s31, 0xc2ce8ed0, v22
	v_dual_add_f32 v50, v50, v82 :: v_dual_add_f32 v41, v41, v43
	v_cvt_i32_f32_e32 v77, v77
	v_exp_f32_e32 v48, v48
	s_delay_alu instid0(VALU_DEP_3)
	v_cndmask_b32_e64 v43, 0, v46, s31
	v_cmp_nlt_f32_e64 s31, 0x42b17218, v21
	v_cvt_i32_f32_e32 v79, v79
	v_ldexp_f32 v47, v47, v77
	v_add_f32_e32 v41, v41, v44
	v_fma_f32 v90, 0x3fb8aa3b, v31, -v54
	v_cndmask_b32_e64 v42, 0x7f800000, v42, s31
	v_cmp_ngt_f32_e64 s31, 0xc2ce8ed0, v23
	v_exp_f32_e32 v49, v49
	v_ldexp_f32 v48, v48, v79
	s_delay_alu instid0(VALU_DEP_3) | instskip(NEXT) | instid1(VALU_DEP_3)
	v_dual_fmac_f32 v90, 0x32a5705f, v31 :: v_dual_add_f32 v41, v41, v42
	v_cndmask_b32_e64 v44, 0, v47, s31
	v_cmp_nlt_f32_e64 s31, 0x42b17218, v22
	v_cvt_i32_f32_e32 v81, v81
	v_exp_f32_e32 v50, v50
	v_cvt_i32_f32_e32 v83, v83
	v_rndne_f32_e32 v91, v54
	v_cndmask_b32_e64 v43, 0x7f800000, v43, s31
	v_cmp_ngt_f32_e64 s31, 0xc2ce8ed0, v24
	v_ldexp_f32 v49, v49, v81
	v_exp_f32_e32 v51, v51
	v_cvt_i32_f32_e32 v85, v85
	v_add_f32_e32 v41, v41, v43
	v_cndmask_b32_e64 v42, 0, v48, s31
	v_cmp_nlt_f32_e64 s31, 0x42b17218, v23
	v_ldexp_f32 v50, v50, v83
	v_exp_f32_e32 v52, v52
	v_cvt_i32_f32_e32 v87, v87
	v_exp_f32_e32 v53, v53
	v_cndmask_b32_e64 v44, 0x7f800000, v44, s31
	v_cmp_ngt_f32_e64 s31, 0xc2ce8ed0, v25
	v_sub_f32_e32 v54, v54, v91
	v_ldexp_f32 v51, v51, v85
	v_cvt_i32_f32_e32 v89, v89
	v_add_f32_e32 v41, v41, v44
	v_cndmask_b32_e64 v43, 0, v49, s31
	v_cmp_nlt_f32_e64 s31, 0x42b17218, v24
	v_ldexp_f32 v52, v52, v87
	v_fma_f32 v64, 0x3fb8aa3b, v33, -v56
	v_ldexp_f32 v53, v53, v89
	v_rndne_f32_e32 v66, v56
	v_cndmask_b32_e64 v42, 0x7f800000, v42, s31
	v_cmp_ngt_f32_e64 s31, 0xc2ce8ed0, v26
	v_fma_f32 v72, 0x3fb8aa3b, v35, -v58
	v_cvt_i32_f32_e32 v91, v91
	v_exp_f32_e32 v55, v55
	v_add_f32_e32 v41, v41, v42
	v_cndmask_b32_e64 v44, 0, v50, s31
	v_cmp_nlt_f32_e64 s31, 0x42b17218, v25
	v_cvt_i32_f32_e32 v93, v93
	v_rndne_f32_e32 v74, v58
	v_exp_f32_e32 v57, v57
	v_cvt_i32_f32_e32 v70, v70
	v_cndmask_b32_e64 v43, 0x7f800000, v43, s31
	v_cmp_ngt_f32_e64 s31, 0xc2ce8ed0, v27
	v_add_f32_e32 v54, v54, v90
	v_ldexp_f32 v55, v55, v93
	v_exp_f32_e32 v59, v59
	v_add_f32_e32 v41, v41, v43
	v_cndmask_b32_e64 v42, 0, v51, s31
	v_cmp_nlt_f32_e64 s31, 0x42b17218, v26
	v_exp_f32_e32 v54, v54
	v_ldexp_f32 v57, v57, v70
	v_cvt_i32_f32_e32 v78, v78
	v_fma_f32 v80, 0x3fb8aa3b, v37, -v60
	v_cndmask_b32_e64 v44, 0x7f800000, v44, s31
	v_cmp_ngt_f32_e64 s31, 0xc2ce8ed0, v28
	v_fmac_f32_e32 v64, 0x32a5705f, v33
	v_ldexp_f32 v59, v59, v78
	v_rndne_f32_e32 v82, v60
	v_add_f32_e32 v41, v41, v44
	v_cndmask_b32_e64 v43, 0, v52, s31
	v_cmp_nlt_f32_e64 s31, 0x42b17218, v27
	v_ldexp_f32 v54, v54, v91
	v_fma_f32 v88, 0x3fb8aa3b, v39, -v62
	v_sub_f32_e32 v16, v16, v29
	v_sub_f32_e32 v18, v18, v29
	v_cndmask_b32_e64 v42, 0x7f800000, v42, s31
	v_cmp_ngt_f32_e64 s31, 0xc2ce8ed0, v30
	v_fmac_f32_e32 v72, 0x32a5705f, v35
	v_mul_f32_e32 v47, 0x3fb8aa3b, v16
	v_fma_f32 v84, 0x3fb8aa3b, v38, -v61
	v_add_f32_e32 v41, v41, v42
	v_cndmask_b32_e64 v44, 0, v53, s31
	v_cmp_nlt_f32_e64 s31, 0x42b17218, v28
	v_rndne_f32_e32 v90, v62
	v_sub_f32_e32 v61, v61, v86
	v_cvt_i32_f32_e32 v86, v86
	v_fma_f32 v92, 0x3fb8aa3b, v40, -v63
	v_cndmask_b32_e64 v43, 0x7f800000, v43, s31
	v_sub_f32_e32 v56, v56, v66
	v_cmp_ngt_f32_e64 s31, 0xc2ce8ed0, v31
	v_cvt_i32_f32_e32 v66, v66
	v_cvt_i32_f32_e32 v46, v90
	s_delay_alu instid0(VALU_DEP_4) | instskip(NEXT) | instid1(VALU_DEP_4)
	v_dual_add_f32 v41, v41, v43 :: v_dual_add_f32 v56, v56, v64
	v_cndmask_b32_e64 v42, 0, v54, s31
	v_cmp_nlt_f32_e64 s31, 0x42b17218, v30
	v_sub_f32_e32 v10, v10, v29
	v_sub_f32_e32 v9, v9, v29
	v_exp_f32_e32 v56, v56
	v_sub_f32_e32 v11, v11, v29
	v_cndmask_b32_e64 v44, 0x7f800000, v44, s31
	v_cmp_ngt_f32_e64 s31, 0xc2ce8ed0, v32
	v_dual_mul_f32 v50, 0x3fb8aa3b, v10 :: v_dual_sub_f32 v13, v13, v29
	v_sub_f32_e32 v7, v7, v29
	s_delay_alu instid0(VALU_DEP_4) | instskip(NEXT) | instid1(VALU_DEP_4)
	v_add_f32_e32 v41, v41, v44
	v_cndmask_b32_e64 v43, 0, v55, s31
	v_cmp_nlt_f32_e64 s31, 0x42b17218, v31
	s_delay_alu instid0(TRANS32_DEP_1) | instskip(NEXT) | instid1(VALU_DEP_2)
	v_ldexp_f32 v56, v56, v66
	v_cndmask_b32_e64 v42, 0x7f800000, v42, s31
	v_cmp_ngt_f32_e64 s31, 0xc2ce8ed0, v33
	s_delay_alu instid0(VALU_DEP_2) | instskip(NEXT) | instid1(VALU_DEP_2)
	v_add_f32_e32 v41, v41, v42
	v_cndmask_b32_e64 v44, 0, v56, s31
	v_cmp_nlt_f32_e64 s31, 0x42b17218, v32
	s_delay_alu instid0(VALU_DEP_1) | instskip(SKIP_3) | instid1(VALU_DEP_3)
	v_cndmask_b32_e64 v43, 0x7f800000, v43, s31
	v_sub_f32_e32 v58, v58, v74
	v_cmp_ngt_f32_e64 s31, 0xc2ce8ed0, v34
	v_cvt_i32_f32_e32 v74, v74
	v_dual_add_f32 v41, v41, v43 :: v_dual_add_f32 v58, v58, v72
	s_delay_alu instid0(VALU_DEP_3) | instskip(SKIP_1) | instid1(VALU_DEP_3)
	v_cndmask_b32_e64 v42, 0, v57, s31
	v_cmp_nlt_f32_e64 s31, 0x42b17218, v33
	v_exp_f32_e32 v58, v58
	s_delay_alu instid0(VALU_DEP_1) | instskip(SKIP_1) | instid1(VALU_DEP_2)
	v_cndmask_b32_e64 v44, 0x7f800000, v44, s31
	v_cmp_ngt_f32_e64 s31, 0xc2ce8ed0, v35
	v_dual_fmac_f32 v80, 0x32a5705f, v37 :: v_dual_add_f32 v41, v41, v44
	s_waitcnt_depctr 0xfff
	v_ldexp_f32 v58, v58, v74
	s_delay_alu instid0(VALU_DEP_1) | instskip(SKIP_1) | instid1(VALU_DEP_1)
	v_cndmask_b32_e64 v43, 0, v58, s31
	v_cmp_nlt_f32_e64 s31, 0x42b17218, v34
	v_cndmask_b32_e64 v42, 0x7f800000, v42, s31
	v_cmp_ngt_f32_e64 s31, 0xc2ce8ed0, v36
	s_delay_alu instid0(VALU_DEP_2) | instskip(NEXT) | instid1(VALU_DEP_2)
	v_dual_fmac_f32 v88, 0x32a5705f, v39 :: v_dual_add_f32 v41, v41, v42
	v_cndmask_b32_e64 v44, 0, v59, s31
	v_cmp_nlt_f32_e64 s31, 0x42b17218, v35
	s_delay_alu instid0(VALU_DEP_1) | instskip(SKIP_3) | instid1(VALU_DEP_3)
	v_cndmask_b32_e64 v43, 0x7f800000, v43, s31
	v_sub_f32_e32 v60, v60, v82
	v_cvt_i32_f32_e32 v82, v82
	v_cmp_ngt_f32_e64 s31, 0xc2ce8ed0, v37
	v_dual_add_f32 v41, v41, v43 :: v_dual_add_f32 v60, v60, v80
	s_delay_alu instid0(VALU_DEP_1) | instskip(SKIP_2) | instid1(VALU_DEP_1)
	v_exp_f32_e32 v60, v60
	s_waitcnt_depctr 0xfff
	v_ldexp_f32 v60, v60, v82
	v_cndmask_b32_e64 v42, 0, v60, s31
	v_cmp_nlt_f32_e64 s31, 0x42b17218, v36
	s_delay_alu instid0(VALU_DEP_1) | instskip(SKIP_2) | instid1(VALU_DEP_3)
	v_cndmask_b32_e64 v44, 0x7f800000, v44, s31
	v_sub_f32_e32 v62, v62, v90
	v_cmp_nlt_f32_e64 s31, 0x42b17218, v37
	v_dual_add_f32 v41, v41, v44 :: v_dual_fmac_f32 v84, 0x32a5705f, v38
	s_delay_alu instid0(VALU_DEP_3) | instskip(NEXT) | instid1(VALU_DEP_3)
	v_add_f32_e32 v43, v62, v88
	v_cndmask_b32_e64 v42, 0x7f800000, v42, s31
	v_cmp_ngt_f32_e64 s31, 0xc2ce8ed0, v38
	v_rndne_f32_e32 v44, v63
	v_add_f32_e32 v61, v61, v84
	v_exp_f32_e32 v43, v43
	s_delay_alu instid0(VALU_DEP_2) | instskip(NEXT) | instid1(VALU_DEP_2)
	v_dual_add_f32 v41, v41, v42 :: v_dual_sub_f32 v42, v63, v44
	v_exp_f32_e32 v61, v61
	v_cvt_i32_f32_e32 v44, v44
	s_waitcnt_depctr 0xfff
	v_ldexp_f32 v43, v43, v46
	v_rndne_f32_e32 v46, v47
	v_ldexp_f32 v45, v61, v86
	s_delay_alu instid0(VALU_DEP_1) | instskip(SKIP_1) | instid1(VALU_DEP_1)
	v_cndmask_b32_e64 v45, 0, v45, s31
	v_cmp_nlt_f32_e64 s31, 0x42b17218, v38
	v_cndmask_b32_e64 v45, 0x7f800000, v45, s31
	v_cmp_ngt_f32_e64 s31, 0xc2ce8ed0, v39
	s_delay_alu instid0(VALU_DEP_2) | instskip(NEXT) | instid1(VALU_DEP_2)
	v_add_f32_e32 v41, v41, v45
	v_cndmask_b32_e64 v43, 0, v43, s31
	v_cmp_nlt_f32_e64 s31, 0x42b17218, v39
	s_delay_alu instid0(VALU_DEP_1) | instskip(SKIP_2) | instid1(VALU_DEP_2)
	v_cndmask_b32_e64 v43, 0x7f800000, v43, s31
	v_fmac_f32_e32 v92, 0x32a5705f, v40
	v_cmp_ngt_f32_e64 s31, 0xc2ce8ed0, v40
	v_dual_add_f32 v41, v41, v43 :: v_dual_add_f32 v42, v42, v92
	s_delay_alu instid0(VALU_DEP_1) | instskip(SKIP_2) | instid1(VALU_DEP_1)
	v_exp_f32_e32 v42, v42
	s_waitcnt_depctr 0xfff
	v_ldexp_f32 v42, v42, v44
	v_cndmask_b32_e64 v42, 0, v42, s31
	v_cmp_nlt_f32_e64 s31, 0x42b17218, v40
	s_delay_alu instid0(VALU_DEP_1) | instskip(NEXT) | instid1(VALU_DEP_1)
	v_cndmask_b32_e64 v42, 0x7f800000, v42, s31
	v_add_f32_e32 v41, v41, v42
	v_fma_f32 v45, 0x3fb8aa3b, v16, -v47
	v_sub_f32_e32 v47, v47, v46
	v_cmp_ngt_f32_e64 s31, 0xc2ce8ed0, v16
	s_delay_alu instid0(VALU_DEP_3) | instskip(NEXT) | instid1(VALU_DEP_1)
	v_fmac_f32_e32 v45, 0x32a5705f, v16
	v_add_f32_e32 v44, v47, v45
	v_cvt_i32_f32_e32 v45, v46
	s_delay_alu instid0(VALU_DEP_2) | instskip(SKIP_1) | instid1(VALU_DEP_1)
	v_exp_f32_e32 v43, v44
	v_mul_f32_e32 v44, 0x3fb8aa3b, v18
	v_fma_f32 v46, 0x3fb8aa3b, v18, -v44
	v_rndne_f32_e32 v47, v44
	s_waitcnt_depctr 0xfff
	v_ldexp_f32 v42, v43, v45
	v_dual_fmac_f32 v46, 0x32a5705f, v18 :: v_dual_sub_f32 v43, v44, v47
	v_mul_f32_e32 v48, 0x3fb8aa3b, v11
	v_cvt_i32_f32_e32 v47, v47
	s_delay_alu instid0(VALU_DEP_4) | instskip(SKIP_4) | instid1(VALU_DEP_4)
	v_cndmask_b32_e64 v42, 0, v42, s31
	v_cmp_nlt_f32_e64 s31, 0x42b17218, v16
	v_add_f32_e32 v43, v43, v46
	v_fma_f32 v44, 0x3fb8aa3b, v11, -v48
	v_rndne_f32_e32 v45, v48
	v_cndmask_b32_e64 v42, 0x7f800000, v42, s31
	s_delay_alu instid0(VALU_DEP_4) | instskip(SKIP_1) | instid1(VALU_DEP_2)
	v_exp_f32_e32 v43, v43
	v_cmp_ngt_f32_e64 s31, 0xc2ce8ed0, v18
	v_dual_fmac_f32 v44, 0x32a5705f, v11 :: v_dual_add_f32 v41, v41, v42
	s_waitcnt_depctr 0xfff
	v_ldexp_f32 v42, v43, v47
	v_rndne_f32_e32 v47, v50
	v_sub_f32_e32 v46, v48, v45
	v_cvt_i32_f32_e32 v43, v45
	v_mul_f32_e32 v48, 0x3fb8aa3b, v13
	v_cndmask_b32_e64 v42, 0, v42, s31
	v_cmp_nlt_f32_e64 s31, 0x42b17218, v18
	s_delay_alu instid0(VALU_DEP_3) | instskip(NEXT) | instid1(VALU_DEP_2)
	v_rndne_f32_e32 v49, v48
	v_cndmask_b32_e64 v42, 0x7f800000, v42, s31
	v_add_f32_e32 v44, v46, v44
	v_cmp_ngt_f32_e64 s31, 0xc2ce8ed0, v11
	v_fma_f32 v46, 0x3fb8aa3b, v13, -v48
	s_delay_alu instid0(VALU_DEP_4) | instskip(NEXT) | instid1(VALU_DEP_4)
	v_dual_sub_f32 v48, v48, v49 :: v_dual_add_f32 v41, v41, v42
	v_exp_f32_e32 v44, v44
	s_waitcnt_depctr 0xfff
	v_ldexp_f32 v43, v44, v43
	s_delay_alu instid0(VALU_DEP_1) | instskip(SKIP_1) | instid1(VALU_DEP_1)
	v_cndmask_b32_e64 v43, 0, v43, s31
	v_cmp_nlt_f32_e64 s31, 0x42b17218, v11
	v_cndmask_b32_e64 v43, 0x7f800000, v43, s31
	v_cmp_ngt_f32_e64 s31, 0xc2ce8ed0, v13
	s_delay_alu instid0(VALU_DEP_2) | instskip(SKIP_1) | instid1(VALU_DEP_2)
	v_dual_add_f32 v41, v41, v43 :: v_dual_fmac_f32 v46, 0x32a5705f, v13
	v_cvt_i32_f32_e32 v43, v47
	v_add_f32_e32 v45, v48, v46
	v_fma_f32 v46, 0x3fb8aa3b, v10, -v50
	v_cvt_i32_f32_e32 v48, v49
	s_delay_alu instid0(VALU_DEP_3) | instskip(NEXT) | instid1(VALU_DEP_2)
	v_exp_f32_e32 v44, v45
	v_dual_fmac_f32 v46, 0x32a5705f, v10 :: v_dual_sub_f32 v45, v50, v47
	s_delay_alu instid0(VALU_DEP_1) | instskip(SKIP_4) | instid1(VALU_DEP_2)
	v_dual_add_f32 v45, v45, v46 :: v_dual_mul_f32 v46, 0x3fb8aa3b, v7
	s_waitcnt_depctr 0xfff
	v_ldexp_f32 v42, v44, v48
	v_exp_f32_e32 v44, v45
	v_mul_f32_e32 v45, 0x3fb8aa3b, v9
	v_cndmask_b32_e64 v42, 0, v42, s31
	v_cmp_nlt_f32_e64 s31, 0x42b17218, v13
	s_delay_alu instid0(VALU_DEP_1)
	v_cndmask_b32_e64 v42, 0x7f800000, v42, s31
	s_waitcnt_depctr 0xfff
	v_ldexp_f32 v43, v44, v43
	v_cmp_ngt_f32_e64 s31, 0xc2ce8ed0, v10
	v_rndne_f32_e32 v44, v45
	v_add_f32_e32 v41, v41, v42
	v_fma_f32 v42, 0x3fb8aa3b, v9, -v45
	s_delay_alu instid0(VALU_DEP_4) | instskip(SKIP_3) | instid1(VALU_DEP_3)
	v_cndmask_b32_e64 v43, 0, v43, s31
	v_cmp_nlt_f32_e64 s31, 0x42b17218, v10
	v_sub_f32_e32 v45, v45, v44
	v_cvt_i32_f32_e32 v44, v44
	v_cndmask_b32_e64 v43, 0x7f800000, v43, s31
	v_fmac_f32_e32 v42, 0x32a5705f, v9
	v_cmp_ngt_f32_e64 s31, 0xc2ce8ed0, v9
	s_delay_alu instid0(VALU_DEP_3) | instskip(SKIP_1) | instid1(VALU_DEP_1)
	v_add_f32_e32 v41, v41, v43
	v_fma_f32 v43, 0x3fb8aa3b, v7, -v46
	v_dual_sub_f32 v8, v8, v29 :: v_dual_fmac_f32 v43, 0x32a5705f, v7
	s_delay_alu instid0(VALU_DEP_1) | instskip(SKIP_2) | instid1(VALU_DEP_3)
	v_dual_add_f32 v42, v45, v42 :: v_dual_mul_f32 v47, 0x3fb8aa3b, v8
	v_rndne_f32_e32 v45, v46
	v_sub_f32_e32 v6, v6, v29
	v_exp_f32_e32 v42, v42
	s_delay_alu instid0(VALU_DEP_3) | instskip(NEXT) | instid1(VALU_DEP_3)
	v_rndne_f32_e32 v48, v47
	v_sub_f32_e32 v29, v46, v45
	v_fma_f32 v46, 0x3fb8aa3b, v8, -v47
	v_cvt_i32_f32_e32 v45, v45
	s_delay_alu instid0(VALU_DEP_2) | instskip(SKIP_1) | instid1(TRANS32_DEP_1)
	v_dual_fmac_f32 v46, 0x32a5705f, v8 :: v_dual_add_f32 v29, v29, v43
	v_mul_f32_e32 v49, 0x3fb8aa3b, v6
	v_ldexp_f32 v42, v42, v44
	s_delay_alu instid0(VALU_DEP_3) | instskip(NEXT) | instid1(VALU_DEP_2)
	v_exp_f32_e32 v29, v29
	v_rndne_f32_e32 v50, v49
	v_sub_f32_e32 v43, v47, v48
	v_fma_f32 v47, 0x3fb8aa3b, v6, -v49
	v_cndmask_b32_e64 v42, 0, v42, s31
	v_cmp_nlt_f32_e64 s31, 0x42b17218, v9
	v_sub_f32_e32 v44, v49, v50
	v_add_f32_e32 v43, v43, v46
	v_fmac_f32_e32 v47, 0x32a5705f, v6
	s_delay_alu instid0(TRANS32_DEP_1) | instskip(SKIP_1) | instid1(VALU_DEP_4)
	v_ldexp_f32 v29, v29, v45
	v_cndmask_b32_e64 v42, 0x7f800000, v42, s31
	v_exp_f32_e32 v43, v43
	v_cmp_ngt_f32_e64 s31, 0xc2ce8ed0, v7
	v_add_f32_e32 v44, v44, v47
	v_cvt_i32_f32_e32 v45, v48
	v_add_f32_e32 v41, v41, v42
	s_delay_alu instid0(VALU_DEP_4) | instskip(SKIP_2) | instid1(TRANS32_DEP_2)
	v_cndmask_b32_e64 v29, 0, v29, s31
	v_cmp_nlt_f32_e64 s31, 0x42b17218, v7
	v_exp_f32_e32 v44, v44
	v_ldexp_f32 v42, v43, v45
	v_cvt_i32_f32_e32 v43, v50
	s_delay_alu instid0(VALU_DEP_3) | instskip(SKIP_1) | instid1(VALU_DEP_2)
	v_cndmask_b32_e64 v29, 0x7f800000, v29, s31
	v_cmp_ngt_f32_e64 s31, 0xc2ce8ed0, v8
	v_add_f32_e32 v29, v41, v29
	s_delay_alu instid0(VALU_DEP_2) | instskip(SKIP_1) | instid1(TRANS32_DEP_1)
	v_cndmask_b32_e64 v42, 0, v42, s31
	v_cmp_nlt_f32_e64 s31, 0x42b17218, v8
	v_ldexp_f32 v43, v44, v43
	s_delay_alu instid0(VALU_DEP_2) | instskip(SKIP_1) | instid1(VALU_DEP_2)
	v_cndmask_b32_e64 v41, 0x7f800000, v42, s31
	v_cmp_ngt_f32_e64 s31, 0xc2ce8ed0, v6
	v_add_f32_e32 v29, v29, v41
	s_delay_alu instid0(VALU_DEP_2) | instskip(SKIP_1) | instid1(VALU_DEP_1)
	v_cndmask_b32_e64 v42, 0, v43, s31
	v_cmp_nlt_f32_e64 s31, 0x42b17218, v6
	v_cndmask_b32_e64 v41, 0x7f800000, v42, s31
	s_delay_alu instid0(VALU_DEP_1)
	v_add_f32_e32 v29, v29, v41
	ds_bpermute_b32 v2, v2, v29
	s_waitcnt lgkmcnt(0)
	v_add_f32_e32 v2, v29, v2
	ds_bpermute_b32 v4, v4, v2
	s_waitcnt lgkmcnt(0)
	v_add_f32_e32 v2, v2, v4
	ds_bpermute_b32 v4, v14, v2
	s_waitcnt lgkmcnt(0)
	v_add_f32_e32 v2, v2, v4
	ds_bpermute_b32 v4, v17, v2
	s_waitcnt lgkmcnt(0)
	v_add_f32_e32 v2, v2, v4
	ds_bpermute_b32 v4, v20, v2
	v_cmpx_lt_i32_e32 0, v5
	s_cbranch_execz .LBB126_98
; %bb.65:
	s_and_b32 exec_lo, exec_lo, s0
	s_cbranch_execz .LBB126_98
; %bb.66:
	s_waitcnt lgkmcnt(0)
	v_add_f32_e32 v2, v2, v4
	v_lshlrev_b64 v[0:1], 2, v[0:1]
	s_delay_alu instid0(VALU_DEP_2) | instskip(NEXT) | instid1(VALU_DEP_1)
	v_cmp_gt_f32_e64 s0, 0x800000, v2
	v_cndmask_b32_e64 v4, 1.0, 0x4f800000, s0
	s_delay_alu instid0(VALU_DEP_1) | instskip(NEXT) | instid1(VALU_DEP_1)
	v_mul_f32_e32 v2, v2, v4
	v_log_f32_e32 v2, v2
	s_waitcnt_depctr 0xfff
	v_mul_f32_e32 v4, 0x3f317217, v2
	v_cmp_gt_f32_e64 s31, 0x7f800000, |v2|
	s_delay_alu instid0(VALU_DEP_2) | instskip(NEXT) | instid1(VALU_DEP_1)
	v_fma_f32 v5, 0x3f317217, v2, -v4
	v_fmamk_f32 v5, v2, 0x3377d1cf, v5
	s_delay_alu instid0(VALU_DEP_1) | instskip(NEXT) | instid1(VALU_DEP_1)
	v_add_f32_e32 v4, v4, v5
	v_cndmask_b32_e64 v2, v2, v4, s31
	v_cndmask_b32_e64 v4, 0, 0x41b17218, s0
	v_add_co_u32 v0, s0, s36, v0
	s_delay_alu instid0(VALU_DEP_1) | instskip(NEXT) | instid1(VALU_DEP_3)
	v_add_co_ci_u32_e64 v1, s0, s37, v1, s0
	v_sub_f32_e32 v2, v2, v4
	s_delay_alu instid0(VALU_DEP_1)
	v_sub_f32_e32 v3, v3, v2
	global_store_b32 v[0:1], v3, off
	s_and_b32 exec_lo, exec_lo, vcc_lo
	s_cbranch_execz .LBB126_98
; %bb.67:
	v_sub_f32_e32 v3, v12, v2
	global_store_b32 v[0:1], v3, off offset:128
	s_and_b32 exec_lo, exec_lo, s1
	s_cbranch_execz .LBB126_98
; %bb.68:
	v_sub_f32_e32 v3, v15, v2
	global_store_b32 v[0:1], v3, off offset:256
	s_and_b32 exec_lo, exec_lo, s2
	;; [unrolled: 5-line block ×30, first 2 shown]
	s_cbranch_execz .LBB126_98
; %bb.97:
	v_sub_f32_e32 v2, v6, v2
	global_store_b32 v[0:1], v2, off offset:3968
.LBB126_98:
	s_nop 0
	s_sendmsg sendmsg(MSG_DEALLOC_VGPRS)
	s_endpgm
	.section	.rodata,"a",@progbits
	.p2align	6, 0x0
	.amdhsa_kernel _ZN12_GLOBAL__N_120softmax_warp_forwardIN3c104HalfEffLi10ELb1ELb0ELi32EEEvPT0_PKT_iiiPKbib
		.amdhsa_group_segment_fixed_size 0
		.amdhsa_private_segment_fixed_size 0
		.amdhsa_kernarg_size 304
		.amdhsa_user_sgpr_count 15
		.amdhsa_user_sgpr_dispatch_ptr 0
		.amdhsa_user_sgpr_queue_ptr 0
		.amdhsa_user_sgpr_kernarg_segment_ptr 1
		.amdhsa_user_sgpr_dispatch_id 0
		.amdhsa_user_sgpr_private_segment_size 0
		.amdhsa_wavefront_size32 1
		.amdhsa_uses_dynamic_stack 0
		.amdhsa_enable_private_segment 0
		.amdhsa_system_sgpr_workgroup_id_x 1
		.amdhsa_system_sgpr_workgroup_id_y 0
		.amdhsa_system_sgpr_workgroup_id_z 0
		.amdhsa_system_sgpr_workgroup_info 0
		.amdhsa_system_vgpr_workitem_id 1
		.amdhsa_next_free_vgpr 94
		.amdhsa_next_free_sgpr 44
		.amdhsa_reserve_vcc 1
		.amdhsa_float_round_mode_32 0
		.amdhsa_float_round_mode_16_64 0
		.amdhsa_float_denorm_mode_32 3
		.amdhsa_float_denorm_mode_16_64 3
		.amdhsa_dx10_clamp 1
		.amdhsa_ieee_mode 1
		.amdhsa_fp16_overflow 0
		.amdhsa_workgroup_processor_mode 1
		.amdhsa_memory_ordered 1
		.amdhsa_forward_progress 0
		.amdhsa_shared_vgpr_count 0
		.amdhsa_exception_fp_ieee_invalid_op 0
		.amdhsa_exception_fp_denorm_src 0
		.amdhsa_exception_fp_ieee_div_zero 0
		.amdhsa_exception_fp_ieee_overflow 0
		.amdhsa_exception_fp_ieee_underflow 0
		.amdhsa_exception_fp_ieee_inexact 0
		.amdhsa_exception_int_div_zero 0
	.end_amdhsa_kernel
	.section	.text._ZN12_GLOBAL__N_120softmax_warp_forwardIN3c104HalfEffLi10ELb1ELb0ELi32EEEvPT0_PKT_iiiPKbib,"axG",@progbits,_ZN12_GLOBAL__N_120softmax_warp_forwardIN3c104HalfEffLi10ELb1ELb0ELi32EEEvPT0_PKT_iiiPKbib,comdat
.Lfunc_end126:
	.size	_ZN12_GLOBAL__N_120softmax_warp_forwardIN3c104HalfEffLi10ELb1ELb0ELi32EEEvPT0_PKT_iiiPKbib, .Lfunc_end126-_ZN12_GLOBAL__N_120softmax_warp_forwardIN3c104HalfEffLi10ELb1ELb0ELi32EEEvPT0_PKT_iiiPKbib
                                        ; -- End function
	.section	.AMDGPU.csdata,"",@progbits
; Kernel info:
; codeLenInByte = 7612
; NumSgprs: 46
; NumVgprs: 94
; ScratchSize: 0
; MemoryBound: 0
; FloatMode: 240
; IeeeMode: 1
; LDSByteSize: 0 bytes/workgroup (compile time only)
; SGPRBlocks: 5
; VGPRBlocks: 11
; NumSGPRsForWavesPerEU: 46
; NumVGPRsForWavesPerEU: 94
; Occupancy: 16
; WaveLimiterHint : 0
; COMPUTE_PGM_RSRC2:SCRATCH_EN: 0
; COMPUTE_PGM_RSRC2:USER_SGPR: 15
; COMPUTE_PGM_RSRC2:TRAP_HANDLER: 0
; COMPUTE_PGM_RSRC2:TGID_X_EN: 1
; COMPUTE_PGM_RSRC2:TGID_Y_EN: 0
; COMPUTE_PGM_RSRC2:TGID_Z_EN: 0
; COMPUTE_PGM_RSRC2:TIDIG_COMP_CNT: 1
	.section	.text._ZN12_GLOBAL__N_120softmax_warp_forwardIN3c104HalfEffLi11ELb1ELb0ELi64EEEvPT0_PKT_iiiPKbib,"axG",@progbits,_ZN12_GLOBAL__N_120softmax_warp_forwardIN3c104HalfEffLi11ELb1ELb0ELi64EEEvPT0_PKT_iiiPKbib,comdat
	.globl	_ZN12_GLOBAL__N_120softmax_warp_forwardIN3c104HalfEffLi11ELb1ELb0ELi64EEEvPT0_PKT_iiiPKbib ; -- Begin function _ZN12_GLOBAL__N_120softmax_warp_forwardIN3c104HalfEffLi11ELb1ELb0ELi64EEEvPT0_PKT_iiiPKbib
	.p2align	8
	.type	_ZN12_GLOBAL__N_120softmax_warp_forwardIN3c104HalfEffLi11ELb1ELb0ELi64EEEvPT0_PKT_iiiPKbib,@function
_ZN12_GLOBAL__N_120softmax_warp_forwardIN3c104HalfEffLi11ELb1ELb0ELi64EEEvPT0_PKT_iiiPKbib: ; @_ZN12_GLOBAL__N_120softmax_warp_forwardIN3c104HalfEffLi11ELb1ELb0ELi64EEEvPT0_PKT_iiiPKbib
; %bb.0:
	s_clause 0x1
	s_load_b32 s2, s[0:1], 0x3c
	s_load_b256 s[36:43], s[0:1], 0x0
	v_bfe_u32 v1, v0, 10, 10
	v_mov_b32_e32 v14, 0xff800000
	v_mov_b32_e32 v16, 0xff800000
	s_waitcnt lgkmcnt(0)
	s_lshr_b32 s0, s2, 16
	s_delay_alu instid0(SALU_CYCLE_1) | instskip(SKIP_1) | instid1(VALU_DEP_1)
	v_mad_u64_u32 v[3:4], null, s15, s0, v[1:2]
	v_and_b32_e32 v2, 0x3ff, v0
	v_cmp_gt_i32_e64 s0, s42, v2
	s_delay_alu instid0(VALU_DEP_3) | instskip(SKIP_1) | instid1(VALU_DEP_1)
	v_mad_u64_u32 v[0:1], null, v3, s41, v[2:3]
	v_sub_nc_u32_e32 v5, s40, v3
	v_cmp_lt_i32_e64 s31, 0, v5
	s_delay_alu instid0(VALU_DEP_3) | instskip(NEXT) | instid1(VALU_DEP_2)
	v_ashrrev_i32_e32 v1, 31, v0
	s_and_b32 s2, s31, s0
	s_delay_alu instid0(VALU_DEP_1) | instskip(NEXT) | instid1(VALU_DEP_1)
	v_lshlrev_b64 v[3:4], 1, v[0:1]
	v_add_co_u32 v3, vcc_lo, s38, v3
	s_delay_alu instid0(VALU_DEP_2)
	v_add_co_ci_u32_e32 v4, vcc_lo, s39, v4, vcc_lo
	s_and_saveexec_b32 s1, s2
	s_cbranch_execz .LBB127_2
; %bb.1:
	global_load_u16 v6, v[3:4], off
	s_waitcnt vmcnt(0)
	v_cvt_f32_f16_e32 v16, v6
.LBB127_2:
	s_or_b32 exec_lo, exec_lo, s1
	v_add_nc_u32_e32 v6, 64, v2
	s_delay_alu instid0(VALU_DEP_1) | instskip(SKIP_1) | instid1(SALU_CYCLE_1)
	v_cmp_gt_i32_e32 vcc_lo, s42, v6
	s_and_b32 s2, s31, vcc_lo
	s_and_saveexec_b32 s1, s2
	s_cbranch_execz .LBB127_4
; %bb.3:
	global_load_u16 v6, v[3:4], off offset:128
	s_waitcnt vmcnt(0)
	v_cvt_f32_f16_e32 v14, v6
.LBB127_4:
	s_or_b32 exec_lo, exec_lo, s1
	v_add_nc_u32_e32 v6, 0x80, v2
	v_mov_b32_e32 v18, 0xff800000
	v_mov_b32_e32 v20, 0xff800000
	s_delay_alu instid0(VALU_DEP_3) | instskip(NEXT) | instid1(VALU_DEP_1)
	v_cmp_gt_i32_e64 s1, s42, v6
	s_and_b32 s3, s31, s1
	s_delay_alu instid0(SALU_CYCLE_1)
	s_and_saveexec_b32 s2, s3
	s_cbranch_execz .LBB127_6
; %bb.5:
	global_load_u16 v6, v[3:4], off offset:256
	s_waitcnt vmcnt(0)
	v_cvt_f32_f16_e32 v20, v6
.LBB127_6:
	s_or_b32 exec_lo, exec_lo, s2
	v_add_nc_u32_e32 v6, 0xc0, v2
	s_delay_alu instid0(VALU_DEP_1) | instskip(NEXT) | instid1(VALU_DEP_1)
	v_cmp_gt_i32_e64 s2, s42, v6
	s_and_b32 s4, s31, s2
	s_delay_alu instid0(SALU_CYCLE_1)
	s_and_saveexec_b32 s3, s4
	s_cbranch_execz .LBB127_8
; %bb.7:
	global_load_u16 v6, v[3:4], off offset:384
	s_waitcnt vmcnt(0)
	v_cvt_f32_f16_e32 v18, v6
.LBB127_8:
	s_or_b32 exec_lo, exec_lo, s3
	v_add_nc_u32_e32 v6, 0x100, v2
	v_dual_mov_b32 v21, 0xff800000 :: v_dual_mov_b32 v22, 0xff800000
	s_delay_alu instid0(VALU_DEP_2) | instskip(NEXT) | instid1(VALU_DEP_1)
	v_cmp_gt_i32_e64 s3, s42, v6
	s_and_b32 s5, s31, s3
	s_delay_alu instid0(SALU_CYCLE_1)
	s_and_saveexec_b32 s4, s5
	s_cbranch_execz .LBB127_10
; %bb.9:
	global_load_u16 v6, v[3:4], off offset:512
	s_waitcnt vmcnt(0)
	v_cvt_f32_f16_e32 v22, v6
.LBB127_10:
	s_or_b32 exec_lo, exec_lo, s4
	v_add_nc_u32_e32 v6, 0x140, v2
	s_delay_alu instid0(VALU_DEP_1) | instskip(NEXT) | instid1(VALU_DEP_1)
	v_cmp_gt_i32_e64 s4, s42, v6
	s_and_b32 s6, s31, s4
	s_delay_alu instid0(SALU_CYCLE_1)
	s_and_saveexec_b32 s5, s6
	s_cbranch_execz .LBB127_12
; %bb.11:
	global_load_u16 v6, v[3:4], off offset:640
	s_waitcnt vmcnt(0)
	v_cvt_f32_f16_e32 v21, v6
.LBB127_12:
	s_or_b32 exec_lo, exec_lo, s5
	v_add_nc_u32_e32 v6, 0x180, v2
	v_dual_mov_b32 v23, 0xff800000 :: v_dual_mov_b32 v24, 0xff800000
	s_delay_alu instid0(VALU_DEP_2) | instskip(NEXT) | instid1(VALU_DEP_1)
	;; [unrolled: 27-line block ×3, first 2 shown]
	v_cmp_gt_i32_e64 s7, s42, v6
	s_and_b32 s9, s31, s7
	s_delay_alu instid0(SALU_CYCLE_1)
	s_and_saveexec_b32 s8, s9
	s_cbranch_execz .LBB127_18
; %bb.17:
	global_load_u16 v6, v[3:4], off offset:1024
	s_waitcnt vmcnt(0)
	v_cvt_f32_f16_e32 v26, v6
.LBB127_18:
	s_or_b32 exec_lo, exec_lo, s8
	v_add_nc_u32_e32 v6, 0x240, v2
	s_delay_alu instid0(VALU_DEP_1) | instskip(NEXT) | instid1(VALU_DEP_1)
	v_cmp_gt_i32_e64 s8, s42, v6
	s_and_b32 s10, s31, s8
	s_delay_alu instid0(SALU_CYCLE_1)
	s_and_saveexec_b32 s9, s10
	s_cbranch_execz .LBB127_20
; %bb.19:
	global_load_u16 v6, v[3:4], off offset:1152
	s_waitcnt vmcnt(0)
	v_cvt_f32_f16_e32 v25, v6
.LBB127_20:
	s_or_b32 exec_lo, exec_lo, s9
	v_add_nc_u32_e32 v6, 0x280, v2
	v_mov_b32_e32 v27, 0xff800000
	v_mov_b32_e32 v29, 0xff800000
	s_delay_alu instid0(VALU_DEP_3) | instskip(NEXT) | instid1(VALU_DEP_1)
	v_cmp_gt_i32_e64 s9, s42, v6
	s_and_b32 s11, s31, s9
	s_delay_alu instid0(SALU_CYCLE_1)
	s_and_saveexec_b32 s10, s11
	s_cbranch_execz .LBB127_22
; %bb.21:
	global_load_u16 v6, v[3:4], off offset:1280
	s_waitcnt vmcnt(0)
	v_cvt_f32_f16_e32 v29, v6
.LBB127_22:
	s_or_b32 exec_lo, exec_lo, s10
	v_add_nc_u32_e32 v6, 0x2c0, v2
	s_delay_alu instid0(VALU_DEP_1) | instskip(NEXT) | instid1(VALU_DEP_1)
	v_cmp_gt_i32_e64 s10, s42, v6
	s_and_b32 s12, s31, s10
	s_delay_alu instid0(SALU_CYCLE_1)
	s_and_saveexec_b32 s11, s12
	s_cbranch_execz .LBB127_24
; %bb.23:
	global_load_u16 v6, v[3:4], off offset:1408
	s_waitcnt vmcnt(0)
	v_cvt_f32_f16_e32 v27, v6
.LBB127_24:
	s_or_b32 exec_lo, exec_lo, s11
	v_add_nc_u32_e32 v6, 0x300, v2
	v_dual_mov_b32 v30, 0xff800000 :: v_dual_mov_b32 v31, 0xff800000
	s_delay_alu instid0(VALU_DEP_2) | instskip(NEXT) | instid1(VALU_DEP_1)
	v_cmp_gt_i32_e64 s11, s42, v6
	s_and_b32 s13, s31, s11
	s_delay_alu instid0(SALU_CYCLE_1)
	s_and_saveexec_b32 s12, s13
	s_cbranch_execz .LBB127_26
; %bb.25:
	global_load_u16 v6, v[3:4], off offset:1536
	s_waitcnt vmcnt(0)
	v_cvt_f32_f16_e32 v31, v6
.LBB127_26:
	s_or_b32 exec_lo, exec_lo, s12
	v_add_nc_u32_e32 v6, 0x340, v2
	s_delay_alu instid0(VALU_DEP_1) | instskip(NEXT) | instid1(VALU_DEP_1)
	v_cmp_gt_i32_e64 s12, s42, v6
	s_and_b32 s14, s31, s12
	s_delay_alu instid0(SALU_CYCLE_1)
	s_and_saveexec_b32 s13, s14
	s_cbranch_execz .LBB127_28
; %bb.27:
	global_load_u16 v6, v[3:4], off offset:1664
	s_waitcnt vmcnt(0)
	v_cvt_f32_f16_e32 v30, v6
.LBB127_28:
	s_or_b32 exec_lo, exec_lo, s13
	v_add_nc_u32_e32 v6, 0x380, v2
	v_dual_mov_b32 v32, 0xff800000 :: v_dual_mov_b32 v33, 0xff800000
	s_delay_alu instid0(VALU_DEP_2) | instskip(NEXT) | instid1(VALU_DEP_1)
	v_cmp_gt_i32_e64 s13, s42, v6
	s_and_b32 s15, s31, s13
	s_delay_alu instid0(SALU_CYCLE_1)
	s_and_saveexec_b32 s14, s15
	s_cbranch_execz .LBB127_30
; %bb.29:
	global_load_u16 v6, v[3:4], off offset:1792
	s_waitcnt vmcnt(0)
	v_cvt_f32_f16_e32 v33, v6
.LBB127_30:
	s_or_b32 exec_lo, exec_lo, s14
	v_add_nc_u32_e32 v6, 0x3c0, v2
	s_delay_alu instid0(VALU_DEP_1) | instskip(NEXT) | instid1(VALU_DEP_1)
	v_cmp_gt_i32_e64 s14, s42, v6
	s_and_b32 s16, s31, s14
	s_delay_alu instid0(SALU_CYCLE_1)
	s_and_saveexec_b32 s15, s16
	s_cbranch_execz .LBB127_32
; %bb.31:
	global_load_u16 v6, v[3:4], off offset:1920
	s_waitcnt vmcnt(0)
	v_cvt_f32_f16_e32 v32, v6
.LBB127_32:
	s_or_b32 exec_lo, exec_lo, s15
	v_or_b32_e32 v6, 0x400, v2
	v_dual_mov_b32 v34, 0xff800000 :: v_dual_mov_b32 v35, 0xff800000
	s_delay_alu instid0(VALU_DEP_2) | instskip(NEXT) | instid1(VALU_DEP_1)
	v_cmp_gt_i32_e64 s15, s42, v6
	s_and_b32 s17, s31, s15
	s_delay_alu instid0(SALU_CYCLE_1)
	s_and_saveexec_b32 s16, s17
	s_cbranch_execz .LBB127_34
; %bb.33:
	global_load_u16 v6, v[3:4], off offset:2048
	s_waitcnt vmcnt(0)
	v_cvt_f32_f16_e32 v35, v6
.LBB127_34:
	s_or_b32 exec_lo, exec_lo, s16
	v_add_nc_u32_e32 v6, 0x440, v2
	s_delay_alu instid0(VALU_DEP_1) | instskip(NEXT) | instid1(VALU_DEP_1)
	v_cmp_gt_i32_e64 s16, s42, v6
	s_and_b32 s18, s31, s16
	s_delay_alu instid0(SALU_CYCLE_1)
	s_and_saveexec_b32 s17, s18
	s_cbranch_execz .LBB127_36
; %bb.35:
	global_load_u16 v6, v[3:4], off offset:2176
	s_waitcnt vmcnt(0)
	v_cvt_f32_f16_e32 v34, v6
.LBB127_36:
	s_or_b32 exec_lo, exec_lo, s17
	v_add_nc_u32_e32 v6, 0x480, v2
	v_dual_mov_b32 v36, 0xff800000 :: v_dual_mov_b32 v37, 0xff800000
	s_delay_alu instid0(VALU_DEP_2) | instskip(NEXT) | instid1(VALU_DEP_1)
	v_cmp_gt_i32_e64 s17, s42, v6
	s_and_b32 s19, s31, s17
	s_delay_alu instid0(SALU_CYCLE_1)
	s_and_saveexec_b32 s18, s19
	s_cbranch_execz .LBB127_38
; %bb.37:
	global_load_u16 v6, v[3:4], off offset:2304
	s_waitcnt vmcnt(0)
	v_cvt_f32_f16_e32 v37, v6
.LBB127_38:
	s_or_b32 exec_lo, exec_lo, s18
	v_add_nc_u32_e32 v6, 0x4c0, v2
	s_delay_alu instid0(VALU_DEP_1) | instskip(NEXT) | instid1(VALU_DEP_1)
	v_cmp_gt_i32_e64 s18, s42, v6
	s_and_b32 s20, s31, s18
	s_delay_alu instid0(SALU_CYCLE_1)
	s_and_saveexec_b32 s19, s20
	s_cbranch_execz .LBB127_40
; %bb.39:
	global_load_u16 v6, v[3:4], off offset:2432
	s_waitcnt vmcnt(0)
	v_cvt_f32_f16_e32 v36, v6
.LBB127_40:
	s_or_b32 exec_lo, exec_lo, s19
	v_add_nc_u32_e32 v6, 0x500, v2
	;; [unrolled: 27-line block ×5, first 2 shown]
	v_mov_b32_e32 v10, 0xff800000
	v_mov_b32_e32 v12, 0xff800000
	s_delay_alu instid0(VALU_DEP_3) | instskip(NEXT) | instid1(VALU_DEP_1)
	v_cmp_gt_i32_e64 s25, s42, v6
	s_and_b32 s27, s31, s25
	s_delay_alu instid0(SALU_CYCLE_1)
	s_and_saveexec_b32 s26, s27
	s_cbranch_execz .LBB127_54
; %bb.53:
	global_load_u16 v6, v[3:4], off offset:3328
	s_waitcnt vmcnt(0)
	v_cvt_f32_f16_e32 v12, v6
.LBB127_54:
	s_or_b32 exec_lo, exec_lo, s26
	v_add_nc_u32_e32 v6, 0x6c0, v2
	s_delay_alu instid0(VALU_DEP_1) | instskip(NEXT) | instid1(VALU_DEP_1)
	v_cmp_gt_i32_e64 s26, s42, v6
	s_and_b32 s28, s31, s26
	s_delay_alu instid0(SALU_CYCLE_1)
	s_and_saveexec_b32 s27, s28
	s_cbranch_execz .LBB127_56
; %bb.55:
	global_load_u16 v6, v[3:4], off offset:3456
	s_waitcnt vmcnt(0)
	v_cvt_f32_f16_e32 v10, v6
.LBB127_56:
	s_or_b32 exec_lo, exec_lo, s27
	v_add_nc_u32_e32 v6, 0x700, v2
	v_mov_b32_e32 v7, 0xff800000
	v_mov_b32_e32 v9, 0xff800000
	s_delay_alu instid0(VALU_DEP_3) | instskip(NEXT) | instid1(VALU_DEP_1)
	v_cmp_gt_i32_e64 s27, s42, v6
	s_and_b32 s29, s31, s27
	s_delay_alu instid0(SALU_CYCLE_1)
	s_and_saveexec_b32 s28, s29
	s_cbranch_execz .LBB127_58
; %bb.57:
	global_load_u16 v6, v[3:4], off offset:3584
	s_waitcnt vmcnt(0)
	v_cvt_f32_f16_e32 v9, v6
.LBB127_58:
	s_or_b32 exec_lo, exec_lo, s28
	v_add_nc_u32_e32 v6, 0x740, v2
	s_delay_alu instid0(VALU_DEP_1) | instskip(NEXT) | instid1(VALU_DEP_1)
	v_cmp_gt_i32_e64 s28, s42, v6
	s_and_b32 s30, s31, s28
	s_delay_alu instid0(SALU_CYCLE_1)
	s_and_saveexec_b32 s29, s30
	s_cbranch_execz .LBB127_60
; %bb.59:
	global_load_u16 v6, v[3:4], off offset:3712
	s_waitcnt vmcnt(0)
	v_cvt_f32_f16_e32 v7, v6
.LBB127_60:
	s_or_b32 exec_lo, exec_lo, s29
	v_add_nc_u32_e32 v6, 0x780, v2
	v_mov_b32_e32 v8, 0xff800000
	s_delay_alu instid0(VALU_DEP_2) | instskip(SKIP_1) | instid1(VALU_DEP_2)
	v_cmp_gt_i32_e64 s29, s42, v6
	v_mov_b32_e32 v6, 0xff800000
	s_and_b32 s33, s31, s29
	s_delay_alu instid0(SALU_CYCLE_1)
	s_and_saveexec_b32 s30, s33
	s_cbranch_execz .LBB127_62
; %bb.61:
	global_load_u16 v8, v[3:4], off offset:3840
	s_waitcnt vmcnt(0)
	v_cvt_f32_f16_e32 v8, v8
.LBB127_62:
	s_or_b32 exec_lo, exec_lo, s30
	v_add_nc_u32_e32 v2, 0x7c0, v2
	s_delay_alu instid0(VALU_DEP_1) | instskip(NEXT) | instid1(VALU_DEP_1)
	v_cmp_gt_i32_e64 s30, s42, v2
	s_and_b32 s33, s31, s30
	s_delay_alu instid0(SALU_CYCLE_1)
	s_and_saveexec_b32 s31, s33
	s_cbranch_execz .LBB127_64
; %bb.63:
	global_load_u16 v2, v[3:4], off offset:3968
	s_waitcnt vmcnt(0)
	v_cvt_f32_f16_e32 v6, v2
.LBB127_64:
	s_or_b32 exec_lo, exec_lo, s31
	v_cmp_gt_f32_e64 s31, v16, v14
	v_mbcnt_lo_u32_b32 v4, -1, 0
	s_mov_b32 s33, exec_lo
	s_delay_alu instid0(VALU_DEP_2) | instskip(NEXT) | instid1(VALU_DEP_2)
	v_cndmask_b32_e64 v2, v14, v16, s31
	v_or_b32_e32 v3, 32, v4
	s_delay_alu instid0(VALU_DEP_2) | instskip(NEXT) | instid1(VALU_DEP_1)
	v_cmp_gt_f32_e64 s31, v2, v20
	v_cndmask_b32_e64 v2, v20, v2, s31
	s_delay_alu instid0(VALU_DEP_1) | instskip(NEXT) | instid1(VALU_DEP_1)
	v_cmp_gt_f32_e64 s31, v2, v18
	v_cndmask_b32_e64 v2, v18, v2, s31
	s_delay_alu instid0(VALU_DEP_1) | instskip(NEXT) | instid1(VALU_DEP_1)
	;; [unrolled: 3-line block ×27, first 2 shown]
	v_cmp_gt_f32_e64 s31, v2, v7
	v_cndmask_b32_e64 v2, v7, v2, s31
	v_cmp_gt_i32_e64 s31, 64, v3
	s_delay_alu instid0(VALU_DEP_1) | instskip(NEXT) | instid1(VALU_DEP_3)
	v_cndmask_b32_e64 v3, v4, v3, s31
	v_cmp_gt_f32_e64 s31, v2, v8
	s_delay_alu instid0(VALU_DEP_1) | instskip(NEXT) | instid1(VALU_DEP_3)
	v_cndmask_b32_e64 v13, v8, v2, s31
	v_lshlrev_b32_e32 v2, 2, v3
	v_xor_b32_e32 v3, 16, v4
	s_delay_alu instid0(VALU_DEP_3) | instskip(NEXT) | instid1(VALU_DEP_1)
	v_cmp_gt_f32_e64 s31, v13, v6
	v_cndmask_b32_e64 v13, v6, v13, s31
	s_delay_alu instid0(VALU_DEP_3) | instskip(SKIP_2) | instid1(VALU_DEP_1)
	v_cmp_gt_i32_e64 s31, 64, v3
	ds_bpermute_b32 v15, v2, v13
	v_cndmask_b32_e64 v3, v4, v3, s31
	v_lshlrev_b32_e32 v3, 2, v3
	s_waitcnt lgkmcnt(0)
	v_cmp_lt_f32_e64 s31, v13, v15
	s_delay_alu instid0(VALU_DEP_1) | instskip(SKIP_3) | instid1(VALU_DEP_1)
	v_cndmask_b32_e64 v15, v13, v15, s31
	v_xor_b32_e32 v13, 8, v4
	ds_bpermute_b32 v17, v3, v15
	v_cmp_gt_i32_e64 s31, 64, v13
	v_cndmask_b32_e64 v13, v4, v13, s31
	s_delay_alu instid0(VALU_DEP_1) | instskip(SKIP_2) | instid1(VALU_DEP_1)
	v_lshlrev_b32_e32 v13, 2, v13
	s_waitcnt lgkmcnt(0)
	v_cmp_lt_f32_e64 s31, v15, v17
	v_cndmask_b32_e64 v17, v15, v17, s31
	v_xor_b32_e32 v15, 4, v4
	ds_bpermute_b32 v19, v13, v17
	v_cmp_gt_i32_e64 s31, 64, v15
	s_delay_alu instid0(VALU_DEP_1) | instskip(NEXT) | instid1(VALU_DEP_1)
	v_cndmask_b32_e64 v15, v4, v15, s31
	v_lshlrev_b32_e32 v15, 2, v15
	s_waitcnt lgkmcnt(0)
	v_cmp_lt_f32_e64 s31, v17, v19
	s_delay_alu instid0(VALU_DEP_1) | instskip(SKIP_3) | instid1(VALU_DEP_1)
	v_cndmask_b32_e64 v19, v17, v19, s31
	v_xor_b32_e32 v17, 2, v4
	ds_bpermute_b32 v28, v15, v19
	v_cmp_gt_i32_e64 s31, 64, v17
	v_cndmask_b32_e64 v17, v4, v17, s31
	s_delay_alu instid0(VALU_DEP_1) | instskip(SKIP_2) | instid1(VALU_DEP_1)
	v_lshlrev_b32_e32 v17, 2, v17
	s_waitcnt lgkmcnt(0)
	v_cmp_lt_f32_e64 s31, v19, v28
	v_cndmask_b32_e64 v28, v19, v28, s31
	v_xor_b32_e32 v19, 1, v4
	ds_bpermute_b32 v43, v17, v28
	v_cmp_gt_i32_e64 s31, 64, v19
	s_delay_alu instid0(VALU_DEP_1) | instskip(NEXT) | instid1(VALU_DEP_1)
	v_cndmask_b32_e64 v4, v4, v19, s31
	v_lshlrev_b32_e32 v19, 2, v4
	s_waitcnt lgkmcnt(0)
	v_cmp_lt_f32_e64 s31, v28, v43
	s_delay_alu instid0(VALU_DEP_1) | instskip(SKIP_3) | instid1(VALU_DEP_1)
	v_cndmask_b32_e64 v4, v28, v43, s31
	ds_bpermute_b32 v28, v19, v4
	s_waitcnt lgkmcnt(0)
	v_cmp_lt_f32_e64 s31, v4, v28
	v_cndmask_b32_e64 v28, v4, v28, s31
	s_delay_alu instid0(VALU_DEP_1)
	v_sub_f32_e32 v14, v14, v28
	v_sub_f32_e32 v21, v21, v28
	;; [unrolled: 1-line block ×5, first 2 shown]
	v_dual_sub_f32 v20, v22, v28 :: v_dual_mul_f32 v43, 0x3fb8aa3b, v14
	v_sub_f32_e32 v22, v24, v28
	v_dual_sub_f32 v24, v26, v28 :: v_dual_mul_f32 v47, 0x3fb8aa3b, v21
	v_sub_f32_e32 v26, v29, v28
	v_sub_f32_e32 v29, v31, v28
	;; [unrolled: 1-line block ×6, first 2 shown]
	v_mul_f32_e32 v45, 0x3fb8aa3b, v18
	v_fma_f32 v68, 0x3fb8aa3b, v14, -v43
	v_sub_f32_e32 v39, v41, v28
	v_rndne_f32_e32 v77, v47
	v_mul_f32_e32 v44, 0x3fb8aa3b, v16
	v_rndne_f32_e32 v73, v45
	v_fma_f32 v76, 0x3fb8aa3b, v21, -v47
	s_delay_alu instid0(VALU_DEP_4)
	v_dual_fmac_f32 v68, 0x32a5705f, v14 :: v_dual_sub_f32 v47, v47, v77
	v_mul_f32_e32 v64, 0x3fb8aa3b, v39
	v_dual_mul_f32 v60, 0x3fb8aa3b, v35 :: v_dual_sub_f32 v27, v27, v28
	v_mul_f32_e32 v56, 0x3fb8aa3b, v31
	v_rndne_f32_e32 v71, v44
	v_sub_f32_e32 v41, v42, v28
	v_mul_f32_e32 v42, 0x3fb8aa3b, v4
	v_dual_sub_f32 v32, v32, v28 :: v_dual_mul_f32 v53, 0x3fb8aa3b, v27
	v_fma_f32 v72, 0x3fb8aa3b, v18, -v45
	v_sub_f32_e32 v45, v45, v73
	s_delay_alu instid0(VALU_DEP_4)
	v_fma_f32 v66, 0x3fb8aa3b, v4, -v42
	v_rndne_f32_e32 v67, v42
	v_rndne_f32_e32 v69, v43
	;; [unrolled: 1-line block ×3, first 2 shown]
	v_dual_sub_f32 v23, v23, v28 :: v_dual_mul_f32 v52, 0x3fb8aa3b, v26
	v_fmac_f32_e32 v66, 0x32a5705f, v4
	v_sub_f32_e32 v42, v42, v67
	v_mul_f32_e32 v62, 0x3fb8aa3b, v37
	v_dual_mul_f32 v58, 0x3fb8aa3b, v33 :: v_dual_sub_f32 v25, v25, v28
	v_mul_f32_e32 v54, 0x3fb8aa3b, v29
	v_sub_f32_e32 v30, v30, v28
	v_dual_sub_f32 v38, v38, v28 :: v_dual_sub_f32 v43, v43, v69
	s_delay_alu instid0(VALU_DEP_4) | instskip(NEXT) | instid1(VALU_DEP_3)
	v_dual_mul_f32 v51, 0x3fb8aa3b, v25 :: v_dual_sub_f32 v34, v34, v28
	v_mul_f32_e32 v55, 0x3fb8aa3b, v30
	v_fma_f32 v70, 0x3fb8aa3b, v16, -v44
	v_fma_f32 v88, 0x3fb8aa3b, v27, -v53
	v_sub_f32_e32 v53, v53, v89
	v_dual_mul_f32 v57, 0x3fb8aa3b, v32 :: v_dual_add_f32 v42, v42, v66
	v_dual_sub_f32 v40, v40, v28 :: v_dual_mul_f32 v63, 0x3fb8aa3b, v38
	v_mul_f32_e32 v49, 0x3fb8aa3b, v23
	v_rndne_f32_e32 v93, v55
	v_dual_add_f32 v43, v43, v68 :: v_dual_fmac_f32 v72, 0x32a5705f, v18
	v_fmac_f32_e32 v70, 0x32a5705f, v16
	v_sub_f32_e32 v44, v44, v71
	v_exp_f32_e32 v42, v42
	v_rndne_f32_e32 v81, v49
	v_mul_f32_e32 v46, 0x3fb8aa3b, v20
	v_fma_f32 v92, 0x3fb8aa3b, v30, -v55
	v_sub_f32_e32 v55, v55, v93
	v_dual_mul_f32 v65, 0x3fb8aa3b, v40 :: v_dual_add_f32 v44, v44, v70
	v_cvt_i32_f32_e32 v67, v67
	v_exp_f32_e32 v43, v43
	v_dual_sub_f32 v36, v36, v28 :: v_dual_mul_f32 v59, 0x3fb8aa3b, v34
	v_fma_f32 v80, 0x3fb8aa3b, v23, -v49
	v_rndne_f32_e32 v85, v51
	v_dual_mul_f32 v50, 0x3fb8aa3b, v24 :: v_dual_sub_f32 v49, v49, v81
	v_rndne_f32_e32 v75, v46
	v_cvt_i32_f32_e32 v69, v69
	v_exp_f32_e32 v44, v44
	v_ldexp_f32 v42, v42, v67
	v_cmp_ngt_f32_e64 s31, 0xc2ce8ed0, v4
	v_mul_f32_e32 v61, 0x3fb8aa3b, v36
	v_fma_f32 v74, 0x3fb8aa3b, v20, -v46
	v_sub_f32_e32 v46, v46, v75
	v_fma_f32 v84, 0x3fb8aa3b, v25, -v51
	v_fma_f32 v70, 0x3fb8aa3b, v32, -v57
	v_add_f32_e32 v45, v45, v72
	v_rndne_f32_e32 v72, v57
	v_sub_f32_e32 v51, v51, v85
	v_rndne_f32_e32 v83, v50
	v_cvt_i32_f32_e32 v71, v71
	v_ldexp_f32 v43, v43, v69
	v_cndmask_b32_e64 v42, 0, v42, s31
	v_cmp_ngt_f32_e64 s31, 0xc2ce8ed0, v14
	v_fma_f32 v82, 0x3fb8aa3b, v24, -v50
	v_dual_sub_f32 v50, v50, v83 :: v_dual_sub_f32 v57, v57, v72
	v_fmac_f32_e32 v70, 0x32a5705f, v32
	v_fmac_f32_e32 v74, 0x32a5705f, v20
	v_ldexp_f32 v44, v44, v71
	v_cndmask_b32_e64 v43, 0, v43, s31
	v_cmp_ngt_f32_e64 s31, 0xc2ce8ed0, v16
	v_add_f32_e32 v57, v57, v70
	v_fma_f32 v66, 0x3fb8aa3b, v31, -v56
	v_rndne_f32_e32 v68, v56
	v_add_f32_e32 v46, v46, v74
	v_exp_f32_e32 v45, v45
	v_cndmask_b32_e64 v44, 0, v44, s31
	v_cmp_nlt_f32_e64 s31, 0x42b17218, v4
	v_mul_f32_e32 v48, 0x3fb8aa3b, v22
	v_fmac_f32_e32 v66, 0x32a5705f, v31
	v_sub_f32_e32 v56, v56, v68
	v_rndne_f32_e32 v70, v63
	v_fmac_f32_e32 v88, 0x32a5705f, v27
	v_cvt_i32_f32_e32 v73, v73
	v_cndmask_b32_e64 v42, 0x7f800000, v42, s31
	v_cmp_nlt_f32_e64 s31, 0x42b17218, v14
	v_fma_f32 v78, 0x3fb8aa3b, v22, -v48
	v_exp_f32_e32 v46, v46
	v_ldexp_f32 v45, v45, v73
	v_sub_f32_e32 v12, v12, v28
	v_add_f32_e32 v56, v56, v66
	v_fma_f32 v66, 0x3fb8aa3b, v38, -v63
	v_dual_sub_f32 v63, v63, v70 :: v_dual_fmac_f32 v80, 0x32a5705f, v23
	v_dual_add_f32 v53, v53, v88 :: v_dual_fmac_f32 v76, 0x32a5705f, v21
	v_cndmask_b32_e64 v43, 0x7f800000, v43, s31
	v_cmp_ngt_f32_e64 s31, 0xc2ce8ed0, v18
	s_delay_alu instid0(VALU_DEP_4)
	v_add_f32_e32 v49, v49, v80
	v_rndne_f32_e32 v79, v48
	v_dual_fmac_f32 v78, 0x32a5705f, v22 :: v_dual_add_f32 v47, v47, v76
	v_cvt_i32_f32_e32 v75, v75
	v_cndmask_b32_e64 v45, 0, v45, s31
	v_cmp_nlt_f32_e64 s31, 0x42b17218, v16
	v_rndne_f32_e32 v80, v59
	v_fmac_f32_e32 v84, 0x32a5705f, v25
	v_sub_f32_e32 v48, v48, v79
	v_exp_f32_e32 v47, v47
	v_ldexp_f32 v46, v46, v75
	v_cndmask_b32_e64 v44, 0x7f800000, v44, s31
	v_add_f32_e32 v51, v51, v84
	v_cmp_ngt_f32_e64 s31, 0xc2ce8ed0, v20
	v_fmac_f32_e32 v92, 0x32a5705f, v30
	v_add_f32_e32 v48, v48, v78
	v_cvt_i32_f32_e32 v77, v77
	v_add_f32_e32 v42, v42, v43
	v_cndmask_b32_e64 v43, 0, v46, s31
	v_add_f32_e32 v55, v55, v92
	v_cmp_nlt_f32_e64 s31, 0x42b17218, v18
	v_exp_f32_e32 v48, v48
	v_ldexp_f32 v47, v47, v77
	v_fma_f32 v78, 0x3fb8aa3b, v34, -v59
	v_cvt_i32_f32_e32 v79, v79
	v_cndmask_b32_e64 v45, 0x7f800000, v45, s31
	v_cmp_ngt_f32_e64 s31, 0xc2ce8ed0, v21
	v_add_f32_e32 v42, v42, v44
	v_dual_fmac_f32 v78, 0x32a5705f, v34 :: v_dual_sub_f32 v7, v7, v28
	v_sub_f32_e32 v59, v59, v80
	s_delay_alu instid0(VALU_DEP_4)
	v_cndmask_b32_e64 v44, 0, v47, s31
	v_cmp_nlt_f32_e64 s31, 0x42b17218, v20
	v_fmac_f32_e32 v82, 0x32a5705f, v24
	v_exp_f32_e32 v49, v49
	v_add_f32_e32 v59, v59, v78
	v_ldexp_f32 v48, v48, v79
	v_cndmask_b32_e64 v43, 0x7f800000, v43, s31
	v_cmp_ngt_f32_e64 s31, 0xc2ce8ed0, v22
	v_dual_add_f32 v50, v50, v82 :: v_dual_sub_f32 v11, v11, v28
	v_cvt_i32_f32_e32 v81, v81
	v_add_f32_e32 v42, v42, v45
	s_delay_alu instid0(VALU_DEP_4)
	v_cndmask_b32_e64 v45, 0, v48, s31
	v_cmp_nlt_f32_e64 s31, 0x42b17218, v21
	v_exp_f32_e32 v50, v50
	v_ldexp_f32 v49, v49, v81
	v_fma_f32 v86, 0x3fb8aa3b, v26, -v52
	v_rndne_f32_e32 v87, v52
	v_cndmask_b32_e64 v44, 0x7f800000, v44, s31
	v_cmp_ngt_f32_e64 s31, 0xc2ce8ed0, v23
	v_cvt_i32_f32_e32 v83, v83
	v_add_f32_e32 v42, v42, v43
	v_sub_f32_e32 v52, v52, v87
	v_rndne_f32_e32 v88, v61
	v_cndmask_b32_e64 v43, 0, v49, s31
	v_cmp_nlt_f32_e64 s31, 0x42b17218, v22
	v_fmac_f32_e32 v86, 0x32a5705f, v26
	v_exp_f32_e32 v51, v51
	v_ldexp_f32 v50, v50, v83
	v_fma_f32 v74, 0x3fb8aa3b, v33, -v58
	v_cndmask_b32_e64 v45, 0x7f800000, v45, s31
	v_cmp_ngt_f32_e64 s31, 0xc2ce8ed0, v24
	v_rndne_f32_e32 v76, v58
	v_dual_add_f32 v52, v52, v86 :: v_dual_mul_f32 v49, 0x3fb8aa3b, v11
	v_cvt_i32_f32_e32 v85, v85
	v_add_f32_e32 v42, v42, v44
	v_cndmask_b32_e64 v44, 0, v50, s31
	v_cmp_nlt_f32_e64 s31, 0x42b17218, v23
	v_fma_f32 v86, 0x3fb8aa3b, v36, -v61
	v_fmac_f32_e32 v74, 0x32a5705f, v33
	v_sub_f32_e32 v58, v58, v76
	v_exp_f32_e32 v52, v52
	v_ldexp_f32 v51, v51, v85
	v_cndmask_b32_e64 v43, 0x7f800000, v43, s31
	v_cmp_ngt_f32_e64 s31, 0xc2ce8ed0, v25
	v_fma_f32 v90, 0x3fb8aa3b, v29, -v54
	v_rndne_f32_e32 v91, v54
	v_fma_f32 v82, 0x3fb8aa3b, v35, -v60
	v_rndne_f32_e32 v84, v60
	v_dual_add_f32 v58, v58, v74 :: v_dual_sub_f32 v9, v9, v28
	v_fmac_f32_e32 v86, 0x32a5705f, v36
	v_sub_f32_e32 v61, v61, v88
	v_cvt_i32_f32_e32 v87, v87
	v_add_f32_e32 v42, v42, v45
	v_cndmask_b32_e64 v45, 0, v51, s31
	v_cmp_nlt_f32_e64 s31, 0x42b17218, v24
	v_add_f32_e32 v61, v61, v86
	v_rndne_f32_e32 v86, v65
	v_fmac_f32_e32 v90, 0x32a5705f, v29
	v_exp_f32_e32 v53, v53
	v_ldexp_f32 v52, v52, v87
	v_cndmask_b32_e64 v44, 0x7f800000, v44, s31
	v_cmp_ngt_f32_e64 s31, 0xc2ce8ed0, v26
	v_sub_f32_e32 v10, v10, v28
	v_fmac_f32_e32 v82, 0x32a5705f, v35
	v_sub_f32_e32 v60, v60, v84
	v_sub_f32_e32 v8, v8, v28
	v_fmac_f32_e32 v66, 0x32a5705f, v38
	v_sub_f32_e32 v54, v54, v91
	v_cvt_i32_f32_e32 v89, v89
	v_add_f32_e32 v42, v42, v43
	v_cndmask_b32_e64 v43, 0, v52, s31
	v_add_f32_e32 v63, v63, v66
	v_cmp_nlt_f32_e64 s31, 0x42b17218, v25
	v_mul_f32_e32 v51, 0x3fb8aa3b, v10
	v_add_f32_e32 v60, v60, v82
	v_fma_f32 v82, 0x3fb8aa3b, v40, -v65
	v_sub_f32_e32 v65, v65, v86
	v_add_f32_e32 v54, v54, v90
	v_ldexp_f32 v53, v53, v89
	v_cndmask_b32_e64 v45, 0x7f800000, v45, s31
	v_cmp_ngt_f32_e64 s31, 0xc2ce8ed0, v27
	v_cvt_i32_f32_e32 v91, v91
	v_exp_f32_e32 v54, v54
	v_add_f32_e32 v42, v42, v44
	v_exp_f32_e32 v55, v55
	v_cndmask_b32_e64 v44, 0, v53, s31
	v_cmp_nlt_f32_e64 s31, 0x42b17218, v26
	v_cvt_i32_f32_e32 v93, v93
	v_add_f32_e32 v42, v42, v45
	v_exp_f32_e32 v56, v56
	v_cvt_i32_f32_e32 v68, v68
	v_cndmask_b32_e64 v43, 0x7f800000, v43, s31
	v_ldexp_f32 v54, v54, v91
	v_cmp_ngt_f32_e64 s31, 0xc2ce8ed0, v29
	v_ldexp_f32 v55, v55, v93
	v_exp_f32_e32 v57, v57
	v_add_f32_e32 v42, v42, v43
	v_cvt_i32_f32_e32 v72, v72
	v_cndmask_b32_e64 v45, 0, v54, s31
	v_cmp_nlt_f32_e64 s31, 0x42b17218, v27
	v_ldexp_f32 v56, v56, v68
	v_exp_f32_e32 v58, v58
	v_cvt_i32_f32_e32 v76, v76
	v_exp_f32_e32 v59, v59
	v_cndmask_b32_e64 v44, 0x7f800000, v44, s31
	v_cmp_ngt_f32_e64 s31, 0xc2ce8ed0, v30
	v_ldexp_f32 v57, v57, v72
	v_cvt_i32_f32_e32 v80, v80
	v_exp_f32_e32 v60, v60
	v_add_f32_e32 v42, v42, v44
	v_cndmask_b32_e64 v43, 0, v55, s31
	v_cmp_nlt_f32_e64 s31, 0x42b17218, v29
	v_ldexp_f32 v58, v58, v76
	v_ldexp_f32 v59, v59, v80
	v_fma_f32 v90, 0x3fb8aa3b, v37, -v62
	v_rndne_f32_e32 v92, v62
	v_cndmask_b32_e64 v45, 0x7f800000, v45, s31
	v_cmp_ngt_f32_e64 s31, 0xc2ce8ed0, v31
	v_cvt_i32_f32_e32 v84, v84
	v_fmac_f32_e32 v90, 0x32a5705f, v37
	v_sub_f32_e32 v62, v62, v92
	v_add_f32_e32 v42, v42, v45
	v_cndmask_b32_e64 v44, 0, v56, s31
	v_cmp_nlt_f32_e64 s31, 0x42b17218, v30
	v_exp_f32_e32 v61, v61
	v_ldexp_f32 v60, v60, v84
	v_cvt_i32_f32_e32 v88, v88
	v_add_f32_e32 v62, v62, v90
	v_cndmask_b32_e64 v43, 0x7f800000, v43, s31
	v_cmp_ngt_f32_e64 s31, 0xc2ce8ed0, v32
	v_cvt_i32_f32_e32 v92, v92
	v_fma_f32 v74, 0x3fb8aa3b, v39, -v64
	v_exp_f32_e32 v62, v62
	v_add_f32_e32 v42, v42, v43
	v_cndmask_b32_e64 v45, 0, v57, s31
	v_cmp_nlt_f32_e64 s31, 0x42b17218, v31
	v_ldexp_f32 v61, v61, v88
	v_rndne_f32_e32 v78, v64
	v_exp_f32_e32 v63, v63
	v_cvt_i32_f32_e32 v70, v70
	v_cndmask_b32_e64 v44, 0x7f800000, v44, s31
	v_cmp_ngt_f32_e64 s31, 0xc2ce8ed0, v33
	v_ldexp_f32 v62, v62, v92
	v_fmac_f32_e32 v74, 0x32a5705f, v39
	v_sub_f32_e32 v64, v64, v78
	v_add_f32_e32 v42, v42, v44
	v_cndmask_b32_e64 v43, 0, v58, s31
	v_cmp_nlt_f32_e64 s31, 0x42b17218, v32
	v_ldexp_f32 v63, v63, v70
	v_add_f32_e32 v64, v64, v74
	v_cvt_i32_f32_e32 v78, v78
	v_fmac_f32_e32 v82, 0x32a5705f, v40
	v_cndmask_b32_e64 v45, 0x7f800000, v45, s31
	v_cmp_ngt_f32_e64 s31, 0xc2ce8ed0, v34
	v_exp_f32_e32 v64, v64
	v_sub_f32_e32 v6, v6, v28
	s_delay_alu instid0(VALU_DEP_3) | instskip(NEXT) | instid1(VALU_DEP_3)
	v_add_f32_e32 v42, v42, v45
	v_cndmask_b32_e64 v44, 0, v59, s31
	v_cmp_nlt_f32_e64 s31, 0x42b17218, v33
	s_delay_alu instid0(VALU_DEP_1) | instskip(SKIP_1) | instid1(TRANS32_DEP_1)
	v_cndmask_b32_e64 v43, 0x7f800000, v43, s31
	v_cmp_ngt_f32_e64 s31, 0xc2ce8ed0, v35
	v_ldexp_f32 v46, v64, v78
	s_delay_alu instid0(VALU_DEP_3) | instskip(NEXT) | instid1(VALU_DEP_3)
	v_add_f32_e32 v42, v42, v43
	v_cndmask_b32_e64 v45, 0, v60, s31
	v_cmp_nlt_f32_e64 s31, 0x42b17218, v34
	s_delay_alu instid0(VALU_DEP_1) | instskip(SKIP_1) | instid1(VALU_DEP_2)
	v_cndmask_b32_e64 v44, 0x7f800000, v44, s31
	v_cmp_ngt_f32_e64 s31, 0xc2ce8ed0, v36
	v_add_f32_e32 v42, v42, v44
	s_delay_alu instid0(VALU_DEP_2) | instskip(SKIP_1) | instid1(VALU_DEP_1)
	v_cndmask_b32_e64 v43, 0, v61, s31
	v_cmp_nlt_f32_e64 s31, 0x42b17218, v35
	v_cndmask_b32_e64 v45, 0x7f800000, v45, s31
	v_cmp_ngt_f32_e64 s31, 0xc2ce8ed0, v37
	s_delay_alu instid0(VALU_DEP_2) | instskip(NEXT) | instid1(VALU_DEP_2)
	v_add_f32_e32 v42, v42, v45
	v_cndmask_b32_e64 v44, 0, v62, s31
	v_cmp_nlt_f32_e64 s31, 0x42b17218, v36
	s_delay_alu instid0(VALU_DEP_1) | instskip(SKIP_1) | instid1(VALU_DEP_2)
	v_cndmask_b32_e64 v43, 0x7f800000, v43, s31
	v_cmp_ngt_f32_e64 s31, 0xc2ce8ed0, v38
	v_add_f32_e32 v42, v42, v43
	s_delay_alu instid0(VALU_DEP_2) | instskip(SKIP_2) | instid1(VALU_DEP_2)
	v_cndmask_b32_e64 v45, 0, v63, s31
	v_cmp_nlt_f32_e64 s31, 0x42b17218, v37
	v_add_f32_e32 v43, v65, v82
	v_cndmask_b32_e64 v44, 0x7f800000, v44, s31
	v_cmp_nlt_f32_e64 s31, 0x42b17218, v38
	s_delay_alu instid0(VALU_DEP_3) | instskip(NEXT) | instid1(VALU_DEP_2)
	v_exp_f32_e32 v43, v43
	v_add_f32_e32 v42, v42, v44
	s_delay_alu instid0(VALU_DEP_2) | instskip(SKIP_2) | instid1(VALU_DEP_3)
	v_cndmask_b32_e64 v45, 0x7f800000, v45, s31
	v_mul_f32_e32 v44, 0x3fb8aa3b, v41
	v_cmp_ngt_f32_e64 s31, 0xc2ce8ed0, v39
	v_add_f32_e32 v42, v42, v45
	s_delay_alu instid0(VALU_DEP_3) | instskip(NEXT) | instid1(VALU_DEP_3)
	v_fma_f32 v47, 0x3fb8aa3b, v41, -v44
	v_cndmask_b32_e64 v46, 0, v46, s31
	v_cmp_nlt_f32_e64 s31, 0x42b17218, v39
	v_rndne_f32_e32 v48, v44
	s_delay_alu instid0(VALU_DEP_4) | instskip(NEXT) | instid1(VALU_DEP_3)
	v_fmac_f32_e32 v47, 0x32a5705f, v41
	v_cndmask_b32_e64 v45, 0x7f800000, v46, s31
	v_cvt_i32_f32_e32 v46, v86
	s_delay_alu instid0(VALU_DEP_4)
	v_sub_f32_e32 v44, v44, v48
	v_cmp_ngt_f32_e64 s31, 0xc2ce8ed0, v40
	v_cvt_i32_f32_e32 v48, v48
	v_add_f32_e32 v42, v42, v45
	v_ldexp_f32 v43, v43, v46
	v_fma_f32 v45, 0x3fb8aa3b, v11, -v49
	v_rndne_f32_e32 v46, v49
	v_add_f32_e32 v44, v44, v47
	s_delay_alu instid0(VALU_DEP_4) | instskip(NEXT) | instid1(VALU_DEP_4)
	v_cndmask_b32_e64 v43, 0, v43, s31
	v_fmac_f32_e32 v45, 0x32a5705f, v11
	s_delay_alu instid0(VALU_DEP_4) | instskip(SKIP_3) | instid1(VALU_DEP_3)
	v_sub_f32_e32 v47, v49, v46
	v_mul_f32_e32 v49, 0x3fb8aa3b, v12
	v_cmp_nlt_f32_e64 s31, 0x42b17218, v40
	v_exp_f32_e32 v44, v44
	v_add_f32_e32 v45, v47, v45
	s_delay_alu instid0(VALU_DEP_3) | instskip(NEXT) | instid1(VALU_DEP_3)
	v_fma_f32 v47, 0x3fb8aa3b, v12, -v49
	v_cndmask_b32_e64 v43, 0x7f800000, v43, s31
	v_rndne_f32_e32 v50, v49
	v_cmp_ngt_f32_e64 s31, 0xc2ce8ed0, v41
	v_exp_f32_e32 v45, v45
	s_delay_alu instid0(VALU_DEP_3) | instskip(NEXT) | instid1(VALU_DEP_3)
	v_dual_fmac_f32 v47, 0x32a5705f, v12 :: v_dual_add_f32 v42, v42, v43
	v_sub_f32_e32 v49, v49, v50
	s_delay_alu instid0(TRANS32_DEP_2) | instskip(SKIP_2) | instid1(VALU_DEP_4)
	v_ldexp_f32 v43, v44, v48
	v_cvt_i32_f32_e32 v44, v46
	v_rndne_f32_e32 v48, v51
	v_add_f32_e32 v46, v49, v47
	v_fma_f32 v47, 0x3fb8aa3b, v10, -v51
	v_cndmask_b32_e64 v43, 0, v43, s31
	v_cmp_nlt_f32_e64 s31, 0x42b17218, v41
	v_ldexp_f32 v44, v45, v44
	v_exp_f32_e32 v45, v46
	v_dual_fmac_f32 v47, 0x32a5705f, v10 :: v_dual_sub_f32 v46, v51, v48
	s_delay_alu instid0(VALU_DEP_3)
	v_cndmask_b32_e64 v43, 0x7f800000, v43, s31
	v_cmp_ngt_f32_e64 s31, 0xc2ce8ed0, v11
	v_cvt_i32_f32_e32 v49, v50
	v_mul_f32_e32 v50, 0x3fb8aa3b, v6
	v_add_f32_e32 v46, v46, v47
	v_add_f32_e32 v42, v42, v43
	v_cndmask_b32_e64 v44, 0, v44, s31
	v_cmp_nlt_f32_e64 s31, 0x42b17218, v11
	v_ldexp_f32 v43, v45, v49
	v_exp_f32_e32 v45, v46
	v_dual_mul_f32 v46, 0x3fb8aa3b, v9 :: v_dual_mul_f32 v47, 0x3fb8aa3b, v7
	s_delay_alu instid0(VALU_DEP_3) | instskip(SKIP_2) | instid1(VALU_DEP_3)
	v_cndmask_b32_e64 v44, 0x7f800000, v44, s31
	v_cmp_ngt_f32_e64 s31, 0xc2ce8ed0, v12
	v_rndne_f32_e32 v51, v50
	v_add_f32_e32 v42, v42, v44
	s_delay_alu instid0(VALU_DEP_3) | instskip(SKIP_3) | instid1(VALU_DEP_3)
	v_cndmask_b32_e64 v43, 0, v43, s31
	v_cvt_i32_f32_e32 v44, v48
	v_cmp_nlt_f32_e64 s31, 0x42b17218, v12
	v_mul_f32_e32 v48, 0x3fb8aa3b, v8
	v_ldexp_f32 v44, v45, v44
	s_delay_alu instid0(VALU_DEP_3) | instskip(SKIP_3) | instid1(VALU_DEP_4)
	v_cndmask_b32_e64 v43, 0x7f800000, v43, s31
	v_cmp_ngt_f32_e64 s31, 0xc2ce8ed0, v10
	v_rndne_f32_e32 v45, v46
	v_rndne_f32_e32 v49, v48
	v_add_f32_e32 v42, v42, v43
	v_fma_f32 v43, 0x3fb8aa3b, v9, -v46
	v_cndmask_b32_e64 v44, 0, v44, s31
	v_cmp_nlt_f32_e64 s31, 0x42b17218, v10
	v_sub_f32_e32 v46, v46, v45
	v_cvt_i32_f32_e32 v45, v45
	v_fmac_f32_e32 v43, 0x32a5705f, v9
	s_delay_alu instid0(VALU_DEP_4) | instskip(SKIP_1) | instid1(VALU_DEP_3)
	v_cndmask_b32_e64 v44, 0x7f800000, v44, s31
	v_cmp_ngt_f32_e64 s31, 0xc2ce8ed0, v9
	v_add_f32_e32 v43, v46, v43
	v_rndne_f32_e32 v46, v47
	s_delay_alu instid0(VALU_DEP_4) | instskip(SKIP_1) | instid1(VALU_DEP_4)
	v_add_f32_e32 v42, v42, v44
	v_fma_f32 v44, 0x3fb8aa3b, v7, -v47
	v_exp_f32_e32 v43, v43
	s_delay_alu instid0(VALU_DEP_3) | instskip(SKIP_1) | instid1(VALU_DEP_3)
	v_sub_f32_e32 v28, v47, v46
	v_fma_f32 v47, 0x3fb8aa3b, v8, -v48
	v_fmac_f32_e32 v44, 0x32a5705f, v7
	v_cvt_i32_f32_e32 v46, v46
	s_delay_alu instid0(VALU_DEP_3) | instskip(NEXT) | instid1(VALU_DEP_3)
	v_fmac_f32_e32 v47, 0x32a5705f, v8
	v_add_f32_e32 v28, v28, v44
	v_sub_f32_e32 v44, v48, v49
	s_delay_alu instid0(TRANS32_DEP_1)
	v_ldexp_f32 v43, v43, v45
	v_sub_f32_e32 v45, v50, v51
	v_fma_f32 v48, 0x3fb8aa3b, v6, -v50
	v_exp_f32_e32 v28, v28
	v_add_f32_e32 v44, v44, v47
	v_cndmask_b32_e64 v43, 0, v43, s31
	v_cmp_nlt_f32_e64 s31, 0x42b17218, v9
	v_fmac_f32_e32 v48, 0x32a5705f, v6
	s_delay_alu instid0(VALU_DEP_4) | instskip(NEXT) | instid1(VALU_DEP_2)
	v_exp_f32_e32 v44, v44
	v_cndmask_b32_e64 v43, 0x7f800000, v43, s31
	v_cmp_ngt_f32_e64 s31, 0xc2ce8ed0, v7
	s_delay_alu instid0(TRANS32_DEP_2) | instskip(SKIP_3) | instid1(VALU_DEP_4)
	v_ldexp_f32 v28, v28, v46
	v_add_f32_e32 v45, v45, v48
	v_cvt_i32_f32_e32 v46, v49
	v_add_f32_e32 v42, v42, v43
	v_cndmask_b32_e64 v28, 0, v28, s31
	v_cmp_nlt_f32_e64 s31, 0x42b17218, v7
	v_exp_f32_e32 v45, v45
	v_ldexp_f32 v43, v44, v46
	v_cvt_i32_f32_e32 v44, v51
	s_delay_alu instid0(VALU_DEP_3) | instskip(SKIP_1) | instid1(VALU_DEP_2)
	v_cndmask_b32_e64 v28, 0x7f800000, v28, s31
	v_cmp_ngt_f32_e64 s31, 0xc2ce8ed0, v8
	v_add_f32_e32 v28, v42, v28
	s_delay_alu instid0(VALU_DEP_2) | instskip(SKIP_1) | instid1(TRANS32_DEP_1)
	v_cndmask_b32_e64 v43, 0, v43, s31
	v_cmp_nlt_f32_e64 s31, 0x42b17218, v8
	v_ldexp_f32 v44, v45, v44
	s_delay_alu instid0(VALU_DEP_2) | instskip(SKIP_1) | instid1(VALU_DEP_2)
	v_cndmask_b32_e64 v42, 0x7f800000, v43, s31
	v_cmp_ngt_f32_e64 s31, 0xc2ce8ed0, v6
	v_add_f32_e32 v28, v28, v42
	s_delay_alu instid0(VALU_DEP_2) | instskip(SKIP_1) | instid1(VALU_DEP_1)
	v_cndmask_b32_e64 v43, 0, v44, s31
	v_cmp_nlt_f32_e64 s31, 0x42b17218, v6
	v_cndmask_b32_e64 v42, 0x7f800000, v43, s31
	s_delay_alu instid0(VALU_DEP_1)
	v_add_f32_e32 v28, v28, v42
	ds_bpermute_b32 v2, v2, v28
	s_waitcnt lgkmcnt(0)
	v_add_f32_e32 v2, v28, v2
	ds_bpermute_b32 v3, v3, v2
	s_waitcnt lgkmcnt(0)
	;; [unrolled: 3-line block ×5, first 2 shown]
	v_add_f32_e32 v2, v2, v3
	ds_bpermute_b32 v3, v19, v2
	v_cmpx_lt_i32_e32 0, v5
	s_cbranch_execz .LBB127_98
; %bb.65:
	s_and_b32 exec_lo, exec_lo, s0
	s_cbranch_execz .LBB127_98
; %bb.66:
	s_waitcnt lgkmcnt(0)
	v_add_f32_e32 v2, v2, v3
	v_lshlrev_b64 v[0:1], 2, v[0:1]
	s_delay_alu instid0(VALU_DEP_2) | instskip(NEXT) | instid1(VALU_DEP_1)
	v_cmp_gt_f32_e64 s0, 0x800000, v2
	v_cndmask_b32_e64 v3, 1.0, 0x4f800000, s0
	s_delay_alu instid0(VALU_DEP_1) | instskip(NEXT) | instid1(VALU_DEP_1)
	v_mul_f32_e32 v2, v2, v3
	v_log_f32_e32 v2, v2
	s_waitcnt_depctr 0xfff
	v_mul_f32_e32 v3, 0x3f317217, v2
	v_cmp_gt_f32_e64 s31, 0x7f800000, |v2|
	s_delay_alu instid0(VALU_DEP_2) | instskip(NEXT) | instid1(VALU_DEP_1)
	v_fma_f32 v5, 0x3f317217, v2, -v3
	v_fmamk_f32 v5, v2, 0x3377d1cf, v5
	s_delay_alu instid0(VALU_DEP_1) | instskip(NEXT) | instid1(VALU_DEP_1)
	v_add_f32_e32 v3, v3, v5
	v_cndmask_b32_e64 v2, v2, v3, s31
	v_cndmask_b32_e64 v3, 0, 0x41b17218, s0
	v_add_co_u32 v0, s0, s36, v0
	s_delay_alu instid0(VALU_DEP_1) | instskip(NEXT) | instid1(VALU_DEP_3)
	v_add_co_ci_u32_e64 v1, s0, s37, v1, s0
	v_sub_f32_e32 v2, v2, v3
	s_delay_alu instid0(VALU_DEP_1)
	v_sub_f32_e32 v3, v4, v2
	global_store_b32 v[0:1], v3, off
	s_and_b32 exec_lo, exec_lo, vcc_lo
	s_cbranch_execz .LBB127_98
; %bb.67:
	v_sub_f32_e32 v3, v14, v2
	global_store_b32 v[0:1], v3, off offset:256
	s_and_b32 exec_lo, exec_lo, s1
	s_cbranch_execz .LBB127_98
; %bb.68:
	v_sub_f32_e32 v3, v16, v2
	global_store_b32 v[0:1], v3, off offset:512
	s_and_b32 exec_lo, exec_lo, s2
	;; [unrolled: 5-line block ×15, first 2 shown]
	s_cbranch_execz .LBB127_98
; %bb.82:
	v_add_co_u32 v0, vcc_lo, 0x1000, v0
	v_sub_f32_e32 v3, v33, v2
	v_add_co_ci_u32_e32 v1, vcc_lo, 0, v1, vcc_lo
	global_store_b32 v[0:1], v3, off
	s_and_b32 exec_lo, exec_lo, s16
	s_cbranch_execz .LBB127_98
; %bb.83:
	v_sub_f32_e32 v3, v34, v2
	global_store_b32 v[0:1], v3, off offset:256
	s_and_b32 exec_lo, exec_lo, s17
	s_cbranch_execz .LBB127_98
; %bb.84:
	v_sub_f32_e32 v3, v35, v2
	global_store_b32 v[0:1], v3, off offset:512
	;; [unrolled: 5-line block ×15, first 2 shown]
.LBB127_98:
	s_nop 0
	s_sendmsg sendmsg(MSG_DEALLOC_VGPRS)
	s_endpgm
	.section	.rodata,"a",@progbits
	.p2align	6, 0x0
	.amdhsa_kernel _ZN12_GLOBAL__N_120softmax_warp_forwardIN3c104HalfEffLi11ELb1ELb0ELi64EEEvPT0_PKT_iiiPKbib
		.amdhsa_group_segment_fixed_size 0
		.amdhsa_private_segment_fixed_size 0
		.amdhsa_kernarg_size 304
		.amdhsa_user_sgpr_count 15
		.amdhsa_user_sgpr_dispatch_ptr 0
		.amdhsa_user_sgpr_queue_ptr 0
		.amdhsa_user_sgpr_kernarg_segment_ptr 1
		.amdhsa_user_sgpr_dispatch_id 0
		.amdhsa_user_sgpr_private_segment_size 0
		.amdhsa_wavefront_size32 1
		.amdhsa_uses_dynamic_stack 0
		.amdhsa_enable_private_segment 0
		.amdhsa_system_sgpr_workgroup_id_x 1
		.amdhsa_system_sgpr_workgroup_id_y 0
		.amdhsa_system_sgpr_workgroup_id_z 0
		.amdhsa_system_sgpr_workgroup_info 0
		.amdhsa_system_vgpr_workitem_id 1
		.amdhsa_next_free_vgpr 94
		.amdhsa_next_free_sgpr 44
		.amdhsa_reserve_vcc 1
		.amdhsa_float_round_mode_32 0
		.amdhsa_float_round_mode_16_64 0
		.amdhsa_float_denorm_mode_32 3
		.amdhsa_float_denorm_mode_16_64 3
		.amdhsa_dx10_clamp 1
		.amdhsa_ieee_mode 1
		.amdhsa_fp16_overflow 0
		.amdhsa_workgroup_processor_mode 1
		.amdhsa_memory_ordered 1
		.amdhsa_forward_progress 0
		.amdhsa_shared_vgpr_count 0
		.amdhsa_exception_fp_ieee_invalid_op 0
		.amdhsa_exception_fp_denorm_src 0
		.amdhsa_exception_fp_ieee_div_zero 0
		.amdhsa_exception_fp_ieee_overflow 0
		.amdhsa_exception_fp_ieee_underflow 0
		.amdhsa_exception_fp_ieee_inexact 0
		.amdhsa_exception_int_div_zero 0
	.end_amdhsa_kernel
	.section	.text._ZN12_GLOBAL__N_120softmax_warp_forwardIN3c104HalfEffLi11ELb1ELb0ELi64EEEvPT0_PKT_iiiPKbib,"axG",@progbits,_ZN12_GLOBAL__N_120softmax_warp_forwardIN3c104HalfEffLi11ELb1ELb0ELi64EEEvPT0_PKT_iiiPKbib,comdat
.Lfunc_end127:
	.size	_ZN12_GLOBAL__N_120softmax_warp_forwardIN3c104HalfEffLi11ELb1ELb0ELi64EEEvPT0_PKT_iiiPKbib, .Lfunc_end127-_ZN12_GLOBAL__N_120softmax_warp_forwardIN3c104HalfEffLi11ELb1ELb0ELi64EEEvPT0_PKT_iiiPKbib
                                        ; -- End function
	.section	.AMDGPU.csdata,"",@progbits
; Kernel info:
; codeLenInByte = 7612
; NumSgprs: 46
; NumVgprs: 94
; ScratchSize: 0
; MemoryBound: 0
; FloatMode: 240
; IeeeMode: 1
; LDSByteSize: 0 bytes/workgroup (compile time only)
; SGPRBlocks: 5
; VGPRBlocks: 11
; NumSGPRsForWavesPerEU: 46
; NumVGPRsForWavesPerEU: 94
; Occupancy: 16
; WaveLimiterHint : 0
; COMPUTE_PGM_RSRC2:SCRATCH_EN: 0
; COMPUTE_PGM_RSRC2:USER_SGPR: 15
; COMPUTE_PGM_RSRC2:TRAP_HANDLER: 0
; COMPUTE_PGM_RSRC2:TGID_X_EN: 1
; COMPUTE_PGM_RSRC2:TGID_Y_EN: 0
; COMPUTE_PGM_RSRC2:TGID_Z_EN: 0
; COMPUTE_PGM_RSRC2:TIDIG_COMP_CNT: 1
	.section	.text._ZN12_GLOBAL__N_120softmax_warp_forwardIN3c104HalfEffLi11ELb1ELb0ELi32EEEvPT0_PKT_iiiPKbib,"axG",@progbits,_ZN12_GLOBAL__N_120softmax_warp_forwardIN3c104HalfEffLi11ELb1ELb0ELi32EEEvPT0_PKT_iiiPKbib,comdat
	.globl	_ZN12_GLOBAL__N_120softmax_warp_forwardIN3c104HalfEffLi11ELb1ELb0ELi32EEEvPT0_PKT_iiiPKbib ; -- Begin function _ZN12_GLOBAL__N_120softmax_warp_forwardIN3c104HalfEffLi11ELb1ELb0ELi32EEEvPT0_PKT_iiiPKbib
	.p2align	8
	.type	_ZN12_GLOBAL__N_120softmax_warp_forwardIN3c104HalfEffLi11ELb1ELb0ELi32EEEvPT0_PKT_iiiPKbib,@function
_ZN12_GLOBAL__N_120softmax_warp_forwardIN3c104HalfEffLi11ELb1ELb0ELi32EEEvPT0_PKT_iiiPKbib: ; @_ZN12_GLOBAL__N_120softmax_warp_forwardIN3c104HalfEffLi11ELb1ELb0ELi32EEEvPT0_PKT_iiiPKbib
; %bb.0:
	s_clause 0x1
	s_load_b32 s2, s[0:1], 0x3c
	s_load_b256 s[68:75], s[0:1], 0x0
	v_bfe_u32 v1, v0, 10, 10
	v_mov_b32_e32 v15, 0xff800000
	v_mov_b32_e32 v73, 0xff800000
	s_waitcnt lgkmcnt(0)
	s_lshr_b32 s0, s2, 16
	s_delay_alu instid0(SALU_CYCLE_1) | instskip(SKIP_1) | instid1(VALU_DEP_1)
	v_mad_u64_u32 v[3:4], null, s15, s0, v[1:2]
	v_and_b32_e32 v2, 0x3ff, v0
	v_cmp_gt_i32_e64 s0, s74, v2
	s_delay_alu instid0(VALU_DEP_3) | instskip(SKIP_1) | instid1(VALU_DEP_1)
	v_mad_u64_u32 v[0:1], null, v3, s73, v[2:3]
	v_sub_nc_u32_e32 v5, s72, v3
	v_cmp_lt_i32_e64 s64, 0, v5
	s_delay_alu instid0(VALU_DEP_3) | instskip(NEXT) | instid1(VALU_DEP_2)
	v_ashrrev_i32_e32 v1, 31, v0
	s_and_b32 s2, s64, s0
	s_delay_alu instid0(VALU_DEP_1) | instskip(NEXT) | instid1(VALU_DEP_1)
	v_lshlrev_b64 v[3:4], 1, v[0:1]
	v_add_co_u32 v3, vcc_lo, s70, v3
	s_delay_alu instid0(VALU_DEP_2)
	v_add_co_ci_u32_e32 v4, vcc_lo, s71, v4, vcc_lo
	s_and_saveexec_b32 s1, s2
	s_cbranch_execz .LBB128_2
; %bb.1:
	global_load_u16 v6, v[3:4], off
	s_waitcnt vmcnt(0)
	v_cvt_f32_f16_e32 v73, v6
.LBB128_2:
	s_or_b32 exec_lo, exec_lo, s1
	v_add_nc_u32_e32 v6, 32, v2
	s_delay_alu instid0(VALU_DEP_1) | instskip(SKIP_1) | instid1(SALU_CYCLE_1)
	v_cmp_gt_i32_e32 vcc_lo, s74, v6
	s_and_b32 s2, s64, vcc_lo
	s_and_saveexec_b32 s1, s2
	s_cbranch_execz .LBB128_4
; %bb.3:
	global_load_u16 v6, v[3:4], off offset:64
	s_waitcnt vmcnt(0)
	v_cvt_f32_f16_e32 v15, v6
.LBB128_4:
	s_or_b32 exec_lo, exec_lo, s1
	v_dual_mov_b32 v19, 0xff800000 :: v_dual_add_nc_u32 v6, 64, v2
	v_mov_b32_e32 v20, 0xff800000
	s_delay_alu instid0(VALU_DEP_2) | instskip(NEXT) | instid1(VALU_DEP_1)
	v_cmp_gt_i32_e64 s1, s74, v6
	s_and_b32 s3, s64, s1
	s_delay_alu instid0(SALU_CYCLE_1)
	s_and_saveexec_b32 s2, s3
	s_cbranch_execz .LBB128_6
; %bb.5:
	global_load_u16 v6, v[3:4], off offset:128
	s_waitcnt vmcnt(0)
	v_cvt_f32_f16_e32 v19, v6
.LBB128_6:
	s_or_b32 exec_lo, exec_lo, s2
	v_add_nc_u32_e32 v6, 0x60, v2
	s_delay_alu instid0(VALU_DEP_1) | instskip(NEXT) | instid1(VALU_DEP_1)
	v_cmp_gt_i32_e64 s2, s74, v6
	s_and_b32 s4, s64, s2
	s_delay_alu instid0(SALU_CYCLE_1)
	s_and_saveexec_b32 s3, s4
	s_cbranch_execz .LBB128_8
; %bb.7:
	global_load_u16 v6, v[3:4], off offset:192
	s_waitcnt vmcnt(0)
	v_cvt_f32_f16_e32 v20, v6
.LBB128_8:
	s_or_b32 exec_lo, exec_lo, s3
	v_add_nc_u32_e32 v6, 0x80, v2
	v_mov_b32_e32 v27, 0xff800000
	v_mov_b32_e32 v23, 0xff800000
	s_delay_alu instid0(VALU_DEP_3) | instskip(NEXT) | instid1(VALU_DEP_1)
	v_cmp_gt_i32_e64 s3, s74, v6
	s_and_b32 s5, s64, s3
	s_delay_alu instid0(SALU_CYCLE_1)
	s_and_saveexec_b32 s4, s5
	s_cbranch_execz .LBB128_10
; %bb.9:
	global_load_u16 v6, v[3:4], off offset:256
	s_waitcnt vmcnt(0)
	v_cvt_f32_f16_e32 v23, v6
.LBB128_10:
	s_or_b32 exec_lo, exec_lo, s4
	v_add_nc_u32_e32 v6, 0xa0, v2
	s_delay_alu instid0(VALU_DEP_1) | instskip(NEXT) | instid1(VALU_DEP_1)
	v_cmp_gt_i32_e64 s4, s74, v6
	s_and_b32 s6, s64, s4
	s_delay_alu instid0(SALU_CYCLE_1)
	s_and_saveexec_b32 s5, s6
	s_cbranch_execz .LBB128_12
; %bb.11:
	global_load_u16 v6, v[3:4], off offset:320
	s_waitcnt vmcnt(0)
	v_cvt_f32_f16_e32 v27, v6
.LBB128_12:
	s_or_b32 exec_lo, exec_lo, s5
	v_add_nc_u32_e32 v6, 0xc0, v2
	v_dual_mov_b32 v31, 0xff800000 :: v_dual_mov_b32 v28, 0xff800000
	s_delay_alu instid0(VALU_DEP_2) | instskip(NEXT) | instid1(VALU_DEP_1)
	v_cmp_gt_i32_e64 s5, s74, v6
	s_and_b32 s7, s64, s5
	s_delay_alu instid0(SALU_CYCLE_1)
	s_and_saveexec_b32 s6, s7
	s_cbranch_execz .LBB128_14
; %bb.13:
	global_load_u16 v6, v[3:4], off offset:384
	s_waitcnt vmcnt(0)
	v_cvt_f32_f16_e32 v28, v6
.LBB128_14:
	s_or_b32 exec_lo, exec_lo, s6
	v_add_nc_u32_e32 v6, 0xe0, v2
	s_delay_alu instid0(VALU_DEP_1) | instskip(NEXT) | instid1(VALU_DEP_1)
	v_cmp_gt_i32_e64 s6, s74, v6
	s_and_b32 s8, s64, s6
	s_delay_alu instid0(SALU_CYCLE_1)
	s_and_saveexec_b32 s7, s8
	s_cbranch_execz .LBB128_16
; %bb.15:
	global_load_u16 v6, v[3:4], off offset:448
	s_waitcnt vmcnt(0)
	v_cvt_f32_f16_e32 v31, v6
.LBB128_16:
	s_or_b32 exec_lo, exec_lo, s7
	v_add_nc_u32_e32 v6, 0x100, v2
	v_dual_mov_b32 v35, 0xff800000 :: v_dual_mov_b32 v32, 0xff800000
	s_delay_alu instid0(VALU_DEP_2) | instskip(NEXT) | instid1(VALU_DEP_1)
	;; [unrolled: 27-line block ×13, first 2 shown]
	v_cmp_gt_i32_e64 s29, s74, v6
	s_and_b32 s31, s64, s29
	s_delay_alu instid0(SALU_CYCLE_1)
	s_and_saveexec_b32 s30, s31
	s_cbranch_execz .LBB128_62
; %bb.61:
	global_load_u16 v6, v[3:4], off offset:1920
	s_waitcnt vmcnt(0)
	v_cvt_f32_f16_e32 v72, v6
.LBB128_62:
	s_or_b32 exec_lo, exec_lo, s30
	v_add_nc_u32_e32 v6, 0x3e0, v2
	s_delay_alu instid0(VALU_DEP_1) | instskip(NEXT) | instid1(VALU_DEP_1)
	v_cmp_gt_i32_e64 s30, s74, v6
	s_and_b32 s33, s64, s30
	s_delay_alu instid0(SALU_CYCLE_1)
	s_and_saveexec_b32 s31, s33
	s_cbranch_execz .LBB128_64
; %bb.63:
	global_load_u16 v6, v[3:4], off offset:1984
	s_waitcnt vmcnt(0)
	v_cvt_f32_f16_e32 v71, v6
.LBB128_64:
	s_or_b32 exec_lo, exec_lo, s31
	v_or_b32_e32 v6, 0x400, v2
	v_dual_mov_b32 v61, 0xff800000 :: v_dual_mov_b32 v70, 0xff800000
	s_delay_alu instid0(VALU_DEP_2) | instskip(NEXT) | instid1(VALU_DEP_1)
	v_cmp_gt_i32_e64 s31, s74, v6
	s_and_b32 s34, s64, s31
	s_delay_alu instid0(SALU_CYCLE_1)
	s_and_saveexec_b32 s33, s34
	s_cbranch_execz .LBB128_66
; %bb.65:
	global_load_u16 v6, v[3:4], off offset:2048
	s_waitcnt vmcnt(0)
	v_cvt_f32_f16_e32 v70, v6
.LBB128_66:
	s_or_b32 exec_lo, exec_lo, s33
	v_add_nc_u32_e32 v6, 0x420, v2
	s_delay_alu instid0(VALU_DEP_1) | instskip(NEXT) | instid1(VALU_DEP_1)
	v_cmp_gt_i32_e64 s33, s74, v6
	s_and_b32 s35, s64, s33
	s_delay_alu instid0(SALU_CYCLE_1)
	s_and_saveexec_b32 s34, s35
	s_cbranch_execz .LBB128_68
; %bb.67:
	global_load_u16 v6, v[3:4], off offset:2112
	s_waitcnt vmcnt(0)
	v_cvt_f32_f16_e32 v61, v6
.LBB128_68:
	s_or_b32 exec_lo, exec_lo, s34
	v_add_nc_u32_e32 v6, 0x440, v2
	v_mov_b32_e32 v56, 0xff800000
	v_mov_b32_e32 v60, 0xff800000
	s_delay_alu instid0(VALU_DEP_3) | instskip(NEXT) | instid1(VALU_DEP_1)
	v_cmp_gt_i32_e64 s34, s74, v6
	s_and_b32 s36, s64, s34
	s_delay_alu instid0(SALU_CYCLE_1)
	s_and_saveexec_b32 s35, s36
	s_cbranch_execz .LBB128_70
; %bb.69:
	global_load_u16 v6, v[3:4], off offset:2176
	s_waitcnt vmcnt(0)
	v_cvt_f32_f16_e32 v60, v6
.LBB128_70:
	s_or_b32 exec_lo, exec_lo, s35
	v_add_nc_u32_e32 v6, 0x460, v2
	s_delay_alu instid0(VALU_DEP_1) | instskip(NEXT) | instid1(VALU_DEP_1)
	v_cmp_gt_i32_e64 s35, s74, v6
	s_and_b32 s37, s64, s35
	s_delay_alu instid0(SALU_CYCLE_1)
	s_and_saveexec_b32 s36, s37
	s_cbranch_execz .LBB128_72
; %bb.71:
	global_load_u16 v6, v[3:4], off offset:2240
	s_waitcnt vmcnt(0)
	v_cvt_f32_f16_e32 v56, v6
.LBB128_72:
	s_or_b32 exec_lo, exec_lo, s36
	v_add_nc_u32_e32 v6, 0x480, v2
	v_dual_mov_b32 v52, 0xff800000 :: v_dual_mov_b32 v57, 0xff800000
	s_delay_alu instid0(VALU_DEP_2) | instskip(NEXT) | instid1(VALU_DEP_1)
	v_cmp_gt_i32_e64 s36, s74, v6
	s_and_b32 s38, s64, s36
	s_delay_alu instid0(SALU_CYCLE_1)
	s_and_saveexec_b32 s37, s38
	s_cbranch_execz .LBB128_74
; %bb.73:
	global_load_u16 v6, v[3:4], off offset:2304
	s_waitcnt vmcnt(0)
	v_cvt_f32_f16_e32 v57, v6
.LBB128_74:
	s_or_b32 exec_lo, exec_lo, s37
	v_add_nc_u32_e32 v6, 0x4a0, v2
	s_delay_alu instid0(VALU_DEP_1) | instskip(NEXT) | instid1(VALU_DEP_1)
	v_cmp_gt_i32_e64 s37, s74, v6
	s_and_b32 s39, s64, s37
	s_delay_alu instid0(SALU_CYCLE_1)
	s_and_saveexec_b32 s38, s39
	s_cbranch_execz .LBB128_76
; %bb.75:
	global_load_u16 v6, v[3:4], off offset:2368
	s_waitcnt vmcnt(0)
	v_cvt_f32_f16_e32 v52, v6
.LBB128_76:
	s_or_b32 exec_lo, exec_lo, s38
	v_add_nc_u32_e32 v6, 0x4c0, v2
	v_dual_mov_b32 v48, 0xff800000 :: v_dual_mov_b32 v51, 0xff800000
	s_delay_alu instid0(VALU_DEP_2) | instskip(NEXT) | instid1(VALU_DEP_1)
	;; [unrolled: 27-line block ×3, first 2 shown]
	v_cmp_gt_i32_e64 s40, s74, v6
	s_and_b32 s42, s64, s40
	s_delay_alu instid0(SALU_CYCLE_1)
	s_and_saveexec_b32 s41, s42
	s_cbranch_execz .LBB128_82
; %bb.81:
	global_load_u16 v6, v[3:4], off offset:2560
	s_waitcnt vmcnt(0)
	v_cvt_f32_f16_e32 v47, v6
.LBB128_82:
	s_or_b32 exec_lo, exec_lo, s41
	v_add_nc_u32_e32 v6, 0x520, v2
	s_delay_alu instid0(VALU_DEP_1) | instskip(NEXT) | instid1(VALU_DEP_1)
	v_cmp_gt_i32_e64 s41, s74, v6
	s_and_b32 s43, s64, s41
	s_delay_alu instid0(SALU_CYCLE_1)
	s_and_saveexec_b32 s42, s43
	s_cbranch_execz .LBB128_84
; %bb.83:
	global_load_u16 v6, v[3:4], off offset:2624
	s_waitcnt vmcnt(0)
	v_cvt_f32_f16_e32 v42, v6
.LBB128_84:
	s_or_b32 exec_lo, exec_lo, s42
	v_add_nc_u32_e32 v6, 0x540, v2
	v_mov_b32_e32 v39, 0xff800000
	v_mov_b32_e32 v43, 0xff800000
	s_delay_alu instid0(VALU_DEP_3) | instskip(NEXT) | instid1(VALU_DEP_1)
	v_cmp_gt_i32_e64 s42, s74, v6
	s_and_b32 s44, s64, s42
	s_delay_alu instid0(SALU_CYCLE_1)
	s_and_saveexec_b32 s43, s44
	s_cbranch_execz .LBB128_86
; %bb.85:
	global_load_u16 v6, v[3:4], off offset:2688
	s_waitcnt vmcnt(0)
	v_cvt_f32_f16_e32 v43, v6
.LBB128_86:
	s_or_b32 exec_lo, exec_lo, s43
	v_add_nc_u32_e32 v6, 0x560, v2
	s_delay_alu instid0(VALU_DEP_1) | instskip(NEXT) | instid1(VALU_DEP_1)
	v_cmp_gt_i32_e64 s43, s74, v6
	s_and_b32 s45, s64, s43
	s_delay_alu instid0(SALU_CYCLE_1)
	s_and_saveexec_b32 s44, s45
	s_cbranch_execz .LBB128_88
; %bb.87:
	global_load_u16 v6, v[3:4], off offset:2752
	s_waitcnt vmcnt(0)
	v_cvt_f32_f16_e32 v39, v6
.LBB128_88:
	s_or_b32 exec_lo, exec_lo, s44
	v_add_nc_u32_e32 v6, 0x580, v2
	v_dual_mov_b32 v37, 0xff800000 :: v_dual_mov_b32 v38, 0xff800000
	s_delay_alu instid0(VALU_DEP_2) | instskip(NEXT) | instid1(VALU_DEP_1)
	v_cmp_gt_i32_e64 s44, s74, v6
	s_and_b32 s46, s64, s44
	s_delay_alu instid0(SALU_CYCLE_1)
	s_and_saveexec_b32 s45, s46
	s_cbranch_execz .LBB128_90
; %bb.89:
	global_load_u16 v6, v[3:4], off offset:2816
	s_waitcnt vmcnt(0)
	v_cvt_f32_f16_e32 v38, v6
.LBB128_90:
	s_or_b32 exec_lo, exec_lo, s45
	v_add_nc_u32_e32 v6, 0x5a0, v2
	s_delay_alu instid0(VALU_DEP_1) | instskip(NEXT) | instid1(VALU_DEP_1)
	v_cmp_gt_i32_e64 s45, s74, v6
	s_and_b32 s47, s64, s45
	s_delay_alu instid0(SALU_CYCLE_1)
	s_and_saveexec_b32 s46, s47
	s_cbranch_execz .LBB128_92
; %bb.91:
	global_load_u16 v6, v[3:4], off offset:2880
	s_waitcnt vmcnt(0)
	v_cvt_f32_f16_e32 v37, v6
.LBB128_92:
	s_or_b32 exec_lo, exec_lo, s46
	v_add_nc_u32_e32 v6, 0x5c0, v2
	v_dual_mov_b32 v33, 0xff800000 :: v_dual_mov_b32 v36, 0xff800000
	s_delay_alu instid0(VALU_DEP_2) | instskip(NEXT) | instid1(VALU_DEP_1)
	v_cmp_gt_i32_e64 s46, s74, v6
	s_and_b32 s48, s64, s46
	s_delay_alu instid0(SALU_CYCLE_1)
	s_and_saveexec_b32 s47, s48
	s_cbranch_execz .LBB128_94
; %bb.93:
	global_load_u16 v6, v[3:4], off offset:2944
	s_waitcnt vmcnt(0)
	v_cvt_f32_f16_e32 v36, v6
.LBB128_94:
	s_or_b32 exec_lo, exec_lo, s47
	v_add_nc_u32_e32 v6, 0x5e0, v2
	s_delay_alu instid0(VALU_DEP_1) | instskip(NEXT) | instid1(VALU_DEP_1)
	v_cmp_gt_i32_e64 s47, s74, v6
	s_and_b32 s49, s64, s47
	s_delay_alu instid0(SALU_CYCLE_1)
	s_and_saveexec_b32 s48, s49
	s_cbranch_execz .LBB128_96
; %bb.95:
	global_load_u16 v6, v[3:4], off offset:3008
	s_waitcnt vmcnt(0)
	v_cvt_f32_f16_e32 v33, v6
.LBB128_96:
	s_or_b32 exec_lo, exec_lo, s48
	v_add_nc_u32_e32 v6, 0x600, v2
	v_mov_b32_e32 v30, 0xff800000
	v_mov_b32_e32 v34, 0xff800000
	s_delay_alu instid0(VALU_DEP_3) | instskip(NEXT) | instid1(VALU_DEP_1)
	v_cmp_gt_i32_e64 s48, s74, v6
	s_and_b32 s50, s64, s48
	s_delay_alu instid0(SALU_CYCLE_1)
	s_and_saveexec_b32 s49, s50
	s_cbranch_execz .LBB128_98
; %bb.97:
	global_load_u16 v6, v[3:4], off offset:3072
	s_waitcnt vmcnt(0)
	v_cvt_f32_f16_e32 v34, v6
.LBB128_98:
	s_or_b32 exec_lo, exec_lo, s49
	v_add_nc_u32_e32 v6, 0x620, v2
	s_delay_alu instid0(VALU_DEP_1) | instskip(NEXT) | instid1(VALU_DEP_1)
	v_cmp_gt_i32_e64 s49, s74, v6
	s_and_b32 s51, s64, s49
	s_delay_alu instid0(SALU_CYCLE_1)
	s_and_saveexec_b32 s50, s51
	s_cbranch_execz .LBB128_100
; %bb.99:
	global_load_u16 v6, v[3:4], off offset:3136
	s_waitcnt vmcnt(0)
	v_cvt_f32_f16_e32 v30, v6
.LBB128_100:
	s_or_b32 exec_lo, exec_lo, s50
	v_add_nc_u32_e32 v6, 0x640, v2
	v_dual_mov_b32 v26, 0xff800000 :: v_dual_mov_b32 v29, 0xff800000
	s_delay_alu instid0(VALU_DEP_2) | instskip(NEXT) | instid1(VALU_DEP_1)
	v_cmp_gt_i32_e64 s50, s74, v6
	s_and_b32 s52, s64, s50
	s_delay_alu instid0(SALU_CYCLE_1)
	s_and_saveexec_b32 s51, s52
	s_cbranch_execz .LBB128_102
; %bb.101:
	global_load_u16 v6, v[3:4], off offset:3200
	s_waitcnt vmcnt(0)
	v_cvt_f32_f16_e32 v29, v6
.LBB128_102:
	s_or_b32 exec_lo, exec_lo, s51
	v_add_nc_u32_e32 v6, 0x660, v2
	s_delay_alu instid0(VALU_DEP_1) | instskip(NEXT) | instid1(VALU_DEP_1)
	v_cmp_gt_i32_e64 s51, s74, v6
	s_and_b32 s53, s64, s51
	s_delay_alu instid0(SALU_CYCLE_1)
	s_and_saveexec_b32 s52, s53
	s_cbranch_execz .LBB128_104
; %bb.103:
	global_load_u16 v6, v[3:4], off offset:3264
	s_waitcnt vmcnt(0)
	v_cvt_f32_f16_e32 v26, v6
.LBB128_104:
	s_or_b32 exec_lo, exec_lo, s52
	v_add_nc_u32_e32 v6, 0x680, v2
	v_mov_b32_e32 v21, 0xff800000
	v_mov_b32_e32 v25, 0xff800000
	s_delay_alu instid0(VALU_DEP_3) | instskip(NEXT) | instid1(VALU_DEP_1)
	;; [unrolled: 55-line block ×4, first 2 shown]
	v_cmp_gt_i32_e64 s60, s74, v6
	s_and_b32 s62, s64, s60
	s_delay_alu instid0(SALU_CYCLE_1)
	s_and_saveexec_b32 s61, s62
	s_cbranch_execz .LBB128_122
; %bb.121:
	global_load_u16 v6, v[3:4], off offset:3840
	s_waitcnt vmcnt(0)
	v_cvt_f32_f16_e32 v9, v6
.LBB128_122:
	s_or_b32 exec_lo, exec_lo, s61
	v_add_nc_u32_e32 v6, 0x7a0, v2
	s_delay_alu instid0(VALU_DEP_1) | instskip(NEXT) | instid1(VALU_DEP_1)
	v_cmp_gt_i32_e64 s61, s74, v6
	s_and_b32 s63, s64, s61
	s_delay_alu instid0(SALU_CYCLE_1)
	s_and_saveexec_b32 s62, s63
	s_cbranch_execz .LBB128_124
; %bb.123:
	global_load_u16 v6, v[3:4], off offset:3904
	s_waitcnt vmcnt(0)
	v_cvt_f32_f16_e32 v7, v6
.LBB128_124:
	s_or_b32 exec_lo, exec_lo, s62
	v_add_nc_u32_e32 v6, 0x7c0, v2
	v_mov_b32_e32 v8, 0xff800000
	s_delay_alu instid0(VALU_DEP_2) | instskip(SKIP_1) | instid1(VALU_DEP_2)
	v_cmp_gt_i32_e64 s62, s74, v6
	v_mov_b32_e32 v6, 0xff800000
	s_and_b32 s65, s64, s62
	s_delay_alu instid0(SALU_CYCLE_1)
	s_and_saveexec_b32 s63, s65
	s_cbranch_execz .LBB128_126
; %bb.125:
	global_load_u16 v8, v[3:4], off offset:3968
	s_waitcnt vmcnt(0)
	v_cvt_f32_f16_e32 v8, v8
.LBB128_126:
	s_or_b32 exec_lo, exec_lo, s63
	v_add_nc_u32_e32 v2, 0x7e0, v2
	s_delay_alu instid0(VALU_DEP_1) | instskip(NEXT) | instid1(VALU_DEP_1)
	v_cmp_gt_i32_e64 s63, s74, v2
	s_and_b32 s65, s64, s63
	s_delay_alu instid0(SALU_CYCLE_1)
	s_and_saveexec_b32 s64, s65
	s_cbranch_execz .LBB128_128
; %bb.127:
	global_load_u16 v2, v[3:4], off offset:4032
	s_waitcnt vmcnt(0)
	v_cvt_f32_f16_e32 v6, v2
.LBB128_128:
	s_or_b32 exec_lo, exec_lo, s64
	v_cmp_gt_f32_e64 s64, v73, v15
	v_mbcnt_lo_u32_b32 v18, -1, 0
	s_mov_b32 s65, exec_lo
	s_delay_alu instid0(VALU_DEP_2) | instskip(NEXT) | instid1(VALU_DEP_1)
	v_cndmask_b32_e64 v2, v15, v73, s64
	v_cmp_gt_f32_e64 s64, v2, v19
	s_delay_alu instid0(VALU_DEP_1) | instskip(NEXT) | instid1(VALU_DEP_1)
	v_cndmask_b32_e64 v2, v19, v2, s64
	v_cmp_gt_f32_e64 s64, v2, v20
	s_delay_alu instid0(VALU_DEP_1) | instskip(NEXT) | instid1(VALU_DEP_1)
	;; [unrolled: 3-line block ×61, first 2 shown]
	v_cndmask_b32_e64 v2, v8, v2, s64
	v_cmp_gt_f32_e64 s64, v2, v6
	s_delay_alu instid0(VALU_DEP_1) | instskip(SKIP_1) | instid1(VALU_DEP_1)
	v_cndmask_b32_e64 v3, v6, v2, s64
	v_xor_b32_e32 v2, 16, v18
	v_cmp_gt_i32_e64 s64, 32, v2
	s_delay_alu instid0(VALU_DEP_1) | instskip(NEXT) | instid1(VALU_DEP_1)
	v_cndmask_b32_e64 v2, v18, v2, s64
	v_lshlrev_b32_e32 v2, 2, v2
	ds_bpermute_b32 v4, v2, v3
	s_waitcnt lgkmcnt(0)
	v_cmp_lt_f32_e64 s64, v3, v4
	s_delay_alu instid0(VALU_DEP_1) | instskip(SKIP_1) | instid1(VALU_DEP_1)
	v_cndmask_b32_e64 v3, v3, v4, s64
	v_xor_b32_e32 v4, 8, v18
	v_cmp_gt_i32_e64 s64, 32, v4
	s_delay_alu instid0(VALU_DEP_1) | instskip(NEXT) | instid1(VALU_DEP_1)
	v_cndmask_b32_e64 v4, v18, v4, s64
	v_lshlrev_b32_e32 v4, 2, v4
	ds_bpermute_b32 v13, v4, v3
	s_waitcnt lgkmcnt(0)
	v_cmp_lt_f32_e64 s64, v3, v13
	;; [unrolled: 10-line block ×5, first 2 shown]
	s_delay_alu instid0(VALU_DEP_1) | instskip(NEXT) | instid1(VALU_DEP_1)
	v_cndmask_b32_e64 v24, v3, v24, s64
	v_sub_f32_e32 v15, v15, v24
	v_sub_f32_e32 v3, v73, v24
	;; [unrolled: 1-line block ×6, first 2 shown]
	v_mul_f32_e32 v73, 0x3fb8aa3b, v3
	v_cmp_ngt_f32_e64 s64, 0xc2ce8ed0, v3
	v_sub_f32_e32 v32, v32, v24
	v_sub_f32_e32 v40, v40, v24
	;; [unrolled: 1-line block ×3, first 2 shown]
	v_fma_f32 v74, 0x3fb8aa3b, v3, -v73
	v_rndne_f32_e32 v75, v73
	v_sub_f32_e32 v44, v44, v24
	v_sub_f32_e32 v46, v46, v24
	;; [unrolled: 1-line block ×3, first 2 shown]
	v_fmac_f32_e32 v74, 0x32a5705f, v3
	v_dual_sub_f32 v73, v73, v75 :: v_dual_sub_f32 v54, v54, v24
	v_sub_f32_e32 v55, v55, v24
	v_sub_f32_e32 v58, v58, v24
	s_delay_alu instid0(VALU_DEP_3)
	v_dual_sub_f32 v62, v62, v24 :: v_dual_add_f32 v73, v73, v74
	v_cvt_i32_f32_e32 v74, v75
	v_sub_f32_e32 v64, v64, v24
	v_sub_f32_e32 v66, v66, v24
	;; [unrolled: 1-line block ×3, first 2 shown]
	v_exp_f32_e32 v73, v73
	v_sub_f32_e32 v72, v72, v24
	v_sub_f32_e32 v70, v70, v24
	;; [unrolled: 1-line block ×9, first 2 shown]
	v_ldexp_f32 v73, v73, v74
	v_mul_f32_e32 v74, 0x3fb8aa3b, v15
	v_sub_f32_e32 v34, v34, v24
	v_sub_f32_e32 v30, v30, v24
	;; [unrolled: 1-line block ×3, first 2 shown]
	v_cndmask_b32_e64 v73, 0, v73, s64
	v_fma_f32 v75, 0x3fb8aa3b, v15, -v74
	v_rndne_f32_e32 v76, v74
	v_sub_f32_e32 v19, v19, v24
	v_cmp_nlt_f32_e64 s64, 0x42b17218, v3
	s_delay_alu instid0(VALU_DEP_4) | instskip(NEXT) | instid1(VALU_DEP_4)
	v_dual_sub_f32 v22, v22, v24 :: v_dual_fmac_f32 v75, 0x32a5705f, v15
	v_sub_f32_e32 v74, v74, v76
	v_sub_f32_e32 v11, v11, v24
	s_delay_alu instid0(VALU_DEP_4)
	v_cndmask_b32_e64 v73, 0x7f800000, v73, s64
	v_cmp_ngt_f32_e64 s64, 0xc2ce8ed0, v15
	v_sub_f32_e32 v16, v16, v24
	v_add_f32_e32 v74, v74, v75
	v_cvt_i32_f32_e32 v75, v76
	v_sub_f32_e32 v10, v10, v24
	v_sub_f32_e32 v12, v12, v24
	;; [unrolled: 1-line block ×3, first 2 shown]
	v_exp_f32_e32 v74, v74
	v_sub_f32_e32 v6, v6, v24
	v_sub_f32_e32 v27, v27, v24
	;; [unrolled: 1-line block ×9, first 2 shown]
	v_ldexp_f32 v74, v74, v75
	v_sub_f32_e32 v67, v67, v24
	v_sub_f32_e32 v69, v69, v24
	;; [unrolled: 1-line block ×4, first 2 shown]
	v_cndmask_b32_e64 v74, 0, v74, s64
	v_cmp_nlt_f32_e64 s64, 0x42b17218, v15
	v_sub_f32_e32 v57, v57, v24
	v_sub_f32_e32 v51, v51, v24
	;; [unrolled: 1-line block ×4, first 2 shown]
	v_cndmask_b32_e64 v74, 0x7f800000, v74, s64
	v_cmp_ngt_f32_e64 s64, 0xc2ce8ed0, v19
	v_sub_f32_e32 v39, v39, v24
	v_sub_f32_e32 v37, v37, v24
	;; [unrolled: 1-line block ×3, first 2 shown]
	v_dual_add_f32 v73, v73, v74 :: v_dual_mul_f32 v74, 0x3fb8aa3b, v19
	v_sub_f32_e32 v29, v29, v24
	v_sub_f32_e32 v25, v25, v24
	;; [unrolled: 1-line block ×4, first 2 shown]
	v_fma_f32 v75, 0x3fb8aa3b, v19, -v74
	v_rndne_f32_e32 v76, v74
	v_sub_f32_e32 v9, v9, v24
	v_dual_sub_f32 v7, v7, v24 :: v_dual_mul_f32 v24, 0x3fb8aa3b, v6
	s_delay_alu instid0(VALU_DEP_3) | instskip(NEXT) | instid1(VALU_DEP_1)
	v_dual_fmac_f32 v75, 0x32a5705f, v19 :: v_dual_sub_f32 v74, v74, v76
	v_add_f32_e32 v74, v74, v75
	v_cvt_i32_f32_e32 v75, v76
	s_delay_alu instid0(VALU_DEP_2) | instskip(SKIP_2) | instid1(VALU_DEP_1)
	v_exp_f32_e32 v74, v74
	s_waitcnt_depctr 0xfff
	v_ldexp_f32 v74, v74, v75
	v_cndmask_b32_e64 v74, 0, v74, s64
	v_cmp_nlt_f32_e64 s64, 0x42b17218, v19
	s_delay_alu instid0(VALU_DEP_1) | instskip(SKIP_1) | instid1(VALU_DEP_2)
	v_cndmask_b32_e64 v74, 0x7f800000, v74, s64
	v_cmp_ngt_f32_e64 s64, 0xc2ce8ed0, v20
	v_dual_add_f32 v73, v73, v74 :: v_dual_mul_f32 v74, 0x3fb8aa3b, v20
	s_delay_alu instid0(VALU_DEP_1) | instskip(SKIP_1) | instid1(VALU_DEP_2)
	v_fma_f32 v75, 0x3fb8aa3b, v20, -v74
	v_rndne_f32_e32 v76, v74
	v_fmac_f32_e32 v75, 0x32a5705f, v20
	s_delay_alu instid0(VALU_DEP_2) | instskip(NEXT) | instid1(VALU_DEP_1)
	v_sub_f32_e32 v74, v74, v76
	v_add_f32_e32 v74, v74, v75
	v_cvt_i32_f32_e32 v75, v76
	s_delay_alu instid0(VALU_DEP_2) | instskip(SKIP_2) | instid1(VALU_DEP_1)
	v_exp_f32_e32 v74, v74
	s_waitcnt_depctr 0xfff
	v_ldexp_f32 v74, v74, v75
	v_cndmask_b32_e64 v74, 0, v74, s64
	v_cmp_nlt_f32_e64 s64, 0x42b17218, v20
	s_delay_alu instid0(VALU_DEP_1) | instskip(NEXT) | instid1(VALU_DEP_1)
	v_cndmask_b32_e64 v74, 0x7f800000, v74, s64
	v_dual_add_f32 v73, v73, v74 :: v_dual_mul_f32 v74, 0x3fb8aa3b, v23
	s_delay_alu instid0(VALU_DEP_1) | instskip(SKIP_1) | instid1(VALU_DEP_1)
	v_fma_f32 v75, 0x3fb8aa3b, v23, -v74
	v_rndne_f32_e32 v76, v74
	v_dual_fmac_f32 v75, 0x32a5705f, v23 :: v_dual_sub_f32 v74, v74, v76
	s_delay_alu instid0(VALU_DEP_1) | instskip(SKIP_2) | instid1(VALU_DEP_3)
	v_add_f32_e32 v74, v74, v75
	v_cvt_i32_f32_e32 v75, v76
	v_cmp_ngt_f32_e64 s64, 0xc2ce8ed0, v23
	v_exp_f32_e32 v74, v74
	s_waitcnt_depctr 0xfff
	v_ldexp_f32 v74, v74, v75
	s_delay_alu instid0(VALU_DEP_1) | instskip(SKIP_1) | instid1(VALU_DEP_1)
	v_cndmask_b32_e64 v74, 0, v74, s64
	v_cmp_nlt_f32_e64 s64, 0x42b17218, v23
	v_cndmask_b32_e64 v74, 0x7f800000, v74, s64
	v_cmp_ngt_f32_e64 s64, 0xc2ce8ed0, v27
	s_delay_alu instid0(VALU_DEP_2) | instskip(NEXT) | instid1(VALU_DEP_1)
	v_dual_add_f32 v73, v73, v74 :: v_dual_mul_f32 v74, 0x3fb8aa3b, v27
	v_fma_f32 v75, 0x3fb8aa3b, v27, -v74
	v_rndne_f32_e32 v76, v74
	s_delay_alu instid0(VALU_DEP_1) | instskip(NEXT) | instid1(VALU_DEP_1)
	v_dual_fmac_f32 v75, 0x32a5705f, v27 :: v_dual_sub_f32 v74, v74, v76
	v_add_f32_e32 v74, v74, v75
	v_cvt_i32_f32_e32 v75, v76
	s_delay_alu instid0(VALU_DEP_2) | instskip(SKIP_2) | instid1(VALU_DEP_1)
	v_exp_f32_e32 v74, v74
	s_waitcnt_depctr 0xfff
	v_ldexp_f32 v74, v74, v75
	v_cndmask_b32_e64 v74, 0, v74, s64
	v_cmp_nlt_f32_e64 s64, 0x42b17218, v27
	s_delay_alu instid0(VALU_DEP_1) | instskip(SKIP_1) | instid1(VALU_DEP_2)
	v_cndmask_b32_e64 v74, 0x7f800000, v74, s64
	v_cmp_ngt_f32_e64 s64, 0xc2ce8ed0, v28
	v_dual_add_f32 v73, v73, v74 :: v_dual_mul_f32 v74, 0x3fb8aa3b, v28
	s_delay_alu instid0(VALU_DEP_1) | instskip(SKIP_1) | instid1(VALU_DEP_2)
	v_fma_f32 v75, 0x3fb8aa3b, v28, -v74
	v_rndne_f32_e32 v76, v74
	v_fmac_f32_e32 v75, 0x32a5705f, v28
	s_delay_alu instid0(VALU_DEP_2) | instskip(NEXT) | instid1(VALU_DEP_1)
	v_sub_f32_e32 v74, v74, v76
	v_add_f32_e32 v74, v74, v75
	v_cvt_i32_f32_e32 v75, v76
	s_delay_alu instid0(VALU_DEP_2) | instskip(SKIP_2) | instid1(VALU_DEP_1)
	v_exp_f32_e32 v74, v74
	s_waitcnt_depctr 0xfff
	v_ldexp_f32 v74, v74, v75
	v_cndmask_b32_e64 v74, 0, v74, s64
	v_cmp_nlt_f32_e64 s64, 0x42b17218, v28
	s_delay_alu instid0(VALU_DEP_1) | instskip(SKIP_1) | instid1(VALU_DEP_2)
	v_cndmask_b32_e64 v74, 0x7f800000, v74, s64
	v_cmp_ngt_f32_e64 s64, 0xc2ce8ed0, v31
	v_dual_add_f32 v73, v73, v74 :: v_dual_mul_f32 v74, 0x3fb8aa3b, v31
	s_delay_alu instid0(VALU_DEP_1) | instskip(SKIP_1) | instid1(VALU_DEP_1)
	v_fma_f32 v75, 0x3fb8aa3b, v31, -v74
	v_rndne_f32_e32 v76, v74
	v_dual_fmac_f32 v75, 0x32a5705f, v31 :: v_dual_sub_f32 v74, v74, v76
	s_delay_alu instid0(VALU_DEP_1) | instskip(SKIP_1) | instid1(VALU_DEP_2)
	v_add_f32_e32 v74, v74, v75
	v_cvt_i32_f32_e32 v75, v76
	v_exp_f32_e32 v74, v74
	s_waitcnt_depctr 0xfff
	v_ldexp_f32 v74, v74, v75
	s_delay_alu instid0(VALU_DEP_1) | instskip(SKIP_1) | instid1(VALU_DEP_1)
	v_cndmask_b32_e64 v74, 0, v74, s64
	v_cmp_nlt_f32_e64 s64, 0x42b17218, v31
	v_cndmask_b32_e64 v74, 0x7f800000, v74, s64
	v_cmp_ngt_f32_e64 s64, 0xc2ce8ed0, v32
	s_delay_alu instid0(VALU_DEP_2) | instskip(NEXT) | instid1(VALU_DEP_1)
	v_dual_add_f32 v73, v73, v74 :: v_dual_mul_f32 v74, 0x3fb8aa3b, v32
	v_fma_f32 v75, 0x3fb8aa3b, v32, -v74
	v_rndne_f32_e32 v76, v74
	s_delay_alu instid0(VALU_DEP_2) | instskip(NEXT) | instid1(VALU_DEP_2)
	v_fmac_f32_e32 v75, 0x32a5705f, v32
	v_sub_f32_e32 v74, v74, v76
	s_delay_alu instid0(VALU_DEP_1) | instskip(SKIP_1) | instid1(VALU_DEP_2)
	v_add_f32_e32 v74, v74, v75
	v_cvt_i32_f32_e32 v75, v76
	v_exp_f32_e32 v74, v74
	s_waitcnt_depctr 0xfff
	v_ldexp_f32 v74, v74, v75
	s_delay_alu instid0(VALU_DEP_1) | instskip(SKIP_1) | instid1(VALU_DEP_1)
	v_cndmask_b32_e64 v74, 0, v74, s64
	v_cmp_nlt_f32_e64 s64, 0x42b17218, v32
	v_cndmask_b32_e64 v74, 0x7f800000, v74, s64
	s_delay_alu instid0(VALU_DEP_1) | instskip(NEXT) | instid1(VALU_DEP_1)
	v_dual_add_f32 v73, v73, v74 :: v_dual_mul_f32 v74, 0x3fb8aa3b, v35
	v_fma_f32 v75, 0x3fb8aa3b, v35, -v74
	v_rndne_f32_e32 v76, v74
	s_delay_alu instid0(VALU_DEP_1) | instskip(NEXT) | instid1(VALU_DEP_1)
	v_dual_fmac_f32 v75, 0x32a5705f, v35 :: v_dual_sub_f32 v74, v74, v76
	v_add_f32_e32 v74, v74, v75
	v_cvt_i32_f32_e32 v75, v76
	v_cmp_ngt_f32_e64 s64, 0xc2ce8ed0, v35
	s_delay_alu instid0(VALU_DEP_3) | instskip(SKIP_2) | instid1(VALU_DEP_1)
	v_exp_f32_e32 v74, v74
	s_waitcnt_depctr 0xfff
	v_ldexp_f32 v74, v74, v75
	v_cndmask_b32_e64 v74, 0, v74, s64
	v_cmp_nlt_f32_e64 s64, 0x42b17218, v35
	s_delay_alu instid0(VALU_DEP_1) | instskip(SKIP_1) | instid1(VALU_DEP_2)
	v_cndmask_b32_e64 v74, 0x7f800000, v74, s64
	v_cmp_ngt_f32_e64 s64, 0xc2ce8ed0, v40
	v_dual_add_f32 v73, v73, v74 :: v_dual_mul_f32 v74, 0x3fb8aa3b, v40
	s_delay_alu instid0(VALU_DEP_1) | instskip(SKIP_1) | instid1(VALU_DEP_2)
	v_fma_f32 v75, 0x3fb8aa3b, v40, -v74
	v_rndne_f32_e32 v76, v74
	v_fmac_f32_e32 v75, 0x32a5705f, v40
	s_delay_alu instid0(VALU_DEP_2) | instskip(NEXT) | instid1(VALU_DEP_1)
	v_sub_f32_e32 v74, v74, v76
	v_add_f32_e32 v74, v74, v75
	v_cvt_i32_f32_e32 v75, v76
	s_delay_alu instid0(VALU_DEP_2) | instskip(SKIP_2) | instid1(VALU_DEP_1)
	v_exp_f32_e32 v74, v74
	s_waitcnt_depctr 0xfff
	v_ldexp_f32 v74, v74, v75
	v_cndmask_b32_e64 v74, 0, v74, s64
	v_cmp_nlt_f32_e64 s64, 0x42b17218, v40
	s_delay_alu instid0(VALU_DEP_1) | instskip(SKIP_1) | instid1(VALU_DEP_2)
	v_cndmask_b32_e64 v74, 0x7f800000, v74, s64
	v_cmp_ngt_f32_e64 s64, 0xc2ce8ed0, v41
	v_dual_add_f32 v73, v73, v74 :: v_dual_mul_f32 v74, 0x3fb8aa3b, v41
	s_delay_alu instid0(VALU_DEP_1) | instskip(SKIP_1) | instid1(VALU_DEP_1)
	v_fma_f32 v75, 0x3fb8aa3b, v41, -v74
	v_rndne_f32_e32 v76, v74
	v_dual_fmac_f32 v75, 0x32a5705f, v41 :: v_dual_sub_f32 v74, v74, v76
	s_delay_alu instid0(VALU_DEP_1) | instskip(SKIP_1) | instid1(VALU_DEP_2)
	v_add_f32_e32 v74, v74, v75
	v_cvt_i32_f32_e32 v75, v76
	v_exp_f32_e32 v74, v74
	s_waitcnt_depctr 0xfff
	v_ldexp_f32 v74, v74, v75
	s_delay_alu instid0(VALU_DEP_1) | instskip(SKIP_1) | instid1(VALU_DEP_1)
	v_cndmask_b32_e64 v74, 0, v74, s64
	v_cmp_nlt_f32_e64 s64, 0x42b17218, v41
	v_cndmask_b32_e64 v74, 0x7f800000, v74, s64
	v_cmp_ngt_f32_e64 s64, 0xc2ce8ed0, v44
	s_delay_alu instid0(VALU_DEP_2) | instskip(NEXT) | instid1(VALU_DEP_1)
	v_dual_add_f32 v73, v73, v74 :: v_dual_mul_f32 v74, 0x3fb8aa3b, v44
	v_fma_f32 v75, 0x3fb8aa3b, v44, -v74
	v_rndne_f32_e32 v76, v74
	s_delay_alu instid0(VALU_DEP_2) | instskip(NEXT) | instid1(VALU_DEP_2)
	v_fmac_f32_e32 v75, 0x32a5705f, v44
	v_sub_f32_e32 v74, v74, v76
	s_delay_alu instid0(VALU_DEP_1) | instskip(SKIP_1) | instid1(VALU_DEP_2)
	v_add_f32_e32 v74, v74, v75
	v_cvt_i32_f32_e32 v75, v76
	v_exp_f32_e32 v74, v74
	s_waitcnt_depctr 0xfff
	v_ldexp_f32 v74, v74, v75
	s_delay_alu instid0(VALU_DEP_1) | instskip(SKIP_1) | instid1(VALU_DEP_1)
	v_cndmask_b32_e64 v74, 0, v74, s64
	v_cmp_nlt_f32_e64 s64, 0x42b17218, v44
	v_cndmask_b32_e64 v74, 0x7f800000, v74, s64
	s_delay_alu instid0(VALU_DEP_1) | instskip(NEXT) | instid1(VALU_DEP_1)
	v_dual_add_f32 v73, v73, v74 :: v_dual_mul_f32 v74, 0x3fb8aa3b, v45
	v_fma_f32 v75, 0x3fb8aa3b, v45, -v74
	v_rndne_f32_e32 v76, v74
	s_delay_alu instid0(VALU_DEP_1) | instskip(NEXT) | instid1(VALU_DEP_1)
	v_dual_fmac_f32 v75, 0x32a5705f, v45 :: v_dual_sub_f32 v74, v74, v76
	v_add_f32_e32 v74, v74, v75
	v_cvt_i32_f32_e32 v75, v76
	v_cmp_ngt_f32_e64 s64, 0xc2ce8ed0, v45
	s_delay_alu instid0(VALU_DEP_3) | instskip(SKIP_2) | instid1(VALU_DEP_1)
	v_exp_f32_e32 v74, v74
	s_waitcnt_depctr 0xfff
	v_ldexp_f32 v74, v74, v75
	v_cndmask_b32_e64 v74, 0, v74, s64
	v_cmp_nlt_f32_e64 s64, 0x42b17218, v45
	s_delay_alu instid0(VALU_DEP_1) | instskip(SKIP_1) | instid1(VALU_DEP_2)
	v_cndmask_b32_e64 v74, 0x7f800000, v74, s64
	v_cmp_ngt_f32_e64 s64, 0xc2ce8ed0, v46
	v_add_f32_e32 v73, v73, v74
	v_mul_f32_e32 v74, 0x3fb8aa3b, v46
	s_delay_alu instid0(VALU_DEP_1) | instskip(SKIP_1) | instid1(VALU_DEP_1)
	v_fma_f32 v75, 0x3fb8aa3b, v46, -v74
	v_rndne_f32_e32 v76, v74
	v_dual_fmac_f32 v75, 0x32a5705f, v46 :: v_dual_sub_f32 v74, v74, v76
	s_delay_alu instid0(VALU_DEP_1) | instskip(SKIP_1) | instid1(VALU_DEP_2)
	v_add_f32_e32 v74, v74, v75
	v_cvt_i32_f32_e32 v75, v76
	v_exp_f32_e32 v74, v74
	s_waitcnt_depctr 0xfff
	v_ldexp_f32 v74, v74, v75
	s_delay_alu instid0(VALU_DEP_1) | instskip(SKIP_1) | instid1(VALU_DEP_1)
	v_cndmask_b32_e64 v74, 0, v74, s64
	v_cmp_nlt_f32_e64 s64, 0x42b17218, v46
	v_cndmask_b32_e64 v74, 0x7f800000, v74, s64
	v_cmp_ngt_f32_e64 s64, 0xc2ce8ed0, v49
	s_delay_alu instid0(VALU_DEP_2) | instskip(NEXT) | instid1(VALU_DEP_1)
	v_dual_add_f32 v73, v73, v74 :: v_dual_mul_f32 v74, 0x3fb8aa3b, v49
	v_fma_f32 v75, 0x3fb8aa3b, v49, -v74
	v_rndne_f32_e32 v76, v74
	s_delay_alu instid0(VALU_DEP_1) | instskip(NEXT) | instid1(VALU_DEP_1)
	v_dual_fmac_f32 v75, 0x32a5705f, v49 :: v_dual_sub_f32 v74, v74, v76
	v_add_f32_e32 v74, v74, v75
	v_cvt_i32_f32_e32 v75, v76
	s_delay_alu instid0(VALU_DEP_2) | instskip(SKIP_2) | instid1(VALU_DEP_1)
	v_exp_f32_e32 v74, v74
	s_waitcnt_depctr 0xfff
	v_ldexp_f32 v74, v74, v75
	v_cndmask_b32_e64 v74, 0, v74, s64
	v_cmp_nlt_f32_e64 s64, 0x42b17218, v49
	s_delay_alu instid0(VALU_DEP_1) | instskip(SKIP_1) | instid1(VALU_DEP_2)
	v_cndmask_b32_e64 v74, 0x7f800000, v74, s64
	v_cmp_ngt_f32_e64 s64, 0xc2ce8ed0, v50
	v_add_f32_e32 v73, v73, v74
	v_mul_f32_e32 v74, 0x3fb8aa3b, v50
	s_delay_alu instid0(VALU_DEP_1) | instskip(SKIP_1) | instid1(VALU_DEP_1)
	v_fma_f32 v75, 0x3fb8aa3b, v50, -v74
	v_rndne_f32_e32 v76, v74
	v_dual_fmac_f32 v75, 0x32a5705f, v50 :: v_dual_sub_f32 v74, v74, v76
	s_delay_alu instid0(VALU_DEP_1) | instskip(SKIP_1) | instid1(VALU_DEP_2)
	v_add_f32_e32 v74, v74, v75
	v_cvt_i32_f32_e32 v75, v76
	v_exp_f32_e32 v74, v74
	s_waitcnt_depctr 0xfff
	v_ldexp_f32 v74, v74, v75
	s_delay_alu instid0(VALU_DEP_1) | instskip(SKIP_1) | instid1(VALU_DEP_1)
	v_cndmask_b32_e64 v74, 0, v74, s64
	v_cmp_nlt_f32_e64 s64, 0x42b17218, v50
	v_cndmask_b32_e64 v74, 0x7f800000, v74, s64
	v_cmp_ngt_f32_e64 s64, 0xc2ce8ed0, v53
	s_delay_alu instid0(VALU_DEP_2) | instskip(NEXT) | instid1(VALU_DEP_1)
	v_dual_add_f32 v73, v73, v74 :: v_dual_mul_f32 v74, 0x3fb8aa3b, v53
	v_fma_f32 v75, 0x3fb8aa3b, v53, -v74
	v_rndne_f32_e32 v76, v74
	s_delay_alu instid0(VALU_DEP_1) | instskip(NEXT) | instid1(VALU_DEP_1)
	v_dual_fmac_f32 v75, 0x32a5705f, v53 :: v_dual_sub_f32 v74, v74, v76
	v_add_f32_e32 v74, v74, v75
	v_cvt_i32_f32_e32 v75, v76
	s_delay_alu instid0(VALU_DEP_2) | instskip(SKIP_2) | instid1(VALU_DEP_1)
	v_exp_f32_e32 v74, v74
	s_waitcnt_depctr 0xfff
	v_ldexp_f32 v74, v74, v75
	v_cndmask_b32_e64 v74, 0, v74, s64
	v_cmp_nlt_f32_e64 s64, 0x42b17218, v53
	s_delay_alu instid0(VALU_DEP_1) | instskip(SKIP_1) | instid1(VALU_DEP_2)
	v_cndmask_b32_e64 v74, 0x7f800000, v74, s64
	v_cmp_ngt_f32_e64 s64, 0xc2ce8ed0, v54
	v_add_f32_e32 v73, v73, v74
	v_mul_f32_e32 v74, 0x3fb8aa3b, v54
	s_delay_alu instid0(VALU_DEP_1) | instskip(SKIP_1) | instid1(VALU_DEP_1)
	v_fma_f32 v75, 0x3fb8aa3b, v54, -v74
	v_rndne_f32_e32 v76, v74
	v_dual_fmac_f32 v75, 0x32a5705f, v54 :: v_dual_sub_f32 v74, v74, v76
	s_delay_alu instid0(VALU_DEP_1) | instskip(SKIP_1) | instid1(VALU_DEP_2)
	v_add_f32_e32 v74, v74, v75
	v_cvt_i32_f32_e32 v75, v76
	v_exp_f32_e32 v74, v74
	s_waitcnt_depctr 0xfff
	v_ldexp_f32 v74, v74, v75
	s_delay_alu instid0(VALU_DEP_1) | instskip(SKIP_1) | instid1(VALU_DEP_1)
	v_cndmask_b32_e64 v74, 0, v74, s64
	v_cmp_nlt_f32_e64 s64, 0x42b17218, v54
	v_cndmask_b32_e64 v74, 0x7f800000, v74, s64
	s_delay_alu instid0(VALU_DEP_1) | instskip(NEXT) | instid1(VALU_DEP_1)
	v_dual_add_f32 v73, v73, v74 :: v_dual_mul_f32 v74, 0x3fb8aa3b, v55
	v_fma_f32 v75, 0x3fb8aa3b, v55, -v74
	v_rndne_f32_e32 v76, v74
	s_delay_alu instid0(VALU_DEP_1) | instskip(NEXT) | instid1(VALU_DEP_1)
	v_dual_fmac_f32 v75, 0x32a5705f, v55 :: v_dual_sub_f32 v74, v74, v76
	v_add_f32_e32 v74, v74, v75
	v_cvt_i32_f32_e32 v75, v76
	v_cmp_ngt_f32_e64 s64, 0xc2ce8ed0, v55
	s_delay_alu instid0(VALU_DEP_3) | instskip(SKIP_2) | instid1(VALU_DEP_1)
	v_exp_f32_e32 v74, v74
	s_waitcnt_depctr 0xfff
	v_ldexp_f32 v74, v74, v75
	v_cndmask_b32_e64 v74, 0, v74, s64
	v_cmp_nlt_f32_e64 s64, 0x42b17218, v55
	s_delay_alu instid0(VALU_DEP_1) | instskip(SKIP_1) | instid1(VALU_DEP_2)
	v_cndmask_b32_e64 v74, 0x7f800000, v74, s64
	v_cmp_ngt_f32_e64 s64, 0xc2ce8ed0, v58
	v_add_f32_e32 v73, v73, v74
	v_mul_f32_e32 v74, 0x3fb8aa3b, v58
	s_delay_alu instid0(VALU_DEP_1) | instskip(SKIP_1) | instid1(VALU_DEP_1)
	v_fma_f32 v75, 0x3fb8aa3b, v58, -v74
	v_rndne_f32_e32 v76, v74
	v_dual_fmac_f32 v75, 0x32a5705f, v58 :: v_dual_sub_f32 v74, v74, v76
	s_delay_alu instid0(VALU_DEP_1) | instskip(SKIP_1) | instid1(VALU_DEP_2)
	v_add_f32_e32 v74, v74, v75
	v_cvt_i32_f32_e32 v75, v76
	v_exp_f32_e32 v74, v74
	s_waitcnt_depctr 0xfff
	v_ldexp_f32 v74, v74, v75
	s_delay_alu instid0(VALU_DEP_1) | instskip(SKIP_1) | instid1(VALU_DEP_1)
	v_cndmask_b32_e64 v74, 0, v74, s64
	v_cmp_nlt_f32_e64 s64, 0x42b17218, v58
	v_cndmask_b32_e64 v74, 0x7f800000, v74, s64
	v_cmp_ngt_f32_e64 s64, 0xc2ce8ed0, v59
	s_delay_alu instid0(VALU_DEP_2) | instskip(NEXT) | instid1(VALU_DEP_1)
	v_dual_add_f32 v73, v73, v74 :: v_dual_mul_f32 v74, 0x3fb8aa3b, v59
	v_fma_f32 v75, 0x3fb8aa3b, v59, -v74
	v_rndne_f32_e32 v76, v74
	s_delay_alu instid0(VALU_DEP_1) | instskip(NEXT) | instid1(VALU_DEP_1)
	v_dual_fmac_f32 v75, 0x32a5705f, v59 :: v_dual_sub_f32 v74, v74, v76
	v_add_f32_e32 v74, v74, v75
	v_cvt_i32_f32_e32 v75, v76
	s_delay_alu instid0(VALU_DEP_2) | instskip(SKIP_2) | instid1(VALU_DEP_1)
	v_exp_f32_e32 v74, v74
	s_waitcnt_depctr 0xfff
	v_ldexp_f32 v74, v74, v75
	v_cndmask_b32_e64 v74, 0, v74, s64
	v_cmp_nlt_f32_e64 s64, 0x42b17218, v59
	s_delay_alu instid0(VALU_DEP_1) | instskip(SKIP_1) | instid1(VALU_DEP_2)
	v_cndmask_b32_e64 v74, 0x7f800000, v74, s64
	v_cmp_ngt_f32_e64 s64, 0xc2ce8ed0, v62
	v_add_f32_e32 v73, v73, v74
	v_mul_f32_e32 v74, 0x3fb8aa3b, v62
	s_delay_alu instid0(VALU_DEP_1) | instskip(SKIP_1) | instid1(VALU_DEP_1)
	v_fma_f32 v75, 0x3fb8aa3b, v62, -v74
	v_rndne_f32_e32 v76, v74
	v_dual_fmac_f32 v75, 0x32a5705f, v62 :: v_dual_sub_f32 v74, v74, v76
	s_delay_alu instid0(VALU_DEP_1) | instskip(SKIP_1) | instid1(VALU_DEP_2)
	v_add_f32_e32 v74, v74, v75
	v_cvt_i32_f32_e32 v75, v76
	v_exp_f32_e32 v74, v74
	s_waitcnt_depctr 0xfff
	v_ldexp_f32 v74, v74, v75
	s_delay_alu instid0(VALU_DEP_1) | instskip(SKIP_1) | instid1(VALU_DEP_1)
	v_cndmask_b32_e64 v74, 0, v74, s64
	v_cmp_nlt_f32_e64 s64, 0x42b17218, v62
	v_cndmask_b32_e64 v74, 0x7f800000, v74, s64
	v_cmp_ngt_f32_e64 s64, 0xc2ce8ed0, v63
	s_delay_alu instid0(VALU_DEP_2) | instskip(NEXT) | instid1(VALU_DEP_1)
	v_dual_add_f32 v73, v73, v74 :: v_dual_mul_f32 v74, 0x3fb8aa3b, v63
	v_fma_f32 v75, 0x3fb8aa3b, v63, -v74
	v_rndne_f32_e32 v76, v74
	s_delay_alu instid0(VALU_DEP_1) | instskip(NEXT) | instid1(VALU_DEP_1)
	v_dual_fmac_f32 v75, 0x32a5705f, v63 :: v_dual_sub_f32 v74, v74, v76
	v_add_f32_e32 v74, v74, v75
	v_cvt_i32_f32_e32 v75, v76
	s_delay_alu instid0(VALU_DEP_2) | instskip(SKIP_2) | instid1(VALU_DEP_1)
	v_exp_f32_e32 v74, v74
	s_waitcnt_depctr 0xfff
	v_ldexp_f32 v74, v74, v75
	v_cndmask_b32_e64 v74, 0, v74, s64
	v_cmp_nlt_f32_e64 s64, 0x42b17218, v63
	s_delay_alu instid0(VALU_DEP_1) | instskip(SKIP_1) | instid1(VALU_DEP_2)
	v_cndmask_b32_e64 v74, 0x7f800000, v74, s64
	v_cmp_ngt_f32_e64 s64, 0xc2ce8ed0, v64
	v_dual_add_f32 v73, v73, v74 :: v_dual_mul_f32 v74, 0x3fb8aa3b, v64
	s_delay_alu instid0(VALU_DEP_1) | instskip(SKIP_1) | instid1(VALU_DEP_2)
	v_fma_f32 v75, 0x3fb8aa3b, v64, -v74
	v_rndne_f32_e32 v76, v74
	v_fmac_f32_e32 v75, 0x32a5705f, v64
	s_delay_alu instid0(VALU_DEP_2) | instskip(NEXT) | instid1(VALU_DEP_1)
	v_sub_f32_e32 v74, v74, v76
	v_add_f32_e32 v74, v74, v75
	v_cvt_i32_f32_e32 v75, v76
	s_delay_alu instid0(VALU_DEP_2) | instskip(SKIP_2) | instid1(VALU_DEP_1)
	v_exp_f32_e32 v74, v74
	s_waitcnt_depctr 0xfff
	v_ldexp_f32 v74, v74, v75
	v_cndmask_b32_e64 v74, 0, v74, s64
	v_cmp_nlt_f32_e64 s64, 0x42b17218, v64
	s_delay_alu instid0(VALU_DEP_1) | instskip(SKIP_1) | instid1(VALU_DEP_2)
	v_cndmask_b32_e64 v74, 0x7f800000, v74, s64
	v_cmp_ngt_f32_e64 s64, 0xc2ce8ed0, v65
	v_dual_add_f32 v73, v73, v74 :: v_dual_mul_f32 v74, 0x3fb8aa3b, v65
	s_delay_alu instid0(VALU_DEP_1) | instskip(SKIP_1) | instid1(VALU_DEP_1)
	v_fma_f32 v75, 0x3fb8aa3b, v65, -v74
	v_rndne_f32_e32 v76, v74
	v_dual_fmac_f32 v75, 0x32a5705f, v65 :: v_dual_sub_f32 v74, v74, v76
	s_delay_alu instid0(VALU_DEP_1) | instskip(SKIP_1) | instid1(VALU_DEP_2)
	v_add_f32_e32 v74, v74, v75
	v_cvt_i32_f32_e32 v75, v76
	v_exp_f32_e32 v74, v74
	s_waitcnt_depctr 0xfff
	v_ldexp_f32 v74, v74, v75
	s_delay_alu instid0(VALU_DEP_1) | instskip(SKIP_1) | instid1(VALU_DEP_1)
	v_cndmask_b32_e64 v74, 0, v74, s64
	v_cmp_nlt_f32_e64 s64, 0x42b17218, v65
	v_cndmask_b32_e64 v74, 0x7f800000, v74, s64
	v_cmp_ngt_f32_e64 s64, 0xc2ce8ed0, v66
	s_delay_alu instid0(VALU_DEP_2) | instskip(SKIP_1) | instid1(VALU_DEP_1)
	v_add_f32_e32 v73, v73, v74
	v_mul_f32_e32 v74, 0x3fb8aa3b, v66
	v_fma_f32 v75, 0x3fb8aa3b, v66, -v74
	v_rndne_f32_e32 v76, v74
	s_delay_alu instid0(VALU_DEP_1) | instskip(NEXT) | instid1(VALU_DEP_1)
	v_dual_fmac_f32 v75, 0x32a5705f, v66 :: v_dual_sub_f32 v74, v74, v76
	v_add_f32_e32 v74, v74, v75
	v_cvt_i32_f32_e32 v75, v76
	s_delay_alu instid0(VALU_DEP_2) | instskip(SKIP_2) | instid1(VALU_DEP_1)
	v_exp_f32_e32 v74, v74
	s_waitcnt_depctr 0xfff
	v_ldexp_f32 v74, v74, v75
	v_cndmask_b32_e64 v74, 0, v74, s64
	v_cmp_nlt_f32_e64 s64, 0x42b17218, v66
	s_delay_alu instid0(VALU_DEP_1) | instskip(SKIP_1) | instid1(VALU_DEP_2)
	v_cndmask_b32_e64 v74, 0x7f800000, v74, s64
	v_cmp_ngt_f32_e64 s64, 0xc2ce8ed0, v67
	v_dual_add_f32 v73, v73, v74 :: v_dual_mul_f32 v74, 0x3fb8aa3b, v67
	s_delay_alu instid0(VALU_DEP_1) | instskip(SKIP_1) | instid1(VALU_DEP_1)
	v_fma_f32 v75, 0x3fb8aa3b, v67, -v74
	v_rndne_f32_e32 v76, v74
	v_dual_fmac_f32 v75, 0x32a5705f, v67 :: v_dual_sub_f32 v74, v74, v76
	s_delay_alu instid0(VALU_DEP_1) | instskip(SKIP_1) | instid1(VALU_DEP_2)
	v_add_f32_e32 v74, v74, v75
	v_cvt_i32_f32_e32 v75, v76
	v_exp_f32_e32 v74, v74
	s_waitcnt_depctr 0xfff
	v_ldexp_f32 v74, v74, v75
	s_delay_alu instid0(VALU_DEP_1) | instskip(SKIP_1) | instid1(VALU_DEP_1)
	v_cndmask_b32_e64 v74, 0, v74, s64
	v_cmp_nlt_f32_e64 s64, 0x42b17218, v67
	v_cndmask_b32_e64 v74, 0x7f800000, v74, s64
	v_cmp_ngt_f32_e64 s64, 0xc2ce8ed0, v68
	s_delay_alu instid0(VALU_DEP_2) | instskip(NEXT) | instid1(VALU_DEP_1)
	v_dual_add_f32 v73, v73, v74 :: v_dual_mul_f32 v74, 0x3fb8aa3b, v68
	v_fma_f32 v75, 0x3fb8aa3b, v68, -v74
	v_rndne_f32_e32 v76, v74
	s_delay_alu instid0(VALU_DEP_2) | instskip(NEXT) | instid1(VALU_DEP_2)
	v_fmac_f32_e32 v75, 0x32a5705f, v68
	v_sub_f32_e32 v74, v74, v76
	s_delay_alu instid0(VALU_DEP_1) | instskip(SKIP_1) | instid1(VALU_DEP_2)
	v_add_f32_e32 v74, v74, v75
	v_cvt_i32_f32_e32 v75, v76
	v_exp_f32_e32 v74, v74
	s_waitcnt_depctr 0xfff
	v_ldexp_f32 v74, v74, v75
	s_delay_alu instid0(VALU_DEP_1) | instskip(SKIP_1) | instid1(VALU_DEP_1)
	v_cndmask_b32_e64 v74, 0, v74, s64
	v_cmp_nlt_f32_e64 s64, 0x42b17218, v68
	v_cndmask_b32_e64 v74, 0x7f800000, v74, s64
	v_cmp_ngt_f32_e64 s64, 0xc2ce8ed0, v69
	s_delay_alu instid0(VALU_DEP_2) | instskip(NEXT) | instid1(VALU_DEP_1)
	v_dual_add_f32 v73, v73, v74 :: v_dual_mul_f32 v74, 0x3fb8aa3b, v69
	v_fma_f32 v75, 0x3fb8aa3b, v69, -v74
	v_rndne_f32_e32 v76, v74
	s_delay_alu instid0(VALU_DEP_1) | instskip(NEXT) | instid1(VALU_DEP_1)
	v_dual_fmac_f32 v75, 0x32a5705f, v69 :: v_dual_sub_f32 v74, v74, v76
	v_add_f32_e32 v74, v74, v75
	v_cvt_i32_f32_e32 v75, v76
	s_delay_alu instid0(VALU_DEP_2) | instskip(SKIP_2) | instid1(VALU_DEP_1)
	v_exp_f32_e32 v74, v74
	s_waitcnt_depctr 0xfff
	v_ldexp_f32 v74, v74, v75
	v_cndmask_b32_e64 v74, 0, v74, s64
	v_cmp_nlt_f32_e64 s64, 0x42b17218, v69
	s_delay_alu instid0(VALU_DEP_1) | instskip(SKIP_1) | instid1(VALU_DEP_2)
	v_cndmask_b32_e64 v74, 0x7f800000, v74, s64
	v_cmp_ngt_f32_e64 s64, 0xc2ce8ed0, v72
	v_dual_add_f32 v73, v73, v74 :: v_dual_mul_f32 v74, 0x3fb8aa3b, v72
	s_delay_alu instid0(VALU_DEP_1) | instskip(SKIP_1) | instid1(VALU_DEP_2)
	v_fma_f32 v75, 0x3fb8aa3b, v72, -v74
	v_rndne_f32_e32 v76, v74
	v_fmac_f32_e32 v75, 0x32a5705f, v72
	s_delay_alu instid0(VALU_DEP_2) | instskip(NEXT) | instid1(VALU_DEP_1)
	v_sub_f32_e32 v74, v74, v76
	v_add_f32_e32 v74, v74, v75
	v_cvt_i32_f32_e32 v75, v76
	s_delay_alu instid0(VALU_DEP_2) | instskip(SKIP_2) | instid1(VALU_DEP_1)
	v_exp_f32_e32 v74, v74
	s_waitcnt_depctr 0xfff
	v_ldexp_f32 v74, v74, v75
	v_cndmask_b32_e64 v74, 0, v74, s64
	v_cmp_nlt_f32_e64 s64, 0x42b17218, v72
	s_delay_alu instid0(VALU_DEP_1) | instskip(SKIP_1) | instid1(VALU_DEP_2)
	v_cndmask_b32_e64 v74, 0x7f800000, v74, s64
	v_cmp_ngt_f32_e64 s64, 0xc2ce8ed0, v71
	v_dual_add_f32 v73, v73, v74 :: v_dual_mul_f32 v74, 0x3fb8aa3b, v71
	s_delay_alu instid0(VALU_DEP_1) | instskip(SKIP_1) | instid1(VALU_DEP_1)
	v_fma_f32 v75, 0x3fb8aa3b, v71, -v74
	v_rndne_f32_e32 v76, v74
	v_dual_fmac_f32 v75, 0x32a5705f, v71 :: v_dual_sub_f32 v74, v74, v76
	s_delay_alu instid0(VALU_DEP_1) | instskip(SKIP_1) | instid1(VALU_DEP_2)
	v_add_f32_e32 v74, v74, v75
	v_cvt_i32_f32_e32 v75, v76
	v_exp_f32_e32 v74, v74
	s_waitcnt_depctr 0xfff
	v_ldexp_f32 v74, v74, v75
	s_delay_alu instid0(VALU_DEP_1) | instskip(SKIP_1) | instid1(VALU_DEP_1)
	v_cndmask_b32_e64 v74, 0, v74, s64
	v_cmp_nlt_f32_e64 s64, 0x42b17218, v71
	v_cndmask_b32_e64 v74, 0x7f800000, v74, s64
	v_cmp_ngt_f32_e64 s64, 0xc2ce8ed0, v70
	s_delay_alu instid0(VALU_DEP_2) | instskip(SKIP_1) | instid1(VALU_DEP_1)
	v_add_f32_e32 v73, v73, v74
	v_mul_f32_e32 v74, 0x3fb8aa3b, v70
	v_fma_f32 v75, 0x3fb8aa3b, v70, -v74
	v_rndne_f32_e32 v76, v74
	s_delay_alu instid0(VALU_DEP_1) | instskip(NEXT) | instid1(VALU_DEP_1)
	v_dual_fmac_f32 v75, 0x32a5705f, v70 :: v_dual_sub_f32 v74, v74, v76
	v_add_f32_e32 v74, v74, v75
	v_cvt_i32_f32_e32 v75, v76
	s_delay_alu instid0(VALU_DEP_2) | instskip(SKIP_2) | instid1(VALU_DEP_1)
	v_exp_f32_e32 v74, v74
	s_waitcnt_depctr 0xfff
	v_ldexp_f32 v74, v74, v75
	v_cndmask_b32_e64 v74, 0, v74, s64
	v_cmp_nlt_f32_e64 s64, 0x42b17218, v70
	s_delay_alu instid0(VALU_DEP_1) | instskip(SKIP_1) | instid1(VALU_DEP_2)
	v_cndmask_b32_e64 v74, 0x7f800000, v74, s64
	v_cmp_ngt_f32_e64 s64, 0xc2ce8ed0, v61
	v_dual_add_f32 v73, v73, v74 :: v_dual_mul_f32 v74, 0x3fb8aa3b, v61
	s_delay_alu instid0(VALU_DEP_1) | instskip(SKIP_1) | instid1(VALU_DEP_1)
	v_fma_f32 v75, 0x3fb8aa3b, v61, -v74
	v_rndne_f32_e32 v76, v74
	v_dual_fmac_f32 v75, 0x32a5705f, v61 :: v_dual_sub_f32 v74, v74, v76
	s_delay_alu instid0(VALU_DEP_1) | instskip(SKIP_1) | instid1(VALU_DEP_2)
	v_add_f32_e32 v74, v74, v75
	v_cvt_i32_f32_e32 v75, v76
	v_exp_f32_e32 v74, v74
	s_waitcnt_depctr 0xfff
	v_ldexp_f32 v74, v74, v75
	s_delay_alu instid0(VALU_DEP_1) | instskip(SKIP_1) | instid1(VALU_DEP_1)
	v_cndmask_b32_e64 v74, 0, v74, s64
	v_cmp_nlt_f32_e64 s64, 0x42b17218, v61
	v_cndmask_b32_e64 v74, 0x7f800000, v74, s64
	v_cmp_ngt_f32_e64 s64, 0xc2ce8ed0, v60
	s_delay_alu instid0(VALU_DEP_2) | instskip(NEXT) | instid1(VALU_DEP_1)
	v_dual_add_f32 v73, v73, v74 :: v_dual_mul_f32 v74, 0x3fb8aa3b, v60
	v_fma_f32 v75, 0x3fb8aa3b, v60, -v74
	v_rndne_f32_e32 v76, v74
	s_delay_alu instid0(VALU_DEP_2) | instskip(NEXT) | instid1(VALU_DEP_2)
	v_fmac_f32_e32 v75, 0x32a5705f, v60
	v_sub_f32_e32 v74, v74, v76
	s_delay_alu instid0(VALU_DEP_1) | instskip(SKIP_1) | instid1(VALU_DEP_2)
	v_add_f32_e32 v74, v74, v75
	v_cvt_i32_f32_e32 v75, v76
	v_exp_f32_e32 v74, v74
	s_waitcnt_depctr 0xfff
	v_ldexp_f32 v74, v74, v75
	s_delay_alu instid0(VALU_DEP_1) | instskip(SKIP_1) | instid1(VALU_DEP_1)
	v_cndmask_b32_e64 v74, 0, v74, s64
	v_cmp_nlt_f32_e64 s64, 0x42b17218, v60
	v_cndmask_b32_e64 v74, 0x7f800000, v74, s64
	v_cmp_ngt_f32_e64 s64, 0xc2ce8ed0, v56
	s_delay_alu instid0(VALU_DEP_2) | instskip(NEXT) | instid1(VALU_DEP_1)
	v_dual_add_f32 v73, v73, v74 :: v_dual_mul_f32 v74, 0x3fb8aa3b, v56
	v_fma_f32 v75, 0x3fb8aa3b, v56, -v74
	v_rndne_f32_e32 v76, v74
	s_delay_alu instid0(VALU_DEP_2) | instskip(NEXT) | instid1(VALU_DEP_2)
	v_fmac_f32_e32 v75, 0x32a5705f, v56
	v_sub_f32_e32 v74, v74, v76
	s_delay_alu instid0(VALU_DEP_1) | instskip(SKIP_1) | instid1(VALU_DEP_2)
	v_add_f32_e32 v74, v74, v75
	v_cvt_i32_f32_e32 v75, v76
	v_exp_f32_e32 v74, v74
	s_waitcnt_depctr 0xfff
	v_ldexp_f32 v74, v74, v75
	s_delay_alu instid0(VALU_DEP_1) | instskip(SKIP_1) | instid1(VALU_DEP_1)
	v_cndmask_b32_e64 v74, 0, v74, s64
	v_cmp_nlt_f32_e64 s64, 0x42b17218, v56
	v_cndmask_b32_e64 v74, 0x7f800000, v74, s64
	v_cmp_ngt_f32_e64 s64, 0xc2ce8ed0, v57
	s_delay_alu instid0(VALU_DEP_2) | instskip(NEXT) | instid1(VALU_DEP_1)
	v_dual_add_f32 v73, v73, v74 :: v_dual_mul_f32 v74, 0x3fb8aa3b, v57
	v_fma_f32 v75, 0x3fb8aa3b, v57, -v74
	v_rndne_f32_e32 v76, v74
	s_delay_alu instid0(VALU_DEP_1) | instskip(NEXT) | instid1(VALU_DEP_1)
	v_dual_fmac_f32 v75, 0x32a5705f, v57 :: v_dual_sub_f32 v74, v74, v76
	v_add_f32_e32 v74, v74, v75
	v_cvt_i32_f32_e32 v75, v76
	s_delay_alu instid0(VALU_DEP_2) | instskip(SKIP_2) | instid1(VALU_DEP_1)
	v_exp_f32_e32 v74, v74
	s_waitcnt_depctr 0xfff
	v_ldexp_f32 v74, v74, v75
	v_cndmask_b32_e64 v74, 0, v74, s64
	v_cmp_nlt_f32_e64 s64, 0x42b17218, v57
	s_delay_alu instid0(VALU_DEP_1) | instskip(SKIP_1) | instid1(VALU_DEP_2)
	v_cndmask_b32_e64 v74, 0x7f800000, v74, s64
	v_cmp_ngt_f32_e64 s64, 0xc2ce8ed0, v52
	v_dual_add_f32 v73, v73, v74 :: v_dual_mul_f32 v74, 0x3fb8aa3b, v52
	s_delay_alu instid0(VALU_DEP_1) | instskip(SKIP_1) | instid1(VALU_DEP_2)
	v_fma_f32 v75, 0x3fb8aa3b, v52, -v74
	v_rndne_f32_e32 v76, v74
	v_fmac_f32_e32 v75, 0x32a5705f, v52
	s_delay_alu instid0(VALU_DEP_2) | instskip(NEXT) | instid1(VALU_DEP_1)
	v_sub_f32_e32 v74, v74, v76
	v_add_f32_e32 v74, v74, v75
	v_cvt_i32_f32_e32 v75, v76
	s_delay_alu instid0(VALU_DEP_2) | instskip(SKIP_2) | instid1(VALU_DEP_1)
	v_exp_f32_e32 v74, v74
	s_waitcnt_depctr 0xfff
	v_ldexp_f32 v74, v74, v75
	v_cndmask_b32_e64 v74, 0, v74, s64
	v_cmp_nlt_f32_e64 s64, 0x42b17218, v52
	s_delay_alu instid0(VALU_DEP_1) | instskip(SKIP_1) | instid1(VALU_DEP_2)
	v_cndmask_b32_e64 v74, 0x7f800000, v74, s64
	v_cmp_ngt_f32_e64 s64, 0xc2ce8ed0, v51
	v_dual_add_f32 v73, v73, v74 :: v_dual_mul_f32 v74, 0x3fb8aa3b, v51
	s_delay_alu instid0(VALU_DEP_1) | instskip(SKIP_1) | instid1(VALU_DEP_1)
	v_fma_f32 v75, 0x3fb8aa3b, v51, -v74
	v_rndne_f32_e32 v76, v74
	v_dual_fmac_f32 v75, 0x32a5705f, v51 :: v_dual_sub_f32 v74, v74, v76
	s_delay_alu instid0(VALU_DEP_1) | instskip(SKIP_1) | instid1(VALU_DEP_2)
	v_add_f32_e32 v74, v74, v75
	v_cvt_i32_f32_e32 v75, v76
	v_exp_f32_e32 v74, v74
	s_waitcnt_depctr 0xfff
	v_ldexp_f32 v74, v74, v75
	s_delay_alu instid0(VALU_DEP_1) | instskip(SKIP_1) | instid1(VALU_DEP_1)
	v_cndmask_b32_e64 v74, 0, v74, s64
	v_cmp_nlt_f32_e64 s64, 0x42b17218, v51
	v_cndmask_b32_e64 v74, 0x7f800000, v74, s64
	v_cmp_ngt_f32_e64 s64, 0xc2ce8ed0, v48
	s_delay_alu instid0(VALU_DEP_2) | instskip(NEXT) | instid1(VALU_DEP_1)
	v_dual_add_f32 v73, v73, v74 :: v_dual_mul_f32 v74, 0x3fb8aa3b, v48
	v_fma_f32 v75, 0x3fb8aa3b, v48, -v74
	v_rndne_f32_e32 v76, v74
	s_delay_alu instid0(VALU_DEP_2) | instskip(NEXT) | instid1(VALU_DEP_2)
	v_fmac_f32_e32 v75, 0x32a5705f, v48
	v_sub_f32_e32 v74, v74, v76
	s_delay_alu instid0(VALU_DEP_1) | instskip(SKIP_1) | instid1(VALU_DEP_2)
	v_add_f32_e32 v74, v74, v75
	v_cvt_i32_f32_e32 v75, v76
	v_exp_f32_e32 v74, v74
	s_waitcnt_depctr 0xfff
	v_ldexp_f32 v74, v74, v75
	s_delay_alu instid0(VALU_DEP_1) | instskip(SKIP_1) | instid1(VALU_DEP_1)
	v_cndmask_b32_e64 v74, 0, v74, s64
	v_cmp_nlt_f32_e64 s64, 0x42b17218, v48
	v_cndmask_b32_e64 v74, 0x7f800000, v74, s64
	v_cmp_ngt_f32_e64 s64, 0xc2ce8ed0, v47
	s_delay_alu instid0(VALU_DEP_2) | instskip(NEXT) | instid1(VALU_DEP_1)
	v_dual_add_f32 v73, v73, v74 :: v_dual_mul_f32 v74, 0x3fb8aa3b, v47
	v_fma_f32 v75, 0x3fb8aa3b, v47, -v74
	v_rndne_f32_e32 v76, v74
	s_delay_alu instid0(VALU_DEP_1) | instskip(NEXT) | instid1(VALU_DEP_1)
	v_dual_fmac_f32 v75, 0x32a5705f, v47 :: v_dual_sub_f32 v74, v74, v76
	v_add_f32_e32 v74, v74, v75
	v_cvt_i32_f32_e32 v75, v76
	s_delay_alu instid0(VALU_DEP_2) | instskip(SKIP_2) | instid1(VALU_DEP_1)
	v_exp_f32_e32 v74, v74
	s_waitcnt_depctr 0xfff
	v_ldexp_f32 v74, v74, v75
	v_cndmask_b32_e64 v74, 0, v74, s64
	v_cmp_nlt_f32_e64 s64, 0x42b17218, v47
	s_delay_alu instid0(VALU_DEP_1) | instskip(SKIP_1) | instid1(VALU_DEP_2)
	v_cndmask_b32_e64 v74, 0x7f800000, v74, s64
	v_cmp_ngt_f32_e64 s64, 0xc2ce8ed0, v42
	v_add_f32_e32 v73, v73, v74
	v_mul_f32_e32 v74, 0x3fb8aa3b, v42
	s_delay_alu instid0(VALU_DEP_1) | instskip(SKIP_1) | instid1(VALU_DEP_1)
	v_fma_f32 v75, 0x3fb8aa3b, v42, -v74
	v_rndne_f32_e32 v76, v74
	v_dual_fmac_f32 v75, 0x32a5705f, v42 :: v_dual_sub_f32 v74, v74, v76
	s_delay_alu instid0(VALU_DEP_1) | instskip(SKIP_1) | instid1(VALU_DEP_2)
	v_add_f32_e32 v74, v74, v75
	v_cvt_i32_f32_e32 v75, v76
	v_exp_f32_e32 v74, v74
	s_waitcnt_depctr 0xfff
	v_ldexp_f32 v74, v74, v75
	s_delay_alu instid0(VALU_DEP_1) | instskip(SKIP_1) | instid1(VALU_DEP_1)
	v_cndmask_b32_e64 v74, 0, v74, s64
	v_cmp_nlt_f32_e64 s64, 0x42b17218, v42
	v_cndmask_b32_e64 v74, 0x7f800000, v74, s64
	v_cmp_ngt_f32_e64 s64, 0xc2ce8ed0, v43
	s_delay_alu instid0(VALU_DEP_2) | instskip(NEXT) | instid1(VALU_DEP_1)
	v_dual_add_f32 v73, v73, v74 :: v_dual_mul_f32 v74, 0x3fb8aa3b, v43
	v_fma_f32 v75, 0x3fb8aa3b, v43, -v74
	v_rndne_f32_e32 v76, v74
	s_delay_alu instid0(VALU_DEP_1) | instskip(NEXT) | instid1(VALU_DEP_1)
	v_dual_fmac_f32 v75, 0x32a5705f, v43 :: v_dual_sub_f32 v74, v74, v76
	v_add_f32_e32 v74, v74, v75
	v_cvt_i32_f32_e32 v75, v76
	s_delay_alu instid0(VALU_DEP_2) | instskip(SKIP_2) | instid1(VALU_DEP_1)
	v_exp_f32_e32 v74, v74
	s_waitcnt_depctr 0xfff
	v_ldexp_f32 v74, v74, v75
	v_cndmask_b32_e64 v74, 0, v74, s64
	v_cmp_nlt_f32_e64 s64, 0x42b17218, v43
	s_delay_alu instid0(VALU_DEP_1) | instskip(SKIP_1) | instid1(VALU_DEP_2)
	v_cndmask_b32_e64 v74, 0x7f800000, v74, s64
	v_cmp_ngt_f32_e64 s64, 0xc2ce8ed0, v39
	v_dual_add_f32 v73, v73, v74 :: v_dual_mul_f32 v74, 0x3fb8aa3b, v39
	s_delay_alu instid0(VALU_DEP_1) | instskip(SKIP_1) | instid1(VALU_DEP_1)
	v_fma_f32 v75, 0x3fb8aa3b, v39, -v74
	v_rndne_f32_e32 v76, v74
	v_dual_fmac_f32 v75, 0x32a5705f, v39 :: v_dual_sub_f32 v74, v74, v76
	s_delay_alu instid0(VALU_DEP_1) | instskip(SKIP_1) | instid1(VALU_DEP_2)
	v_add_f32_e32 v74, v74, v75
	v_cvt_i32_f32_e32 v75, v76
	v_exp_f32_e32 v74, v74
	s_waitcnt_depctr 0xfff
	v_ldexp_f32 v74, v74, v75
	s_delay_alu instid0(VALU_DEP_1) | instskip(SKIP_1) | instid1(VALU_DEP_1)
	v_cndmask_b32_e64 v74, 0, v74, s64
	v_cmp_nlt_f32_e64 s64, 0x42b17218, v39
	v_cndmask_b32_e64 v74, 0x7f800000, v74, s64
	v_cmp_ngt_f32_e64 s64, 0xc2ce8ed0, v38
	s_delay_alu instid0(VALU_DEP_2) | instskip(SKIP_1) | instid1(VALU_DEP_1)
	v_add_f32_e32 v73, v73, v74
	v_mul_f32_e32 v74, 0x3fb8aa3b, v38
	v_fma_f32 v75, 0x3fb8aa3b, v38, -v74
	v_rndne_f32_e32 v76, v74
	s_delay_alu instid0(VALU_DEP_1) | instskip(NEXT) | instid1(VALU_DEP_1)
	v_dual_fmac_f32 v75, 0x32a5705f, v38 :: v_dual_sub_f32 v74, v74, v76
	v_add_f32_e32 v74, v74, v75
	v_cvt_i32_f32_e32 v75, v76
	s_delay_alu instid0(VALU_DEP_2) | instskip(SKIP_2) | instid1(VALU_DEP_1)
	v_exp_f32_e32 v74, v74
	s_waitcnt_depctr 0xfff
	v_ldexp_f32 v74, v74, v75
	v_cndmask_b32_e64 v74, 0, v74, s64
	v_cmp_nlt_f32_e64 s64, 0x42b17218, v38
	s_delay_alu instid0(VALU_DEP_1) | instskip(SKIP_1) | instid1(VALU_DEP_2)
	v_cndmask_b32_e64 v74, 0x7f800000, v74, s64
	v_cmp_ngt_f32_e64 s64, 0xc2ce8ed0, v37
	v_dual_add_f32 v73, v73, v74 :: v_dual_mul_f32 v74, 0x3fb8aa3b, v37
	s_delay_alu instid0(VALU_DEP_1) | instskip(SKIP_1) | instid1(VALU_DEP_1)
	v_fma_f32 v75, 0x3fb8aa3b, v37, -v74
	v_rndne_f32_e32 v76, v74
	v_dual_fmac_f32 v75, 0x32a5705f, v37 :: v_dual_sub_f32 v74, v74, v76
	s_delay_alu instid0(VALU_DEP_1) | instskip(SKIP_1) | instid1(VALU_DEP_2)
	v_add_f32_e32 v74, v74, v75
	v_cvt_i32_f32_e32 v75, v76
	v_exp_f32_e32 v74, v74
	s_waitcnt_depctr 0xfff
	v_ldexp_f32 v74, v74, v75
	s_delay_alu instid0(VALU_DEP_1) | instskip(SKIP_1) | instid1(VALU_DEP_1)
	v_cndmask_b32_e64 v74, 0, v74, s64
	v_cmp_nlt_f32_e64 s64, 0x42b17218, v37
	v_cndmask_b32_e64 v74, 0x7f800000, v74, s64
	v_cmp_ngt_f32_e64 s64, 0xc2ce8ed0, v36
	s_delay_alu instid0(VALU_DEP_2) | instskip(NEXT) | instid1(VALU_DEP_1)
	v_dual_add_f32 v73, v73, v74 :: v_dual_mul_f32 v74, 0x3fb8aa3b, v36
	v_fma_f32 v75, 0x3fb8aa3b, v36, -v74
	v_rndne_f32_e32 v76, v74
	s_delay_alu instid0(VALU_DEP_2) | instskip(NEXT) | instid1(VALU_DEP_2)
	v_fmac_f32_e32 v75, 0x32a5705f, v36
	v_sub_f32_e32 v74, v74, v76
	s_delay_alu instid0(VALU_DEP_1) | instskip(SKIP_1) | instid1(VALU_DEP_2)
	v_add_f32_e32 v74, v74, v75
	v_cvt_i32_f32_e32 v75, v76
	v_exp_f32_e32 v74, v74
	s_waitcnt_depctr 0xfff
	v_ldexp_f32 v74, v74, v75
	s_delay_alu instid0(VALU_DEP_1) | instskip(SKIP_1) | instid1(VALU_DEP_1)
	v_cndmask_b32_e64 v74, 0, v74, s64
	v_cmp_nlt_f32_e64 s64, 0x42b17218, v36
	v_cndmask_b32_e64 v74, 0x7f800000, v74, s64
	v_cmp_ngt_f32_e64 s64, 0xc2ce8ed0, v33
	s_delay_alu instid0(VALU_DEP_2) | instskip(NEXT) | instid1(VALU_DEP_1)
	v_dual_add_f32 v73, v73, v74 :: v_dual_mul_f32 v74, 0x3fb8aa3b, v33
	v_fma_f32 v75, 0x3fb8aa3b, v33, -v74
	v_rndne_f32_e32 v76, v74
	s_delay_alu instid0(VALU_DEP_1) | instskip(NEXT) | instid1(VALU_DEP_1)
	v_dual_fmac_f32 v75, 0x32a5705f, v33 :: v_dual_sub_f32 v74, v74, v76
	v_add_f32_e32 v74, v74, v75
	v_cvt_i32_f32_e32 v75, v76
	s_delay_alu instid0(VALU_DEP_2) | instskip(SKIP_2) | instid1(VALU_DEP_1)
	v_exp_f32_e32 v74, v74
	s_waitcnt_depctr 0xfff
	v_ldexp_f32 v74, v74, v75
	v_cndmask_b32_e64 v74, 0, v74, s64
	v_cmp_nlt_f32_e64 s64, 0x42b17218, v33
	s_delay_alu instid0(VALU_DEP_1) | instskip(SKIP_1) | instid1(VALU_DEP_2)
	v_cndmask_b32_e64 v74, 0x7f800000, v74, s64
	v_cmp_ngt_f32_e64 s64, 0xc2ce8ed0, v34
	v_add_f32_e32 v73, v73, v74
	v_mul_f32_e32 v74, 0x3fb8aa3b, v34
	s_delay_alu instid0(VALU_DEP_1) | instskip(SKIP_1) | instid1(VALU_DEP_1)
	v_fma_f32 v75, 0x3fb8aa3b, v34, -v74
	v_rndne_f32_e32 v76, v74
	v_dual_fmac_f32 v75, 0x32a5705f, v34 :: v_dual_sub_f32 v74, v74, v76
	s_delay_alu instid0(VALU_DEP_1) | instskip(SKIP_1) | instid1(VALU_DEP_2)
	v_add_f32_e32 v74, v74, v75
	v_cvt_i32_f32_e32 v75, v76
	v_exp_f32_e32 v74, v74
	s_waitcnt_depctr 0xfff
	v_ldexp_f32 v74, v74, v75
	s_delay_alu instid0(VALU_DEP_1) | instskip(SKIP_1) | instid1(VALU_DEP_1)
	v_cndmask_b32_e64 v74, 0, v74, s64
	v_cmp_nlt_f32_e64 s64, 0x42b17218, v34
	v_cndmask_b32_e64 v74, 0x7f800000, v74, s64
	v_cmp_ngt_f32_e64 s64, 0xc2ce8ed0, v30
	s_delay_alu instid0(VALU_DEP_2) | instskip(SKIP_1) | instid1(VALU_DEP_1)
	v_add_f32_e32 v73, v73, v74
	v_mul_f32_e32 v74, 0x3fb8aa3b, v30
	v_fma_f32 v75, 0x3fb8aa3b, v30, -v74
	v_rndne_f32_e32 v76, v74
	s_delay_alu instid0(VALU_DEP_1) | instskip(NEXT) | instid1(VALU_DEP_1)
	v_dual_fmac_f32 v75, 0x32a5705f, v30 :: v_dual_sub_f32 v74, v74, v76
	v_add_f32_e32 v74, v74, v75
	v_cvt_i32_f32_e32 v75, v76
	s_delay_alu instid0(VALU_DEP_2) | instskip(SKIP_2) | instid1(VALU_DEP_1)
	v_exp_f32_e32 v74, v74
	s_waitcnt_depctr 0xfff
	v_ldexp_f32 v74, v74, v75
	v_cndmask_b32_e64 v74, 0, v74, s64
	v_cmp_nlt_f32_e64 s64, 0x42b17218, v30
	s_delay_alu instid0(VALU_DEP_1) | instskip(SKIP_1) | instid1(VALU_DEP_2)
	v_cndmask_b32_e64 v74, 0x7f800000, v74, s64
	v_cmp_ngt_f32_e64 s64, 0xc2ce8ed0, v29
	v_dual_add_f32 v73, v73, v74 :: v_dual_mul_f32 v74, 0x3fb8aa3b, v29
	s_delay_alu instid0(VALU_DEP_1) | instskip(SKIP_1) | instid1(VALU_DEP_1)
	v_fma_f32 v75, 0x3fb8aa3b, v29, -v74
	v_rndne_f32_e32 v76, v74
	v_dual_fmac_f32 v75, 0x32a5705f, v29 :: v_dual_sub_f32 v74, v74, v76
	s_delay_alu instid0(VALU_DEP_1) | instskip(SKIP_1) | instid1(VALU_DEP_2)
	v_add_f32_e32 v74, v74, v75
	v_cvt_i32_f32_e32 v75, v76
	v_exp_f32_e32 v74, v74
	s_waitcnt_depctr 0xfff
	v_ldexp_f32 v74, v74, v75
	s_delay_alu instid0(VALU_DEP_1) | instskip(SKIP_1) | instid1(VALU_DEP_1)
	v_cndmask_b32_e64 v74, 0, v74, s64
	v_cmp_nlt_f32_e64 s64, 0x42b17218, v29
	v_cndmask_b32_e64 v74, 0x7f800000, v74, s64
	v_cmp_ngt_f32_e64 s64, 0xc2ce8ed0, v26
	s_delay_alu instid0(VALU_DEP_2) | instskip(SKIP_1) | instid1(VALU_DEP_1)
	v_add_f32_e32 v73, v73, v74
	v_mul_f32_e32 v74, 0x3fb8aa3b, v26
	v_fma_f32 v75, 0x3fb8aa3b, v26, -v74
	v_rndne_f32_e32 v76, v74
	s_delay_alu instid0(VALU_DEP_1) | instskip(NEXT) | instid1(VALU_DEP_1)
	v_dual_fmac_f32 v75, 0x32a5705f, v26 :: v_dual_sub_f32 v74, v74, v76
	v_add_f32_e32 v74, v74, v75
	v_cvt_i32_f32_e32 v75, v76
	s_delay_alu instid0(VALU_DEP_2) | instskip(SKIP_2) | instid1(VALU_DEP_1)
	v_exp_f32_e32 v74, v74
	s_waitcnt_depctr 0xfff
	v_ldexp_f32 v74, v74, v75
	v_cndmask_b32_e64 v74, 0, v74, s64
	v_cmp_nlt_f32_e64 s64, 0x42b17218, v26
	s_delay_alu instid0(VALU_DEP_1) | instskip(SKIP_1) | instid1(VALU_DEP_2)
	v_cndmask_b32_e64 v74, 0x7f800000, v74, s64
	v_cmp_ngt_f32_e64 s64, 0xc2ce8ed0, v25
	v_dual_add_f32 v73, v73, v74 :: v_dual_mul_f32 v74, 0x3fb8aa3b, v25
	s_delay_alu instid0(VALU_DEP_1) | instskip(SKIP_1) | instid1(VALU_DEP_1)
	v_fma_f32 v75, 0x3fb8aa3b, v25, -v74
	v_rndne_f32_e32 v76, v74
	v_dual_fmac_f32 v75, 0x32a5705f, v25 :: v_dual_sub_f32 v74, v74, v76
	s_delay_alu instid0(VALU_DEP_1) | instskip(SKIP_1) | instid1(VALU_DEP_2)
	v_add_f32_e32 v74, v74, v75
	v_cvt_i32_f32_e32 v75, v76
	v_exp_f32_e32 v74, v74
	s_waitcnt_depctr 0xfff
	v_ldexp_f32 v74, v74, v75
	s_delay_alu instid0(VALU_DEP_1) | instskip(SKIP_1) | instid1(VALU_DEP_1)
	v_cndmask_b32_e64 v74, 0, v74, s64
	v_cmp_nlt_f32_e64 s64, 0x42b17218, v25
	v_cndmask_b32_e64 v74, 0x7f800000, v74, s64
	v_cmp_ngt_f32_e64 s64, 0xc2ce8ed0, v21
	s_delay_alu instid0(VALU_DEP_2) | instskip(NEXT) | instid1(VALU_DEP_1)
	v_dual_add_f32 v73, v73, v74 :: v_dual_mul_f32 v74, 0x3fb8aa3b, v21
	v_fma_f32 v75, 0x3fb8aa3b, v21, -v74
	v_rndne_f32_e32 v76, v74
	s_delay_alu instid0(VALU_DEP_1) | instskip(NEXT) | instid1(VALU_DEP_1)
	v_dual_fmac_f32 v75, 0x32a5705f, v21 :: v_dual_sub_f32 v74, v74, v76
	v_add_f32_e32 v74, v74, v75
	v_cvt_i32_f32_e32 v75, v76
	s_delay_alu instid0(VALU_DEP_2) | instskip(SKIP_2) | instid1(VALU_DEP_1)
	v_exp_f32_e32 v74, v74
	s_waitcnt_depctr 0xfff
	v_ldexp_f32 v74, v74, v75
	v_cndmask_b32_e64 v74, 0, v74, s64
	v_cmp_nlt_f32_e64 s64, 0x42b17218, v21
	s_delay_alu instid0(VALU_DEP_1) | instskip(SKIP_1) | instid1(VALU_DEP_2)
	v_cndmask_b32_e64 v74, 0x7f800000, v74, s64
	v_cmp_ngt_f32_e64 s64, 0xc2ce8ed0, v22
	v_add_f32_e32 v73, v73, v74
	v_mul_f32_e32 v74, 0x3fb8aa3b, v22
	s_delay_alu instid0(VALU_DEP_1) | instskip(SKIP_1) | instid1(VALU_DEP_1)
	v_fma_f32 v75, 0x3fb8aa3b, v22, -v74
	v_rndne_f32_e32 v76, v74
	v_dual_fmac_f32 v75, 0x32a5705f, v22 :: v_dual_sub_f32 v74, v74, v76
	s_delay_alu instid0(VALU_DEP_1) | instskip(SKIP_1) | instid1(VALU_DEP_2)
	v_add_f32_e32 v74, v74, v75
	v_cvt_i32_f32_e32 v75, v76
	v_exp_f32_e32 v74, v74
	s_waitcnt_depctr 0xfff
	v_ldexp_f32 v74, v74, v75
	s_delay_alu instid0(VALU_DEP_1) | instskip(SKIP_1) | instid1(VALU_DEP_1)
	v_cndmask_b32_e64 v74, 0, v74, s64
	v_cmp_nlt_f32_e64 s64, 0x42b17218, v22
	v_cndmask_b32_e64 v74, 0x7f800000, v74, s64
	v_cmp_ngt_f32_e64 s64, 0xc2ce8ed0, v17
	s_delay_alu instid0(VALU_DEP_2) | instskip(NEXT) | instid1(VALU_DEP_1)
	v_dual_add_f32 v73, v73, v74 :: v_dual_mul_f32 v74, 0x3fb8aa3b, v17
	v_fma_f32 v75, 0x3fb8aa3b, v17, -v74
	v_rndne_f32_e32 v76, v74
	s_delay_alu instid0(VALU_DEP_1) | instskip(NEXT) | instid1(VALU_DEP_1)
	v_dual_fmac_f32 v75, 0x32a5705f, v17 :: v_dual_sub_f32 v74, v74, v76
	v_add_f32_e32 v74, v74, v75
	v_cvt_i32_f32_e32 v75, v76
	s_delay_alu instid0(VALU_DEP_2) | instskip(SKIP_2) | instid1(VALU_DEP_1)
	v_exp_f32_e32 v74, v74
	s_waitcnt_depctr 0xfff
	v_ldexp_f32 v74, v74, v75
	v_cndmask_b32_e64 v74, 0, v74, s64
	v_cmp_nlt_f32_e64 s64, 0x42b17218, v17
	s_delay_alu instid0(VALU_DEP_1) | instskip(SKIP_1) | instid1(VALU_DEP_2)
	v_cndmask_b32_e64 v74, 0x7f800000, v74, s64
	v_cmp_ngt_f32_e64 s64, 0xc2ce8ed0, v16
	v_dual_add_f32 v73, v73, v74 :: v_dual_mul_f32 v74, 0x3fb8aa3b, v16
	s_delay_alu instid0(VALU_DEP_1) | instskip(SKIP_1) | instid1(VALU_DEP_2)
	v_fma_f32 v75, 0x3fb8aa3b, v16, -v74
	v_rndne_f32_e32 v76, v74
	v_fmac_f32_e32 v75, 0x32a5705f, v16
	s_delay_alu instid0(VALU_DEP_2) | instskip(NEXT) | instid1(VALU_DEP_1)
	v_sub_f32_e32 v74, v74, v76
	v_add_f32_e32 v74, v74, v75
	v_cvt_i32_f32_e32 v75, v76
	s_delay_alu instid0(VALU_DEP_2) | instskip(SKIP_2) | instid1(VALU_DEP_1)
	v_exp_f32_e32 v74, v74
	s_waitcnt_depctr 0xfff
	v_ldexp_f32 v74, v74, v75
	v_cndmask_b32_e64 v74, 0, v74, s64
	v_cmp_nlt_f32_e64 s64, 0x42b17218, v16
	s_delay_alu instid0(VALU_DEP_1) | instskip(SKIP_1) | instid1(VALU_DEP_2)
	v_cndmask_b32_e64 v74, 0x7f800000, v74, s64
	v_cmp_ngt_f32_e64 s64, 0xc2ce8ed0, v12
	v_dual_add_f32 v73, v73, v74 :: v_dual_mul_f32 v74, 0x3fb8aa3b, v12
	s_delay_alu instid0(VALU_DEP_1) | instskip(SKIP_1) | instid1(VALU_DEP_2)
	v_fma_f32 v75, 0x3fb8aa3b, v12, -v74
	v_rndne_f32_e32 v76, v74
	v_fmac_f32_e32 v75, 0x32a5705f, v12
	s_delay_alu instid0(VALU_DEP_2) | instskip(NEXT) | instid1(VALU_DEP_1)
	v_sub_f32_e32 v74, v74, v76
	v_add_f32_e32 v74, v74, v75
	v_cvt_i32_f32_e32 v75, v76
	s_delay_alu instid0(VALU_DEP_2) | instskip(SKIP_2) | instid1(VALU_DEP_1)
	v_exp_f32_e32 v74, v74
	s_waitcnt_depctr 0xfff
	v_ldexp_f32 v74, v74, v75
	v_cndmask_b32_e64 v74, 0, v74, s64
	v_cmp_nlt_f32_e64 s64, 0x42b17218, v12
	s_delay_alu instid0(VALU_DEP_1) | instskip(NEXT) | instid1(VALU_DEP_1)
	v_cndmask_b32_e64 v74, 0x7f800000, v74, s64
	v_dual_add_f32 v73, v73, v74 :: v_dual_mul_f32 v74, 0x3fb8aa3b, v11
	s_delay_alu instid0(VALU_DEP_1) | instskip(SKIP_1) | instid1(VALU_DEP_1)
	v_fma_f32 v75, 0x3fb8aa3b, v11, -v74
	v_rndne_f32_e32 v76, v74
	v_dual_fmac_f32 v75, 0x32a5705f, v11 :: v_dual_sub_f32 v74, v74, v76
	s_delay_alu instid0(VALU_DEP_1) | instskip(SKIP_2) | instid1(VALU_DEP_3)
	v_add_f32_e32 v74, v74, v75
	v_cvt_i32_f32_e32 v75, v76
	v_cmp_ngt_f32_e64 s64, 0xc2ce8ed0, v11
	v_exp_f32_e32 v74, v74
	s_waitcnt_depctr 0xfff
	v_ldexp_f32 v74, v74, v75
	s_delay_alu instid0(VALU_DEP_1) | instskip(SKIP_1) | instid1(VALU_DEP_1)
	v_cndmask_b32_e64 v74, 0, v74, s64
	v_cmp_nlt_f32_e64 s64, 0x42b17218, v11
	v_cndmask_b32_e64 v74, 0x7f800000, v74, s64
	v_cmp_ngt_f32_e64 s64, 0xc2ce8ed0, v10
	s_delay_alu instid0(VALU_DEP_2) | instskip(SKIP_1) | instid1(VALU_DEP_1)
	v_add_f32_e32 v73, v73, v74
	v_mul_f32_e32 v74, 0x3fb8aa3b, v10
	v_fma_f32 v75, 0x3fb8aa3b, v10, -v74
	v_rndne_f32_e32 v76, v74
	s_delay_alu instid0(VALU_DEP_1) | instskip(NEXT) | instid1(VALU_DEP_1)
	v_dual_fmac_f32 v75, 0x32a5705f, v10 :: v_dual_sub_f32 v74, v74, v76
	v_add_f32_e32 v74, v74, v75
	v_cvt_i32_f32_e32 v75, v76
	s_delay_alu instid0(VALU_DEP_2) | instskip(SKIP_2) | instid1(VALU_DEP_1)
	v_exp_f32_e32 v74, v74
	s_waitcnt_depctr 0xfff
	v_ldexp_f32 v74, v74, v75
	v_cndmask_b32_e64 v74, 0, v74, s64
	v_cmp_nlt_f32_e64 s64, 0x42b17218, v10
	s_delay_alu instid0(VALU_DEP_1) | instskip(SKIP_1) | instid1(VALU_DEP_2)
	v_cndmask_b32_e64 v74, 0x7f800000, v74, s64
	v_cmp_ngt_f32_e64 s64, 0xc2ce8ed0, v9
	v_dual_add_f32 v73, v73, v74 :: v_dual_mul_f32 v74, 0x3fb8aa3b, v9
	s_delay_alu instid0(VALU_DEP_1) | instskip(SKIP_1) | instid1(VALU_DEP_1)
	v_fma_f32 v75, 0x3fb8aa3b, v9, -v74
	v_rndne_f32_e32 v76, v74
	v_dual_fmac_f32 v75, 0x32a5705f, v9 :: v_dual_sub_f32 v74, v74, v76
	s_delay_alu instid0(VALU_DEP_1) | instskip(SKIP_1) | instid1(VALU_DEP_2)
	v_add_f32_e32 v74, v74, v75
	v_cvt_i32_f32_e32 v75, v76
	v_exp_f32_e32 v74, v74
	s_waitcnt_depctr 0xfff
	v_ldexp_f32 v74, v74, v75
	s_delay_alu instid0(VALU_DEP_1) | instskip(SKIP_1) | instid1(VALU_DEP_1)
	v_cndmask_b32_e64 v74, 0, v74, s64
	v_cmp_nlt_f32_e64 s64, 0x42b17218, v9
	v_cndmask_b32_e64 v74, 0x7f800000, v74, s64
	v_cmp_ngt_f32_e64 s64, 0xc2ce8ed0, v7
	s_delay_alu instid0(VALU_DEP_2) | instskip(NEXT) | instid1(VALU_DEP_1)
	v_dual_add_f32 v73, v73, v74 :: v_dual_mul_f32 v74, 0x3fb8aa3b, v7
	v_fma_f32 v75, 0x3fb8aa3b, v7, -v74
	v_rndne_f32_e32 v76, v74
	s_delay_alu instid0(VALU_DEP_1) | instskip(NEXT) | instid1(VALU_DEP_1)
	v_dual_fmac_f32 v75, 0x32a5705f, v7 :: v_dual_sub_f32 v74, v74, v76
	v_add_f32_e32 v74, v74, v75
	v_cvt_i32_f32_e32 v75, v76
	s_delay_alu instid0(VALU_DEP_2) | instskip(SKIP_2) | instid1(VALU_DEP_1)
	v_exp_f32_e32 v74, v74
	s_waitcnt_depctr 0xfff
	v_ldexp_f32 v74, v74, v75
	v_cndmask_b32_e64 v74, 0, v74, s64
	v_cmp_nlt_f32_e64 s64, 0x42b17218, v7
	s_delay_alu instid0(VALU_DEP_1) | instskip(SKIP_1) | instid1(VALU_DEP_2)
	v_cndmask_b32_e64 v74, 0x7f800000, v74, s64
	v_cmp_ngt_f32_e64 s64, 0xc2ce8ed0, v8
	v_dual_add_f32 v73, v73, v74 :: v_dual_mul_f32 v74, 0x3fb8aa3b, v8
	s_delay_alu instid0(VALU_DEP_1) | instskip(SKIP_1) | instid1(VALU_DEP_2)
	v_fma_f32 v75, 0x3fb8aa3b, v8, -v74
	v_rndne_f32_e32 v76, v74
	v_fmac_f32_e32 v75, 0x32a5705f, v8
	s_delay_alu instid0(VALU_DEP_2) | instskip(NEXT) | instid1(VALU_DEP_1)
	v_sub_f32_e32 v74, v74, v76
	v_add_f32_e32 v74, v74, v75
	v_cvt_i32_f32_e32 v75, v76
	s_delay_alu instid0(VALU_DEP_2) | instskip(SKIP_3) | instid1(VALU_DEP_2)
	v_exp_f32_e32 v74, v74
	s_waitcnt_depctr 0xfff
	v_ldexp_f32 v74, v74, v75
	v_rndne_f32_e32 v75, v24
	v_cndmask_b32_e64 v74, 0, v74, s64
	v_cmp_nlt_f32_e64 s64, 0x42b17218, v8
	s_delay_alu instid0(VALU_DEP_1) | instskip(SKIP_1) | instid1(VALU_DEP_2)
	v_cndmask_b32_e64 v74, 0x7f800000, v74, s64
	v_cmp_ngt_f32_e64 s64, 0xc2ce8ed0, v6
	v_add_f32_e32 v73, v73, v74
	v_fma_f32 v74, 0x3fb8aa3b, v6, -v24
	v_sub_f32_e32 v24, v24, v75
	s_delay_alu instid0(VALU_DEP_2) | instskip(NEXT) | instid1(VALU_DEP_1)
	v_fmac_f32_e32 v74, 0x32a5705f, v6
	v_add_f32_e32 v24, v24, v74
	v_cvt_i32_f32_e32 v74, v75
	s_delay_alu instid0(VALU_DEP_2) | instskip(SKIP_2) | instid1(VALU_DEP_1)
	v_exp_f32_e32 v24, v24
	s_waitcnt_depctr 0xfff
	v_ldexp_f32 v24, v24, v74
	v_cndmask_b32_e64 v24, 0, v24, s64
	v_cmp_nlt_f32_e64 s64, 0x42b17218, v6
	s_delay_alu instid0(VALU_DEP_1) | instskip(NEXT) | instid1(VALU_DEP_1)
	v_cndmask_b32_e64 v24, 0x7f800000, v24, s64
	v_add_f32_e32 v24, v73, v24
	ds_bpermute_b32 v2, v2, v24
	s_waitcnt lgkmcnt(0)
	v_add_f32_e32 v2, v24, v2
	ds_bpermute_b32 v4, v4, v2
	s_waitcnt lgkmcnt(0)
	;; [unrolled: 3-line block ×4, first 2 shown]
	v_add_f32_e32 v2, v2, v4
	ds_bpermute_b32 v4, v18, v2
	v_cmpx_lt_i32_e32 0, v5
	s_cbranch_execz .LBB128_194
; %bb.129:
	s_and_b32 exec_lo, exec_lo, s0
	s_cbranch_execz .LBB128_194
; %bb.130:
	s_waitcnt lgkmcnt(0)
	v_add_f32_e32 v2, v2, v4
	v_lshlrev_b64 v[0:1], 2, v[0:1]
	s_delay_alu instid0(VALU_DEP_2) | instskip(NEXT) | instid1(VALU_DEP_1)
	v_cmp_gt_f32_e64 s0, 0x800000, v2
	v_cndmask_b32_e64 v4, 1.0, 0x4f800000, s0
	s_delay_alu instid0(VALU_DEP_1) | instskip(NEXT) | instid1(VALU_DEP_1)
	v_mul_f32_e32 v2, v2, v4
	v_log_f32_e32 v2, v2
	s_waitcnt_depctr 0xfff
	v_mul_f32_e32 v4, 0x3f317217, v2
	v_cmp_gt_f32_e64 s64, 0x7f800000, |v2|
	s_delay_alu instid0(VALU_DEP_2) | instskip(NEXT) | instid1(VALU_DEP_1)
	v_fma_f32 v5, 0x3f317217, v2, -v4
	v_fmamk_f32 v5, v2, 0x3377d1cf, v5
	s_delay_alu instid0(VALU_DEP_1) | instskip(NEXT) | instid1(VALU_DEP_1)
	v_add_f32_e32 v4, v4, v5
	v_cndmask_b32_e64 v2, v2, v4, s64
	v_cndmask_b32_e64 v4, 0, 0x41b17218, s0
	v_add_co_u32 v0, s0, s68, v0
	s_delay_alu instid0(VALU_DEP_1) | instskip(NEXT) | instid1(VALU_DEP_3)
	v_add_co_ci_u32_e64 v1, s0, s69, v1, s0
	v_sub_f32_e32 v2, v2, v4
	s_delay_alu instid0(VALU_DEP_1)
	v_sub_f32_e32 v3, v3, v2
	global_store_b32 v[0:1], v3, off
	s_and_b32 exec_lo, exec_lo, vcc_lo
	s_cbranch_execz .LBB128_194
; %bb.131:
	v_sub_f32_e32 v3, v15, v2
	global_store_b32 v[0:1], v3, off offset:128
	s_and_b32 exec_lo, exec_lo, s1
	s_cbranch_execz .LBB128_194
; %bb.132:
	v_sub_f32_e32 v3, v19, v2
	global_store_b32 v[0:1], v3, off offset:256
	s_and_b32 exec_lo, exec_lo, s2
	;; [unrolled: 5-line block ×31, first 2 shown]
	s_cbranch_execz .LBB128_194
; %bb.162:
	v_add_co_u32 v0, vcc_lo, 0x1000, v0
	v_sub_f32_e32 v3, v70, v2
	v_add_co_ci_u32_e32 v1, vcc_lo, 0, v1, vcc_lo
	global_store_b32 v[0:1], v3, off
	s_and_b32 exec_lo, exec_lo, s33
	s_cbranch_execz .LBB128_194
; %bb.163:
	v_sub_f32_e32 v3, v61, v2
	global_store_b32 v[0:1], v3, off offset:128
	s_and_b32 exec_lo, exec_lo, s34
	s_cbranch_execz .LBB128_194
; %bb.164:
	v_sub_f32_e32 v3, v60, v2
	global_store_b32 v[0:1], v3, off offset:256
	;; [unrolled: 5-line block ×31, first 2 shown]
.LBB128_194:
	s_nop 0
	s_sendmsg sendmsg(MSG_DEALLOC_VGPRS)
	s_endpgm
	.section	.rodata,"a",@progbits
	.p2align	6, 0x0
	.amdhsa_kernel _ZN12_GLOBAL__N_120softmax_warp_forwardIN3c104HalfEffLi11ELb1ELb0ELi32EEEvPT0_PKT_iiiPKbib
		.amdhsa_group_segment_fixed_size 0
		.amdhsa_private_segment_fixed_size 0
		.amdhsa_kernarg_size 304
		.amdhsa_user_sgpr_count 15
		.amdhsa_user_sgpr_dispatch_ptr 0
		.amdhsa_user_sgpr_queue_ptr 0
		.amdhsa_user_sgpr_kernarg_segment_ptr 1
		.amdhsa_user_sgpr_dispatch_id 0
		.amdhsa_user_sgpr_private_segment_size 0
		.amdhsa_wavefront_size32 1
		.amdhsa_uses_dynamic_stack 0
		.amdhsa_enable_private_segment 0
		.amdhsa_system_sgpr_workgroup_id_x 1
		.amdhsa_system_sgpr_workgroup_id_y 0
		.amdhsa_system_sgpr_workgroup_id_z 0
		.amdhsa_system_sgpr_workgroup_info 0
		.amdhsa_system_vgpr_workitem_id 1
		.amdhsa_next_free_vgpr 77
		.amdhsa_next_free_sgpr 76
		.amdhsa_reserve_vcc 1
		.amdhsa_float_round_mode_32 0
		.amdhsa_float_round_mode_16_64 0
		.amdhsa_float_denorm_mode_32 3
		.amdhsa_float_denorm_mode_16_64 3
		.amdhsa_dx10_clamp 1
		.amdhsa_ieee_mode 1
		.amdhsa_fp16_overflow 0
		.amdhsa_workgroup_processor_mode 1
		.amdhsa_memory_ordered 1
		.amdhsa_forward_progress 0
		.amdhsa_shared_vgpr_count 0
		.amdhsa_exception_fp_ieee_invalid_op 0
		.amdhsa_exception_fp_denorm_src 0
		.amdhsa_exception_fp_ieee_div_zero 0
		.amdhsa_exception_fp_ieee_overflow 0
		.amdhsa_exception_fp_ieee_underflow 0
		.amdhsa_exception_fp_ieee_inexact 0
		.amdhsa_exception_int_div_zero 0
	.end_amdhsa_kernel
	.section	.text._ZN12_GLOBAL__N_120softmax_warp_forwardIN3c104HalfEffLi11ELb1ELb0ELi32EEEvPT0_PKT_iiiPKbib,"axG",@progbits,_ZN12_GLOBAL__N_120softmax_warp_forwardIN3c104HalfEffLi11ELb1ELb0ELi32EEEvPT0_PKT_iiiPKbib,comdat
.Lfunc_end128:
	.size	_ZN12_GLOBAL__N_120softmax_warp_forwardIN3c104HalfEffLi11ELb1ELb0ELi32EEEvPT0_PKT_iiiPKbib, .Lfunc_end128-_ZN12_GLOBAL__N_120softmax_warp_forwardIN3c104HalfEffLi11ELb1ELb0ELi32EEEvPT0_PKT_iiiPKbib
                                        ; -- End function
	.section	.AMDGPU.csdata,"",@progbits
; Kernel info:
; codeLenInByte = 15276
; NumSgprs: 78
; NumVgprs: 77
; ScratchSize: 0
; MemoryBound: 0
; FloatMode: 240
; IeeeMode: 1
; LDSByteSize: 0 bytes/workgroup (compile time only)
; SGPRBlocks: 9
; VGPRBlocks: 9
; NumSGPRsForWavesPerEU: 78
; NumVGPRsForWavesPerEU: 77
; Occupancy: 16
; WaveLimiterHint : 0
; COMPUTE_PGM_RSRC2:SCRATCH_EN: 0
; COMPUTE_PGM_RSRC2:USER_SGPR: 15
; COMPUTE_PGM_RSRC2:TRAP_HANDLER: 0
; COMPUTE_PGM_RSRC2:TGID_X_EN: 1
; COMPUTE_PGM_RSRC2:TGID_Y_EN: 0
; COMPUTE_PGM_RSRC2:TGID_Z_EN: 0
; COMPUTE_PGM_RSRC2:TIDIG_COMP_CNT: 1
	.section	.text._ZN2at6native12_GLOBAL__N_123cunn_SoftMaxForwardSmemILi8EN3c104HalfEffNS1_25LogSoftMaxForwardEpilogueElEEvPT2_PKT0_T4_,"axG",@progbits,_ZN2at6native12_GLOBAL__N_123cunn_SoftMaxForwardSmemILi8EN3c104HalfEffNS1_25LogSoftMaxForwardEpilogueElEEvPT2_PKT0_T4_,comdat
	.globl	_ZN2at6native12_GLOBAL__N_123cunn_SoftMaxForwardSmemILi8EN3c104HalfEffNS1_25LogSoftMaxForwardEpilogueElEEvPT2_PKT0_T4_ ; -- Begin function _ZN2at6native12_GLOBAL__N_123cunn_SoftMaxForwardSmemILi8EN3c104HalfEffNS1_25LogSoftMaxForwardEpilogueElEEvPT2_PKT0_T4_
	.p2align	8
	.type	_ZN2at6native12_GLOBAL__N_123cunn_SoftMaxForwardSmemILi8EN3c104HalfEffNS1_25LogSoftMaxForwardEpilogueElEEvPT2_PKT0_T4_,@function
_ZN2at6native12_GLOBAL__N_123cunn_SoftMaxForwardSmemILi8EN3c104HalfEffNS1_25LogSoftMaxForwardEpilogueElEEvPT2_PKT0_T4_: ; @_ZN2at6native12_GLOBAL__N_123cunn_SoftMaxForwardSmemILi8EN3c104HalfEffNS1_25LogSoftMaxForwardEpilogueElEEvPT2_PKT0_T4_
; %bb.0:
	s_clause 0x1
	s_load_b64 s[10:11], s[0:1], 0x10
	s_load_b128 s[16:19], s[0:1], 0x0
	v_dual_mov_b32 v1, 0 :: v_dual_lshlrev_b32 v2, 3, v0
	s_mov_b32 s4, 0
	s_delay_alu instid0(VALU_DEP_1) | instskip(SKIP_1) | instid1(VALU_DEP_1)
	v_dual_mov_b32 v8, 0xff7fffff :: v_dual_mov_b32 v3, v1
	s_waitcnt lgkmcnt(0)
	v_cmp_gt_i64_e32 vcc_lo, s[10:11], v[2:3]
	s_mul_i32 s9, s11, s15
	s_mul_hi_u32 s14, s10, s15
	s_mul_i32 s12, s10, s15
	s_and_saveexec_b32 s5, vcc_lo
	s_cbranch_execz .LBB129_4
; %bb.1:
	s_load_b32 s2, s[0:1], 0x24
	s_add_i32 s13, s14, s9
	v_lshlrev_b32_e32 v2, 4, v0
	v_mov_b32_e32 v8, 0xff7fffff
	s_delay_alu instid0(VALU_DEP_2)
	v_add_nc_u32_e32 v6, 0, v2
	s_waitcnt lgkmcnt(0)
	s_and_b32 s6, s2, 0xffff
	s_lshl_b64 s[2:3], s[12:13], 1
	s_lshl_b32 s7, s6, 4
	s_add_u32 s2, s18, s2
	s_addc_u32 s3, s19, s3
	v_add_co_u32 v3, s2, s2, v2
	s_delay_alu instid0(VALU_DEP_1) | instskip(NEXT) | instid1(VALU_DEP_2)
	v_add_co_ci_u32_e64 v4, null, s3, 0, s2
	v_add_co_u32 v2, s2, v3, 8
	s_delay_alu instid0(VALU_DEP_1)
	v_add_co_ci_u32_e64 v3, s2, 0, v4, s2
	v_dual_mov_b32 v5, v1 :: v_dual_mov_b32 v4, v0
	s_set_inst_prefetch_distance 0x1
	.p2align	6
.LBB129_2:                              ; =>This Inner Loop Header: Depth=1
	global_load_b128 v[9:12], v[2:3], off offset:-8
	v_add_co_u32 v4, s2, v4, s6
	s_delay_alu instid0(VALU_DEP_1) | instskip(SKIP_1) | instid1(VALU_DEP_1)
	v_add_co_ci_u32_e64 v5, s2, 0, v5, s2
	v_add_co_u32 v2, s2, v2, s7
	v_add_co_ci_u32_e64 v3, s2, 0, v3, s2
	s_delay_alu instid0(VALU_DEP_3) | instskip(NEXT) | instid1(VALU_DEP_1)
	v_lshlrev_b64 v[13:14], 3, v[4:5]
	v_cmp_le_i64_e64 s3, s[10:11], v[13:14]
	s_delay_alu instid0(VALU_DEP_1)
	s_or_b32 s4, s3, s4
	s_waitcnt vmcnt(0)
	v_lshrrev_b32_e32 v7, 16, v9
	v_lshrrev_b32_e32 v15, 16, v10
	v_cvt_f32_f16_e32 v16, v9
	v_lshrrev_b32_e32 v17, 16, v11
	v_cvt_f32_f16_e32 v18, v10
	v_cvt_f32_f16_e32 v7, v7
	;; [unrolled: 1-line block ×5, first 2 shown]
	ds_store_b128 v6, v[9:12]
	v_max3_f32 v7, v8, v16, v7
	v_lshrrev_b32_e32 v8, 16, v12
	v_cvt_f32_f16_e32 v16, v11
	v_add_nc_u32_e32 v6, s7, v6
	s_delay_alu instid0(VALU_DEP_4) | instskip(NEXT) | instid1(VALU_DEP_4)
	v_max3_f32 v7, v7, v18, v15
	v_cvt_f32_f16_e32 v8, v8
	s_delay_alu instid0(VALU_DEP_2) | instskip(NEXT) | instid1(VALU_DEP_1)
	v_max3_f32 v7, v7, v16, v17
	v_max3_f32 v8, v7, v13, v8
	s_and_not1_b32 exec_lo, exec_lo, s4
	s_cbranch_execnz .LBB129_2
; %bb.3:
	s_set_inst_prefetch_distance 0x2
	s_or_b32 exec_lo, exec_lo, s4
.LBB129_4:
	s_delay_alu instid0(SALU_CYCLE_1)
	s_or_b32 exec_lo, exec_lo, s5
	v_mbcnt_lo_u32_b32 v2, -1, 0
	v_lshrrev_b32_e32 v11, 3, v0
	s_lshl_b32 s3, s10, 1
	s_waitcnt lgkmcnt(0)
	s_add_i32 s13, s3, 0
	v_cmp_gt_u32_e64 s2, 16, v2
	s_barrier
	buffer_gl0_inv
	v_cndmask_b32_e64 v3, 0, 1, s2
	v_cmp_gt_u32_e64 s2, 24, v2
	s_delay_alu instid0(VALU_DEP_2) | instskip(NEXT) | instid1(VALU_DEP_2)
	v_lshlrev_b32_e32 v3, 4, v3
	v_cndmask_b32_e64 v4, 0, 1, s2
	s_delay_alu instid0(VALU_DEP_2) | instskip(NEXT) | instid1(VALU_DEP_2)
	v_add_lshl_u32 v6, v3, v2, 2
	v_lshlrev_b32_e32 v4, 3, v4
	ds_bpermute_b32 v3, v6, v8
	v_add_lshl_u32 v7, v4, v2, 2
	s_waitcnt lgkmcnt(0)
	v_cmp_lt_f32_e64 s2, v8, v3
	s_delay_alu instid0(VALU_DEP_1) | instskip(SKIP_3) | instid1(VALU_DEP_1)
	v_cndmask_b32_e64 v3, v8, v3, s2
	v_cmp_gt_u32_e64 s2, 28, v2
	ds_bpermute_b32 v4, v7, v3
	v_cndmask_b32_e64 v5, 0, 1, s2
	v_lshlrev_b32_e32 v5, 2, v5
	s_delay_alu instid0(VALU_DEP_1) | instskip(SKIP_2) | instid1(VALU_DEP_1)
	v_add_lshl_u32 v8, v5, v2, 2
	s_waitcnt lgkmcnt(0)
	v_cmp_lt_f32_e64 s2, v3, v4
	v_cndmask_b32_e64 v3, v3, v4, s2
	v_cmp_gt_u32_e64 s2, 30, v2
	ds_bpermute_b32 v4, v8, v3
	v_cndmask_b32_e64 v5, 0, 1, s2
	s_delay_alu instid0(VALU_DEP_1) | instskip(NEXT) | instid1(VALU_DEP_1)
	v_lshlrev_b32_e32 v5, 1, v5
	v_add_lshl_u32 v9, v5, v2, 2
	s_waitcnt lgkmcnt(0)
	v_cmp_lt_f32_e64 s2, v3, v4
	s_delay_alu instid0(VALU_DEP_1) | instskip(SKIP_3) | instid1(VALU_DEP_1)
	v_cndmask_b32_e64 v3, v3, v4, s2
	v_cmp_ne_u32_e64 s2, 31, v2
	ds_bpermute_b32 v4, v9, v3
	v_add_co_ci_u32_e64 v5, s2, 0, v2, s2
	v_lshlrev_b32_e32 v10, 2, v5
	s_waitcnt lgkmcnt(0)
	v_cmp_lt_f32_e64 s2, v3, v4
	s_delay_alu instid0(VALU_DEP_1) | instskip(SKIP_3) | instid1(VALU_DEP_1)
	v_cndmask_b32_e64 v2, v3, v4, s2
	v_and_b32_e32 v3, 31, v0
	ds_bpermute_b32 v4, v10, v2
	v_cmp_eq_u32_e64 s2, 0, v3
	s_and_saveexec_b32 s4, s2
	s_cbranch_execz .LBB129_6
; %bb.5:
	s_waitcnt lgkmcnt(0)
	v_cmp_lt_f32_e64 s3, v2, v4
	v_add_nc_u32_e32 v5, s13, v11
	s_delay_alu instid0(VALU_DEP_2)
	v_cndmask_b32_e64 v2, v2, v4, s3
	ds_store_b32 v5, v2
.LBB129_6:
	s_or_b32 exec_lo, exec_lo, s4
	s_waitcnt lgkmcnt(0)
	s_barrier
	buffer_gl0_inv
	s_load_b32 s4, s[0:1], 0x24
	v_mov_b32_e32 v2, 0xff7fffff
	v_lshl_add_u32 v12, v3, 2, s13
	s_waitcnt lgkmcnt(0)
	s_bfe_u32 s0, s4, 0xb0005
	s_delay_alu instid0(SALU_CYCLE_1) | instskip(NEXT) | instid1(VALU_DEP_1)
	v_cmp_gt_u32_e64 s0, s0, v0
	s_and_saveexec_b32 s1, s0
	s_cbranch_execnz .LBB129_24
; %bb.7:
	s_or_b32 exec_lo, exec_lo, s1
	v_cmp_gt_u32_e64 s1, 32, v0
	s_delay_alu instid0(VALU_DEP_1)
	s_and_saveexec_b32 s5, s1
	s_cbranch_execnz .LBB129_25
.LBB129_8:
	s_or_b32 exec_lo, exec_lo, s5
	v_cmp_eq_u32_e64 s3, 0, v0
	s_delay_alu instid0(VALU_DEP_1)
	s_and_saveexec_b32 s5, s3
	s_cbranch_execz .LBB129_10
.LBB129_9:
	v_mov_b32_e32 v3, s13
	s_waitcnt lgkmcnt(0)
	ds_store_b32 v3, v2
.LBB129_10:
	s_or_b32 exec_lo, exec_lo, s5
	s_waitcnt lgkmcnt(0)
	v_mov_b32_e32 v2, s13
	s_barrier
	buffer_gl0_inv
	v_mov_b32_e32 v14, 0
	ds_load_b32 v4, v2
	v_lshl_add_u32 v5, v0, 4, 0
	s_and_b32 s15, s4, 0xffff
	s_and_saveexec_b32 s18, vcc_lo
	s_cbranch_execz .LBB129_14
; %bb.11:
	v_dual_mov_b32 v14, 0 :: v_dual_mov_b32 v3, v1
	v_lshl_add_u32 v13, v0, 4, 0
	v_mov_b32_e32 v2, v0
	s_mov_b32 s19, 0
	s_lshl_b32 s20, s15, 4
.LBB129_12:                             ; =>This Inner Loop Header: Depth=1
	ds_load_b128 v[15:18], v13
	v_add_co_u32 v2, s4, v2, s15
	s_delay_alu instid0(VALU_DEP_1) | instskip(SKIP_1) | instid1(VALU_DEP_2)
	v_add_co_ci_u32_e64 v3, s4, 0, v3, s4
	v_add_nc_u32_e32 v13, s20, v13
	v_lshlrev_b64 v[19:20], 3, v[2:3]
	s_waitcnt lgkmcnt(0)
	v_lshrrev_b32_e32 v23, 16, v17
	v_lshrrev_b32_e32 v22, 16, v16
	v_cvt_f32_f16_e32 v17, v17
	v_lshrrev_b32_e32 v21, 16, v15
	v_cvt_f32_f16_e32 v15, v15
	v_cvt_f32_f16_e32 v23, v23
	;; [unrolled: 1-line block ×3, first 2 shown]
	v_lshrrev_b32_e32 v24, 16, v18
	v_cvt_f32_f16_e32 v18, v18
	v_cvt_f32_f16_e32 v16, v16
	v_sub_f32_e32 v23, v23, v4
	v_sub_f32_e32 v22, v22, v4
	v_cvt_f32_f16_e32 v24, v24
	v_cvt_f32_f16_e32 v21, v21
	s_delay_alu instid0(VALU_DEP_4) | instskip(NEXT) | instid1(VALU_DEP_4)
	v_mul_f32_e32 v37, 0x3fb8aa3b, v23
	v_dual_sub_f32 v17, v17, v4 :: v_dual_mul_f32 v34, 0x3fb8aa3b, v22
	v_sub_f32_e32 v18, v18, v4
	s_delay_alu instid0(VALU_DEP_3) | instskip(NEXT) | instid1(VALU_DEP_3)
	v_rndne_f32_e32 v46, v37
	v_mul_f32_e32 v27, 0x3fb8aa3b, v17
	s_delay_alu instid0(VALU_DEP_3) | instskip(SKIP_2) | instid1(VALU_DEP_4)
	v_dual_sub_f32 v15, v15, v4 :: v_dual_mul_f32 v28, 0x3fb8aa3b, v18
	v_sub_f32_e32 v16, v16, v4
	v_rndne_f32_e32 v44, v34
	v_fma_f32 v35, 0x3fb8aa3b, v17, -v27
	s_delay_alu instid0(VALU_DEP_4)
	v_mul_f32_e32 v25, 0x3fb8aa3b, v15
	v_cmp_ngt_f32_e64 s6, 0xc2ce8ed0, v15
	v_mul_f32_e32 v26, 0x3fb8aa3b, v16
	v_rndne_f32_e32 v36, v27
	v_fmac_f32_e32 v35, 0x32a5705f, v17
	v_fma_f32 v29, 0x3fb8aa3b, v15, -v25
	v_sub_f32_e32 v24, v24, v4
	v_rndne_f32_e32 v30, v25
	v_fma_f32 v32, 0x3fb8aa3b, v16, -v26
	v_rndne_f32_e32 v33, v26
	v_fmac_f32_e32 v29, 0x32a5705f, v15
	s_delay_alu instid0(VALU_DEP_4) | instskip(NEXT) | instid1(VALU_DEP_3)
	v_dual_mul_f32 v40, 0x3fb8aa3b, v24 :: v_dual_sub_f32 v25, v25, v30
	v_dual_sub_f32 v21, v21, v4 :: v_dual_sub_f32 v26, v26, v33
	v_fmac_f32_e32 v32, 0x32a5705f, v16
	v_cvt_i32_f32_e32 v30, v30
	s_delay_alu instid0(VALU_DEP_4) | instskip(NEXT) | instid1(VALU_DEP_4)
	v_add_f32_e32 v25, v25, v29
	v_mul_f32_e32 v31, 0x3fb8aa3b, v21
	v_fma_f32 v38, 0x3fb8aa3b, v18, -v28
	v_add_f32_e32 v26, v26, v32
	v_rndne_f32_e32 v39, v28
	v_exp_f32_e32 v25, v25
	v_fma_f32 v41, 0x3fb8aa3b, v21, -v31
	v_rndne_f32_e32 v42, v31
	v_cmp_nlt_f32_e64 s8, 0x42b17218, v15
	v_dual_sub_f32 v27, v27, v36 :: v_dual_sub_f32 v28, v28, v39
	v_fmac_f32_e32 v38, 0x32a5705f, v18
	v_fma_f32 v47, 0x3fb8aa3b, v24, -v40
	v_rndne_f32_e32 v48, v40
	v_dual_fmac_f32 v41, 0x32a5705f, v21 :: v_dual_sub_f32 v32, v34, v44
	s_delay_alu instid0(TRANS32_DEP_1) | instskip(SKIP_3) | instid1(VALU_DEP_4)
	v_ldexp_f32 v25, v25, v30
	v_sub_f32_e32 v29, v31, v42
	v_fma_f32 v43, 0x3fb8aa3b, v22, -v34
	v_dual_add_f32 v27, v27, v35 :: v_dual_add_f32 v28, v28, v38
	v_cndmask_b32_e64 v25, 0, v25, s6
	v_sub_f32_e32 v38, v40, v48
	v_exp_f32_e32 v26, v26
	v_cvt_i32_f32_e32 v33, v33
	v_cvt_i32_f32_e32 v31, v42
	v_cndmask_b32_e64 v15, 0x7f800000, v25, s8
	v_fmac_f32_e32 v47, 0x32a5705f, v24
	v_cmp_ngt_f32_e64 s4, 0xc2ce8ed0, v16
	v_cmp_ngt_f32_e64 s7, 0xc2ce8ed0, v21
	v_cvt_i32_f32_e32 v34, v44
	v_dual_add_f32 v14, v14, v15 :: v_dual_add_f32 v29, v29, v41
	v_dual_fmac_f32 v43, 0x32a5705f, v22 :: v_dual_add_f32 v38, v38, v47
	v_sub_f32_e32 v35, v37, v46
	v_ldexp_f32 v26, v26, v33
	s_delay_alu instid0(VALU_DEP_4) | instskip(NEXT) | instid1(VALU_DEP_3)
	v_exp_f32_e32 v29, v29
	v_add_f32_e32 v32, v32, v43
	v_exp_f32_e32 v27, v27
	v_cvt_i32_f32_e32 v36, v36
	v_cndmask_b32_e64 v26, 0, v26, s4
	v_cmp_nlt_f32_e64 s4, 0x42b17218, v21
	v_exp_f32_e32 v32, v32
	v_fma_f32 v45, 0x3fb8aa3b, v23, -v37
	v_cmp_ngt_f32_e64 s5, 0xc2ce8ed0, v17
	v_cvt_i32_f32_e32 v37, v46
	v_ldexp_f32 v29, v29, v31
	v_exp_f32_e32 v28, v28
	v_ldexp_f32 v27, v27, v36
	v_cvt_i32_f32_e32 v39, v39
	v_exp_f32_e32 v38, v38
	v_cndmask_b32_e64 v25, 0, v29, s7
	v_ldexp_f32 v29, v32, v34
	v_cmp_nlt_f32_e64 s7, 0x42b17218, v16
	v_cvt_i32_f32_e32 v40, v48
	v_cmp_ngt_f32_e64 s6, 0xc2ce8ed0, v18
	v_cndmask_b32_e64 v15, 0x7f800000, v25, s4
	v_cmp_ngt_f32_e64 s4, 0xc2ce8ed0, v22
	v_cndmask_b32_e64 v16, 0x7f800000, v26, s7
	v_ldexp_f32 v28, v28, v39
	s_delay_alu instid0(VALU_DEP_4) | instskip(NEXT) | instid1(VALU_DEP_4)
	v_add_f32_e32 v14, v14, v15
	v_cndmask_b32_e64 v21, 0, v29, s4
	v_cmp_nlt_f32_e64 s4, 0x42b17218, v22
	v_fmac_f32_e32 v45, 0x32a5705f, v23
	v_cndmask_b32_e64 v15, 0, v27, s5
	v_add_f32_e32 v14, v14, v16
	v_cmp_nlt_f32_e64 s5, 0x42b17218, v17
	v_cndmask_b32_e64 v21, 0x7f800000, v21, s4
	v_cmp_ngt_f32_e64 s4, 0xc2ce8ed0, v23
	v_cndmask_b32_e64 v17, 0, v28, s6
	s_delay_alu instid0(VALU_DEP_4) | instskip(NEXT) | instid1(VALU_DEP_4)
	v_cndmask_b32_e64 v15, 0x7f800000, v15, s5
	v_add_f32_e32 v14, v14, v21
	v_add_f32_e32 v35, v35, v45
	v_ldexp_f32 v21, v38, v40
	v_cmp_nlt_f32_e64 s5, 0x42b17218, v18
	s_delay_alu instid0(VALU_DEP_4) | instskip(NEXT) | instid1(VALU_DEP_4)
	v_add_f32_e32 v14, v14, v15
	v_exp_f32_e32 v35, v35
	s_delay_alu instid0(VALU_DEP_2) | instskip(SKIP_2) | instid1(VALU_DEP_1)
	v_cndmask_b32_e64 v15, 0x7f800000, v17, s5
	s_waitcnt_depctr 0xfff
	v_ldexp_f32 v25, v35, v37
	v_cndmask_b32_e64 v16, 0, v25, s4
	v_cmp_nlt_f32_e64 s4, 0x42b17218, v23
	s_delay_alu instid0(VALU_DEP_1) | instskip(SKIP_1) | instid1(VALU_DEP_2)
	v_cndmask_b32_e64 v16, 0x7f800000, v16, s4
	v_cmp_ngt_f32_e64 s4, 0xc2ce8ed0, v24
	v_add_f32_e32 v14, v14, v16
	s_delay_alu instid0(VALU_DEP_2) | instskip(SKIP_1) | instid1(VALU_DEP_3)
	v_cndmask_b32_e64 v17, 0, v21, s4
	v_cmp_nlt_f32_e64 s4, 0x42b17218, v24
	v_add_f32_e32 v14, v14, v15
	s_delay_alu instid0(VALU_DEP_2) | instskip(SKIP_1) | instid1(VALU_DEP_2)
	v_cndmask_b32_e64 v16, 0x7f800000, v17, s4
	v_cmp_le_i64_e64 s4, s[10:11], v[19:20]
	v_add_f32_e32 v14, v14, v16
	s_delay_alu instid0(VALU_DEP_2) | instskip(NEXT) | instid1(SALU_CYCLE_1)
	s_or_b32 s19, s4, s19
	s_and_not1_b32 exec_lo, exec_lo, s19
	s_cbranch_execnz .LBB129_12
; %bb.13:
	s_or_b32 exec_lo, exec_lo, s19
.LBB129_14:
	s_delay_alu instid0(SALU_CYCLE_1)
	s_or_b32 exec_lo, exec_lo, s18
	ds_bpermute_b32 v2, v6, v14
	s_waitcnt lgkmcnt(0)
	s_barrier
	buffer_gl0_inv
	v_add_f32_e32 v2, v14, v2
	ds_bpermute_b32 v3, v7, v2
	s_waitcnt lgkmcnt(0)
	v_add_f32_e32 v2, v2, v3
	ds_bpermute_b32 v3, v8, v2
	s_waitcnt lgkmcnt(0)
	;; [unrolled: 3-line block ×3, first 2 shown]
	v_add_f32_e32 v2, v2, v3
	ds_bpermute_b32 v3, v10, v2
	s_and_saveexec_b32 s4, s2
	s_cbranch_execz .LBB129_16
; %bb.15:
	v_add_nc_u32_e32 v11, s13, v11
	s_waitcnt lgkmcnt(0)
	v_add_f32_e32 v2, v2, v3
	ds_store_b32 v11, v2
.LBB129_16:
	s_or_b32 exec_lo, exec_lo, s4
	v_mov_b32_e32 v2, 0
	s_waitcnt lgkmcnt(0)
	s_barrier
	buffer_gl0_inv
	s_and_saveexec_b32 s2, s0
	s_cbranch_execnz .LBB129_26
; %bb.17:
	s_or_b32 exec_lo, exec_lo, s2
	s_and_saveexec_b32 s0, s1
	s_cbranch_execnz .LBB129_27
.LBB129_18:
	s_or_b32 exec_lo, exec_lo, s0
	s_and_saveexec_b32 s0, s3
	s_cbranch_execz .LBB129_20
.LBB129_19:
	v_mov_b32_e32 v3, s13
	s_waitcnt lgkmcnt(0)
	ds_store_b32 v3, v2
.LBB129_20:
	s_or_b32 exec_lo, exec_lo, s0
	s_waitcnt lgkmcnt(0)
	s_barrier
	buffer_gl0_inv
	s_and_saveexec_b32 s0, vcc_lo
	s_cbranch_execz .LBB129_23
; %bb.21:
	v_dual_mov_b32 v2, s13 :: v_dual_lshlrev_b32 v7, 5, v0
	s_add_i32 s13, s14, s9
	s_lshl_b32 s1, s15, 4
	s_lshl_b64 s[2:3], s[12:13], 2
	ds_load_b32 v2, v2
	s_add_u32 s0, s16, s2
	s_addc_u32 s2, s17, s3
	s_lshl_b32 s3, s15, 5
	s_waitcnt lgkmcnt(0)
	v_cmp_gt_f32_e32 vcc_lo, 0x800000, v2
	v_cndmask_b32_e64 v3, 1.0, 0x4f800000, vcc_lo
	s_delay_alu instid0(VALU_DEP_1) | instskip(NEXT) | instid1(VALU_DEP_1)
	v_mul_f32_e32 v2, v2, v3
	v_log_f32_e32 v2, v2
	s_waitcnt_depctr 0xfff
	v_mul_f32_e32 v3, 0x3f317217, v2
	s_delay_alu instid0(VALU_DEP_1) | instskip(NEXT) | instid1(VALU_DEP_1)
	v_fma_f32 v6, 0x3f317217, v2, -v3
	v_fmamk_f32 v6, v2, 0x3377d1cf, v6
	s_delay_alu instid0(VALU_DEP_1) | instskip(SKIP_2) | instid1(VALU_DEP_3)
	v_add_f32_e32 v3, v3, v6
	v_cndmask_b32_e64 v6, 0, 0x41b17218, vcc_lo
	v_cmp_gt_f32_e64 vcc_lo, 0x7f800000, |v2|
	v_cndmask_b32_e32 v2, v2, v3, vcc_lo
	v_add_co_u32 v3, s0, s0, v7
	s_delay_alu instid0(VALU_DEP_1) | instskip(NEXT) | instid1(VALU_DEP_3)
	v_add_co_ci_u32_e64 v7, null, s2, 0, s0
	v_sub_f32_e32 v6, v2, v6
	s_delay_alu instid0(VALU_DEP_3) | instskip(NEXT) | instid1(VALU_DEP_3)
	v_add_co_u32 v2, vcc_lo, v3, 28
	v_add_co_ci_u32_e32 v3, vcc_lo, 0, v7, vcc_lo
	s_mov_b32 s2, 0
	s_set_inst_prefetch_distance 0x1
	.p2align	6
.LBB129_22:                             ; =>This Inner Loop Header: Depth=1
	ds_load_b128 v[7:10], v5
	v_add_co_u32 v0, vcc_lo, v0, s15
	v_add_co_ci_u32_e32 v1, vcc_lo, 0, v1, vcc_lo
	s_delay_alu instid0(VALU_DEP_1) | instskip(NEXT) | instid1(VALU_DEP_1)
	v_lshlrev_b64 v[11:12], 3, v[0:1]
	v_cmp_le_i64_e32 vcc_lo, s[10:11], v[11:12]
	s_or_b32 s2, vcc_lo, s2
	s_waitcnt lgkmcnt(0)
	v_lshrrev_b32_e32 v11, 16, v7
	v_lshrrev_b32_e32 v12, 16, v8
	v_cvt_f32_f16_e32 v8, v8
	v_lshrrev_b32_e32 v13, 16, v9
	v_lshrrev_b32_e32 v14, 16, v10
	v_cvt_f32_f16_e32 v11, v11
	v_cvt_f32_f16_e32 v9, v9
	;; [unrolled: 1-line block ×3, first 2 shown]
	v_dual_sub_f32 v8, v8, v4 :: v_dual_add_nc_u32 v5, s1, v5
	v_cvt_f32_f16_e32 v7, v7
	v_cvt_f32_f16_e32 v10, v10
	v_sub_f32_e32 v16, v11, v4
	v_cvt_f32_f16_e32 v13, v13
	v_cvt_f32_f16_e32 v14, v14
	v_sub_f32_e32 v12, v12, v4
	v_sub_f32_e32 v15, v9, v4
	;; [unrolled: 1-line block ×3, first 2 shown]
	v_dual_sub_f32 v7, v7, v4 :: v_dual_sub_f32 v8, v16, v6
	s_delay_alu instid0(VALU_DEP_3) | instskip(NEXT) | instid1(VALU_DEP_2)
	v_dual_sub_f32 v10, v10, v4 :: v_dual_sub_f32 v11, v15, v6
	v_dual_sub_f32 v14, v14, v4 :: v_dual_sub_f32 v7, v7, v6
	v_sub_f32_e32 v15, v13, v4
	s_delay_alu instid0(VALU_DEP_3) | instskip(SKIP_1) | instid1(VALU_DEP_4)
	v_sub_f32_e32 v13, v10, v6
	v_sub_f32_e32 v10, v12, v6
	;; [unrolled: 1-line block ×3, first 2 shown]
	s_delay_alu instid0(VALU_DEP_4) | instskip(SKIP_4) | instid1(VALU_DEP_1)
	v_sub_f32_e32 v12, v15, v6
	s_clause 0x1
	global_store_b128 v[2:3], v[7:10], off offset:-28
	global_store_b128 v[2:3], v[11:14], off offset:-12
	v_add_co_u32 v2, s0, v2, s3
	v_add_co_ci_u32_e64 v3, s0, 0, v3, s0
	s_and_not1_b32 exec_lo, exec_lo, s2
	s_cbranch_execnz .LBB129_22
.LBB129_23:
	s_set_inst_prefetch_distance 0x2
	s_nop 0
	s_sendmsg sendmsg(MSG_DEALLOC_VGPRS)
	s_endpgm
.LBB129_24:
	ds_load_b32 v2, v12
	s_or_b32 exec_lo, exec_lo, s1
	v_cmp_gt_u32_e64 s1, 32, v0
	s_delay_alu instid0(VALU_DEP_1)
	s_and_saveexec_b32 s5, s1
	s_cbranch_execz .LBB129_8
.LBB129_25:
	s_waitcnt lgkmcnt(0)
	ds_bpermute_b32 v3, v6, v2
	s_waitcnt lgkmcnt(0)
	v_cmp_lt_f32_e64 s3, v2, v3
	s_delay_alu instid0(VALU_DEP_1) | instskip(SKIP_3) | instid1(VALU_DEP_1)
	v_cndmask_b32_e64 v2, v2, v3, s3
	ds_bpermute_b32 v3, v7, v2
	s_waitcnt lgkmcnt(0)
	v_cmp_lt_f32_e64 s3, v2, v3
	v_cndmask_b32_e64 v2, v2, v3, s3
	ds_bpermute_b32 v3, v8, v2
	s_waitcnt lgkmcnt(0)
	v_cmp_lt_f32_e64 s3, v2, v3
	s_delay_alu instid0(VALU_DEP_1) | instskip(SKIP_3) | instid1(VALU_DEP_1)
	v_cndmask_b32_e64 v2, v2, v3, s3
	ds_bpermute_b32 v3, v9, v2
	s_waitcnt lgkmcnt(0)
	v_cmp_lt_f32_e64 s3, v2, v3
	v_cndmask_b32_e64 v2, v2, v3, s3
	ds_bpermute_b32 v3, v10, v2
	s_waitcnt lgkmcnt(0)
	v_cmp_lt_f32_e64 s3, v2, v3
	s_delay_alu instid0(VALU_DEP_1) | instskip(SKIP_2) | instid1(VALU_DEP_1)
	v_cndmask_b32_e64 v2, v2, v3, s3
	s_or_b32 exec_lo, exec_lo, s5
	v_cmp_eq_u32_e64 s3, 0, v0
	s_and_saveexec_b32 s5, s3
	s_cbranch_execnz .LBB129_9
	s_branch .LBB129_10
.LBB129_26:
	ds_load_b32 v2, v12
	s_or_b32 exec_lo, exec_lo, s2
	s_and_saveexec_b32 s0, s1
	s_cbranch_execz .LBB129_18
.LBB129_27:
	s_waitcnt lgkmcnt(0)
	ds_bpermute_b32 v3, v6, v2
	s_waitcnt lgkmcnt(0)
	v_add_f32_e32 v2, v2, v3
	ds_bpermute_b32 v3, v7, v2
	s_waitcnt lgkmcnt(0)
	v_add_f32_e32 v2, v2, v3
	;; [unrolled: 3-line block ×5, first 2 shown]
	s_or_b32 exec_lo, exec_lo, s0
	s_and_saveexec_b32 s0, s3
	s_cbranch_execnz .LBB129_19
	s_branch .LBB129_20
	.section	.rodata,"a",@progbits
	.p2align	6, 0x0
	.amdhsa_kernel _ZN2at6native12_GLOBAL__N_123cunn_SoftMaxForwardSmemILi8EN3c104HalfEffNS1_25LogSoftMaxForwardEpilogueElEEvPT2_PKT0_T4_
		.amdhsa_group_segment_fixed_size 0
		.amdhsa_private_segment_fixed_size 0
		.amdhsa_kernarg_size 280
		.amdhsa_user_sgpr_count 15
		.amdhsa_user_sgpr_dispatch_ptr 0
		.amdhsa_user_sgpr_queue_ptr 0
		.amdhsa_user_sgpr_kernarg_segment_ptr 1
		.amdhsa_user_sgpr_dispatch_id 0
		.amdhsa_user_sgpr_private_segment_size 0
		.amdhsa_wavefront_size32 1
		.amdhsa_uses_dynamic_stack 0
		.amdhsa_enable_private_segment 0
		.amdhsa_system_sgpr_workgroup_id_x 1
		.amdhsa_system_sgpr_workgroup_id_y 0
		.amdhsa_system_sgpr_workgroup_id_z 0
		.amdhsa_system_sgpr_workgroup_info 0
		.amdhsa_system_vgpr_workitem_id 0
		.amdhsa_next_free_vgpr 49
		.amdhsa_next_free_sgpr 21
		.amdhsa_reserve_vcc 1
		.amdhsa_float_round_mode_32 0
		.amdhsa_float_round_mode_16_64 0
		.amdhsa_float_denorm_mode_32 3
		.amdhsa_float_denorm_mode_16_64 3
		.amdhsa_dx10_clamp 1
		.amdhsa_ieee_mode 1
		.amdhsa_fp16_overflow 0
		.amdhsa_workgroup_processor_mode 1
		.amdhsa_memory_ordered 1
		.amdhsa_forward_progress 0
		.amdhsa_shared_vgpr_count 0
		.amdhsa_exception_fp_ieee_invalid_op 0
		.amdhsa_exception_fp_denorm_src 0
		.amdhsa_exception_fp_ieee_div_zero 0
		.amdhsa_exception_fp_ieee_overflow 0
		.amdhsa_exception_fp_ieee_underflow 0
		.amdhsa_exception_fp_ieee_inexact 0
		.amdhsa_exception_int_div_zero 0
	.end_amdhsa_kernel
	.section	.text._ZN2at6native12_GLOBAL__N_123cunn_SoftMaxForwardSmemILi8EN3c104HalfEffNS1_25LogSoftMaxForwardEpilogueElEEvPT2_PKT0_T4_,"axG",@progbits,_ZN2at6native12_GLOBAL__N_123cunn_SoftMaxForwardSmemILi8EN3c104HalfEffNS1_25LogSoftMaxForwardEpilogueElEEvPT2_PKT0_T4_,comdat
.Lfunc_end129:
	.size	_ZN2at6native12_GLOBAL__N_123cunn_SoftMaxForwardSmemILi8EN3c104HalfEffNS1_25LogSoftMaxForwardEpilogueElEEvPT2_PKT0_T4_, .Lfunc_end129-_ZN2at6native12_GLOBAL__N_123cunn_SoftMaxForwardSmemILi8EN3c104HalfEffNS1_25LogSoftMaxForwardEpilogueElEEvPT2_PKT0_T4_
                                        ; -- End function
	.section	.AMDGPU.csdata,"",@progbits
; Kernel info:
; codeLenInByte = 3016
; NumSgprs: 23
; NumVgprs: 49
; ScratchSize: 0
; MemoryBound: 0
; FloatMode: 240
; IeeeMode: 1
; LDSByteSize: 0 bytes/workgroup (compile time only)
; SGPRBlocks: 2
; VGPRBlocks: 6
; NumSGPRsForWavesPerEU: 23
; NumVGPRsForWavesPerEU: 49
; Occupancy: 16
; WaveLimiterHint : 0
; COMPUTE_PGM_RSRC2:SCRATCH_EN: 0
; COMPUTE_PGM_RSRC2:USER_SGPR: 15
; COMPUTE_PGM_RSRC2:TRAP_HANDLER: 0
; COMPUTE_PGM_RSRC2:TGID_X_EN: 1
; COMPUTE_PGM_RSRC2:TGID_Y_EN: 0
; COMPUTE_PGM_RSRC2:TGID_Z_EN: 0
; COMPUTE_PGM_RSRC2:TIDIG_COMP_CNT: 0
	.section	.text._ZN2at6native12_GLOBAL__N_119cunn_SoftMaxForwardILi8EN3c104HalfEffNS1_25LogSoftMaxForwardEpilogueEEEvPT2_PKT0_i,"axG",@progbits,_ZN2at6native12_GLOBAL__N_119cunn_SoftMaxForwardILi8EN3c104HalfEffNS1_25LogSoftMaxForwardEpilogueEEEvPT2_PKT0_i,comdat
	.globl	_ZN2at6native12_GLOBAL__N_119cunn_SoftMaxForwardILi8EN3c104HalfEffNS1_25LogSoftMaxForwardEpilogueEEEvPT2_PKT0_i ; -- Begin function _ZN2at6native12_GLOBAL__N_119cunn_SoftMaxForwardILi8EN3c104HalfEffNS1_25LogSoftMaxForwardEpilogueEEEvPT2_PKT0_i
	.p2align	8
	.type	_ZN2at6native12_GLOBAL__N_119cunn_SoftMaxForwardILi8EN3c104HalfEffNS1_25LogSoftMaxForwardEpilogueEEEvPT2_PKT0_i,@function
_ZN2at6native12_GLOBAL__N_119cunn_SoftMaxForwardILi8EN3c104HalfEffNS1_25LogSoftMaxForwardEpilogueEEEvPT2_PKT0_i: ; @_ZN2at6native12_GLOBAL__N_119cunn_SoftMaxForwardILi8EN3c104HalfEffNS1_25LogSoftMaxForwardEpilogueEEEvPT2_PKT0_i
; %bb.0:
	s_clause 0x1
	s_load_b32 s14, s[0:1], 0x10
	s_load_b128 s[8:11], s[0:1], 0x0
	s_mov_b32 s13, 0
	s_waitcnt lgkmcnt(0)
	s_ashr_i32 s2, s14, 31
	s_mul_hi_u32 s3, s14, s15
	s_mul_i32 s2, s2, s15
	s_mul_i32 s16, s14, s15
	s_add_i32 s17, s3, s2
	s_delay_alu instid0(SALU_CYCLE_1) | instskip(NEXT) | instid1(SALU_CYCLE_1)
	s_lshl_b64 s[2:3], s[16:17], 1
	s_add_u32 s10, s10, s2
	s_addc_u32 s11, s11, s3
	s_bfe_u32 s12, s10, 0x30001
	s_delay_alu instid0(SALU_CYCLE_1) | instskip(SKIP_1) | instid1(SALU_CYCLE_1)
	s_cmp_lg_u32 s12, 0
	s_cselect_b32 s18, -1, 0
	s_and_b32 vcc_lo, exec_lo, s18
	s_cbranch_vccz .LBB130_25
; %bb.1:
	s_lshl_b64 s[2:3], s[12:13], 1
	v_cmp_le_u32_e32 vcc_lo, s12, v0
	s_sub_u32 s6, s10, s2
	s_subb_u32 s7, s11, s3
	s_add_i32 s3, s12, s14
	v_mov_b32_e32 v4, 0xff7fffff
	v_cmp_gt_i32_e64 s2, s3, v0
	s_delay_alu instid0(VALU_DEP_1) | instskip(NEXT) | instid1(SALU_CYCLE_1)
	s_and_b32 s4, vcc_lo, s2
	s_and_saveexec_b32 s2, s4
	s_cbranch_execz .LBB130_3
; %bb.2:
	v_lshlrev_b32_e32 v1, 1, v0
	global_load_u16 v1, v1, s[6:7]
	s_waitcnt vmcnt(0)
	v_cvt_f32_f16_e32 v1, v1
	s_delay_alu instid0(VALU_DEP_1)
	v_max_f32_e32 v4, 0xff7fffff, v1
.LBB130_3:
	s_or_b32 exec_lo, exec_lo, s2
	s_load_b32 s2, s[0:1], 0x24
	s_add_u32 s4, s0, 24
	s_addc_u32 s5, s1, 0
	s_waitcnt lgkmcnt(0)
	s_and_b32 s2, s2, 0xffff
	s_delay_alu instid0(SALU_CYCLE_1) | instskip(SKIP_1) | instid1(SALU_CYCLE_1)
	v_sub_nc_u32_e64 v1, s3, s2 clamp
	s_lshl_b32 s2, s2, 1
	s_add_u32 s2, s6, s2
	s_addc_u32 s3, s7, 0
	s_delay_alu instid0(VALU_DEP_1)
	v_readfirstlane_b32 s13, v1
	s_branch .LBB130_5
.LBB130_4:
	v_mov_b32_e32 v4, 0xff7fffff
	s_add_u32 s4, s0, 24
	s_addc_u32 s5, s1, 0
	s_mov_b32 s13, s14
	s_mov_b64 s[2:3], s[10:11]
.LBB130_5:
	s_load_b32 s6, s[4:5], 0x0
	v_mov_b32_e32 v1, 0
	v_lshlrev_b32_e32 v3, 3, v0
	s_waitcnt lgkmcnt(0)
	s_cmp_lt_u32 s15, s6
	s_cselect_b32 s6, 12, 18
	s_delay_alu instid0(SALU_CYCLE_1) | instskip(SKIP_4) | instid1(VALU_DEP_1)
	s_add_u32 s4, s4, s6
	s_addc_u32 s5, s5, 0
	global_load_u16 v5, v1, s[4:5]
	s_waitcnt vmcnt(0)
	v_readfirstlane_b32 s4, v5
	s_lshl_b32 s4, s4, 3
	s_delay_alu instid0(SALU_CYCLE_1) | instskip(SKIP_1) | instid1(VALU_DEP_1)
	v_cvt_f32_u32_e32 v1, s4
	s_sub_i32 s6, 0, s4
	v_rcp_iflag_f32_e32 v1, v1
	s_waitcnt_depctr 0xfff
	v_mul_f32_e32 v1, 0x4f7ffffe, v1
	s_delay_alu instid0(VALU_DEP_1) | instskip(NEXT) | instid1(VALU_DEP_1)
	v_cvt_u32_f32_e32 v1, v1
	v_readfirstlane_b32 s5, v1
	s_delay_alu instid0(VALU_DEP_1) | instskip(NEXT) | instid1(SALU_CYCLE_1)
	s_mul_i32 s6, s6, s5
	s_mul_hi_u32 s6, s5, s6
	s_delay_alu instid0(SALU_CYCLE_1) | instskip(NEXT) | instid1(SALU_CYCLE_1)
	s_add_i32 s5, s5, s6
	s_mul_hi_u32 s5, s13, s5
	s_delay_alu instid0(SALU_CYCLE_1) | instskip(NEXT) | instid1(SALU_CYCLE_1)
	s_mul_i32 s5, s5, s4
	s_sub_i32 s5, s13, s5
	s_delay_alu instid0(SALU_CYCLE_1) | instskip(SKIP_2) | instid1(SALU_CYCLE_1)
	s_sub_i32 s6, s5, s4
	s_cmp_ge_u32 s5, s4
	s_cselect_b32 s5, s6, s5
	s_sub_i32 s6, s5, s4
	s_cmp_ge_u32 s5, s4
	s_cselect_b32 s4, s6, s5
	s_mov_b32 s6, 0
	s_sub_i32 s4, s13, s4
	s_mov_b32 s5, exec_lo
	v_cmpx_gt_i32_e64 s4, v3
	s_cbranch_execz .LBB130_9
; %bb.6:
	v_mov_b32_e32 v1, v0
	s_set_inst_prefetch_distance 0x1
	.p2align	6
.LBB130_7:                              ; =>This Inner Loop Header: Depth=1
	s_delay_alu instid0(VALU_DEP_1) | instskip(NEXT) | instid1(VALU_DEP_1)
	v_ashrrev_i32_e32 v2, 31, v1
	v_lshlrev_b64 v[6:7], 4, v[1:2]
	v_add_nc_u32_e32 v1, v1, v5
	s_delay_alu instid0(VALU_DEP_2) | instskip(NEXT) | instid1(VALU_DEP_3)
	v_add_co_u32 v6, vcc_lo, s2, v6
	v_add_co_ci_u32_e32 v7, vcc_lo, s3, v7, vcc_lo
	global_load_b128 v[6:9], v[6:7], off
	s_waitcnt vmcnt(0)
	v_lshrrev_b32_e32 v2, 16, v6
	v_lshrrev_b32_e32 v10, 16, v7
	v_cvt_f32_f16_e32 v6, v6
	v_lshrrev_b32_e32 v11, 16, v8
	v_cvt_f32_f16_e32 v7, v7
	v_cvt_f32_f16_e32 v2, v2
	;; [unrolled: 1-line block ×3, first 2 shown]
	s_delay_alu instid0(VALU_DEP_2)
	v_max3_f32 v2, v4, v6, v2
	v_lshrrev_b32_e32 v4, 16, v9
	v_cvt_f32_f16_e32 v6, v8
	v_cvt_f32_f16_e32 v8, v11
	;; [unrolled: 1-line block ×3, first 2 shown]
	v_max3_f32 v2, v2, v7, v10
	v_lshlrev_b32_e32 v7, 3, v1
	v_cvt_f32_f16_e32 v4, v4
	s_delay_alu instid0(VALU_DEP_3) | instskip(NEXT) | instid1(VALU_DEP_3)
	v_max3_f32 v2, v2, v6, v8
	v_cmp_le_i32_e32 vcc_lo, s4, v7
	s_delay_alu instid0(VALU_DEP_2) | instskip(SKIP_1) | instid1(SALU_CYCLE_1)
	v_max3_f32 v4, v2, v9, v4
	s_or_b32 s6, vcc_lo, s6
	s_and_not1_b32 exec_lo, exec_lo, s6
	s_cbranch_execnz .LBB130_7
; %bb.8:
	s_set_inst_prefetch_distance 0x2
	s_or_b32 exec_lo, exec_lo, s6
.LBB130_9:
	s_delay_alu instid0(SALU_CYCLE_1) | instskip(SKIP_2) | instid1(VALU_DEP_1)
	s_or_b32 exec_lo, exec_lo, s5
	v_add_nc_u32_e32 v1, s4, v0
	s_mov_b32 s4, exec_lo
	v_cmpx_gt_i32_e64 s13, v1
	s_cbranch_execz .LBB130_13
; %bb.10:
	s_mov_b32 s5, 0
.LBB130_11:                             ; =>This Inner Loop Header: Depth=1
	v_ashrrev_i32_e32 v2, 31, v1
	s_delay_alu instid0(VALU_DEP_2) | instskip(NEXT) | instid1(VALU_DEP_2)
	v_max_f32_e32 v4, v4, v4
	v_lshlrev_b64 v[6:7], 1, v[1:2]
	v_add_nc_u32_e32 v1, v1, v5
	s_delay_alu instid0(VALU_DEP_2) | instskip(NEXT) | instid1(VALU_DEP_3)
	v_add_co_u32 v6, vcc_lo, s2, v6
	v_add_co_ci_u32_e32 v7, vcc_lo, s3, v7, vcc_lo
	s_delay_alu instid0(VALU_DEP_3) | instskip(SKIP_4) | instid1(VALU_DEP_1)
	v_cmp_le_i32_e32 vcc_lo, s13, v1
	global_load_u16 v2, v[6:7], off
	s_or_b32 s5, vcc_lo, s5
	s_waitcnt vmcnt(0)
	v_cvt_f32_f16_e32 v2, v2
	v_max_f32_e32 v4, v4, v2
	s_and_not1_b32 exec_lo, exec_lo, s5
	s_cbranch_execnz .LBB130_11
; %bb.12:
	s_or_b32 exec_lo, exec_lo, s5
.LBB130_13:
	s_delay_alu instid0(SALU_CYCLE_1)
	s_or_b32 exec_lo, exec_lo, s4
	v_mbcnt_lo_u32_b32 v1, -1, 0
	v_lshrrev_b32_e32 v12, 3, v0
	s_barrier
	buffer_gl0_inv
	v_cmp_gt_u32_e32 vcc_lo, 16, v1
	v_cndmask_b32_e64 v2, 0, 1, vcc_lo
	v_cmp_gt_u32_e32 vcc_lo, 24, v1
	s_delay_alu instid0(VALU_DEP_2) | instskip(SKIP_1) | instid1(VALU_DEP_2)
	v_lshlrev_b32_e32 v2, 4, v2
	v_cndmask_b32_e64 v5, 0, 1, vcc_lo
	v_add_lshl_u32 v6, v2, v1, 2
	ds_bpermute_b32 v2, v6, v4
	s_waitcnt lgkmcnt(0)
	v_cmp_lt_f32_e32 vcc_lo, v4, v2
	v_dual_cndmask_b32 v2, v4, v2 :: v_dual_lshlrev_b32 v5, 3, v5
	s_delay_alu instid0(VALU_DEP_1)
	v_add_lshl_u32 v7, v5, v1, 2
	v_cmp_gt_u32_e32 vcc_lo, 28, v1
	ds_bpermute_b32 v4, v7, v2
	v_cndmask_b32_e64 v5, 0, 1, vcc_lo
	s_waitcnt lgkmcnt(0)
	v_cmp_lt_f32_e32 vcc_lo, v2, v4
	s_delay_alu instid0(VALU_DEP_2) | instskip(NEXT) | instid1(VALU_DEP_1)
	v_dual_cndmask_b32 v2, v2, v4 :: v_dual_lshlrev_b32 v5, 2, v5
	v_add_lshl_u32 v8, v5, v1, 2
	v_cmp_gt_u32_e32 vcc_lo, 30, v1
	ds_bpermute_b32 v4, v8, v2
	v_cndmask_b32_e64 v5, 0, 1, vcc_lo
	s_waitcnt lgkmcnt(0)
	v_cmp_lt_f32_e32 vcc_lo, v2, v4
	s_delay_alu instid0(VALU_DEP_2) | instskip(NEXT) | instid1(VALU_DEP_1)
	v_dual_cndmask_b32 v2, v2, v4 :: v_dual_lshlrev_b32 v5, 1, v5
	v_add_lshl_u32 v10, v5, v1, 2
	v_cmp_ne_u32_e32 vcc_lo, 31, v1
	ds_bpermute_b32 v4, v10, v2
	v_add_co_ci_u32_e32 v5, vcc_lo, 0, v1, vcc_lo
	s_delay_alu instid0(VALU_DEP_1)
	v_lshlrev_b32_e32 v11, 2, v5
	s_waitcnt lgkmcnt(0)
	v_cmp_lt_f32_e32 vcc_lo, v2, v4
	v_cndmask_b32_e32 v1, v2, v4, vcc_lo
	v_and_b32_e32 v2, 31, v0
	ds_bpermute_b32 v4, v11, v1
	v_cmp_eq_u32_e64 s2, 0, v2
	s_delay_alu instid0(VALU_DEP_1)
	s_and_saveexec_b32 s3, s2
	s_cbranch_execz .LBB130_15
; %bb.14:
	s_waitcnt lgkmcnt(0)
	v_cmp_lt_f32_e32 vcc_lo, v1, v4
	v_add_nc_u32_e32 v5, 0, v12
	v_cndmask_b32_e32 v1, v1, v4, vcc_lo
	ds_store_b32 v5, v1
.LBB130_15:
	s_or_b32 exec_lo, exec_lo, s3
	s_waitcnt lgkmcnt(0)
	s_barrier
	buffer_gl0_inv
	s_load_b32 s4, s[0:1], 0x24
	s_add_u32 s6, s0, 24
	s_addc_u32 s7, s1, 0
	v_mov_b32_e32 v1, 0xff7fffff
	v_lshl_add_u32 v13, v2, 2, 0
	s_waitcnt lgkmcnt(0)
	s_bfe_u32 s0, s4, 0xb0005
	s_delay_alu instid0(SALU_CYCLE_1) | instskip(NEXT) | instid1(VALU_DEP_1)
	v_cmp_gt_u32_e64 s0, s0, v0
	s_and_saveexec_b32 s1, s0
	s_cbranch_execnz .LBB130_23
; %bb.16:
	s_or_b32 exec_lo, exec_lo, s1
	v_cmp_gt_u32_e64 s1, 32, v0
	s_delay_alu instid0(VALU_DEP_1)
	s_and_saveexec_b32 s3, s1
	s_cbranch_execnz .LBB130_24
.LBB130_17:
	s_or_b32 exec_lo, exec_lo, s3
	v_cmp_eq_u32_e64 s3, 0, v0
	s_delay_alu instid0(VALU_DEP_1)
	s_and_saveexec_b32 s5, s3
	s_cbranch_execz .LBB130_19
.LBB130_18:
	v_mov_b32_e32 v2, 0
	s_waitcnt lgkmcnt(0)
	ds_store_b32 v2, v1
.LBB130_19:
	s_or_b32 exec_lo, exec_lo, s5
	v_mov_b32_e32 v14, 0
	s_waitcnt lgkmcnt(0)
	s_barrier
	buffer_gl0_inv
	v_cndmask_b32_e64 v9, 0, 1, s18
	ds_load_b32 v4, v14
	s_and_b32 s20, s4, 0xffff
	s_and_not1_b32 vcc_lo, exec_lo, s18
	s_mov_b32 s13, 0
	s_cbranch_vccnz .LBB130_26
; %bb.20:
	s_lshl_b64 s[4:5], s[12:13], 1
	v_cmp_le_u32_e32 vcc_lo, s12, v0
	s_sub_u32 s18, s10, s4
	s_subb_u32 s19, s11, s5
	s_add_i32 s5, s12, s14
	v_mov_b32_e32 v14, 0
	v_cmp_gt_i32_e64 s4, s5, v0
	s_delay_alu instid0(VALU_DEP_1) | instskip(NEXT) | instid1(SALU_CYCLE_1)
	s_and_b32 s13, vcc_lo, s4
	s_and_saveexec_b32 s4, s13
	s_cbranch_execz .LBB130_22
; %bb.21:
	v_lshlrev_b32_e32 v1, 1, v0
	global_load_u16 v1, v1, s[18:19]
	s_waitcnt vmcnt(0)
	v_cvt_f32_f16_e32 v1, v1
	s_waitcnt lgkmcnt(0)
	s_delay_alu instid0(VALU_DEP_1) | instskip(NEXT) | instid1(VALU_DEP_1)
	v_sub_f32_e32 v1, v1, v4
	v_mul_f32_e32 v2, 0x3fb8aa3b, v1
	s_delay_alu instid0(VALU_DEP_1) | instskip(SKIP_1) | instid1(VALU_DEP_1)
	v_fma_f32 v5, 0x3fb8aa3b, v1, -v2
	v_rndne_f32_e32 v14, v2
	v_dual_fmamk_f32 v5, v1, 0x32a5705f, v5 :: v_dual_sub_f32 v2, v2, v14
	s_delay_alu instid0(VALU_DEP_1) | instskip(SKIP_2) | instid1(VALU_DEP_3)
	v_add_f32_e32 v2, v2, v5
	v_cvt_i32_f32_e32 v5, v14
	v_cmp_ngt_f32_e32 vcc_lo, 0xc2ce8ed0, v1
	v_exp_f32_e32 v2, v2
	s_waitcnt_depctr 0xfff
	v_ldexp_f32 v2, v2, v5
	s_delay_alu instid0(VALU_DEP_1) | instskip(SKIP_1) | instid1(VALU_DEP_2)
	v_cndmask_b32_e32 v2, 0, v2, vcc_lo
	v_cmp_nlt_f32_e32 vcc_lo, 0x42b17218, v1
	v_cndmask_b32_e32 v14, 0x7f800000, v2, vcc_lo
.LBB130_22:
	s_or_b32 exec_lo, exec_lo, s4
	v_sub_nc_u32_e64 v1, s5, s20 clamp
	s_lshl_b32 s4, s20, 1
	s_delay_alu instid0(SALU_CYCLE_1) | instskip(SKIP_1) | instid1(VALU_DEP_1)
	s_add_u32 s18, s18, s4
	s_addc_u32 s19, s19, 0
	v_readfirstlane_b32 s13, v1
	s_branch .LBB130_27
.LBB130_23:
	ds_load_b32 v1, v13
	s_or_b32 exec_lo, exec_lo, s1
	v_cmp_gt_u32_e64 s1, 32, v0
	s_delay_alu instid0(VALU_DEP_1)
	s_and_saveexec_b32 s3, s1
	s_cbranch_execz .LBB130_17
.LBB130_24:
	s_waitcnt lgkmcnt(0)
	ds_bpermute_b32 v2, v6, v1
	s_waitcnt lgkmcnt(0)
	v_cmp_lt_f32_e32 vcc_lo, v1, v2
	v_cndmask_b32_e32 v1, v1, v2, vcc_lo
	ds_bpermute_b32 v2, v7, v1
	s_waitcnt lgkmcnt(0)
	v_cmp_lt_f32_e32 vcc_lo, v1, v2
	v_cndmask_b32_e32 v1, v1, v2, vcc_lo
	;; [unrolled: 4-line block ×5, first 2 shown]
	s_or_b32 exec_lo, exec_lo, s3
	v_cmp_eq_u32_e64 s3, 0, v0
	s_delay_alu instid0(VALU_DEP_1)
	s_and_saveexec_b32 s5, s3
	s_cbranch_execnz .LBB130_18
	s_branch .LBB130_19
.LBB130_25:
                                        ; implicit-def: $sgpr2_sgpr3
                                        ; implicit-def: $sgpr13
                                        ; implicit-def: $vgpr4
                                        ; implicit-def: $sgpr4_sgpr5
	s_cbranch_execnz .LBB130_4
	s_branch .LBB130_5
.LBB130_26:
	s_mov_b64 s[18:19], s[10:11]
	s_mov_b32 s13, s14
.LBB130_27:
	s_load_b32 s4, s[6:7], 0x0
	v_mov_b32_e32 v1, 0
	s_mov_b32 s24, 0
	s_mov_b32 s23, exec_lo
	s_waitcnt lgkmcnt(0)
	s_cmp_lt_u32 s15, s4
	s_cselect_b32 s4, 12, 18
	s_delay_alu instid0(SALU_CYCLE_1) | instskip(SKIP_4) | instid1(VALU_DEP_1)
	s_add_u32 s4, s6, s4
	s_addc_u32 s5, s7, 0
	global_load_u16 v5, v1, s[4:5]
	s_waitcnt vmcnt(0)
	v_readfirstlane_b32 s4, v5
	s_lshl_b32 s15, s4, 3
	s_delay_alu instid0(SALU_CYCLE_1) | instskip(SKIP_1) | instid1(VALU_DEP_1)
	v_cvt_f32_u32_e32 v1, s15
	s_sub_i32 s4, 0, s15
	v_rcp_iflag_f32_e32 v1, v1
	s_waitcnt_depctr 0xfff
	v_mul_f32_e32 v1, 0x4f7ffffe, v1
	s_delay_alu instid0(VALU_DEP_1) | instskip(NEXT) | instid1(VALU_DEP_1)
	v_cvt_u32_f32_e32 v1, v1
	v_readfirstlane_b32 s21, v1
	s_delay_alu instid0(VALU_DEP_1) | instskip(NEXT) | instid1(SALU_CYCLE_1)
	s_mul_i32 s4, s4, s21
	s_mul_hi_u32 s4, s21, s4
	s_delay_alu instid0(SALU_CYCLE_1) | instskip(NEXT) | instid1(SALU_CYCLE_1)
	s_add_i32 s21, s21, s4
	s_mul_hi_u32 s4, s13, s21
	s_delay_alu instid0(SALU_CYCLE_1) | instskip(NEXT) | instid1(SALU_CYCLE_1)
	s_mul_i32 s4, s4, s15
	s_sub_i32 s4, s13, s4
	s_delay_alu instid0(SALU_CYCLE_1) | instskip(SKIP_2) | instid1(SALU_CYCLE_1)
	s_sub_i32 s5, s4, s15
	s_cmp_ge_u32 s4, s15
	s_cselect_b32 s4, s5, s4
	s_sub_i32 s5, s4, s15
	s_cmp_ge_u32 s4, s15
	s_cselect_b32 s4, s5, s4
	s_delay_alu instid0(SALU_CYCLE_1) | instskip(NEXT) | instid1(SALU_CYCLE_1)
	s_sub_i32 s22, s13, s4
	v_cmpx_gt_i32_e64 s22, v3
	s_cbranch_execz .LBB130_31
; %bb.28:
	v_mov_b32_e32 v1, v0
.LBB130_29:                             ; =>This Inner Loop Header: Depth=1
	s_delay_alu instid0(VALU_DEP_1) | instskip(NEXT) | instid1(VALU_DEP_1)
	v_ashrrev_i32_e32 v2, 31, v1
	v_lshlrev_b64 v[15:16], 4, v[1:2]
	s_delay_alu instid0(VALU_DEP_1) | instskip(NEXT) | instid1(VALU_DEP_2)
	v_add_co_u32 v15, vcc_lo, s18, v15
	v_add_co_ci_u32_e32 v16, vcc_lo, s19, v16, vcc_lo
	global_load_b128 v[15:18], v[15:16], off
	s_waitcnt vmcnt(0)
	v_lshrrev_b32_e32 v2, 16, v15
	v_lshrrev_b32_e32 v20, 16, v17
	v_cvt_f32_f16_e32 v15, v15
	v_cvt_f32_f16_e32 v17, v17
	v_lshrrev_b32_e32 v19, 16, v16
	v_lshrrev_b32_e32 v21, 16, v18
	v_cvt_f32_f16_e32 v16, v16
	v_cvt_f32_f16_e32 v18, v18
	v_sub_f32_e32 v17, v17, v4
	v_sub_f32_e32 v15, v15, v4
	v_cvt_f32_f16_e32 v19, v19
	v_cvt_f32_f16_e32 v2, v2
	v_dual_sub_f32 v16, v16, v4 :: v_dual_add_nc_u32 v1, v1, v5
	v_mul_f32_e32 v24, 0x3fb8aa3b, v17
	v_mul_f32_e32 v22, 0x3fb8aa3b, v15
	v_cvt_f32_f16_e32 v21, v21
	v_cvt_f32_f16_e32 v20, v20
	v_cmp_ngt_f32_e64 s5, 0xc2ce8ed0, v15
	v_fma_f32 v32, 0x3fb8aa3b, v17, -v24
	v_fma_f32 v26, 0x3fb8aa3b, v15, -v22
	v_sub_f32_e32 v19, v19, v4
	v_rndne_f32_e32 v27, v22
	v_sub_f32_e32 v21, v21, v4
	v_rndne_f32_e32 v33, v24
	v_fmac_f32_e32 v26, 0x32a5705f, v15
	v_dual_sub_f32 v18, v18, v4 :: v_dual_mul_f32 v31, 0x3fb8aa3b, v19
	v_sub_f32_e32 v2, v2, v4
	v_sub_f32_e32 v22, v22, v27
	v_dual_sub_f32 v20, v20, v4 :: v_dual_mul_f32 v37, 0x3fb8aa3b, v21
	s_delay_alu instid0(VALU_DEP_4) | instskip(NEXT) | instid1(VALU_DEP_4)
	v_mul_f32_e32 v25, 0x3fb8aa3b, v18
	v_dual_mul_f32 v23, 0x3fb8aa3b, v16 :: v_dual_mul_f32 v28, 0x3fb8aa3b, v2
	v_fma_f32 v40, 0x3fb8aa3b, v19, -v31
	v_rndne_f32_e32 v41, v31
	s_delay_alu instid0(VALU_DEP_4) | instskip(NEXT) | instid1(VALU_DEP_4)
	v_fma_f32 v35, 0x3fb8aa3b, v18, -v25
	v_fma_f32 v29, 0x3fb8aa3b, v16, -v23
	v_rndne_f32_e32 v30, v23
	v_rndne_f32_e32 v36, v25
	v_fma_f32 v38, 0x3fb8aa3b, v2, -v28
	v_rndne_f32_e32 v39, v28
	s_delay_alu instid0(VALU_DEP_4) | instskip(SKIP_4) | instid1(VALU_DEP_4)
	v_dual_mul_f32 v34, 0x3fb8aa3b, v20 :: v_dual_sub_f32 v23, v23, v30
	v_dual_fmac_f32 v29, 0x32a5705f, v16 :: v_dual_fmac_f32 v32, 0x32a5705f, v17
	v_dual_sub_f32 v24, v24, v33 :: v_dual_fmac_f32 v35, 0x32a5705f, v18
	v_dual_sub_f32 v25, v25, v36 :: v_dual_add_f32 v22, v22, v26
	v_rndne_f32_e32 v45, v37
	v_dual_fmac_f32 v38, 0x32a5705f, v2 :: v_dual_add_f32 v23, v23, v29
	v_dual_sub_f32 v26, v28, v39 :: v_dual_sub_f32 v29, v31, v41
	v_fmac_f32_e32 v40, 0x32a5705f, v19
	v_dual_add_f32 v24, v24, v32 :: v_dual_add_f32 v25, v25, v35
	v_sub_f32_e32 v35, v37, v45
	v_exp_f32_e32 v22, v22
	v_add_f32_e32 v26, v26, v38
	v_cvt_i32_f32_e32 v27, v27
	v_rndne_f32_e32 v43, v34
	v_exp_f32_e32 v23, v23
	v_cvt_i32_f32_e32 v30, v30
	v_exp_f32_e32 v26, v26
	v_fma_f32 v42, 0x3fb8aa3b, v20, -v34
	v_cvt_i32_f32_e32 v28, v39
	v_dual_sub_f32 v32, v34, v43 :: v_dual_add_f32 v29, v29, v40
	v_ldexp_f32 v22, v22, v27
	v_cmp_ngt_f32_e32 vcc_lo, 0xc2ce8ed0, v16
	v_cmp_ngt_f32_e64 s6, 0xc2ce8ed0, v2
	s_delay_alu instid0(TRANS32_DEP_2)
	v_ldexp_f32 v23, v23, v30
	v_fmac_f32_e32 v42, 0x32a5705f, v20
	v_exp_f32_e32 v29, v29
	v_cndmask_b32_e64 v22, 0, v22, s5
	v_ldexp_f32 v26, v26, v28
	v_cndmask_b32_e32 v23, 0, v23, vcc_lo
	v_cmp_nlt_f32_e64 s7, 0x42b17218, v15
	v_cvt_i32_f32_e32 v31, v41
	v_add_f32_e32 v32, v32, v42
	v_cmp_nlt_f32_e32 vcc_lo, 0x42b17218, v2
	v_fma_f32 v44, 0x3fb8aa3b, v21, -v37
	v_cndmask_b32_e64 v15, 0x7f800000, v22, s7
	v_cndmask_b32_e64 v22, 0, v26, s6
	v_exp_f32_e32 v32, v32
	v_ldexp_f32 v26, v29, v31
	v_cvt_i32_f32_e32 v34, v43
	v_add_f32_e32 v2, v14, v15
	v_cndmask_b32_e32 v14, 0x7f800000, v22, vcc_lo
	v_cmp_ngt_f32_e32 vcc_lo, 0xc2ce8ed0, v19
	v_exp_f32_e32 v24, v24
	v_cmp_nlt_f32_e64 s6, 0x42b17218, v16
	v_cvt_i32_f32_e32 v33, v33
	v_add_f32_e32 v2, v2, v14
	v_cndmask_b32_e32 v16, 0, v26, vcc_lo
	v_cmp_nlt_f32_e32 vcc_lo, 0x42b17218, v19
	v_cndmask_b32_e64 v15, 0x7f800000, v23, s6
	v_ldexp_f32 v22, v32, v34
	v_exp_f32_e32 v25, v25
	v_cmp_ngt_f32_e64 s4, 0xc2ce8ed0, v17
	v_cndmask_b32_e32 v16, 0x7f800000, v16, vcc_lo
	v_cmp_ngt_f32_e32 vcc_lo, 0xc2ce8ed0, v20
	v_fmac_f32_e32 v44, 0x32a5705f, v21
	v_ldexp_f32 v24, v24, v33
	v_add_f32_e32 v2, v2, v15
	v_cvt_i32_f32_e32 v36, v36
	v_cndmask_b32_e32 v15, 0, v22, vcc_lo
	v_add_f32_e32 v35, v35, v44
	v_cndmask_b32_e64 v14, 0, v24, s4
	v_cmp_nlt_f32_e64 s4, 0x42b17218, v17
	v_cvt_i32_f32_e32 v37, v45
	v_ldexp_f32 v25, v25, v36
	v_exp_f32_e32 v35, v35
	v_cmp_ngt_f32_e64 s5, 0xc2ce8ed0, v18
	v_cndmask_b32_e64 v14, 0x7f800000, v14, s4
	v_add_f32_e32 v2, v2, v16
	v_cmp_nlt_f32_e32 vcc_lo, 0x42b17218, v20
	v_cmp_nlt_f32_e64 s4, 0x42b17218, v18
	v_cndmask_b32_e64 v16, 0, v25, s5
	s_delay_alu instid0(VALU_DEP_4) | instskip(NEXT) | instid1(TRANS32_DEP_1)
	v_dual_add_f32 v2, v2, v14 :: v_dual_cndmask_b32 v15, 0x7f800000, v15
	v_ldexp_f32 v17, v35, v37
	v_cmp_ngt_f32_e32 vcc_lo, 0xc2ce8ed0, v21
	s_delay_alu instid0(VALU_DEP_4) | instskip(NEXT) | instid1(VALU_DEP_4)
	v_cndmask_b32_e64 v14, 0x7f800000, v16, s4
	v_dual_add_f32 v2, v2, v15 :: v_dual_lshlrev_b32 v15, 3, v1
	s_delay_alu instid0(VALU_DEP_4) | instskip(SKIP_1) | instid1(VALU_DEP_3)
	v_cndmask_b32_e32 v16, 0, v17, vcc_lo
	v_cmp_nlt_f32_e32 vcc_lo, 0x42b17218, v21
	v_add_f32_e32 v2, v2, v14
	s_delay_alu instid0(VALU_DEP_3) | instskip(SKIP_1) | instid1(VALU_DEP_2)
	v_cndmask_b32_e32 v16, 0x7f800000, v16, vcc_lo
	v_cmp_le_i32_e32 vcc_lo, s22, v15
	v_add_f32_e32 v14, v2, v16
	s_or_b32 s24, vcc_lo, s24
	s_delay_alu instid0(SALU_CYCLE_1)
	s_and_not1_b32 exec_lo, exec_lo, s24
	s_cbranch_execnz .LBB130_29
; %bb.30:
	s_or_b32 exec_lo, exec_lo, s24
.LBB130_31:
	s_delay_alu instid0(SALU_CYCLE_1) | instskip(SKIP_2) | instid1(VALU_DEP_1)
	s_or_b32 exec_lo, exec_lo, s23
	v_add_nc_u32_e32 v1, s22, v0
	s_mov_b32 s4, exec_lo
	v_cmpx_gt_i32_e64 s13, v1
	s_cbranch_execz .LBB130_35
; %bb.32:
	s_mov_b32 s5, 0
	s_set_inst_prefetch_distance 0x1
	.p2align	6
.LBB130_33:                             ; =>This Inner Loop Header: Depth=1
	v_ashrrev_i32_e32 v2, 31, v1
	s_delay_alu instid0(VALU_DEP_1) | instskip(NEXT) | instid1(VALU_DEP_1)
	v_lshlrev_b64 v[15:16], 1, v[1:2]
	v_add_co_u32 v15, vcc_lo, s18, v15
	s_delay_alu instid0(VALU_DEP_2) | instskip(SKIP_3) | instid1(VALU_DEP_1)
	v_add_co_ci_u32_e32 v16, vcc_lo, s19, v16, vcc_lo
	global_load_u16 v2, v[15:16], off
	s_waitcnt vmcnt(0)
	v_cvt_f32_f16_e32 v2, v2
	v_sub_f32_e32 v2, v2, v4
	s_delay_alu instid0(VALU_DEP_1) | instskip(NEXT) | instid1(VALU_DEP_1)
	v_mul_f32_e32 v15, 0x3fb8aa3b, v2
	v_fma_f32 v16, 0x3fb8aa3b, v2, -v15
	v_rndne_f32_e32 v17, v15
	s_delay_alu instid0(VALU_DEP_1) | instskip(SKIP_1) | instid1(VALU_DEP_4)
	v_sub_f32_e32 v15, v15, v17
	v_cmp_ngt_f32_e32 vcc_lo, 0xc2ce8ed0, v2
	v_fmac_f32_e32 v16, 0x32a5705f, v2
	s_delay_alu instid0(VALU_DEP_1) | instskip(SKIP_1) | instid1(VALU_DEP_2)
	v_add_f32_e32 v15, v15, v16
	v_cvt_i32_f32_e32 v16, v17
	v_exp_f32_e32 v15, v15
	s_waitcnt_depctr 0xfff
	v_ldexp_f32 v15, v15, v16
	s_delay_alu instid0(VALU_DEP_1) | instskip(SKIP_1) | instid1(VALU_DEP_2)
	v_cndmask_b32_e32 v15, 0, v15, vcc_lo
	v_cmp_nlt_f32_e32 vcc_lo, 0x42b17218, v2
	v_dual_cndmask_b32 v2, 0x7f800000, v15 :: v_dual_add_nc_u32 v1, v1, v5
	s_delay_alu instid0(VALU_DEP_1) | instskip(NEXT) | instid1(VALU_DEP_2)
	v_cmp_le_i32_e32 vcc_lo, s13, v1
	v_add_f32_e32 v14, v14, v2
	s_or_b32 s5, vcc_lo, s5
	s_delay_alu instid0(SALU_CYCLE_1)
	s_and_not1_b32 exec_lo, exec_lo, s5
	s_cbranch_execnz .LBB130_33
; %bb.34:
	s_set_inst_prefetch_distance 0x2
	s_or_b32 exec_lo, exec_lo, s5
.LBB130_35:
	s_delay_alu instid0(SALU_CYCLE_1)
	s_or_b32 exec_lo, exec_lo, s4
	ds_bpermute_b32 v1, v6, v14
	s_waitcnt lgkmcnt(0)
	s_barrier
	buffer_gl0_inv
	v_add_f32_e32 v1, v14, v1
	ds_bpermute_b32 v2, v7, v1
	s_waitcnt lgkmcnt(0)
	v_add_f32_e32 v1, v1, v2
	ds_bpermute_b32 v2, v8, v1
	s_waitcnt lgkmcnt(0)
	v_add_f32_e32 v1, v1, v2
	ds_bpermute_b32 v2, v10, v1
	s_waitcnt lgkmcnt(0)
	v_add_f32_e32 v1, v1, v2
	ds_bpermute_b32 v2, v11, v1
	s_and_saveexec_b32 s4, s2
	s_cbranch_execz .LBB130_37
; %bb.36:
	s_waitcnt lgkmcnt(0)
	v_dual_add_f32 v1, v1, v2 :: v_dual_add_nc_u32 v12, 0, v12
	ds_store_b32 v12, v1
.LBB130_37:
	s_or_b32 exec_lo, exec_lo, s4
	v_mov_b32_e32 v1, 0
	s_waitcnt lgkmcnt(0)
	s_barrier
	buffer_gl0_inv
	s_and_saveexec_b32 s2, s0
	s_cbranch_execnz .LBB130_58
; %bb.38:
	s_or_b32 exec_lo, exec_lo, s2
	s_and_saveexec_b32 s0, s1
	s_cbranch_execnz .LBB130_59
.LBB130_39:
	s_or_b32 exec_lo, exec_lo, s0
	s_and_saveexec_b32 s0, s3
	s_cbranch_execz .LBB130_41
.LBB130_40:
	v_mov_b32_e32 v2, 0
	s_waitcnt lgkmcnt(0)
	ds_store_b32 v2, v1
.LBB130_41:
	s_or_b32 exec_lo, exec_lo, s0
	s_waitcnt lgkmcnt(0)
	v_mov_b32_e32 v1, 0
	s_barrier
	buffer_gl0_inv
	s_lshl_b64 s[2:3], s[16:17], 2
	ds_load_b32 v1, v1
	s_add_u32 s1, s8, s2
	s_addc_u32 s3, s9, s3
	s_waitcnt lgkmcnt(0)
	v_cmp_gt_f32_e32 vcc_lo, 0x800000, v1
	v_cndmask_b32_e64 v2, 1.0, 0x4f800000, vcc_lo
	s_delay_alu instid0(VALU_DEP_1) | instskip(NEXT) | instid1(VALU_DEP_1)
	v_mul_f32_e32 v1, v1, v2
	v_log_f32_e32 v1, v1
	s_waitcnt_depctr 0xfff
	v_mul_f32_e32 v2, 0x3f317217, v1
	v_cmp_gt_f32_e64 s0, 0x7f800000, |v1|
	s_delay_alu instid0(VALU_DEP_2) | instskip(NEXT) | instid1(VALU_DEP_1)
	v_fma_f32 v6, 0x3f317217, v1, -v2
	v_fmamk_f32 v6, v1, 0x3377d1cf, v6
	s_delay_alu instid0(VALU_DEP_1) | instskip(NEXT) | instid1(VALU_DEP_1)
	v_add_f32_e32 v2, v2, v6
	v_cndmask_b32_e64 v1, v1, v2, s0
	v_cndmask_b32_e64 v2, 0, 0x41b17218, vcc_lo
	s_bfe_u32 s0, s1, 0x20002
	s_delay_alu instid0(SALU_CYCLE_1) | instskip(SKIP_1) | instid1(VALU_DEP_1)
	s_cmp_lg_u32 s12, s0
	s_mov_b32 s0, -1
	v_sub_f32_e32 v6, v1, v2
	s_cbranch_scc0 .LBB130_46
; %bb.42:
	s_mov_b32 s2, exec_lo
	v_cmpx_gt_i32_e64 s14, v0
	s_cbranch_execz .LBB130_45
; %bb.43:
	v_mov_b32_e32 v1, v0
	s_mov_b32 s4, 0
	.p2align	6
.LBB130_44:                             ; =>This Inner Loop Header: Depth=1
	s_delay_alu instid0(VALU_DEP_1) | instskip(NEXT) | instid1(VALU_DEP_1)
	v_ashrrev_i32_e32 v2, 31, v1
	v_lshlrev_b64 v[7:8], 1, v[1:2]
	s_delay_alu instid0(VALU_DEP_1) | instskip(NEXT) | instid1(VALU_DEP_2)
	v_add_co_u32 v7, vcc_lo, s10, v7
	v_add_co_ci_u32_e32 v8, vcc_lo, s11, v8, vcc_lo
	global_load_u16 v7, v[7:8], off
	s_waitcnt vmcnt(0)
	v_cvt_f32_f16_e32 v10, v7
	v_lshlrev_b64 v[7:8], 2, v[1:2]
	s_delay_alu instid0(VALU_DEP_2) | instskip(NEXT) | instid1(VALU_DEP_1)
	v_dual_sub_f32 v2, v10, v4 :: v_dual_add_nc_u32 v1, s20, v1
	v_cmp_le_i32_e32 vcc_lo, s14, v1
	s_delay_alu instid0(VALU_DEP_3) | instskip(NEXT) | instid1(VALU_DEP_3)
	v_add_co_u32 v7, s0, s1, v7
	v_sub_f32_e32 v2, v2, v6
	v_add_co_ci_u32_e64 v8, s0, s3, v8, s0
	s_or_b32 s4, vcc_lo, s4
	global_store_b32 v[7:8], v2, off
	s_and_not1_b32 exec_lo, exec_lo, s4
	s_cbranch_execnz .LBB130_44
.LBB130_45:
	s_or_b32 exec_lo, exec_lo, s2
	s_mov_b32 s0, 0
.LBB130_46:
	s_delay_alu instid0(SALU_CYCLE_1)
	s_and_not1_b32 vcc_lo, exec_lo, s0
	s_cbranch_vccnz .LBB130_57
; %bb.47:
	v_cmp_ne_u32_e32 vcc_lo, 1, v9
	s_cbranch_vccnz .LBB130_51
; %bb.48:
	s_mov_b32 s13, 0
	v_cmp_le_u32_e32 vcc_lo, s12, v0
	s_lshl_b64 s[4:5], s[12:13], 1
	s_delay_alu instid0(SALU_CYCLE_1) | instskip(SKIP_2) | instid1(SALU_CYCLE_1)
	s_sub_u32 s4, s10, s4
	s_subb_u32 s5, s11, s5
	s_lshl_b64 s[6:7], s[12:13], 2
	s_sub_u32 s2, s1, s6
	s_subb_u32 s3, s3, s7
	s_add_i32 s1, s12, s14
	s_delay_alu instid0(SALU_CYCLE_1) | instskip(NEXT) | instid1(VALU_DEP_1)
	v_cmp_gt_i32_e64 s0, s1, v0
	s_and_b32 s6, vcc_lo, s0
	s_delay_alu instid0(SALU_CYCLE_1)
	s_and_saveexec_b32 s0, s6
	s_cbranch_execz .LBB130_50
; %bb.49:
	v_lshlrev_b32_e32 v1, 1, v0
	v_lshlrev_b32_e32 v2, 2, v0
	global_load_u16 v1, v1, s[4:5]
	s_waitcnt vmcnt(0)
	v_cvt_f32_f16_e32 v1, v1
	s_delay_alu instid0(VALU_DEP_1) | instskip(NEXT) | instid1(VALU_DEP_1)
	v_sub_f32_e32 v1, v1, v4
	v_sub_f32_e32 v1, v1, v6
	global_store_b32 v2, v1, s[2:3]
.LBB130_50:
	s_or_b32 exec_lo, exec_lo, s0
	v_sub_nc_u32_e64 v1, s1, s20 clamp
	s_lshl_b32 s0, s20, 1
	s_delay_alu instid0(SALU_CYCLE_1) | instskip(SKIP_1) | instid1(VALU_DEP_1)
	s_add_u32 s10, s4, s0
	s_addc_u32 s11, s5, 0
	v_readfirstlane_b32 s14, v1
	s_lshl_b32 s0, s20, 2
	s_delay_alu instid0(SALU_CYCLE_1)
	s_add_u32 s1, s2, s0
	s_addc_u32 s3, s3, 0
.LBB130_51:
	s_delay_alu instid0(VALU_DEP_1) | instskip(NEXT) | instid1(SALU_CYCLE_1)
	s_mul_hi_u32 s0, s14, s21
	s_mul_i32 s0, s0, s15
	s_delay_alu instid0(SALU_CYCLE_1) | instskip(NEXT) | instid1(SALU_CYCLE_1)
	s_sub_i32 s0, s14, s0
	s_sub_i32 s2, s0, s15
	s_cmp_ge_u32 s0, s15
	s_cselect_b32 s0, s2, s0
	s_delay_alu instid0(SALU_CYCLE_1) | instskip(SKIP_4) | instid1(SALU_CYCLE_1)
	s_sub_i32 s2, s0, s15
	s_cmp_ge_u32 s0, s15
	s_cselect_b32 s0, s2, s0
	s_mov_b32 s2, exec_lo
	s_sub_i32 s0, s14, s0
	v_cmpx_gt_i32_e64 s0, v3
	s_cbranch_execz .LBB130_54
; %bb.52:
	v_mov_b32_e32 v1, v0
	s_mov_b32 s4, 0
.LBB130_53:                             ; =>This Inner Loop Header: Depth=1
	s_delay_alu instid0(VALU_DEP_1) | instskip(NEXT) | instid1(VALU_DEP_1)
	v_ashrrev_i32_e32 v2, 31, v1
	v_lshlrev_b64 v[7:8], 4, v[1:2]
	v_lshlrev_b64 v[2:3], 5, v[1:2]
	s_delay_alu instid0(VALU_DEP_2) | instskip(NEXT) | instid1(VALU_DEP_3)
	v_add_co_u32 v7, vcc_lo, s10, v7
	v_add_co_ci_u32_e32 v8, vcc_lo, s11, v8, vcc_lo
	s_delay_alu instid0(VALU_DEP_3) | instskip(NEXT) | instid1(VALU_DEP_4)
	v_add_co_u32 v2, vcc_lo, s1, v2
	v_add_co_ci_u32_e32 v3, vcc_lo, s3, v3, vcc_lo
	global_load_b128 v[7:10], v[7:8], off
	s_waitcnt vmcnt(0)
	v_lshrrev_b32_e32 v12, 16, v8
	v_cvt_f32_f16_e32 v8, v8
	v_add_nc_u32_e32 v1, v1, v5
	v_lshrrev_b32_e32 v14, 16, v10
	v_cvt_f32_f16_e32 v10, v10
	v_lshrrev_b32_e32 v13, 16, v9
	s_delay_alu instid0(VALU_DEP_4) | instskip(SKIP_1) | instid1(VALU_DEP_4)
	v_dual_sub_f32 v8, v8, v4 :: v_dual_lshlrev_b32 v11, 3, v1
	v_cvt_f32_f16_e32 v9, v9
	v_sub_f32_e32 v10, v10, v4
	v_cvt_f32_f16_e32 v12, v12
	v_cvt_f32_f16_e32 v13, v13
	v_cmp_le_i32_e32 vcc_lo, s0, v11
	v_lshrrev_b32_e32 v11, 16, v7
	v_cvt_f32_f16_e32 v7, v7
	v_cvt_f32_f16_e32 v14, v14
	v_sub_f32_e32 v12, v12, v4
	v_sub_f32_e32 v15, v9, v4
	v_cvt_f32_f16_e32 v11, v11
	v_sub_f32_e32 v9, v8, v6
	s_or_b32 s4, vcc_lo, s4
	v_sub_f32_e32 v14, v14, v4
	s_delay_alu instid0(VALU_DEP_3) | instskip(SKIP_2) | instid1(VALU_DEP_4)
	v_sub_f32_e32 v16, v11, v4
	v_sub_f32_e32 v7, v7, v4
	;; [unrolled: 1-line block ×3, first 2 shown]
	v_dual_sub_f32 v15, v13, v4 :: v_dual_sub_f32 v14, v14, v6
	s_delay_alu instid0(VALU_DEP_4) | instskip(NEXT) | instid1(VALU_DEP_4)
	v_sub_f32_e32 v8, v16, v6
	v_sub_f32_e32 v7, v7, v6
	;; [unrolled: 1-line block ×5, first 2 shown]
	s_clause 0x1
	global_store_b128 v[2:3], v[7:10], off
	global_store_b128 v[2:3], v[11:14], off offset:16
	s_and_not1_b32 exec_lo, exec_lo, s4
	s_cbranch_execnz .LBB130_53
.LBB130_54:
	s_or_b32 exec_lo, exec_lo, s2
	v_add_nc_u32_e32 v0, s0, v0
	s_mov_b32 s0, exec_lo
	s_delay_alu instid0(VALU_DEP_1)
	v_cmpx_gt_i32_e64 s14, v0
	s_cbranch_execz .LBB130_57
; %bb.55:
	s_mov_b32 s2, 0
	.p2align	6
.LBB130_56:                             ; =>This Inner Loop Header: Depth=1
	v_ashrrev_i32_e32 v1, 31, v0
	s_delay_alu instid0(VALU_DEP_1) | instskip(NEXT) | instid1(VALU_DEP_1)
	v_lshlrev_b64 v[2:3], 1, v[0:1]
	v_add_co_u32 v2, vcc_lo, s10, v2
	s_delay_alu instid0(VALU_DEP_2) | instskip(SKIP_4) | instid1(VALU_DEP_2)
	v_add_co_ci_u32_e32 v3, vcc_lo, s11, v3, vcc_lo
	global_load_u16 v2, v[2:3], off
	s_waitcnt vmcnt(0)
	v_cvt_f32_f16_e32 v3, v2
	v_lshlrev_b64 v[1:2], 2, v[0:1]
	v_dual_sub_f32 v3, v3, v4 :: v_dual_add_nc_u32 v0, v0, v5
	s_delay_alu instid0(VALU_DEP_1) | instskip(NEXT) | instid1(VALU_DEP_3)
	v_cmp_le_i32_e32 vcc_lo, s14, v0
	v_add_co_u32 v1, s0, s1, v1
	s_delay_alu instid0(VALU_DEP_3)
	v_sub_f32_e32 v3, v3, v6
	v_add_co_ci_u32_e64 v2, s0, s3, v2, s0
	s_or_b32 s2, vcc_lo, s2
	global_store_b32 v[1:2], v3, off
	s_and_not1_b32 exec_lo, exec_lo, s2
	s_cbranch_execnz .LBB130_56
.LBB130_57:
	s_nop 0
	s_sendmsg sendmsg(MSG_DEALLOC_VGPRS)
	s_endpgm
.LBB130_58:
	ds_load_b32 v1, v13
	s_or_b32 exec_lo, exec_lo, s2
	s_and_saveexec_b32 s0, s1
	s_cbranch_execz .LBB130_39
.LBB130_59:
	s_waitcnt lgkmcnt(0)
	ds_bpermute_b32 v2, v6, v1
	s_waitcnt lgkmcnt(0)
	v_add_f32_e32 v1, v1, v2
	ds_bpermute_b32 v2, v7, v1
	s_waitcnt lgkmcnt(0)
	v_add_f32_e32 v1, v1, v2
	;; [unrolled: 3-line block ×5, first 2 shown]
	s_or_b32 exec_lo, exec_lo, s0
	s_and_saveexec_b32 s0, s3
	s_cbranch_execnz .LBB130_40
	s_branch .LBB130_41
	.section	.rodata,"a",@progbits
	.p2align	6, 0x0
	.amdhsa_kernel _ZN2at6native12_GLOBAL__N_119cunn_SoftMaxForwardILi8EN3c104HalfEffNS1_25LogSoftMaxForwardEpilogueEEEvPT2_PKT0_i
		.amdhsa_group_segment_fixed_size 0
		.amdhsa_private_segment_fixed_size 0
		.amdhsa_kernarg_size 280
		.amdhsa_user_sgpr_count 15
		.amdhsa_user_sgpr_dispatch_ptr 0
		.amdhsa_user_sgpr_queue_ptr 0
		.amdhsa_user_sgpr_kernarg_segment_ptr 1
		.amdhsa_user_sgpr_dispatch_id 0
		.amdhsa_user_sgpr_private_segment_size 0
		.amdhsa_wavefront_size32 1
		.amdhsa_uses_dynamic_stack 0
		.amdhsa_enable_private_segment 0
		.amdhsa_system_sgpr_workgroup_id_x 1
		.amdhsa_system_sgpr_workgroup_id_y 0
		.amdhsa_system_sgpr_workgroup_id_z 0
		.amdhsa_system_sgpr_workgroup_info 0
		.amdhsa_system_vgpr_workitem_id 0
		.amdhsa_next_free_vgpr 46
		.amdhsa_next_free_sgpr 25
		.amdhsa_reserve_vcc 1
		.amdhsa_float_round_mode_32 0
		.amdhsa_float_round_mode_16_64 0
		.amdhsa_float_denorm_mode_32 3
		.amdhsa_float_denorm_mode_16_64 3
		.amdhsa_dx10_clamp 1
		.amdhsa_ieee_mode 1
		.amdhsa_fp16_overflow 0
		.amdhsa_workgroup_processor_mode 1
		.amdhsa_memory_ordered 1
		.amdhsa_forward_progress 0
		.amdhsa_shared_vgpr_count 0
		.amdhsa_exception_fp_ieee_invalid_op 0
		.amdhsa_exception_fp_denorm_src 0
		.amdhsa_exception_fp_ieee_div_zero 0
		.amdhsa_exception_fp_ieee_overflow 0
		.amdhsa_exception_fp_ieee_underflow 0
		.amdhsa_exception_fp_ieee_inexact 0
		.amdhsa_exception_int_div_zero 0
	.end_amdhsa_kernel
	.section	.text._ZN2at6native12_GLOBAL__N_119cunn_SoftMaxForwardILi8EN3c104HalfEffNS1_25LogSoftMaxForwardEpilogueEEEvPT2_PKT0_i,"axG",@progbits,_ZN2at6native12_GLOBAL__N_119cunn_SoftMaxForwardILi8EN3c104HalfEffNS1_25LogSoftMaxForwardEpilogueEEEvPT2_PKT0_i,comdat
.Lfunc_end130:
	.size	_ZN2at6native12_GLOBAL__N_119cunn_SoftMaxForwardILi8EN3c104HalfEffNS1_25LogSoftMaxForwardEpilogueEEEvPT2_PKT0_i, .Lfunc_end130-_ZN2at6native12_GLOBAL__N_119cunn_SoftMaxForwardILi8EN3c104HalfEffNS1_25LogSoftMaxForwardEpilogueEEEvPT2_PKT0_i
                                        ; -- End function
	.section	.AMDGPU.csdata,"",@progbits
; Kernel info:
; codeLenInByte = 4316
; NumSgprs: 27
; NumVgprs: 46
; ScratchSize: 0
; MemoryBound: 0
; FloatMode: 240
; IeeeMode: 1
; LDSByteSize: 0 bytes/workgroup (compile time only)
; SGPRBlocks: 3
; VGPRBlocks: 5
; NumSGPRsForWavesPerEU: 27
; NumVGPRsForWavesPerEU: 46
; Occupancy: 16
; WaveLimiterHint : 0
; COMPUTE_PGM_RSRC2:SCRATCH_EN: 0
; COMPUTE_PGM_RSRC2:USER_SGPR: 15
; COMPUTE_PGM_RSRC2:TRAP_HANDLER: 0
; COMPUTE_PGM_RSRC2:TGID_X_EN: 1
; COMPUTE_PGM_RSRC2:TGID_Y_EN: 0
; COMPUTE_PGM_RSRC2:TGID_Z_EN: 0
; COMPUTE_PGM_RSRC2:TIDIG_COMP_CNT: 0
	.section	.text._ZN12_GLOBAL__N_120softmax_warp_forwardIN3c108BFloat16ES2_fLi0ELb1ELb0ELi64EEEvPT0_PKT_iiiPKbib,"axG",@progbits,_ZN12_GLOBAL__N_120softmax_warp_forwardIN3c108BFloat16ES2_fLi0ELb1ELb0ELi64EEEvPT0_PKT_iiiPKbib,comdat
	.globl	_ZN12_GLOBAL__N_120softmax_warp_forwardIN3c108BFloat16ES2_fLi0ELb1ELb0ELi64EEEvPT0_PKT_iiiPKbib ; -- Begin function _ZN12_GLOBAL__N_120softmax_warp_forwardIN3c108BFloat16ES2_fLi0ELb1ELb0ELi64EEEvPT0_PKT_iiiPKbib
	.p2align	8
	.type	_ZN12_GLOBAL__N_120softmax_warp_forwardIN3c108BFloat16ES2_fLi0ELb1ELb0ELi64EEEvPT0_PKT_iiiPKbib,@function
_ZN12_GLOBAL__N_120softmax_warp_forwardIN3c108BFloat16ES2_fLi0ELb1ELb0ELi64EEEvPT0_PKT_iiiPKbib: ; @_ZN12_GLOBAL__N_120softmax_warp_forwardIN3c108BFloat16ES2_fLi0ELb1ELb0ELi64EEEvPT0_PKT_iiiPKbib
; %bb.0:
	s_clause 0x1
	s_load_b32 s2, s[0:1], 0x3c
	s_load_b256 s[4:11], s[0:1], 0x0
	v_bfe_u32 v1, v0, 10, 10
	v_and_b32_e32 v2, 0x3ff, v0
	v_dual_mov_b32 v5, 0xff800000 :: v_dual_mov_b32 v6, 0xff800000
	s_waitcnt lgkmcnt(0)
	s_lshr_b32 s0, s2, 16
	s_delay_alu instid0(VALU_DEP_2) | instskip(SKIP_1) | instid1(SALU_CYCLE_1)
	v_cmp_gt_i32_e32 vcc_lo, s10, v2
	s_mul_i32 s15, s15, s0
	v_add_lshl_u32 v3, s15, v1, 1
	s_delay_alu instid0(VALU_DEP_1) | instskip(SKIP_1) | instid1(VALU_DEP_1)
	v_mad_u64_u32 v[0:1], null, v3, s9, v[2:3]
	v_sub_nc_u32_e32 v4, s8, v3
	v_cmp_lt_i32_e64 s0, 0, v4
	s_delay_alu instid0(VALU_DEP_3) | instskip(NEXT) | instid1(VALU_DEP_2)
	v_ashrrev_i32_e32 v1, 31, v0
	s_and_b32 s2, vcc_lo, s0
	s_delay_alu instid0(VALU_DEP_1) | instskip(NEXT) | instid1(VALU_DEP_1)
	v_lshlrev_b64 v[0:1], 1, v[0:1]
	v_add_co_u32 v2, s1, s6, v0
	s_delay_alu instid0(VALU_DEP_1)
	v_add_co_ci_u32_e64 v3, s1, s7, v1, s1
	s_and_saveexec_b32 s1, s2
	s_cbranch_execz .LBB131_2
; %bb.1:
	global_load_u16 v6, v[2:3], off
	s_waitcnt vmcnt(0)
	v_lshlrev_b32_e32 v6, 16, v6
.LBB131_2:
	s_or_b32 exec_lo, exec_lo, s1
	v_cmp_lt_i32_e64 s1, 1, v4
	s_delay_alu instid0(VALU_DEP_1) | instskip(NEXT) | instid1(SALU_CYCLE_1)
	s_and_b32 s1, vcc_lo, s1
	s_and_saveexec_b32 s2, s1
	s_cbranch_execz .LBB131_4
; %bb.3:
	s_mov_b32 s11, 0
	s_delay_alu instid0(SALU_CYCLE_1) | instskip(NEXT) | instid1(SALU_CYCLE_1)
	s_lshl_b64 s[6:7], s[10:11], 1
	v_add_co_u32 v2, s1, v2, s6
	s_delay_alu instid0(VALU_DEP_1)
	v_add_co_ci_u32_e64 v3, s1, s7, v3, s1
	global_load_u16 v2, v[2:3], off
	s_waitcnt vmcnt(0)
	v_lshlrev_b32_e32 v5, 16, v2
.LBB131_4:
	s_or_b32 exec_lo, exec_lo, s2
	s_and_saveexec_b32 s1, s0
	s_cbranch_execz .LBB131_10
; %bb.5:
	v_add_co_u32 v0, s0, s4, v0
	s_delay_alu instid0(VALU_DEP_1)
	v_add_co_ci_u32_e64 v1, s0, s5, v1, s0
	s_and_saveexec_b32 s2, vcc_lo
	s_cbranch_execz .LBB131_7
; %bb.6:
	v_sub_f32_e32 v2, v6, v6
	s_delay_alu instid0(VALU_DEP_1) | instskip(NEXT) | instid1(VALU_DEP_1)
	v_mul_f32_e32 v3, 0x3fb8aa3b, v2
	v_rndne_f32_e32 v6, v3
	v_fma_f32 v7, 0x3fb8aa3b, v2, -v3
	s_delay_alu instid0(VALU_DEP_2) | instskip(NEXT) | instid1(VALU_DEP_2)
	v_sub_f32_e32 v3, v3, v6
	v_fmamk_f32 v7, v2, 0x32a5705f, v7
	v_cvt_i32_f32_e32 v6, v6
	s_delay_alu instid0(VALU_DEP_2) | instskip(SKIP_1) | instid1(VALU_DEP_2)
	v_add_f32_e32 v3, v3, v7
	v_cmp_ngt_f32_e64 s0, 0xc2ce8ed0, v2
	v_exp_f32_e32 v3, v3
	s_waitcnt_depctr 0xfff
	v_ldexp_f32 v3, v3, v6
	s_delay_alu instid0(VALU_DEP_1) | instskip(SKIP_1) | instid1(VALU_DEP_1)
	v_cndmask_b32_e64 v3, 0, v3, s0
	v_cmp_nlt_f32_e64 s0, 0x42b17218, v2
	v_cndmask_b32_e64 v3, 0x7f800000, v3, s0
	s_delay_alu instid0(VALU_DEP_1) | instskip(NEXT) | instid1(VALU_DEP_1)
	v_cmp_gt_f32_e64 s0, 0x800000, v3
	v_cndmask_b32_e64 v6, 1.0, 0x4f800000, s0
	s_delay_alu instid0(VALU_DEP_1) | instskip(NEXT) | instid1(VALU_DEP_1)
	v_mul_f32_e32 v3, v3, v6
	v_log_f32_e32 v3, v3
	s_waitcnt_depctr 0xfff
	v_mul_f32_e32 v6, 0x3f317217, v3
	v_cmp_gt_f32_e64 s1, 0x7f800000, |v3|
	s_delay_alu instid0(VALU_DEP_2) | instskip(NEXT) | instid1(VALU_DEP_1)
	v_fma_f32 v7, 0x3f317217, v3, -v6
	v_fmamk_f32 v7, v3, 0x3377d1cf, v7
	s_delay_alu instid0(VALU_DEP_1) | instskip(NEXT) | instid1(VALU_DEP_1)
	v_add_f32_e32 v6, v6, v7
	v_cndmask_b32_e64 v3, v3, v6, s1
	v_cndmask_b32_e64 v6, 0, 0x41b17218, s0
	s_delay_alu instid0(VALU_DEP_1) | instskip(NEXT) | instid1(VALU_DEP_1)
	v_sub_f32_e32 v3, v3, v6
	v_sub_f32_e32 v2, v2, v3
	s_delay_alu instid0(VALU_DEP_1) | instskip(SKIP_1) | instid1(VALU_DEP_2)
	v_bfe_u32 v3, v2, 16, 1
	v_cmp_o_f32_e64 s0, v2, v2
	v_add3_u32 v3, v2, v3, 0x7fff
	s_delay_alu instid0(VALU_DEP_1) | instskip(NEXT) | instid1(VALU_DEP_1)
	v_lshrrev_b32_e32 v3, 16, v3
	v_cndmask_b32_e64 v2, 0x7fc0, v3, s0
	global_store_b16 v[0:1], v2, off
.LBB131_7:
	s_or_b32 exec_lo, exec_lo, s2
	v_cmp_ne_u32_e64 s0, 1, v4
	s_delay_alu instid0(VALU_DEP_1)
	s_and_b32 exec_lo, exec_lo, s0
	s_cbranch_execz .LBB131_10
; %bb.8:
	s_and_b32 exec_lo, exec_lo, vcc_lo
	s_cbranch_execz .LBB131_10
; %bb.9:
	v_sub_f32_e32 v2, v5, v5
	s_mov_b32 s11, 0
	s_delay_alu instid0(SALU_CYCLE_1) | instskip(NEXT) | instid1(VALU_DEP_1)
	s_lshl_b64 s[0:1], s[10:11], 1
	v_mul_f32_e32 v3, 0x3fb8aa3b, v2
	s_delay_alu instid0(VALU_DEP_1) | instskip(SKIP_1) | instid1(VALU_DEP_2)
	v_rndne_f32_e32 v4, v3
	v_fma_f32 v5, 0x3fb8aa3b, v2, -v3
	v_sub_f32_e32 v3, v3, v4
	s_delay_alu instid0(VALU_DEP_2) | instskip(SKIP_2) | instid1(VALU_DEP_3)
	v_fmamk_f32 v5, v2, 0x32a5705f, v5
	v_cvt_i32_f32_e32 v4, v4
	v_cmp_ngt_f32_e32 vcc_lo, 0xc2ce8ed0, v2
	v_add_f32_e32 v3, v3, v5
	s_delay_alu instid0(VALU_DEP_1) | instskip(SKIP_2) | instid1(VALU_DEP_1)
	v_exp_f32_e32 v3, v3
	s_waitcnt_depctr 0xfff
	v_ldexp_f32 v3, v3, v4
	v_cndmask_b32_e32 v3, 0, v3, vcc_lo
	v_cmp_nlt_f32_e32 vcc_lo, 0x42b17218, v2
	s_delay_alu instid0(VALU_DEP_2) | instskip(NEXT) | instid1(VALU_DEP_1)
	v_cndmask_b32_e32 v3, 0x7f800000, v3, vcc_lo
	v_cmp_gt_f32_e32 vcc_lo, 0x800000, v3
	v_cndmask_b32_e64 v4, 1.0, 0x4f800000, vcc_lo
	s_delay_alu instid0(VALU_DEP_1) | instskip(NEXT) | instid1(VALU_DEP_1)
	v_mul_f32_e32 v3, v3, v4
	v_log_f32_e32 v3, v3
	s_waitcnt_depctr 0xfff
	v_mul_f32_e32 v4, 0x3f317217, v3
	s_delay_alu instid0(VALU_DEP_1) | instskip(NEXT) | instid1(VALU_DEP_1)
	v_fma_f32 v5, 0x3f317217, v3, -v4
	v_fmamk_f32 v5, v3, 0x3377d1cf, v5
	s_delay_alu instid0(VALU_DEP_1) | instskip(SKIP_2) | instid1(VALU_DEP_3)
	v_add_f32_e32 v4, v4, v5
	v_cndmask_b32_e64 v5, 0, 0x41b17218, vcc_lo
	v_cmp_gt_f32_e64 vcc_lo, 0x7f800000, |v3|
	v_cndmask_b32_e32 v3, v3, v4, vcc_lo
	s_delay_alu instid0(VALU_DEP_1) | instskip(NEXT) | instid1(VALU_DEP_1)
	v_sub_f32_e32 v3, v3, v5
	v_sub_f32_e32 v2, v2, v3
	s_delay_alu instid0(VALU_DEP_1) | instskip(SKIP_1) | instid1(VALU_DEP_2)
	v_bfe_u32 v3, v2, 16, 1
	v_cmp_o_f32_e32 vcc_lo, v2, v2
	v_add3_u32 v3, v2, v3, 0x7fff
	s_delay_alu instid0(VALU_DEP_1) | instskip(NEXT) | instid1(VALU_DEP_1)
	v_lshrrev_b32_e32 v3, 16, v3
	v_cndmask_b32_e32 v2, 0x7fc0, v3, vcc_lo
	v_add_co_u32 v0, vcc_lo, v0, s0
	v_add_co_ci_u32_e32 v1, vcc_lo, s1, v1, vcc_lo
	global_store_b16 v[0:1], v2, off
.LBB131_10:
	s_nop 0
	s_sendmsg sendmsg(MSG_DEALLOC_VGPRS)
	s_endpgm
	.section	.rodata,"a",@progbits
	.p2align	6, 0x0
	.amdhsa_kernel _ZN12_GLOBAL__N_120softmax_warp_forwardIN3c108BFloat16ES2_fLi0ELb1ELb0ELi64EEEvPT0_PKT_iiiPKbib
		.amdhsa_group_segment_fixed_size 0
		.amdhsa_private_segment_fixed_size 0
		.amdhsa_kernarg_size 304
		.amdhsa_user_sgpr_count 15
		.amdhsa_user_sgpr_dispatch_ptr 0
		.amdhsa_user_sgpr_queue_ptr 0
		.amdhsa_user_sgpr_kernarg_segment_ptr 1
		.amdhsa_user_sgpr_dispatch_id 0
		.amdhsa_user_sgpr_private_segment_size 0
		.amdhsa_wavefront_size32 1
		.amdhsa_uses_dynamic_stack 0
		.amdhsa_enable_private_segment 0
		.amdhsa_system_sgpr_workgroup_id_x 1
		.amdhsa_system_sgpr_workgroup_id_y 0
		.amdhsa_system_sgpr_workgroup_id_z 0
		.amdhsa_system_sgpr_workgroup_info 0
		.amdhsa_system_vgpr_workitem_id 1
		.amdhsa_next_free_vgpr 8
		.amdhsa_next_free_sgpr 16
		.amdhsa_reserve_vcc 1
		.amdhsa_float_round_mode_32 0
		.amdhsa_float_round_mode_16_64 0
		.amdhsa_float_denorm_mode_32 3
		.amdhsa_float_denorm_mode_16_64 3
		.amdhsa_dx10_clamp 1
		.amdhsa_ieee_mode 1
		.amdhsa_fp16_overflow 0
		.amdhsa_workgroup_processor_mode 1
		.amdhsa_memory_ordered 1
		.amdhsa_forward_progress 0
		.amdhsa_shared_vgpr_count 0
		.amdhsa_exception_fp_ieee_invalid_op 0
		.amdhsa_exception_fp_denorm_src 0
		.amdhsa_exception_fp_ieee_div_zero 0
		.amdhsa_exception_fp_ieee_overflow 0
		.amdhsa_exception_fp_ieee_underflow 0
		.amdhsa_exception_fp_ieee_inexact 0
		.amdhsa_exception_int_div_zero 0
	.end_amdhsa_kernel
	.section	.text._ZN12_GLOBAL__N_120softmax_warp_forwardIN3c108BFloat16ES2_fLi0ELb1ELb0ELi64EEEvPT0_PKT_iiiPKbib,"axG",@progbits,_ZN12_GLOBAL__N_120softmax_warp_forwardIN3c108BFloat16ES2_fLi0ELb1ELb0ELi64EEEvPT0_PKT_iiiPKbib,comdat
.Lfunc_end131:
	.size	_ZN12_GLOBAL__N_120softmax_warp_forwardIN3c108BFloat16ES2_fLi0ELb1ELb0ELi64EEEvPT0_PKT_iiiPKbib, .Lfunc_end131-_ZN12_GLOBAL__N_120softmax_warp_forwardIN3c108BFloat16ES2_fLi0ELb1ELb0ELi64EEEvPT0_PKT_iiiPKbib
                                        ; -- End function
	.section	.AMDGPU.csdata,"",@progbits
; Kernel info:
; codeLenInByte = 940
; NumSgprs: 18
; NumVgprs: 8
; ScratchSize: 0
; MemoryBound: 0
; FloatMode: 240
; IeeeMode: 1
; LDSByteSize: 0 bytes/workgroup (compile time only)
; SGPRBlocks: 2
; VGPRBlocks: 0
; NumSGPRsForWavesPerEU: 18
; NumVGPRsForWavesPerEU: 8
; Occupancy: 16
; WaveLimiterHint : 0
; COMPUTE_PGM_RSRC2:SCRATCH_EN: 0
; COMPUTE_PGM_RSRC2:USER_SGPR: 15
; COMPUTE_PGM_RSRC2:TRAP_HANDLER: 0
; COMPUTE_PGM_RSRC2:TGID_X_EN: 1
; COMPUTE_PGM_RSRC2:TGID_Y_EN: 0
; COMPUTE_PGM_RSRC2:TGID_Z_EN: 0
; COMPUTE_PGM_RSRC2:TIDIG_COMP_CNT: 1
	.section	.text._ZN12_GLOBAL__N_120softmax_warp_forwardIN3c108BFloat16ES2_fLi0ELb1ELb0ELi32EEEvPT0_PKT_iiiPKbib,"axG",@progbits,_ZN12_GLOBAL__N_120softmax_warp_forwardIN3c108BFloat16ES2_fLi0ELb1ELb0ELi32EEEvPT0_PKT_iiiPKbib,comdat
	.globl	_ZN12_GLOBAL__N_120softmax_warp_forwardIN3c108BFloat16ES2_fLi0ELb1ELb0ELi32EEEvPT0_PKT_iiiPKbib ; -- Begin function _ZN12_GLOBAL__N_120softmax_warp_forwardIN3c108BFloat16ES2_fLi0ELb1ELb0ELi32EEEvPT0_PKT_iiiPKbib
	.p2align	8
	.type	_ZN12_GLOBAL__N_120softmax_warp_forwardIN3c108BFloat16ES2_fLi0ELb1ELb0ELi32EEEvPT0_PKT_iiiPKbib,@function
_ZN12_GLOBAL__N_120softmax_warp_forwardIN3c108BFloat16ES2_fLi0ELb1ELb0ELi32EEEvPT0_PKT_iiiPKbib: ; @_ZN12_GLOBAL__N_120softmax_warp_forwardIN3c108BFloat16ES2_fLi0ELb1ELb0ELi32EEEvPT0_PKT_iiiPKbib
; %bb.0:
	s_clause 0x1
	s_load_b32 s2, s[0:1], 0x3c
	s_load_b256 s[4:11], s[0:1], 0x0
	v_bfe_u32 v1, v0, 10, 10
	v_and_b32_e32 v2, 0x3ff, v0
	v_dual_mov_b32 v5, 0xff800000 :: v_dual_mov_b32 v6, 0xff800000
	s_waitcnt lgkmcnt(0)
	s_lshr_b32 s0, s2, 16
	s_delay_alu instid0(VALU_DEP_2) | instskip(SKIP_1) | instid1(SALU_CYCLE_1)
	v_cmp_gt_i32_e32 vcc_lo, s10, v2
	s_mul_i32 s15, s15, s0
	v_add_lshl_u32 v3, s15, v1, 1
	s_delay_alu instid0(VALU_DEP_1) | instskip(SKIP_1) | instid1(VALU_DEP_1)
	v_mad_u64_u32 v[0:1], null, v3, s9, v[2:3]
	v_sub_nc_u32_e32 v4, s8, v3
	v_cmp_lt_i32_e64 s0, 0, v4
	s_delay_alu instid0(VALU_DEP_3) | instskip(NEXT) | instid1(VALU_DEP_2)
	v_ashrrev_i32_e32 v1, 31, v0
	s_and_b32 s2, vcc_lo, s0
	s_delay_alu instid0(VALU_DEP_1) | instskip(NEXT) | instid1(VALU_DEP_1)
	v_lshlrev_b64 v[0:1], 1, v[0:1]
	v_add_co_u32 v2, s1, s6, v0
	s_delay_alu instid0(VALU_DEP_1)
	v_add_co_ci_u32_e64 v3, s1, s7, v1, s1
	s_and_saveexec_b32 s1, s2
	s_cbranch_execz .LBB132_2
; %bb.1:
	global_load_u16 v6, v[2:3], off
	s_waitcnt vmcnt(0)
	v_lshlrev_b32_e32 v6, 16, v6
.LBB132_2:
	s_or_b32 exec_lo, exec_lo, s1
	v_cmp_lt_i32_e64 s1, 1, v4
	s_delay_alu instid0(VALU_DEP_1) | instskip(NEXT) | instid1(SALU_CYCLE_1)
	s_and_b32 s1, vcc_lo, s1
	s_and_saveexec_b32 s2, s1
	s_cbranch_execz .LBB132_4
; %bb.3:
	s_mov_b32 s11, 0
	s_delay_alu instid0(SALU_CYCLE_1) | instskip(NEXT) | instid1(SALU_CYCLE_1)
	s_lshl_b64 s[6:7], s[10:11], 1
	v_add_co_u32 v2, s1, v2, s6
	s_delay_alu instid0(VALU_DEP_1)
	v_add_co_ci_u32_e64 v3, s1, s7, v3, s1
	global_load_u16 v2, v[2:3], off
	s_waitcnt vmcnt(0)
	v_lshlrev_b32_e32 v5, 16, v2
.LBB132_4:
	s_or_b32 exec_lo, exec_lo, s2
	s_and_saveexec_b32 s1, s0
	s_cbranch_execz .LBB132_10
; %bb.5:
	v_add_co_u32 v0, s0, s4, v0
	s_delay_alu instid0(VALU_DEP_1)
	v_add_co_ci_u32_e64 v1, s0, s5, v1, s0
	s_and_saveexec_b32 s2, vcc_lo
	s_cbranch_execz .LBB132_7
; %bb.6:
	v_sub_f32_e32 v2, v6, v6
	s_delay_alu instid0(VALU_DEP_1) | instskip(NEXT) | instid1(VALU_DEP_1)
	v_mul_f32_e32 v3, 0x3fb8aa3b, v2
	v_rndne_f32_e32 v6, v3
	v_fma_f32 v7, 0x3fb8aa3b, v2, -v3
	s_delay_alu instid0(VALU_DEP_2) | instskip(NEXT) | instid1(VALU_DEP_2)
	v_sub_f32_e32 v3, v3, v6
	v_fmamk_f32 v7, v2, 0x32a5705f, v7
	v_cvt_i32_f32_e32 v6, v6
	s_delay_alu instid0(VALU_DEP_2) | instskip(SKIP_1) | instid1(VALU_DEP_2)
	v_add_f32_e32 v3, v3, v7
	v_cmp_ngt_f32_e64 s0, 0xc2ce8ed0, v2
	v_exp_f32_e32 v3, v3
	s_waitcnt_depctr 0xfff
	v_ldexp_f32 v3, v3, v6
	s_delay_alu instid0(VALU_DEP_1) | instskip(SKIP_1) | instid1(VALU_DEP_1)
	v_cndmask_b32_e64 v3, 0, v3, s0
	v_cmp_nlt_f32_e64 s0, 0x42b17218, v2
	v_cndmask_b32_e64 v3, 0x7f800000, v3, s0
	s_delay_alu instid0(VALU_DEP_1) | instskip(NEXT) | instid1(VALU_DEP_1)
	v_cmp_gt_f32_e64 s0, 0x800000, v3
	v_cndmask_b32_e64 v6, 1.0, 0x4f800000, s0
	s_delay_alu instid0(VALU_DEP_1) | instskip(NEXT) | instid1(VALU_DEP_1)
	v_mul_f32_e32 v3, v3, v6
	v_log_f32_e32 v3, v3
	s_waitcnt_depctr 0xfff
	v_mul_f32_e32 v6, 0x3f317217, v3
	v_cmp_gt_f32_e64 s1, 0x7f800000, |v3|
	s_delay_alu instid0(VALU_DEP_2) | instskip(NEXT) | instid1(VALU_DEP_1)
	v_fma_f32 v7, 0x3f317217, v3, -v6
	v_fmamk_f32 v7, v3, 0x3377d1cf, v7
	s_delay_alu instid0(VALU_DEP_1) | instskip(NEXT) | instid1(VALU_DEP_1)
	v_add_f32_e32 v6, v6, v7
	v_cndmask_b32_e64 v3, v3, v6, s1
	v_cndmask_b32_e64 v6, 0, 0x41b17218, s0
	s_delay_alu instid0(VALU_DEP_1) | instskip(NEXT) | instid1(VALU_DEP_1)
	v_sub_f32_e32 v3, v3, v6
	v_sub_f32_e32 v2, v2, v3
	s_delay_alu instid0(VALU_DEP_1) | instskip(SKIP_1) | instid1(VALU_DEP_2)
	v_bfe_u32 v3, v2, 16, 1
	v_cmp_o_f32_e64 s0, v2, v2
	v_add3_u32 v3, v2, v3, 0x7fff
	s_delay_alu instid0(VALU_DEP_1) | instskip(NEXT) | instid1(VALU_DEP_1)
	v_lshrrev_b32_e32 v3, 16, v3
	v_cndmask_b32_e64 v2, 0x7fc0, v3, s0
	global_store_b16 v[0:1], v2, off
.LBB132_7:
	s_or_b32 exec_lo, exec_lo, s2
	v_cmp_ne_u32_e64 s0, 1, v4
	s_delay_alu instid0(VALU_DEP_1)
	s_and_b32 exec_lo, exec_lo, s0
	s_cbranch_execz .LBB132_10
; %bb.8:
	s_and_b32 exec_lo, exec_lo, vcc_lo
	s_cbranch_execz .LBB132_10
; %bb.9:
	v_sub_f32_e32 v2, v5, v5
	s_mov_b32 s11, 0
	s_delay_alu instid0(SALU_CYCLE_1) | instskip(NEXT) | instid1(VALU_DEP_1)
	s_lshl_b64 s[0:1], s[10:11], 1
	v_mul_f32_e32 v3, 0x3fb8aa3b, v2
	s_delay_alu instid0(VALU_DEP_1) | instskip(SKIP_1) | instid1(VALU_DEP_2)
	v_rndne_f32_e32 v4, v3
	v_fma_f32 v5, 0x3fb8aa3b, v2, -v3
	v_sub_f32_e32 v3, v3, v4
	s_delay_alu instid0(VALU_DEP_2) | instskip(SKIP_2) | instid1(VALU_DEP_3)
	v_fmamk_f32 v5, v2, 0x32a5705f, v5
	v_cvt_i32_f32_e32 v4, v4
	v_cmp_ngt_f32_e32 vcc_lo, 0xc2ce8ed0, v2
	v_add_f32_e32 v3, v3, v5
	s_delay_alu instid0(VALU_DEP_1) | instskip(SKIP_2) | instid1(VALU_DEP_1)
	v_exp_f32_e32 v3, v3
	s_waitcnt_depctr 0xfff
	v_ldexp_f32 v3, v3, v4
	v_cndmask_b32_e32 v3, 0, v3, vcc_lo
	v_cmp_nlt_f32_e32 vcc_lo, 0x42b17218, v2
	s_delay_alu instid0(VALU_DEP_2) | instskip(NEXT) | instid1(VALU_DEP_1)
	v_cndmask_b32_e32 v3, 0x7f800000, v3, vcc_lo
	v_cmp_gt_f32_e32 vcc_lo, 0x800000, v3
	v_cndmask_b32_e64 v4, 1.0, 0x4f800000, vcc_lo
	s_delay_alu instid0(VALU_DEP_1) | instskip(NEXT) | instid1(VALU_DEP_1)
	v_mul_f32_e32 v3, v3, v4
	v_log_f32_e32 v3, v3
	s_waitcnt_depctr 0xfff
	v_mul_f32_e32 v4, 0x3f317217, v3
	s_delay_alu instid0(VALU_DEP_1) | instskip(NEXT) | instid1(VALU_DEP_1)
	v_fma_f32 v5, 0x3f317217, v3, -v4
	v_fmamk_f32 v5, v3, 0x3377d1cf, v5
	s_delay_alu instid0(VALU_DEP_1) | instskip(SKIP_2) | instid1(VALU_DEP_3)
	v_add_f32_e32 v4, v4, v5
	v_cndmask_b32_e64 v5, 0, 0x41b17218, vcc_lo
	v_cmp_gt_f32_e64 vcc_lo, 0x7f800000, |v3|
	v_cndmask_b32_e32 v3, v3, v4, vcc_lo
	s_delay_alu instid0(VALU_DEP_1) | instskip(NEXT) | instid1(VALU_DEP_1)
	v_sub_f32_e32 v3, v3, v5
	v_sub_f32_e32 v2, v2, v3
	s_delay_alu instid0(VALU_DEP_1) | instskip(SKIP_1) | instid1(VALU_DEP_2)
	v_bfe_u32 v3, v2, 16, 1
	v_cmp_o_f32_e32 vcc_lo, v2, v2
	v_add3_u32 v3, v2, v3, 0x7fff
	s_delay_alu instid0(VALU_DEP_1) | instskip(NEXT) | instid1(VALU_DEP_1)
	v_lshrrev_b32_e32 v3, 16, v3
	v_cndmask_b32_e32 v2, 0x7fc0, v3, vcc_lo
	v_add_co_u32 v0, vcc_lo, v0, s0
	v_add_co_ci_u32_e32 v1, vcc_lo, s1, v1, vcc_lo
	global_store_b16 v[0:1], v2, off
.LBB132_10:
	s_nop 0
	s_sendmsg sendmsg(MSG_DEALLOC_VGPRS)
	s_endpgm
	.section	.rodata,"a",@progbits
	.p2align	6, 0x0
	.amdhsa_kernel _ZN12_GLOBAL__N_120softmax_warp_forwardIN3c108BFloat16ES2_fLi0ELb1ELb0ELi32EEEvPT0_PKT_iiiPKbib
		.amdhsa_group_segment_fixed_size 0
		.amdhsa_private_segment_fixed_size 0
		.amdhsa_kernarg_size 304
		.amdhsa_user_sgpr_count 15
		.amdhsa_user_sgpr_dispatch_ptr 0
		.amdhsa_user_sgpr_queue_ptr 0
		.amdhsa_user_sgpr_kernarg_segment_ptr 1
		.amdhsa_user_sgpr_dispatch_id 0
		.amdhsa_user_sgpr_private_segment_size 0
		.amdhsa_wavefront_size32 1
		.amdhsa_uses_dynamic_stack 0
		.amdhsa_enable_private_segment 0
		.amdhsa_system_sgpr_workgroup_id_x 1
		.amdhsa_system_sgpr_workgroup_id_y 0
		.amdhsa_system_sgpr_workgroup_id_z 0
		.amdhsa_system_sgpr_workgroup_info 0
		.amdhsa_system_vgpr_workitem_id 1
		.amdhsa_next_free_vgpr 8
		.amdhsa_next_free_sgpr 16
		.amdhsa_reserve_vcc 1
		.amdhsa_float_round_mode_32 0
		.amdhsa_float_round_mode_16_64 0
		.amdhsa_float_denorm_mode_32 3
		.amdhsa_float_denorm_mode_16_64 3
		.amdhsa_dx10_clamp 1
		.amdhsa_ieee_mode 1
		.amdhsa_fp16_overflow 0
		.amdhsa_workgroup_processor_mode 1
		.amdhsa_memory_ordered 1
		.amdhsa_forward_progress 0
		.amdhsa_shared_vgpr_count 0
		.amdhsa_exception_fp_ieee_invalid_op 0
		.amdhsa_exception_fp_denorm_src 0
		.amdhsa_exception_fp_ieee_div_zero 0
		.amdhsa_exception_fp_ieee_overflow 0
		.amdhsa_exception_fp_ieee_underflow 0
		.amdhsa_exception_fp_ieee_inexact 0
		.amdhsa_exception_int_div_zero 0
	.end_amdhsa_kernel
	.section	.text._ZN12_GLOBAL__N_120softmax_warp_forwardIN3c108BFloat16ES2_fLi0ELb1ELb0ELi32EEEvPT0_PKT_iiiPKbib,"axG",@progbits,_ZN12_GLOBAL__N_120softmax_warp_forwardIN3c108BFloat16ES2_fLi0ELb1ELb0ELi32EEEvPT0_PKT_iiiPKbib,comdat
.Lfunc_end132:
	.size	_ZN12_GLOBAL__N_120softmax_warp_forwardIN3c108BFloat16ES2_fLi0ELb1ELb0ELi32EEEvPT0_PKT_iiiPKbib, .Lfunc_end132-_ZN12_GLOBAL__N_120softmax_warp_forwardIN3c108BFloat16ES2_fLi0ELb1ELb0ELi32EEEvPT0_PKT_iiiPKbib
                                        ; -- End function
	.section	.AMDGPU.csdata,"",@progbits
; Kernel info:
; codeLenInByte = 940
; NumSgprs: 18
; NumVgprs: 8
; ScratchSize: 0
; MemoryBound: 0
; FloatMode: 240
; IeeeMode: 1
; LDSByteSize: 0 bytes/workgroup (compile time only)
; SGPRBlocks: 2
; VGPRBlocks: 0
; NumSGPRsForWavesPerEU: 18
; NumVGPRsForWavesPerEU: 8
; Occupancy: 16
; WaveLimiterHint : 0
; COMPUTE_PGM_RSRC2:SCRATCH_EN: 0
; COMPUTE_PGM_RSRC2:USER_SGPR: 15
; COMPUTE_PGM_RSRC2:TRAP_HANDLER: 0
; COMPUTE_PGM_RSRC2:TGID_X_EN: 1
; COMPUTE_PGM_RSRC2:TGID_Y_EN: 0
; COMPUTE_PGM_RSRC2:TGID_Z_EN: 0
; COMPUTE_PGM_RSRC2:TIDIG_COMP_CNT: 1
	.section	.text._ZN12_GLOBAL__N_120softmax_warp_forwardIN3c108BFloat16ES2_fLi1ELb1ELb0ELi64EEEvPT0_PKT_iiiPKbib,"axG",@progbits,_ZN12_GLOBAL__N_120softmax_warp_forwardIN3c108BFloat16ES2_fLi1ELb1ELb0ELi64EEEvPT0_PKT_iiiPKbib,comdat
	.globl	_ZN12_GLOBAL__N_120softmax_warp_forwardIN3c108BFloat16ES2_fLi1ELb1ELb0ELi64EEEvPT0_PKT_iiiPKbib ; -- Begin function _ZN12_GLOBAL__N_120softmax_warp_forwardIN3c108BFloat16ES2_fLi1ELb1ELb0ELi64EEEvPT0_PKT_iiiPKbib
	.p2align	8
	.type	_ZN12_GLOBAL__N_120softmax_warp_forwardIN3c108BFloat16ES2_fLi1ELb1ELb0ELi64EEEvPT0_PKT_iiiPKbib,@function
_ZN12_GLOBAL__N_120softmax_warp_forwardIN3c108BFloat16ES2_fLi1ELb1ELb0ELi64EEEvPT0_PKT_iiiPKbib: ; @_ZN12_GLOBAL__N_120softmax_warp_forwardIN3c108BFloat16ES2_fLi1ELb1ELb0ELi64EEEvPT0_PKT_iiiPKbib
; %bb.0:
	s_clause 0x1
	s_load_b32 s2, s[0:1], 0x3c
	s_load_b256 s[4:11], s[0:1], 0x0
	v_bfe_u32 v1, v0, 10, 10
	v_and_b32_e32 v2, 0x3ff, v0
	v_dual_mov_b32 v5, 0xff800000 :: v_dual_mov_b32 v6, 0xff800000
	s_waitcnt lgkmcnt(0)
	s_lshr_b32 s0, s2, 16
	s_delay_alu instid0(VALU_DEP_2) | instskip(SKIP_1) | instid1(SALU_CYCLE_1)
	v_cmp_gt_i32_e32 vcc_lo, s10, v2
	s_mul_i32 s15, s15, s0
	v_add_lshl_u32 v3, s15, v1, 1
	s_delay_alu instid0(VALU_DEP_1) | instskip(SKIP_1) | instid1(VALU_DEP_1)
	v_mad_u64_u32 v[0:1], null, v3, s9, v[2:3]
	v_sub_nc_u32_e32 v4, s8, v3
	v_cmp_lt_i32_e64 s0, 0, v4
	s_delay_alu instid0(VALU_DEP_3) | instskip(NEXT) | instid1(VALU_DEP_2)
	v_ashrrev_i32_e32 v1, 31, v0
	s_and_b32 s2, vcc_lo, s0
	s_delay_alu instid0(VALU_DEP_1) | instskip(NEXT) | instid1(VALU_DEP_1)
	v_lshlrev_b64 v[0:1], 1, v[0:1]
	v_add_co_u32 v2, s1, s6, v0
	s_delay_alu instid0(VALU_DEP_1)
	v_add_co_ci_u32_e64 v3, s1, s7, v1, s1
	s_and_saveexec_b32 s1, s2
	s_cbranch_execz .LBB133_2
; %bb.1:
	global_load_u16 v6, v[2:3], off
	s_waitcnt vmcnt(0)
	v_lshlrev_b32_e32 v6, 16, v6
.LBB133_2:
	s_or_b32 exec_lo, exec_lo, s1
	v_cmp_lt_i32_e64 s1, 1, v4
	s_delay_alu instid0(VALU_DEP_1) | instskip(NEXT) | instid1(SALU_CYCLE_1)
	s_and_b32 s1, vcc_lo, s1
	s_and_saveexec_b32 s2, s1
	s_cbranch_execz .LBB133_4
; %bb.3:
	s_mov_b32 s11, 0
	s_delay_alu instid0(SALU_CYCLE_1) | instskip(NEXT) | instid1(SALU_CYCLE_1)
	s_lshl_b64 s[6:7], s[10:11], 1
	v_add_co_u32 v2, s1, v2, s6
	s_delay_alu instid0(VALU_DEP_1)
	v_add_co_ci_u32_e64 v3, s1, s7, v3, s1
	global_load_u16 v2, v[2:3], off
	s_waitcnt vmcnt(0)
	v_lshlrev_b32_e32 v5, 16, v2
.LBB133_4:
	s_or_b32 exec_lo, exec_lo, s2
	v_mbcnt_lo_u32_b32 v2, -1, 0
	s_delay_alu instid0(VALU_DEP_1) | instskip(SKIP_1) | instid1(VALU_DEP_2)
	v_and_b32_e32 v3, 30, v2
	v_xor_b32_e32 v7, 1, v2
	v_add_nc_u32_e32 v3, 2, v3
	s_delay_alu instid0(VALU_DEP_1) | instskip(NEXT) | instid1(VALU_DEP_1)
	v_cmp_lt_i32_e64 s1, v7, v3
	v_cndmask_b32_e64 v2, v2, v7, s1
	s_delay_alu instid0(VALU_DEP_1) | instskip(SKIP_4) | instid1(VALU_DEP_1)
	v_lshlrev_b32_e32 v9, 2, v2
	ds_bpermute_b32 v2, v9, v6
	ds_bpermute_b32 v3, v9, v5
	s_waitcnt lgkmcnt(1)
	v_cmp_lt_f32_e64 s1, v6, v2
	v_cndmask_b32_e64 v2, v6, v2, s1
	s_waitcnt lgkmcnt(0)
	v_cmp_lt_f32_e64 s1, v5, v3
	s_delay_alu instid0(VALU_DEP_1) | instskip(NEXT) | instid1(VALU_DEP_1)
	v_cndmask_b32_e64 v7, v5, v3, s1
	v_dual_sub_f32 v3, v6, v2 :: v_dual_sub_f32 v2, v5, v7
	s_delay_alu instid0(VALU_DEP_1) | instskip(NEXT) | instid1(VALU_DEP_2)
	v_cmp_ngt_f32_e64 s1, 0xc2ce8ed0, v3
	v_mul_f32_e32 v6, 0x3fb8aa3b, v2
	s_delay_alu instid0(VALU_DEP_1) | instskip(SKIP_1) | instid1(VALU_DEP_2)
	v_fma_f32 v10, 0x3fb8aa3b, v2, -v6
	v_rndne_f32_e32 v11, v6
	v_fmac_f32_e32 v10, 0x32a5705f, v2
	s_delay_alu instid0(VALU_DEP_2) | instskip(NEXT) | instid1(VALU_DEP_1)
	v_sub_f32_e32 v6, v6, v11
	v_dual_mul_f32 v5, 0x3fb8aa3b, v3 :: v_dual_add_f32 v6, v6, v10
	s_delay_alu instid0(VALU_DEP_1) | instskip(SKIP_1) | instid1(VALU_DEP_3)
	v_fma_f32 v7, 0x3fb8aa3b, v3, -v5
	v_rndne_f32_e32 v8, v5
	v_exp_f32_e32 v6, v6
	s_delay_alu instid0(VALU_DEP_2) | instskip(NEXT) | instid1(VALU_DEP_2)
	v_fmac_f32_e32 v7, 0x32a5705f, v3
	v_sub_f32_e32 v5, v5, v8
	s_delay_alu instid0(VALU_DEP_1) | instskip(SKIP_2) | instid1(VALU_DEP_3)
	v_add_f32_e32 v5, v5, v7
	v_cvt_i32_f32_e32 v7, v8
	v_cvt_i32_f32_e32 v8, v11
	v_exp_f32_e32 v5, v5
	s_delay_alu instid0(TRANS32_DEP_2) | instid1(VALU_DEP_1)
	v_ldexp_f32 v6, v6, v8
	s_waitcnt_depctr 0xfff
	v_ldexp_f32 v5, v5, v7
	s_delay_alu instid0(VALU_DEP_1) | instskip(SKIP_1) | instid1(VALU_DEP_1)
	v_cndmask_b32_e64 v5, 0, v5, s1
	v_cmp_ngt_f32_e64 s1, 0xc2ce8ed0, v2
	v_cndmask_b32_e64 v6, 0, v6, s1
	v_cmp_nlt_f32_e64 s1, 0x42b17218, v3
	s_delay_alu instid0(VALU_DEP_1)
	v_cndmask_b32_e64 v7, 0x7f800000, v5, s1
	v_cmp_nlt_f32_e64 s1, 0x42b17218, v2
	ds_bpermute_b32 v8, v9, v7
	v_cndmask_b32_e64 v5, 0x7f800000, v6, s1
	ds_bpermute_b32 v6, v9, v5
	s_and_saveexec_b32 s1, s0
	s_cbranch_execz .LBB133_10
; %bb.5:
	v_add_co_u32 v0, s0, s4, v0
	s_delay_alu instid0(VALU_DEP_1)
	v_add_co_ci_u32_e64 v1, s0, s5, v1, s0
	s_and_saveexec_b32 s2, vcc_lo
	s_cbranch_execz .LBB133_7
; %bb.6:
	s_waitcnt lgkmcnt(1)
	v_add_f32_e32 v7, v7, v8
	s_delay_alu instid0(VALU_DEP_1) | instskip(NEXT) | instid1(VALU_DEP_1)
	v_cmp_gt_f32_e64 s0, 0x800000, v7
	v_cndmask_b32_e64 v8, 1.0, 0x4f800000, s0
	s_delay_alu instid0(VALU_DEP_1) | instskip(NEXT) | instid1(VALU_DEP_1)
	v_mul_f32_e32 v7, v7, v8
	v_log_f32_e32 v7, v7
	s_waitcnt_depctr 0xfff
	v_mul_f32_e32 v8, 0x3f317217, v7
	v_cmp_gt_f32_e64 s1, 0x7f800000, |v7|
	s_delay_alu instid0(VALU_DEP_2) | instskip(NEXT) | instid1(VALU_DEP_1)
	v_fma_f32 v9, 0x3f317217, v7, -v8
	v_fmamk_f32 v9, v7, 0x3377d1cf, v9
	s_delay_alu instid0(VALU_DEP_1) | instskip(NEXT) | instid1(VALU_DEP_1)
	v_add_f32_e32 v8, v8, v9
	v_cndmask_b32_e64 v7, v7, v8, s1
	v_cndmask_b32_e64 v8, 0, 0x41b17218, s0
	s_delay_alu instid0(VALU_DEP_1) | instskip(NEXT) | instid1(VALU_DEP_1)
	v_sub_f32_e32 v7, v7, v8
	v_sub_f32_e32 v3, v3, v7
	s_delay_alu instid0(VALU_DEP_1) | instskip(SKIP_1) | instid1(VALU_DEP_2)
	v_bfe_u32 v7, v3, 16, 1
	v_cmp_o_f32_e64 s0, v3, v3
	v_add3_u32 v7, v3, v7, 0x7fff
	s_delay_alu instid0(VALU_DEP_1) | instskip(NEXT) | instid1(VALU_DEP_1)
	v_lshrrev_b32_e32 v7, 16, v7
	v_cndmask_b32_e64 v3, 0x7fc0, v7, s0
	global_store_b16 v[0:1], v3, off
.LBB133_7:
	s_or_b32 exec_lo, exec_lo, s2
	v_cmp_ne_u32_e64 s0, 1, v4
	s_delay_alu instid0(VALU_DEP_1)
	s_and_b32 exec_lo, exec_lo, s0
	s_cbranch_execz .LBB133_10
; %bb.8:
	s_and_b32 exec_lo, exec_lo, vcc_lo
	s_cbranch_execz .LBB133_10
; %bb.9:
	s_waitcnt lgkmcnt(0)
	v_add_f32_e32 v3, v5, v6
	s_mov_b32 s11, 0
	s_delay_alu instid0(SALU_CYCLE_1) | instskip(NEXT) | instid1(VALU_DEP_1)
	s_lshl_b64 s[0:1], s[10:11], 1
	v_cmp_gt_f32_e32 vcc_lo, 0x800000, v3
	v_cndmask_b32_e64 v4, 1.0, 0x4f800000, vcc_lo
	s_delay_alu instid0(VALU_DEP_1) | instskip(NEXT) | instid1(VALU_DEP_1)
	v_mul_f32_e32 v3, v3, v4
	v_log_f32_e32 v3, v3
	s_waitcnt_depctr 0xfff
	v_mul_f32_e32 v4, 0x3f317217, v3
	s_delay_alu instid0(VALU_DEP_1) | instskip(NEXT) | instid1(VALU_DEP_1)
	v_fma_f32 v5, 0x3f317217, v3, -v4
	v_fmamk_f32 v5, v3, 0x3377d1cf, v5
	s_delay_alu instid0(VALU_DEP_1) | instskip(SKIP_2) | instid1(VALU_DEP_3)
	v_add_f32_e32 v4, v4, v5
	v_cndmask_b32_e64 v5, 0, 0x41b17218, vcc_lo
	v_cmp_gt_f32_e64 vcc_lo, 0x7f800000, |v3|
	v_cndmask_b32_e32 v3, v3, v4, vcc_lo
	s_delay_alu instid0(VALU_DEP_1) | instskip(NEXT) | instid1(VALU_DEP_1)
	v_sub_f32_e32 v3, v3, v5
	v_sub_f32_e32 v2, v2, v3
	s_delay_alu instid0(VALU_DEP_1) | instskip(SKIP_1) | instid1(VALU_DEP_2)
	v_bfe_u32 v3, v2, 16, 1
	v_cmp_o_f32_e32 vcc_lo, v2, v2
	v_add3_u32 v3, v2, v3, 0x7fff
	s_delay_alu instid0(VALU_DEP_1) | instskip(NEXT) | instid1(VALU_DEP_1)
	v_lshrrev_b32_e32 v3, 16, v3
	v_cndmask_b32_e32 v2, 0x7fc0, v3, vcc_lo
	v_add_co_u32 v0, vcc_lo, v0, s0
	v_add_co_ci_u32_e32 v1, vcc_lo, s1, v1, vcc_lo
	global_store_b16 v[0:1], v2, off
.LBB133_10:
	s_nop 0
	s_sendmsg sendmsg(MSG_DEALLOC_VGPRS)
	s_endpgm
	.section	.rodata,"a",@progbits
	.p2align	6, 0x0
	.amdhsa_kernel _ZN12_GLOBAL__N_120softmax_warp_forwardIN3c108BFloat16ES2_fLi1ELb1ELb0ELi64EEEvPT0_PKT_iiiPKbib
		.amdhsa_group_segment_fixed_size 0
		.amdhsa_private_segment_fixed_size 0
		.amdhsa_kernarg_size 304
		.amdhsa_user_sgpr_count 15
		.amdhsa_user_sgpr_dispatch_ptr 0
		.amdhsa_user_sgpr_queue_ptr 0
		.amdhsa_user_sgpr_kernarg_segment_ptr 1
		.amdhsa_user_sgpr_dispatch_id 0
		.amdhsa_user_sgpr_private_segment_size 0
		.amdhsa_wavefront_size32 1
		.amdhsa_uses_dynamic_stack 0
		.amdhsa_enable_private_segment 0
		.amdhsa_system_sgpr_workgroup_id_x 1
		.amdhsa_system_sgpr_workgroup_id_y 0
		.amdhsa_system_sgpr_workgroup_id_z 0
		.amdhsa_system_sgpr_workgroup_info 0
		.amdhsa_system_vgpr_workitem_id 1
		.amdhsa_next_free_vgpr 12
		.amdhsa_next_free_sgpr 16
		.amdhsa_reserve_vcc 1
		.amdhsa_float_round_mode_32 0
		.amdhsa_float_round_mode_16_64 0
		.amdhsa_float_denorm_mode_32 3
		.amdhsa_float_denorm_mode_16_64 3
		.amdhsa_dx10_clamp 1
		.amdhsa_ieee_mode 1
		.amdhsa_fp16_overflow 0
		.amdhsa_workgroup_processor_mode 1
		.amdhsa_memory_ordered 1
		.amdhsa_forward_progress 0
		.amdhsa_shared_vgpr_count 0
		.amdhsa_exception_fp_ieee_invalid_op 0
		.amdhsa_exception_fp_denorm_src 0
		.amdhsa_exception_fp_ieee_div_zero 0
		.amdhsa_exception_fp_ieee_overflow 0
		.amdhsa_exception_fp_ieee_underflow 0
		.amdhsa_exception_fp_ieee_inexact 0
		.amdhsa_exception_int_div_zero 0
	.end_amdhsa_kernel
	.section	.text._ZN12_GLOBAL__N_120softmax_warp_forwardIN3c108BFloat16ES2_fLi1ELb1ELb0ELi64EEEvPT0_PKT_iiiPKbib,"axG",@progbits,_ZN12_GLOBAL__N_120softmax_warp_forwardIN3c108BFloat16ES2_fLi1ELb1ELb0ELi64EEEvPT0_PKT_iiiPKbib,comdat
.Lfunc_end133:
	.size	_ZN12_GLOBAL__N_120softmax_warp_forwardIN3c108BFloat16ES2_fLi1ELb1ELb0ELi64EEEvPT0_PKT_iiiPKbib, .Lfunc_end133-_ZN12_GLOBAL__N_120softmax_warp_forwardIN3c108BFloat16ES2_fLi1ELb1ELb0ELi64EEEvPT0_PKT_iiiPKbib
                                        ; -- End function
	.section	.AMDGPU.csdata,"",@progbits
; Kernel info:
; codeLenInByte = 1100
; NumSgprs: 18
; NumVgprs: 12
; ScratchSize: 0
; MemoryBound: 0
; FloatMode: 240
; IeeeMode: 1
; LDSByteSize: 0 bytes/workgroup (compile time only)
; SGPRBlocks: 2
; VGPRBlocks: 1
; NumSGPRsForWavesPerEU: 18
; NumVGPRsForWavesPerEU: 12
; Occupancy: 16
; WaveLimiterHint : 0
; COMPUTE_PGM_RSRC2:SCRATCH_EN: 0
; COMPUTE_PGM_RSRC2:USER_SGPR: 15
; COMPUTE_PGM_RSRC2:TRAP_HANDLER: 0
; COMPUTE_PGM_RSRC2:TGID_X_EN: 1
; COMPUTE_PGM_RSRC2:TGID_Y_EN: 0
; COMPUTE_PGM_RSRC2:TGID_Z_EN: 0
; COMPUTE_PGM_RSRC2:TIDIG_COMP_CNT: 1
	.section	.text._ZN12_GLOBAL__N_120softmax_warp_forwardIN3c108BFloat16ES2_fLi1ELb1ELb0ELi32EEEvPT0_PKT_iiiPKbib,"axG",@progbits,_ZN12_GLOBAL__N_120softmax_warp_forwardIN3c108BFloat16ES2_fLi1ELb1ELb0ELi32EEEvPT0_PKT_iiiPKbib,comdat
	.globl	_ZN12_GLOBAL__N_120softmax_warp_forwardIN3c108BFloat16ES2_fLi1ELb1ELb0ELi32EEEvPT0_PKT_iiiPKbib ; -- Begin function _ZN12_GLOBAL__N_120softmax_warp_forwardIN3c108BFloat16ES2_fLi1ELb1ELb0ELi32EEEvPT0_PKT_iiiPKbib
	.p2align	8
	.type	_ZN12_GLOBAL__N_120softmax_warp_forwardIN3c108BFloat16ES2_fLi1ELb1ELb0ELi32EEEvPT0_PKT_iiiPKbib,@function
_ZN12_GLOBAL__N_120softmax_warp_forwardIN3c108BFloat16ES2_fLi1ELb1ELb0ELi32EEEvPT0_PKT_iiiPKbib: ; @_ZN12_GLOBAL__N_120softmax_warp_forwardIN3c108BFloat16ES2_fLi1ELb1ELb0ELi32EEEvPT0_PKT_iiiPKbib
; %bb.0:
	s_clause 0x1
	s_load_b32 s2, s[0:1], 0x3c
	s_load_b256 s[4:11], s[0:1], 0x0
	v_bfe_u32 v1, v0, 10, 10
	v_and_b32_e32 v2, 0x3ff, v0
	v_dual_mov_b32 v5, 0xff800000 :: v_dual_mov_b32 v6, 0xff800000
	s_waitcnt lgkmcnt(0)
	s_lshr_b32 s0, s2, 16
	s_delay_alu instid0(VALU_DEP_2) | instskip(SKIP_1) | instid1(SALU_CYCLE_1)
	v_cmp_gt_i32_e32 vcc_lo, s10, v2
	s_mul_i32 s15, s15, s0
	v_add_lshl_u32 v3, s15, v1, 1
	s_delay_alu instid0(VALU_DEP_1) | instskip(SKIP_1) | instid1(VALU_DEP_1)
	v_mad_u64_u32 v[0:1], null, v3, s9, v[2:3]
	v_sub_nc_u32_e32 v4, s8, v3
	v_cmp_lt_i32_e64 s0, 0, v4
	s_delay_alu instid0(VALU_DEP_3) | instskip(NEXT) | instid1(VALU_DEP_2)
	v_ashrrev_i32_e32 v1, 31, v0
	s_and_b32 s2, vcc_lo, s0
	s_delay_alu instid0(VALU_DEP_1) | instskip(NEXT) | instid1(VALU_DEP_1)
	v_lshlrev_b64 v[0:1], 1, v[0:1]
	v_add_co_u32 v2, s1, s6, v0
	s_delay_alu instid0(VALU_DEP_1)
	v_add_co_ci_u32_e64 v3, s1, s7, v1, s1
	s_and_saveexec_b32 s1, s2
	s_cbranch_execz .LBB134_2
; %bb.1:
	global_load_u16 v6, v[2:3], off
	s_waitcnt vmcnt(0)
	v_lshlrev_b32_e32 v6, 16, v6
.LBB134_2:
	s_or_b32 exec_lo, exec_lo, s1
	v_cmp_lt_i32_e64 s1, 1, v4
	s_delay_alu instid0(VALU_DEP_1) | instskip(NEXT) | instid1(SALU_CYCLE_1)
	s_and_b32 s1, vcc_lo, s1
	s_and_saveexec_b32 s2, s1
	s_cbranch_execz .LBB134_4
; %bb.3:
	s_mov_b32 s11, 0
	s_delay_alu instid0(SALU_CYCLE_1) | instskip(NEXT) | instid1(SALU_CYCLE_1)
	s_lshl_b64 s[6:7], s[10:11], 1
	v_add_co_u32 v2, s1, v2, s6
	s_delay_alu instid0(VALU_DEP_1)
	v_add_co_ci_u32_e64 v3, s1, s7, v3, s1
	global_load_u16 v2, v[2:3], off
	s_waitcnt vmcnt(0)
	v_lshlrev_b32_e32 v5, 16, v2
.LBB134_4:
	s_or_b32 exec_lo, exec_lo, s2
	v_mbcnt_lo_u32_b32 v2, -1, 0
	s_delay_alu instid0(VALU_DEP_1) | instskip(SKIP_1) | instid1(VALU_DEP_2)
	v_and_b32_e32 v3, 30, v2
	v_xor_b32_e32 v7, 1, v2
	v_add_nc_u32_e32 v3, 2, v3
	s_delay_alu instid0(VALU_DEP_1) | instskip(NEXT) | instid1(VALU_DEP_1)
	v_cmp_lt_i32_e64 s1, v7, v3
	v_cndmask_b32_e64 v2, v2, v7, s1
	s_delay_alu instid0(VALU_DEP_1) | instskip(SKIP_4) | instid1(VALU_DEP_1)
	v_lshlrev_b32_e32 v9, 2, v2
	ds_bpermute_b32 v2, v9, v6
	ds_bpermute_b32 v3, v9, v5
	s_waitcnt lgkmcnt(1)
	v_cmp_lt_f32_e64 s1, v6, v2
	v_cndmask_b32_e64 v2, v6, v2, s1
	s_waitcnt lgkmcnt(0)
	v_cmp_lt_f32_e64 s1, v5, v3
	s_delay_alu instid0(VALU_DEP_1) | instskip(NEXT) | instid1(VALU_DEP_1)
	v_cndmask_b32_e64 v7, v5, v3, s1
	v_dual_sub_f32 v3, v6, v2 :: v_dual_sub_f32 v2, v5, v7
	s_delay_alu instid0(VALU_DEP_1) | instskip(NEXT) | instid1(VALU_DEP_2)
	v_cmp_ngt_f32_e64 s1, 0xc2ce8ed0, v3
	v_mul_f32_e32 v6, 0x3fb8aa3b, v2
	s_delay_alu instid0(VALU_DEP_1) | instskip(SKIP_1) | instid1(VALU_DEP_2)
	v_fma_f32 v10, 0x3fb8aa3b, v2, -v6
	v_rndne_f32_e32 v11, v6
	v_fmac_f32_e32 v10, 0x32a5705f, v2
	s_delay_alu instid0(VALU_DEP_2) | instskip(NEXT) | instid1(VALU_DEP_1)
	v_sub_f32_e32 v6, v6, v11
	v_dual_mul_f32 v5, 0x3fb8aa3b, v3 :: v_dual_add_f32 v6, v6, v10
	s_delay_alu instid0(VALU_DEP_1) | instskip(SKIP_1) | instid1(VALU_DEP_3)
	v_fma_f32 v7, 0x3fb8aa3b, v3, -v5
	v_rndne_f32_e32 v8, v5
	v_exp_f32_e32 v6, v6
	s_delay_alu instid0(VALU_DEP_2) | instskip(NEXT) | instid1(VALU_DEP_2)
	v_fmac_f32_e32 v7, 0x32a5705f, v3
	v_sub_f32_e32 v5, v5, v8
	s_delay_alu instid0(VALU_DEP_1) | instskip(SKIP_2) | instid1(VALU_DEP_3)
	v_add_f32_e32 v5, v5, v7
	v_cvt_i32_f32_e32 v7, v8
	v_cvt_i32_f32_e32 v8, v11
	v_exp_f32_e32 v5, v5
	s_delay_alu instid0(TRANS32_DEP_2) | instid1(VALU_DEP_1)
	v_ldexp_f32 v6, v6, v8
	s_waitcnt_depctr 0xfff
	v_ldexp_f32 v5, v5, v7
	s_delay_alu instid0(VALU_DEP_1) | instskip(SKIP_1) | instid1(VALU_DEP_1)
	v_cndmask_b32_e64 v5, 0, v5, s1
	v_cmp_ngt_f32_e64 s1, 0xc2ce8ed0, v2
	v_cndmask_b32_e64 v6, 0, v6, s1
	v_cmp_nlt_f32_e64 s1, 0x42b17218, v3
	s_delay_alu instid0(VALU_DEP_1)
	v_cndmask_b32_e64 v7, 0x7f800000, v5, s1
	v_cmp_nlt_f32_e64 s1, 0x42b17218, v2
	ds_bpermute_b32 v8, v9, v7
	v_cndmask_b32_e64 v5, 0x7f800000, v6, s1
	ds_bpermute_b32 v6, v9, v5
	s_and_saveexec_b32 s1, s0
	s_cbranch_execz .LBB134_10
; %bb.5:
	v_add_co_u32 v0, s0, s4, v0
	s_delay_alu instid0(VALU_DEP_1)
	v_add_co_ci_u32_e64 v1, s0, s5, v1, s0
	s_and_saveexec_b32 s2, vcc_lo
	s_cbranch_execz .LBB134_7
; %bb.6:
	s_waitcnt lgkmcnt(1)
	v_add_f32_e32 v7, v7, v8
	s_delay_alu instid0(VALU_DEP_1) | instskip(NEXT) | instid1(VALU_DEP_1)
	v_cmp_gt_f32_e64 s0, 0x800000, v7
	v_cndmask_b32_e64 v8, 1.0, 0x4f800000, s0
	s_delay_alu instid0(VALU_DEP_1) | instskip(NEXT) | instid1(VALU_DEP_1)
	v_mul_f32_e32 v7, v7, v8
	v_log_f32_e32 v7, v7
	s_waitcnt_depctr 0xfff
	v_mul_f32_e32 v8, 0x3f317217, v7
	v_cmp_gt_f32_e64 s1, 0x7f800000, |v7|
	s_delay_alu instid0(VALU_DEP_2) | instskip(NEXT) | instid1(VALU_DEP_1)
	v_fma_f32 v9, 0x3f317217, v7, -v8
	v_fmamk_f32 v9, v7, 0x3377d1cf, v9
	s_delay_alu instid0(VALU_DEP_1) | instskip(NEXT) | instid1(VALU_DEP_1)
	v_add_f32_e32 v8, v8, v9
	v_cndmask_b32_e64 v7, v7, v8, s1
	v_cndmask_b32_e64 v8, 0, 0x41b17218, s0
	s_delay_alu instid0(VALU_DEP_1) | instskip(NEXT) | instid1(VALU_DEP_1)
	v_sub_f32_e32 v7, v7, v8
	v_sub_f32_e32 v3, v3, v7
	s_delay_alu instid0(VALU_DEP_1) | instskip(SKIP_1) | instid1(VALU_DEP_2)
	v_bfe_u32 v7, v3, 16, 1
	v_cmp_o_f32_e64 s0, v3, v3
	v_add3_u32 v7, v3, v7, 0x7fff
	s_delay_alu instid0(VALU_DEP_1) | instskip(NEXT) | instid1(VALU_DEP_1)
	v_lshrrev_b32_e32 v7, 16, v7
	v_cndmask_b32_e64 v3, 0x7fc0, v7, s0
	global_store_b16 v[0:1], v3, off
.LBB134_7:
	s_or_b32 exec_lo, exec_lo, s2
	v_cmp_ne_u32_e64 s0, 1, v4
	s_delay_alu instid0(VALU_DEP_1)
	s_and_b32 exec_lo, exec_lo, s0
	s_cbranch_execz .LBB134_10
; %bb.8:
	s_and_b32 exec_lo, exec_lo, vcc_lo
	s_cbranch_execz .LBB134_10
; %bb.9:
	s_waitcnt lgkmcnt(0)
	v_add_f32_e32 v3, v5, v6
	s_mov_b32 s11, 0
	s_delay_alu instid0(SALU_CYCLE_1) | instskip(NEXT) | instid1(VALU_DEP_1)
	s_lshl_b64 s[0:1], s[10:11], 1
	v_cmp_gt_f32_e32 vcc_lo, 0x800000, v3
	v_cndmask_b32_e64 v4, 1.0, 0x4f800000, vcc_lo
	s_delay_alu instid0(VALU_DEP_1) | instskip(NEXT) | instid1(VALU_DEP_1)
	v_mul_f32_e32 v3, v3, v4
	v_log_f32_e32 v3, v3
	s_waitcnt_depctr 0xfff
	v_mul_f32_e32 v4, 0x3f317217, v3
	s_delay_alu instid0(VALU_DEP_1) | instskip(NEXT) | instid1(VALU_DEP_1)
	v_fma_f32 v5, 0x3f317217, v3, -v4
	v_fmamk_f32 v5, v3, 0x3377d1cf, v5
	s_delay_alu instid0(VALU_DEP_1) | instskip(SKIP_2) | instid1(VALU_DEP_3)
	v_add_f32_e32 v4, v4, v5
	v_cndmask_b32_e64 v5, 0, 0x41b17218, vcc_lo
	v_cmp_gt_f32_e64 vcc_lo, 0x7f800000, |v3|
	v_cndmask_b32_e32 v3, v3, v4, vcc_lo
	s_delay_alu instid0(VALU_DEP_1) | instskip(NEXT) | instid1(VALU_DEP_1)
	v_sub_f32_e32 v3, v3, v5
	v_sub_f32_e32 v2, v2, v3
	s_delay_alu instid0(VALU_DEP_1) | instskip(SKIP_1) | instid1(VALU_DEP_2)
	v_bfe_u32 v3, v2, 16, 1
	v_cmp_o_f32_e32 vcc_lo, v2, v2
	v_add3_u32 v3, v2, v3, 0x7fff
	s_delay_alu instid0(VALU_DEP_1) | instskip(NEXT) | instid1(VALU_DEP_1)
	v_lshrrev_b32_e32 v3, 16, v3
	v_cndmask_b32_e32 v2, 0x7fc0, v3, vcc_lo
	v_add_co_u32 v0, vcc_lo, v0, s0
	v_add_co_ci_u32_e32 v1, vcc_lo, s1, v1, vcc_lo
	global_store_b16 v[0:1], v2, off
.LBB134_10:
	s_nop 0
	s_sendmsg sendmsg(MSG_DEALLOC_VGPRS)
	s_endpgm
	.section	.rodata,"a",@progbits
	.p2align	6, 0x0
	.amdhsa_kernel _ZN12_GLOBAL__N_120softmax_warp_forwardIN3c108BFloat16ES2_fLi1ELb1ELb0ELi32EEEvPT0_PKT_iiiPKbib
		.amdhsa_group_segment_fixed_size 0
		.amdhsa_private_segment_fixed_size 0
		.amdhsa_kernarg_size 304
		.amdhsa_user_sgpr_count 15
		.amdhsa_user_sgpr_dispatch_ptr 0
		.amdhsa_user_sgpr_queue_ptr 0
		.amdhsa_user_sgpr_kernarg_segment_ptr 1
		.amdhsa_user_sgpr_dispatch_id 0
		.amdhsa_user_sgpr_private_segment_size 0
		.amdhsa_wavefront_size32 1
		.amdhsa_uses_dynamic_stack 0
		.amdhsa_enable_private_segment 0
		.amdhsa_system_sgpr_workgroup_id_x 1
		.amdhsa_system_sgpr_workgroup_id_y 0
		.amdhsa_system_sgpr_workgroup_id_z 0
		.amdhsa_system_sgpr_workgroup_info 0
		.amdhsa_system_vgpr_workitem_id 1
		.amdhsa_next_free_vgpr 12
		.amdhsa_next_free_sgpr 16
		.amdhsa_reserve_vcc 1
		.amdhsa_float_round_mode_32 0
		.amdhsa_float_round_mode_16_64 0
		.amdhsa_float_denorm_mode_32 3
		.amdhsa_float_denorm_mode_16_64 3
		.amdhsa_dx10_clamp 1
		.amdhsa_ieee_mode 1
		.amdhsa_fp16_overflow 0
		.amdhsa_workgroup_processor_mode 1
		.amdhsa_memory_ordered 1
		.amdhsa_forward_progress 0
		.amdhsa_shared_vgpr_count 0
		.amdhsa_exception_fp_ieee_invalid_op 0
		.amdhsa_exception_fp_denorm_src 0
		.amdhsa_exception_fp_ieee_div_zero 0
		.amdhsa_exception_fp_ieee_overflow 0
		.amdhsa_exception_fp_ieee_underflow 0
		.amdhsa_exception_fp_ieee_inexact 0
		.amdhsa_exception_int_div_zero 0
	.end_amdhsa_kernel
	.section	.text._ZN12_GLOBAL__N_120softmax_warp_forwardIN3c108BFloat16ES2_fLi1ELb1ELb0ELi32EEEvPT0_PKT_iiiPKbib,"axG",@progbits,_ZN12_GLOBAL__N_120softmax_warp_forwardIN3c108BFloat16ES2_fLi1ELb1ELb0ELi32EEEvPT0_PKT_iiiPKbib,comdat
.Lfunc_end134:
	.size	_ZN12_GLOBAL__N_120softmax_warp_forwardIN3c108BFloat16ES2_fLi1ELb1ELb0ELi32EEEvPT0_PKT_iiiPKbib, .Lfunc_end134-_ZN12_GLOBAL__N_120softmax_warp_forwardIN3c108BFloat16ES2_fLi1ELb1ELb0ELi32EEEvPT0_PKT_iiiPKbib
                                        ; -- End function
	.section	.AMDGPU.csdata,"",@progbits
; Kernel info:
; codeLenInByte = 1100
; NumSgprs: 18
; NumVgprs: 12
; ScratchSize: 0
; MemoryBound: 0
; FloatMode: 240
; IeeeMode: 1
; LDSByteSize: 0 bytes/workgroup (compile time only)
; SGPRBlocks: 2
; VGPRBlocks: 1
; NumSGPRsForWavesPerEU: 18
; NumVGPRsForWavesPerEU: 12
; Occupancy: 16
; WaveLimiterHint : 0
; COMPUTE_PGM_RSRC2:SCRATCH_EN: 0
; COMPUTE_PGM_RSRC2:USER_SGPR: 15
; COMPUTE_PGM_RSRC2:TRAP_HANDLER: 0
; COMPUTE_PGM_RSRC2:TGID_X_EN: 1
; COMPUTE_PGM_RSRC2:TGID_Y_EN: 0
; COMPUTE_PGM_RSRC2:TGID_Z_EN: 0
; COMPUTE_PGM_RSRC2:TIDIG_COMP_CNT: 1
	.section	.text._ZN12_GLOBAL__N_120softmax_warp_forwardIN3c108BFloat16ES2_fLi2ELb1ELb0ELi64EEEvPT0_PKT_iiiPKbib,"axG",@progbits,_ZN12_GLOBAL__N_120softmax_warp_forwardIN3c108BFloat16ES2_fLi2ELb1ELb0ELi64EEEvPT0_PKT_iiiPKbib,comdat
	.globl	_ZN12_GLOBAL__N_120softmax_warp_forwardIN3c108BFloat16ES2_fLi2ELb1ELb0ELi64EEEvPT0_PKT_iiiPKbib ; -- Begin function _ZN12_GLOBAL__N_120softmax_warp_forwardIN3c108BFloat16ES2_fLi2ELb1ELb0ELi64EEEvPT0_PKT_iiiPKbib
	.p2align	8
	.type	_ZN12_GLOBAL__N_120softmax_warp_forwardIN3c108BFloat16ES2_fLi2ELb1ELb0ELi64EEEvPT0_PKT_iiiPKbib,@function
_ZN12_GLOBAL__N_120softmax_warp_forwardIN3c108BFloat16ES2_fLi2ELb1ELb0ELi64EEEvPT0_PKT_iiiPKbib: ; @_ZN12_GLOBAL__N_120softmax_warp_forwardIN3c108BFloat16ES2_fLi2ELb1ELb0ELi64EEEvPT0_PKT_iiiPKbib
; %bb.0:
	s_clause 0x1
	s_load_b32 s2, s[0:1], 0x3c
	s_load_b256 s[4:11], s[0:1], 0x0
	v_bfe_u32 v1, v0, 10, 10
	v_and_b32_e32 v2, 0x3ff, v0
	v_dual_mov_b32 v5, 0xff800000 :: v_dual_mov_b32 v6, 0xff800000
	s_waitcnt lgkmcnt(0)
	s_lshr_b32 s0, s2, 16
	s_delay_alu instid0(VALU_DEP_2) | instskip(SKIP_1) | instid1(SALU_CYCLE_1)
	v_cmp_gt_i32_e32 vcc_lo, s10, v2
	s_mul_i32 s15, s15, s0
	v_add_lshl_u32 v3, s15, v1, 1
	s_delay_alu instid0(VALU_DEP_1) | instskip(SKIP_1) | instid1(VALU_DEP_1)
	v_mad_u64_u32 v[0:1], null, v3, s9, v[2:3]
	v_sub_nc_u32_e32 v4, s8, v3
	v_cmp_lt_i32_e64 s0, 0, v4
	s_delay_alu instid0(VALU_DEP_3) | instskip(NEXT) | instid1(VALU_DEP_2)
	v_ashrrev_i32_e32 v1, 31, v0
	s_and_b32 s2, vcc_lo, s0
	s_delay_alu instid0(VALU_DEP_1) | instskip(NEXT) | instid1(VALU_DEP_1)
	v_lshlrev_b64 v[0:1], 1, v[0:1]
	v_add_co_u32 v2, s1, s6, v0
	s_delay_alu instid0(VALU_DEP_1)
	v_add_co_ci_u32_e64 v3, s1, s7, v1, s1
	s_and_saveexec_b32 s1, s2
	s_cbranch_execz .LBB135_2
; %bb.1:
	global_load_u16 v6, v[2:3], off
	s_waitcnt vmcnt(0)
	v_lshlrev_b32_e32 v6, 16, v6
.LBB135_2:
	s_or_b32 exec_lo, exec_lo, s1
	v_cmp_lt_i32_e64 s1, 1, v4
	s_delay_alu instid0(VALU_DEP_1) | instskip(NEXT) | instid1(SALU_CYCLE_1)
	s_and_b32 s1, vcc_lo, s1
	s_and_saveexec_b32 s2, s1
	s_cbranch_execz .LBB135_4
; %bb.3:
	s_mov_b32 s11, 0
	s_delay_alu instid0(SALU_CYCLE_1) | instskip(NEXT) | instid1(SALU_CYCLE_1)
	s_lshl_b64 s[6:7], s[10:11], 1
	v_add_co_u32 v2, s1, v2, s6
	s_delay_alu instid0(VALU_DEP_1)
	v_add_co_ci_u32_e64 v3, s1, s7, v3, s1
	global_load_u16 v2, v[2:3], off
	s_waitcnt vmcnt(0)
	v_lshlrev_b32_e32 v5, 16, v2
.LBB135_4:
	s_or_b32 exec_lo, exec_lo, s2
	v_mbcnt_lo_u32_b32 v2, -1, 0
	s_delay_alu instid0(VALU_DEP_1) | instskip(SKIP_2) | instid1(VALU_DEP_3)
	v_and_b32_e32 v3, 28, v2
	v_xor_b32_e32 v7, 2, v2
	v_xor_b32_e32 v10, 1, v2
	v_add_nc_u32_e32 v3, 4, v3
	s_delay_alu instid0(VALU_DEP_1) | instskip(NEXT) | instid1(VALU_DEP_1)
	v_cmp_lt_i32_e64 s1, v7, v3
	v_cndmask_b32_e64 v7, v2, v7, s1
	s_delay_alu instid0(VALU_DEP_4) | instskip(NEXT) | instid1(VALU_DEP_2)
	v_cmp_lt_i32_e64 s1, v10, v3
	v_lshlrev_b32_e32 v7, 2, v7
	s_delay_alu instid0(VALU_DEP_2)
	v_cndmask_b32_e64 v2, v2, v10, s1
	ds_bpermute_b32 v8, v7, v6
	ds_bpermute_b32 v9, v7, v5
	v_lshlrev_b32_e32 v10, 2, v2
	s_waitcnt lgkmcnt(1)
	v_cmp_lt_f32_e64 s1, v6, v8
	s_delay_alu instid0(VALU_DEP_1)
	v_cndmask_b32_e64 v2, v6, v8, s1
	s_waitcnt lgkmcnt(0)
	v_cmp_lt_f32_e64 s1, v5, v9
	ds_bpermute_b32 v8, v10, v2
	v_cndmask_b32_e64 v3, v5, v9, s1
	ds_bpermute_b32 v9, v10, v3
	s_waitcnt lgkmcnt(1)
	v_cmp_lt_f32_e64 s1, v2, v8
	s_delay_alu instid0(VALU_DEP_1) | instskip(SKIP_2) | instid1(VALU_DEP_1)
	v_cndmask_b32_e64 v2, v2, v8, s1
	s_waitcnt lgkmcnt(0)
	v_cmp_lt_f32_e64 s1, v3, v9
	v_cndmask_b32_e64 v8, v3, v9, s1
	s_delay_alu instid0(VALU_DEP_1) | instskip(NEXT) | instid1(VALU_DEP_1)
	v_dual_sub_f32 v3, v6, v2 :: v_dual_sub_f32 v2, v5, v8
	v_mul_f32_e32 v5, 0x3fb8aa3b, v3
	v_cmp_ngt_f32_e64 s1, 0xc2ce8ed0, v3
	s_delay_alu instid0(VALU_DEP_3) | instskip(NEXT) | instid1(VALU_DEP_3)
	v_mul_f32_e32 v6, 0x3fb8aa3b, v2
	v_fma_f32 v8, 0x3fb8aa3b, v3, -v5
	v_rndne_f32_e32 v9, v5
	s_delay_alu instid0(VALU_DEP_3) | instskip(SKIP_1) | instid1(VALU_DEP_3)
	v_fma_f32 v11, 0x3fb8aa3b, v2, -v6
	v_rndne_f32_e32 v12, v6
	v_dual_fmac_f32 v8, 0x32a5705f, v3 :: v_dual_sub_f32 v5, v5, v9
	s_delay_alu instid0(VALU_DEP_2) | instskip(NEXT) | instid1(VALU_DEP_2)
	v_dual_fmac_f32 v11, 0x32a5705f, v2 :: v_dual_sub_f32 v6, v6, v12
	v_add_f32_e32 v5, v5, v8
	v_cvt_i32_f32_e32 v8, v9
	v_cvt_i32_f32_e32 v9, v12
	s_delay_alu instid0(VALU_DEP_4) | instskip(NEXT) | instid1(VALU_DEP_4)
	v_add_f32_e32 v6, v6, v11
	v_exp_f32_e32 v5, v5
	s_delay_alu instid0(VALU_DEP_1) | instskip(SKIP_3) | instid1(VALU_DEP_2)
	v_exp_f32_e32 v6, v6
	s_waitcnt_depctr 0xfff
	v_ldexp_f32 v5, v5, v8
	v_ldexp_f32 v6, v6, v9
	v_cndmask_b32_e64 v5, 0, v5, s1
	v_cmp_ngt_f32_e64 s1, 0xc2ce8ed0, v2
	s_delay_alu instid0(VALU_DEP_1) | instskip(SKIP_1) | instid1(VALU_DEP_1)
	v_cndmask_b32_e64 v6, 0, v6, s1
	v_cmp_nlt_f32_e64 s1, 0x42b17218, v3
	v_cndmask_b32_e64 v5, 0x7f800000, v5, s1
	v_cmp_nlt_f32_e64 s1, 0x42b17218, v2
	ds_bpermute_b32 v8, v7, v5
	v_cndmask_b32_e64 v6, 0x7f800000, v6, s1
	ds_bpermute_b32 v9, v7, v6
	s_waitcnt lgkmcnt(1)
	v_add_f32_e32 v7, v5, v8
	ds_bpermute_b32 v8, v10, v7
	s_waitcnt lgkmcnt(1)
	v_add_f32_e32 v5, v6, v9
	ds_bpermute_b32 v6, v10, v5
	s_and_saveexec_b32 s1, s0
	s_cbranch_execz .LBB135_10
; %bb.5:
	v_add_co_u32 v0, s0, s4, v0
	s_delay_alu instid0(VALU_DEP_1)
	v_add_co_ci_u32_e64 v1, s0, s5, v1, s0
	s_and_saveexec_b32 s2, vcc_lo
	s_cbranch_execz .LBB135_7
; %bb.6:
	s_waitcnt lgkmcnt(1)
	v_add_f32_e32 v7, v7, v8
	s_delay_alu instid0(VALU_DEP_1) | instskip(NEXT) | instid1(VALU_DEP_1)
	v_cmp_gt_f32_e64 s0, 0x800000, v7
	v_cndmask_b32_e64 v8, 1.0, 0x4f800000, s0
	s_delay_alu instid0(VALU_DEP_1) | instskip(NEXT) | instid1(VALU_DEP_1)
	v_mul_f32_e32 v7, v7, v8
	v_log_f32_e32 v7, v7
	s_waitcnt_depctr 0xfff
	v_mul_f32_e32 v8, 0x3f317217, v7
	v_cmp_gt_f32_e64 s1, 0x7f800000, |v7|
	s_delay_alu instid0(VALU_DEP_2) | instskip(NEXT) | instid1(VALU_DEP_1)
	v_fma_f32 v9, 0x3f317217, v7, -v8
	v_fmamk_f32 v9, v7, 0x3377d1cf, v9
	s_delay_alu instid0(VALU_DEP_1) | instskip(NEXT) | instid1(VALU_DEP_1)
	v_add_f32_e32 v8, v8, v9
	v_cndmask_b32_e64 v7, v7, v8, s1
	v_cndmask_b32_e64 v8, 0, 0x41b17218, s0
	s_delay_alu instid0(VALU_DEP_1) | instskip(NEXT) | instid1(VALU_DEP_1)
	v_sub_f32_e32 v7, v7, v8
	v_sub_f32_e32 v3, v3, v7
	s_delay_alu instid0(VALU_DEP_1) | instskip(SKIP_1) | instid1(VALU_DEP_2)
	v_bfe_u32 v7, v3, 16, 1
	v_cmp_o_f32_e64 s0, v3, v3
	v_add3_u32 v7, v3, v7, 0x7fff
	s_delay_alu instid0(VALU_DEP_1) | instskip(NEXT) | instid1(VALU_DEP_1)
	v_lshrrev_b32_e32 v7, 16, v7
	v_cndmask_b32_e64 v3, 0x7fc0, v7, s0
	global_store_b16 v[0:1], v3, off
.LBB135_7:
	s_or_b32 exec_lo, exec_lo, s2
	v_cmp_ne_u32_e64 s0, 1, v4
	s_delay_alu instid0(VALU_DEP_1)
	s_and_b32 exec_lo, exec_lo, s0
	s_cbranch_execz .LBB135_10
; %bb.8:
	s_and_b32 exec_lo, exec_lo, vcc_lo
	s_cbranch_execz .LBB135_10
; %bb.9:
	s_waitcnt lgkmcnt(0)
	v_add_f32_e32 v3, v5, v6
	s_mov_b32 s11, 0
	s_delay_alu instid0(SALU_CYCLE_1) | instskip(NEXT) | instid1(VALU_DEP_1)
	s_lshl_b64 s[0:1], s[10:11], 1
	v_cmp_gt_f32_e32 vcc_lo, 0x800000, v3
	v_cndmask_b32_e64 v4, 1.0, 0x4f800000, vcc_lo
	s_delay_alu instid0(VALU_DEP_1) | instskip(NEXT) | instid1(VALU_DEP_1)
	v_mul_f32_e32 v3, v3, v4
	v_log_f32_e32 v3, v3
	s_waitcnt_depctr 0xfff
	v_mul_f32_e32 v4, 0x3f317217, v3
	s_delay_alu instid0(VALU_DEP_1) | instskip(NEXT) | instid1(VALU_DEP_1)
	v_fma_f32 v5, 0x3f317217, v3, -v4
	v_fmamk_f32 v5, v3, 0x3377d1cf, v5
	s_delay_alu instid0(VALU_DEP_1) | instskip(SKIP_2) | instid1(VALU_DEP_3)
	v_add_f32_e32 v4, v4, v5
	v_cndmask_b32_e64 v5, 0, 0x41b17218, vcc_lo
	v_cmp_gt_f32_e64 vcc_lo, 0x7f800000, |v3|
	v_cndmask_b32_e32 v3, v3, v4, vcc_lo
	s_delay_alu instid0(VALU_DEP_1) | instskip(NEXT) | instid1(VALU_DEP_1)
	v_sub_f32_e32 v3, v3, v5
	v_sub_f32_e32 v2, v2, v3
	s_delay_alu instid0(VALU_DEP_1) | instskip(SKIP_1) | instid1(VALU_DEP_2)
	v_bfe_u32 v3, v2, 16, 1
	v_cmp_o_f32_e32 vcc_lo, v2, v2
	v_add3_u32 v3, v2, v3, 0x7fff
	s_delay_alu instid0(VALU_DEP_1) | instskip(NEXT) | instid1(VALU_DEP_1)
	v_lshrrev_b32_e32 v3, 16, v3
	v_cndmask_b32_e32 v2, 0x7fc0, v3, vcc_lo
	v_add_co_u32 v0, vcc_lo, v0, s0
	v_add_co_ci_u32_e32 v1, vcc_lo, s1, v1, vcc_lo
	global_store_b16 v[0:1], v2, off
.LBB135_10:
	s_nop 0
	s_sendmsg sendmsg(MSG_DEALLOC_VGPRS)
	s_endpgm
	.section	.rodata,"a",@progbits
	.p2align	6, 0x0
	.amdhsa_kernel _ZN12_GLOBAL__N_120softmax_warp_forwardIN3c108BFloat16ES2_fLi2ELb1ELb0ELi64EEEvPT0_PKT_iiiPKbib
		.amdhsa_group_segment_fixed_size 0
		.amdhsa_private_segment_fixed_size 0
		.amdhsa_kernarg_size 304
		.amdhsa_user_sgpr_count 15
		.amdhsa_user_sgpr_dispatch_ptr 0
		.amdhsa_user_sgpr_queue_ptr 0
		.amdhsa_user_sgpr_kernarg_segment_ptr 1
		.amdhsa_user_sgpr_dispatch_id 0
		.amdhsa_user_sgpr_private_segment_size 0
		.amdhsa_wavefront_size32 1
		.amdhsa_uses_dynamic_stack 0
		.amdhsa_enable_private_segment 0
		.amdhsa_system_sgpr_workgroup_id_x 1
		.amdhsa_system_sgpr_workgroup_id_y 0
		.amdhsa_system_sgpr_workgroup_id_z 0
		.amdhsa_system_sgpr_workgroup_info 0
		.amdhsa_system_vgpr_workitem_id 1
		.amdhsa_next_free_vgpr 13
		.amdhsa_next_free_sgpr 16
		.amdhsa_reserve_vcc 1
		.amdhsa_float_round_mode_32 0
		.amdhsa_float_round_mode_16_64 0
		.amdhsa_float_denorm_mode_32 3
		.amdhsa_float_denorm_mode_16_64 3
		.amdhsa_dx10_clamp 1
		.amdhsa_ieee_mode 1
		.amdhsa_fp16_overflow 0
		.amdhsa_workgroup_processor_mode 1
		.amdhsa_memory_ordered 1
		.amdhsa_forward_progress 0
		.amdhsa_shared_vgpr_count 0
		.amdhsa_exception_fp_ieee_invalid_op 0
		.amdhsa_exception_fp_denorm_src 0
		.amdhsa_exception_fp_ieee_div_zero 0
		.amdhsa_exception_fp_ieee_overflow 0
		.amdhsa_exception_fp_ieee_underflow 0
		.amdhsa_exception_fp_ieee_inexact 0
		.amdhsa_exception_int_div_zero 0
	.end_amdhsa_kernel
	.section	.text._ZN12_GLOBAL__N_120softmax_warp_forwardIN3c108BFloat16ES2_fLi2ELb1ELb0ELi64EEEvPT0_PKT_iiiPKbib,"axG",@progbits,_ZN12_GLOBAL__N_120softmax_warp_forwardIN3c108BFloat16ES2_fLi2ELb1ELb0ELi64EEEvPT0_PKT_iiiPKbib,comdat
.Lfunc_end135:
	.size	_ZN12_GLOBAL__N_120softmax_warp_forwardIN3c108BFloat16ES2_fLi2ELb1ELb0ELi64EEEvPT0_PKT_iiiPKbib, .Lfunc_end135-_ZN12_GLOBAL__N_120softmax_warp_forwardIN3c108BFloat16ES2_fLi2ELb1ELb0ELi64EEEvPT0_PKT_iiiPKbib
                                        ; -- End function
	.section	.AMDGPU.csdata,"",@progbits
; Kernel info:
; codeLenInByte = 1212
; NumSgprs: 18
; NumVgprs: 13
; ScratchSize: 0
; MemoryBound: 0
; FloatMode: 240
; IeeeMode: 1
; LDSByteSize: 0 bytes/workgroup (compile time only)
; SGPRBlocks: 2
; VGPRBlocks: 1
; NumSGPRsForWavesPerEU: 18
; NumVGPRsForWavesPerEU: 13
; Occupancy: 16
; WaveLimiterHint : 0
; COMPUTE_PGM_RSRC2:SCRATCH_EN: 0
; COMPUTE_PGM_RSRC2:USER_SGPR: 15
; COMPUTE_PGM_RSRC2:TRAP_HANDLER: 0
; COMPUTE_PGM_RSRC2:TGID_X_EN: 1
; COMPUTE_PGM_RSRC2:TGID_Y_EN: 0
; COMPUTE_PGM_RSRC2:TGID_Z_EN: 0
; COMPUTE_PGM_RSRC2:TIDIG_COMP_CNT: 1
	.section	.text._ZN12_GLOBAL__N_120softmax_warp_forwardIN3c108BFloat16ES2_fLi2ELb1ELb0ELi32EEEvPT0_PKT_iiiPKbib,"axG",@progbits,_ZN12_GLOBAL__N_120softmax_warp_forwardIN3c108BFloat16ES2_fLi2ELb1ELb0ELi32EEEvPT0_PKT_iiiPKbib,comdat
	.globl	_ZN12_GLOBAL__N_120softmax_warp_forwardIN3c108BFloat16ES2_fLi2ELb1ELb0ELi32EEEvPT0_PKT_iiiPKbib ; -- Begin function _ZN12_GLOBAL__N_120softmax_warp_forwardIN3c108BFloat16ES2_fLi2ELb1ELb0ELi32EEEvPT0_PKT_iiiPKbib
	.p2align	8
	.type	_ZN12_GLOBAL__N_120softmax_warp_forwardIN3c108BFloat16ES2_fLi2ELb1ELb0ELi32EEEvPT0_PKT_iiiPKbib,@function
_ZN12_GLOBAL__N_120softmax_warp_forwardIN3c108BFloat16ES2_fLi2ELb1ELb0ELi32EEEvPT0_PKT_iiiPKbib: ; @_ZN12_GLOBAL__N_120softmax_warp_forwardIN3c108BFloat16ES2_fLi2ELb1ELb0ELi32EEEvPT0_PKT_iiiPKbib
; %bb.0:
	s_clause 0x1
	s_load_b32 s2, s[0:1], 0x3c
	s_load_b256 s[4:11], s[0:1], 0x0
	v_bfe_u32 v1, v0, 10, 10
	v_and_b32_e32 v2, 0x3ff, v0
	v_dual_mov_b32 v5, 0xff800000 :: v_dual_mov_b32 v6, 0xff800000
	s_waitcnt lgkmcnt(0)
	s_lshr_b32 s0, s2, 16
	s_delay_alu instid0(VALU_DEP_2) | instskip(SKIP_1) | instid1(SALU_CYCLE_1)
	v_cmp_gt_i32_e32 vcc_lo, s10, v2
	s_mul_i32 s15, s15, s0
	v_add_lshl_u32 v3, s15, v1, 1
	s_delay_alu instid0(VALU_DEP_1) | instskip(SKIP_1) | instid1(VALU_DEP_1)
	v_mad_u64_u32 v[0:1], null, v3, s9, v[2:3]
	v_sub_nc_u32_e32 v4, s8, v3
	v_cmp_lt_i32_e64 s0, 0, v4
	s_delay_alu instid0(VALU_DEP_3) | instskip(NEXT) | instid1(VALU_DEP_2)
	v_ashrrev_i32_e32 v1, 31, v0
	s_and_b32 s2, vcc_lo, s0
	s_delay_alu instid0(VALU_DEP_1) | instskip(NEXT) | instid1(VALU_DEP_1)
	v_lshlrev_b64 v[0:1], 1, v[0:1]
	v_add_co_u32 v2, s1, s6, v0
	s_delay_alu instid0(VALU_DEP_1)
	v_add_co_ci_u32_e64 v3, s1, s7, v1, s1
	s_and_saveexec_b32 s1, s2
	s_cbranch_execz .LBB136_2
; %bb.1:
	global_load_u16 v6, v[2:3], off
	s_waitcnt vmcnt(0)
	v_lshlrev_b32_e32 v6, 16, v6
.LBB136_2:
	s_or_b32 exec_lo, exec_lo, s1
	v_cmp_lt_i32_e64 s1, 1, v4
	s_delay_alu instid0(VALU_DEP_1) | instskip(NEXT) | instid1(SALU_CYCLE_1)
	s_and_b32 s1, vcc_lo, s1
	s_and_saveexec_b32 s2, s1
	s_cbranch_execz .LBB136_4
; %bb.3:
	s_mov_b32 s11, 0
	s_delay_alu instid0(SALU_CYCLE_1) | instskip(NEXT) | instid1(SALU_CYCLE_1)
	s_lshl_b64 s[6:7], s[10:11], 1
	v_add_co_u32 v2, s1, v2, s6
	s_delay_alu instid0(VALU_DEP_1)
	v_add_co_ci_u32_e64 v3, s1, s7, v3, s1
	global_load_u16 v2, v[2:3], off
	s_waitcnt vmcnt(0)
	v_lshlrev_b32_e32 v5, 16, v2
.LBB136_4:
	s_or_b32 exec_lo, exec_lo, s2
	v_mbcnt_lo_u32_b32 v2, -1, 0
	s_delay_alu instid0(VALU_DEP_1) | instskip(SKIP_2) | instid1(VALU_DEP_3)
	v_and_b32_e32 v3, 28, v2
	v_xor_b32_e32 v7, 2, v2
	v_xor_b32_e32 v10, 1, v2
	v_add_nc_u32_e32 v3, 4, v3
	s_delay_alu instid0(VALU_DEP_1) | instskip(NEXT) | instid1(VALU_DEP_1)
	v_cmp_lt_i32_e64 s1, v7, v3
	v_cndmask_b32_e64 v7, v2, v7, s1
	s_delay_alu instid0(VALU_DEP_4) | instskip(NEXT) | instid1(VALU_DEP_2)
	v_cmp_lt_i32_e64 s1, v10, v3
	v_lshlrev_b32_e32 v7, 2, v7
	s_delay_alu instid0(VALU_DEP_2)
	v_cndmask_b32_e64 v2, v2, v10, s1
	ds_bpermute_b32 v8, v7, v6
	ds_bpermute_b32 v9, v7, v5
	v_lshlrev_b32_e32 v10, 2, v2
	s_waitcnt lgkmcnt(1)
	v_cmp_lt_f32_e64 s1, v6, v8
	s_delay_alu instid0(VALU_DEP_1)
	v_cndmask_b32_e64 v2, v6, v8, s1
	s_waitcnt lgkmcnt(0)
	v_cmp_lt_f32_e64 s1, v5, v9
	ds_bpermute_b32 v8, v10, v2
	v_cndmask_b32_e64 v3, v5, v9, s1
	ds_bpermute_b32 v9, v10, v3
	s_waitcnt lgkmcnt(1)
	v_cmp_lt_f32_e64 s1, v2, v8
	s_delay_alu instid0(VALU_DEP_1) | instskip(SKIP_2) | instid1(VALU_DEP_1)
	v_cndmask_b32_e64 v2, v2, v8, s1
	s_waitcnt lgkmcnt(0)
	v_cmp_lt_f32_e64 s1, v3, v9
	v_cndmask_b32_e64 v8, v3, v9, s1
	s_delay_alu instid0(VALU_DEP_1) | instskip(NEXT) | instid1(VALU_DEP_1)
	v_dual_sub_f32 v3, v6, v2 :: v_dual_sub_f32 v2, v5, v8
	v_mul_f32_e32 v5, 0x3fb8aa3b, v3
	v_cmp_ngt_f32_e64 s1, 0xc2ce8ed0, v3
	s_delay_alu instid0(VALU_DEP_3) | instskip(NEXT) | instid1(VALU_DEP_3)
	v_mul_f32_e32 v6, 0x3fb8aa3b, v2
	v_fma_f32 v8, 0x3fb8aa3b, v3, -v5
	v_rndne_f32_e32 v9, v5
	s_delay_alu instid0(VALU_DEP_3) | instskip(SKIP_1) | instid1(VALU_DEP_3)
	v_fma_f32 v11, 0x3fb8aa3b, v2, -v6
	v_rndne_f32_e32 v12, v6
	v_dual_fmac_f32 v8, 0x32a5705f, v3 :: v_dual_sub_f32 v5, v5, v9
	s_delay_alu instid0(VALU_DEP_2) | instskip(NEXT) | instid1(VALU_DEP_2)
	v_dual_fmac_f32 v11, 0x32a5705f, v2 :: v_dual_sub_f32 v6, v6, v12
	v_add_f32_e32 v5, v5, v8
	v_cvt_i32_f32_e32 v8, v9
	v_cvt_i32_f32_e32 v9, v12
	s_delay_alu instid0(VALU_DEP_4) | instskip(NEXT) | instid1(VALU_DEP_4)
	v_add_f32_e32 v6, v6, v11
	v_exp_f32_e32 v5, v5
	s_delay_alu instid0(VALU_DEP_1) | instskip(SKIP_3) | instid1(VALU_DEP_2)
	v_exp_f32_e32 v6, v6
	s_waitcnt_depctr 0xfff
	v_ldexp_f32 v5, v5, v8
	v_ldexp_f32 v6, v6, v9
	v_cndmask_b32_e64 v5, 0, v5, s1
	v_cmp_ngt_f32_e64 s1, 0xc2ce8ed0, v2
	s_delay_alu instid0(VALU_DEP_1) | instskip(SKIP_1) | instid1(VALU_DEP_1)
	v_cndmask_b32_e64 v6, 0, v6, s1
	v_cmp_nlt_f32_e64 s1, 0x42b17218, v3
	v_cndmask_b32_e64 v5, 0x7f800000, v5, s1
	v_cmp_nlt_f32_e64 s1, 0x42b17218, v2
	ds_bpermute_b32 v8, v7, v5
	v_cndmask_b32_e64 v6, 0x7f800000, v6, s1
	ds_bpermute_b32 v9, v7, v6
	s_waitcnt lgkmcnt(1)
	v_add_f32_e32 v7, v5, v8
	ds_bpermute_b32 v8, v10, v7
	s_waitcnt lgkmcnt(1)
	v_add_f32_e32 v5, v6, v9
	ds_bpermute_b32 v6, v10, v5
	s_and_saveexec_b32 s1, s0
	s_cbranch_execz .LBB136_10
; %bb.5:
	v_add_co_u32 v0, s0, s4, v0
	s_delay_alu instid0(VALU_DEP_1)
	v_add_co_ci_u32_e64 v1, s0, s5, v1, s0
	s_and_saveexec_b32 s2, vcc_lo
	s_cbranch_execz .LBB136_7
; %bb.6:
	s_waitcnt lgkmcnt(1)
	v_add_f32_e32 v7, v7, v8
	s_delay_alu instid0(VALU_DEP_1) | instskip(NEXT) | instid1(VALU_DEP_1)
	v_cmp_gt_f32_e64 s0, 0x800000, v7
	v_cndmask_b32_e64 v8, 1.0, 0x4f800000, s0
	s_delay_alu instid0(VALU_DEP_1) | instskip(NEXT) | instid1(VALU_DEP_1)
	v_mul_f32_e32 v7, v7, v8
	v_log_f32_e32 v7, v7
	s_waitcnt_depctr 0xfff
	v_mul_f32_e32 v8, 0x3f317217, v7
	v_cmp_gt_f32_e64 s1, 0x7f800000, |v7|
	s_delay_alu instid0(VALU_DEP_2) | instskip(NEXT) | instid1(VALU_DEP_1)
	v_fma_f32 v9, 0x3f317217, v7, -v8
	v_fmamk_f32 v9, v7, 0x3377d1cf, v9
	s_delay_alu instid0(VALU_DEP_1) | instskip(NEXT) | instid1(VALU_DEP_1)
	v_add_f32_e32 v8, v8, v9
	v_cndmask_b32_e64 v7, v7, v8, s1
	v_cndmask_b32_e64 v8, 0, 0x41b17218, s0
	s_delay_alu instid0(VALU_DEP_1) | instskip(NEXT) | instid1(VALU_DEP_1)
	v_sub_f32_e32 v7, v7, v8
	v_sub_f32_e32 v3, v3, v7
	s_delay_alu instid0(VALU_DEP_1) | instskip(SKIP_1) | instid1(VALU_DEP_2)
	v_bfe_u32 v7, v3, 16, 1
	v_cmp_o_f32_e64 s0, v3, v3
	v_add3_u32 v7, v3, v7, 0x7fff
	s_delay_alu instid0(VALU_DEP_1) | instskip(NEXT) | instid1(VALU_DEP_1)
	v_lshrrev_b32_e32 v7, 16, v7
	v_cndmask_b32_e64 v3, 0x7fc0, v7, s0
	global_store_b16 v[0:1], v3, off
.LBB136_7:
	s_or_b32 exec_lo, exec_lo, s2
	v_cmp_ne_u32_e64 s0, 1, v4
	s_delay_alu instid0(VALU_DEP_1)
	s_and_b32 exec_lo, exec_lo, s0
	s_cbranch_execz .LBB136_10
; %bb.8:
	s_and_b32 exec_lo, exec_lo, vcc_lo
	s_cbranch_execz .LBB136_10
; %bb.9:
	s_waitcnt lgkmcnt(0)
	v_add_f32_e32 v3, v5, v6
	s_mov_b32 s11, 0
	s_delay_alu instid0(SALU_CYCLE_1) | instskip(NEXT) | instid1(VALU_DEP_1)
	s_lshl_b64 s[0:1], s[10:11], 1
	v_cmp_gt_f32_e32 vcc_lo, 0x800000, v3
	v_cndmask_b32_e64 v4, 1.0, 0x4f800000, vcc_lo
	s_delay_alu instid0(VALU_DEP_1) | instskip(NEXT) | instid1(VALU_DEP_1)
	v_mul_f32_e32 v3, v3, v4
	v_log_f32_e32 v3, v3
	s_waitcnt_depctr 0xfff
	v_mul_f32_e32 v4, 0x3f317217, v3
	s_delay_alu instid0(VALU_DEP_1) | instskip(NEXT) | instid1(VALU_DEP_1)
	v_fma_f32 v5, 0x3f317217, v3, -v4
	v_fmamk_f32 v5, v3, 0x3377d1cf, v5
	s_delay_alu instid0(VALU_DEP_1) | instskip(SKIP_2) | instid1(VALU_DEP_3)
	v_add_f32_e32 v4, v4, v5
	v_cndmask_b32_e64 v5, 0, 0x41b17218, vcc_lo
	v_cmp_gt_f32_e64 vcc_lo, 0x7f800000, |v3|
	v_cndmask_b32_e32 v3, v3, v4, vcc_lo
	s_delay_alu instid0(VALU_DEP_1) | instskip(NEXT) | instid1(VALU_DEP_1)
	v_sub_f32_e32 v3, v3, v5
	v_sub_f32_e32 v2, v2, v3
	s_delay_alu instid0(VALU_DEP_1) | instskip(SKIP_1) | instid1(VALU_DEP_2)
	v_bfe_u32 v3, v2, 16, 1
	v_cmp_o_f32_e32 vcc_lo, v2, v2
	v_add3_u32 v3, v2, v3, 0x7fff
	s_delay_alu instid0(VALU_DEP_1) | instskip(NEXT) | instid1(VALU_DEP_1)
	v_lshrrev_b32_e32 v3, 16, v3
	v_cndmask_b32_e32 v2, 0x7fc0, v3, vcc_lo
	v_add_co_u32 v0, vcc_lo, v0, s0
	v_add_co_ci_u32_e32 v1, vcc_lo, s1, v1, vcc_lo
	global_store_b16 v[0:1], v2, off
.LBB136_10:
	s_nop 0
	s_sendmsg sendmsg(MSG_DEALLOC_VGPRS)
	s_endpgm
	.section	.rodata,"a",@progbits
	.p2align	6, 0x0
	.amdhsa_kernel _ZN12_GLOBAL__N_120softmax_warp_forwardIN3c108BFloat16ES2_fLi2ELb1ELb0ELi32EEEvPT0_PKT_iiiPKbib
		.amdhsa_group_segment_fixed_size 0
		.amdhsa_private_segment_fixed_size 0
		.amdhsa_kernarg_size 304
		.amdhsa_user_sgpr_count 15
		.amdhsa_user_sgpr_dispatch_ptr 0
		.amdhsa_user_sgpr_queue_ptr 0
		.amdhsa_user_sgpr_kernarg_segment_ptr 1
		.amdhsa_user_sgpr_dispatch_id 0
		.amdhsa_user_sgpr_private_segment_size 0
		.amdhsa_wavefront_size32 1
		.amdhsa_uses_dynamic_stack 0
		.amdhsa_enable_private_segment 0
		.amdhsa_system_sgpr_workgroup_id_x 1
		.amdhsa_system_sgpr_workgroup_id_y 0
		.amdhsa_system_sgpr_workgroup_id_z 0
		.amdhsa_system_sgpr_workgroup_info 0
		.amdhsa_system_vgpr_workitem_id 1
		.amdhsa_next_free_vgpr 13
		.amdhsa_next_free_sgpr 16
		.amdhsa_reserve_vcc 1
		.amdhsa_float_round_mode_32 0
		.amdhsa_float_round_mode_16_64 0
		.amdhsa_float_denorm_mode_32 3
		.amdhsa_float_denorm_mode_16_64 3
		.amdhsa_dx10_clamp 1
		.amdhsa_ieee_mode 1
		.amdhsa_fp16_overflow 0
		.amdhsa_workgroup_processor_mode 1
		.amdhsa_memory_ordered 1
		.amdhsa_forward_progress 0
		.amdhsa_shared_vgpr_count 0
		.amdhsa_exception_fp_ieee_invalid_op 0
		.amdhsa_exception_fp_denorm_src 0
		.amdhsa_exception_fp_ieee_div_zero 0
		.amdhsa_exception_fp_ieee_overflow 0
		.amdhsa_exception_fp_ieee_underflow 0
		.amdhsa_exception_fp_ieee_inexact 0
		.amdhsa_exception_int_div_zero 0
	.end_amdhsa_kernel
	.section	.text._ZN12_GLOBAL__N_120softmax_warp_forwardIN3c108BFloat16ES2_fLi2ELb1ELb0ELi32EEEvPT0_PKT_iiiPKbib,"axG",@progbits,_ZN12_GLOBAL__N_120softmax_warp_forwardIN3c108BFloat16ES2_fLi2ELb1ELb0ELi32EEEvPT0_PKT_iiiPKbib,comdat
.Lfunc_end136:
	.size	_ZN12_GLOBAL__N_120softmax_warp_forwardIN3c108BFloat16ES2_fLi2ELb1ELb0ELi32EEEvPT0_PKT_iiiPKbib, .Lfunc_end136-_ZN12_GLOBAL__N_120softmax_warp_forwardIN3c108BFloat16ES2_fLi2ELb1ELb0ELi32EEEvPT0_PKT_iiiPKbib
                                        ; -- End function
	.section	.AMDGPU.csdata,"",@progbits
; Kernel info:
; codeLenInByte = 1212
; NumSgprs: 18
; NumVgprs: 13
; ScratchSize: 0
; MemoryBound: 0
; FloatMode: 240
; IeeeMode: 1
; LDSByteSize: 0 bytes/workgroup (compile time only)
; SGPRBlocks: 2
; VGPRBlocks: 1
; NumSGPRsForWavesPerEU: 18
; NumVGPRsForWavesPerEU: 13
; Occupancy: 16
; WaveLimiterHint : 0
; COMPUTE_PGM_RSRC2:SCRATCH_EN: 0
; COMPUTE_PGM_RSRC2:USER_SGPR: 15
; COMPUTE_PGM_RSRC2:TRAP_HANDLER: 0
; COMPUTE_PGM_RSRC2:TGID_X_EN: 1
; COMPUTE_PGM_RSRC2:TGID_Y_EN: 0
; COMPUTE_PGM_RSRC2:TGID_Z_EN: 0
; COMPUTE_PGM_RSRC2:TIDIG_COMP_CNT: 1
	.section	.text._ZN12_GLOBAL__N_120softmax_warp_forwardIN3c108BFloat16ES2_fLi3ELb1ELb0ELi64EEEvPT0_PKT_iiiPKbib,"axG",@progbits,_ZN12_GLOBAL__N_120softmax_warp_forwardIN3c108BFloat16ES2_fLi3ELb1ELb0ELi64EEEvPT0_PKT_iiiPKbib,comdat
	.globl	_ZN12_GLOBAL__N_120softmax_warp_forwardIN3c108BFloat16ES2_fLi3ELb1ELb0ELi64EEEvPT0_PKT_iiiPKbib ; -- Begin function _ZN12_GLOBAL__N_120softmax_warp_forwardIN3c108BFloat16ES2_fLi3ELb1ELb0ELi64EEEvPT0_PKT_iiiPKbib
	.p2align	8
	.type	_ZN12_GLOBAL__N_120softmax_warp_forwardIN3c108BFloat16ES2_fLi3ELb1ELb0ELi64EEEvPT0_PKT_iiiPKbib,@function
_ZN12_GLOBAL__N_120softmax_warp_forwardIN3c108BFloat16ES2_fLi3ELb1ELb0ELi64EEEvPT0_PKT_iiiPKbib: ; @_ZN12_GLOBAL__N_120softmax_warp_forwardIN3c108BFloat16ES2_fLi3ELb1ELb0ELi64EEEvPT0_PKT_iiiPKbib
; %bb.0:
	s_clause 0x1
	s_load_b32 s2, s[0:1], 0x3c
	s_load_b256 s[4:11], s[0:1], 0x0
	v_bfe_u32 v1, v0, 10, 10
	v_and_b32_e32 v2, 0x3ff, v0
	v_dual_mov_b32 v5, 0xff800000 :: v_dual_mov_b32 v6, 0xff800000
	s_waitcnt lgkmcnt(0)
	s_lshr_b32 s0, s2, 16
	s_delay_alu instid0(VALU_DEP_2) | instskip(SKIP_1) | instid1(SALU_CYCLE_1)
	v_cmp_gt_i32_e32 vcc_lo, s10, v2
	s_mul_i32 s15, s15, s0
	v_add_lshl_u32 v3, s15, v1, 1
	s_delay_alu instid0(VALU_DEP_1) | instskip(SKIP_1) | instid1(VALU_DEP_1)
	v_mad_u64_u32 v[0:1], null, v3, s9, v[2:3]
	v_sub_nc_u32_e32 v4, s8, v3
	v_cmp_lt_i32_e64 s0, 0, v4
	s_delay_alu instid0(VALU_DEP_3) | instskip(NEXT) | instid1(VALU_DEP_2)
	v_ashrrev_i32_e32 v1, 31, v0
	s_and_b32 s2, vcc_lo, s0
	s_delay_alu instid0(VALU_DEP_1) | instskip(NEXT) | instid1(VALU_DEP_1)
	v_lshlrev_b64 v[0:1], 1, v[0:1]
	v_add_co_u32 v2, s1, s6, v0
	s_delay_alu instid0(VALU_DEP_1)
	v_add_co_ci_u32_e64 v3, s1, s7, v1, s1
	s_and_saveexec_b32 s1, s2
	s_cbranch_execz .LBB137_2
; %bb.1:
	global_load_u16 v6, v[2:3], off
	s_waitcnt vmcnt(0)
	v_lshlrev_b32_e32 v6, 16, v6
.LBB137_2:
	s_or_b32 exec_lo, exec_lo, s1
	v_cmp_lt_i32_e64 s1, 1, v4
	s_delay_alu instid0(VALU_DEP_1) | instskip(NEXT) | instid1(SALU_CYCLE_1)
	s_and_b32 s1, vcc_lo, s1
	s_and_saveexec_b32 s2, s1
	s_cbranch_execz .LBB137_4
; %bb.3:
	s_mov_b32 s11, 0
	s_delay_alu instid0(SALU_CYCLE_1) | instskip(NEXT) | instid1(SALU_CYCLE_1)
	s_lshl_b64 s[6:7], s[10:11], 1
	v_add_co_u32 v2, s1, v2, s6
	s_delay_alu instid0(VALU_DEP_1)
	v_add_co_ci_u32_e64 v3, s1, s7, v3, s1
	global_load_u16 v2, v[2:3], off
	s_waitcnt vmcnt(0)
	v_lshlrev_b32_e32 v5, 16, v2
.LBB137_4:
	s_or_b32 exec_lo, exec_lo, s2
	v_mbcnt_lo_u32_b32 v2, -1, 0
	s_delay_alu instid0(VALU_DEP_1) | instskip(SKIP_3) | instid1(VALU_DEP_4)
	v_and_b32_e32 v3, 24, v2
	v_xor_b32_e32 v7, 4, v2
	v_xor_b32_e32 v10, 2, v2
	;; [unrolled: 1-line block ×3, first 2 shown]
	v_add_nc_u32_e32 v3, 8, v3
	s_delay_alu instid0(VALU_DEP_1) | instskip(NEXT) | instid1(VALU_DEP_1)
	v_cmp_lt_i32_e64 s1, v7, v3
	v_cndmask_b32_e64 v7, v2, v7, s1
	v_cmp_lt_i32_e64 s1, v10, v3
	s_delay_alu instid0(VALU_DEP_2) | instskip(NEXT) | instid1(VALU_DEP_2)
	v_lshlrev_b32_e32 v7, 2, v7
	v_cndmask_b32_e64 v10, v2, v10, s1
	ds_bpermute_b32 v8, v7, v6
	ds_bpermute_b32 v9, v7, v5
	v_lshlrev_b32_e32 v10, 2, v10
	s_waitcnt lgkmcnt(1)
	v_cmp_lt_f32_e64 s1, v6, v8
	s_delay_alu instid0(VALU_DEP_1)
	v_cndmask_b32_e64 v8, v6, v8, s1
	s_waitcnt lgkmcnt(0)
	v_cmp_lt_f32_e64 s1, v5, v9
	ds_bpermute_b32 v11, v10, v8
	v_cndmask_b32_e64 v9, v5, v9, s1
	v_cmp_lt_i32_e64 s1, v13, v3
	ds_bpermute_b32 v12, v10, v9
	v_cndmask_b32_e64 v2, v2, v13, s1
	s_delay_alu instid0(VALU_DEP_1) | instskip(SKIP_2) | instid1(VALU_DEP_1)
	v_lshlrev_b32_e32 v13, 2, v2
	s_waitcnt lgkmcnt(1)
	v_cmp_lt_f32_e64 s1, v8, v11
	v_cndmask_b32_e64 v2, v8, v11, s1
	s_waitcnt lgkmcnt(0)
	v_cmp_lt_f32_e64 s1, v9, v12
	ds_bpermute_b32 v8, v13, v2
	v_cndmask_b32_e64 v3, v9, v12, s1
	ds_bpermute_b32 v9, v13, v3
	s_waitcnt lgkmcnt(1)
	v_cmp_lt_f32_e64 s1, v2, v8
	s_delay_alu instid0(VALU_DEP_1) | instskip(SKIP_2) | instid1(VALU_DEP_1)
	v_cndmask_b32_e64 v2, v2, v8, s1
	s_waitcnt lgkmcnt(0)
	v_cmp_lt_f32_e64 s1, v3, v9
	v_cndmask_b32_e64 v8, v3, v9, s1
	s_delay_alu instid0(VALU_DEP_1) | instskip(NEXT) | instid1(VALU_DEP_1)
	v_dual_sub_f32 v3, v6, v2 :: v_dual_sub_f32 v2, v5, v8
	v_mul_f32_e32 v5, 0x3fb8aa3b, v3
	v_cmp_ngt_f32_e64 s1, 0xc2ce8ed0, v3
	s_delay_alu instid0(VALU_DEP_3) | instskip(NEXT) | instid1(VALU_DEP_3)
	v_mul_f32_e32 v6, 0x3fb8aa3b, v2
	v_fma_f32 v8, 0x3fb8aa3b, v3, -v5
	v_rndne_f32_e32 v9, v5
	s_delay_alu instid0(VALU_DEP_3) | instskip(NEXT) | instid1(VALU_DEP_3)
	v_fma_f32 v11, 0x3fb8aa3b, v2, -v6
	v_fmac_f32_e32 v8, 0x32a5705f, v3
	v_rndne_f32_e32 v12, v6
	s_delay_alu instid0(VALU_DEP_1) | instskip(NEXT) | instid1(VALU_DEP_1)
	v_dual_fmac_f32 v11, 0x32a5705f, v2 :: v_dual_sub_f32 v6, v6, v12
	v_dual_sub_f32 v5, v5, v9 :: v_dual_add_f32 v6, v6, v11
	s_delay_alu instid0(VALU_DEP_1) | instskip(SKIP_2) | instid1(VALU_DEP_4)
	v_add_f32_e32 v5, v5, v8
	v_cvt_i32_f32_e32 v8, v9
	v_cvt_i32_f32_e32 v9, v12
	v_exp_f32_e32 v6, v6
	s_delay_alu instid0(VALU_DEP_3) | instskip(SKIP_3) | instid1(VALU_DEP_1)
	v_exp_f32_e32 v5, v5
	s_waitcnt_depctr 0xfff
	v_ldexp_f32 v6, v6, v9
	v_ldexp_f32 v5, v5, v8
	v_cndmask_b32_e64 v5, 0, v5, s1
	v_cmp_ngt_f32_e64 s1, 0xc2ce8ed0, v2
	s_delay_alu instid0(VALU_DEP_1) | instskip(SKIP_1) | instid1(VALU_DEP_1)
	v_cndmask_b32_e64 v6, 0, v6, s1
	v_cmp_nlt_f32_e64 s1, 0x42b17218, v3
	v_cndmask_b32_e64 v5, 0x7f800000, v5, s1
	v_cmp_nlt_f32_e64 s1, 0x42b17218, v2
	ds_bpermute_b32 v8, v7, v5
	v_cndmask_b32_e64 v6, 0x7f800000, v6, s1
	ds_bpermute_b32 v7, v7, v6
	s_waitcnt lgkmcnt(0)
	v_dual_add_f32 v5, v5, v8 :: v_dual_add_f32 v6, v6, v7
	ds_bpermute_b32 v7, v10, v5
	ds_bpermute_b32 v8, v10, v6
	s_waitcnt lgkmcnt(1)
	v_add_f32_e32 v7, v5, v7
	s_waitcnt lgkmcnt(0)
	v_add_f32_e32 v5, v6, v8
	ds_bpermute_b32 v8, v13, v7
	ds_bpermute_b32 v6, v13, v5
	s_and_saveexec_b32 s1, s0
	s_cbranch_execz .LBB137_10
; %bb.5:
	v_add_co_u32 v0, s0, s4, v0
	s_delay_alu instid0(VALU_DEP_1)
	v_add_co_ci_u32_e64 v1, s0, s5, v1, s0
	s_and_saveexec_b32 s2, vcc_lo
	s_cbranch_execz .LBB137_7
; %bb.6:
	s_waitcnt lgkmcnt(1)
	v_add_f32_e32 v7, v7, v8
	s_delay_alu instid0(VALU_DEP_1) | instskip(NEXT) | instid1(VALU_DEP_1)
	v_cmp_gt_f32_e64 s0, 0x800000, v7
	v_cndmask_b32_e64 v8, 1.0, 0x4f800000, s0
	s_delay_alu instid0(VALU_DEP_1) | instskip(NEXT) | instid1(VALU_DEP_1)
	v_mul_f32_e32 v7, v7, v8
	v_log_f32_e32 v7, v7
	s_waitcnt_depctr 0xfff
	v_mul_f32_e32 v8, 0x3f317217, v7
	v_cmp_gt_f32_e64 s1, 0x7f800000, |v7|
	s_delay_alu instid0(VALU_DEP_2) | instskip(NEXT) | instid1(VALU_DEP_1)
	v_fma_f32 v9, 0x3f317217, v7, -v8
	v_fmamk_f32 v9, v7, 0x3377d1cf, v9
	s_delay_alu instid0(VALU_DEP_1) | instskip(NEXT) | instid1(VALU_DEP_1)
	v_add_f32_e32 v8, v8, v9
	v_cndmask_b32_e64 v7, v7, v8, s1
	v_cndmask_b32_e64 v8, 0, 0x41b17218, s0
	s_delay_alu instid0(VALU_DEP_1) | instskip(NEXT) | instid1(VALU_DEP_1)
	v_sub_f32_e32 v7, v7, v8
	v_sub_f32_e32 v3, v3, v7
	s_delay_alu instid0(VALU_DEP_1) | instskip(SKIP_1) | instid1(VALU_DEP_2)
	v_bfe_u32 v7, v3, 16, 1
	v_cmp_o_f32_e64 s0, v3, v3
	v_add3_u32 v7, v3, v7, 0x7fff
	s_delay_alu instid0(VALU_DEP_1) | instskip(NEXT) | instid1(VALU_DEP_1)
	v_lshrrev_b32_e32 v7, 16, v7
	v_cndmask_b32_e64 v3, 0x7fc0, v7, s0
	global_store_b16 v[0:1], v3, off
.LBB137_7:
	s_or_b32 exec_lo, exec_lo, s2
	v_cmp_ne_u32_e64 s0, 1, v4
	s_delay_alu instid0(VALU_DEP_1)
	s_and_b32 exec_lo, exec_lo, s0
	s_cbranch_execz .LBB137_10
; %bb.8:
	s_and_b32 exec_lo, exec_lo, vcc_lo
	s_cbranch_execz .LBB137_10
; %bb.9:
	s_waitcnt lgkmcnt(0)
	v_add_f32_e32 v3, v5, v6
	s_mov_b32 s11, 0
	s_delay_alu instid0(SALU_CYCLE_1) | instskip(NEXT) | instid1(VALU_DEP_1)
	s_lshl_b64 s[0:1], s[10:11], 1
	v_cmp_gt_f32_e32 vcc_lo, 0x800000, v3
	v_cndmask_b32_e64 v4, 1.0, 0x4f800000, vcc_lo
	s_delay_alu instid0(VALU_DEP_1) | instskip(NEXT) | instid1(VALU_DEP_1)
	v_mul_f32_e32 v3, v3, v4
	v_log_f32_e32 v3, v3
	s_waitcnt_depctr 0xfff
	v_mul_f32_e32 v4, 0x3f317217, v3
	s_delay_alu instid0(VALU_DEP_1) | instskip(NEXT) | instid1(VALU_DEP_1)
	v_fma_f32 v5, 0x3f317217, v3, -v4
	v_fmamk_f32 v5, v3, 0x3377d1cf, v5
	s_delay_alu instid0(VALU_DEP_1) | instskip(SKIP_2) | instid1(VALU_DEP_3)
	v_add_f32_e32 v4, v4, v5
	v_cndmask_b32_e64 v5, 0, 0x41b17218, vcc_lo
	v_cmp_gt_f32_e64 vcc_lo, 0x7f800000, |v3|
	v_cndmask_b32_e32 v3, v3, v4, vcc_lo
	s_delay_alu instid0(VALU_DEP_1) | instskip(NEXT) | instid1(VALU_DEP_1)
	v_sub_f32_e32 v3, v3, v5
	v_sub_f32_e32 v2, v2, v3
	s_delay_alu instid0(VALU_DEP_1) | instskip(SKIP_1) | instid1(VALU_DEP_2)
	v_bfe_u32 v3, v2, 16, 1
	v_cmp_o_f32_e32 vcc_lo, v2, v2
	v_add3_u32 v3, v2, v3, 0x7fff
	s_delay_alu instid0(VALU_DEP_1) | instskip(NEXT) | instid1(VALU_DEP_1)
	v_lshrrev_b32_e32 v3, 16, v3
	v_cndmask_b32_e32 v2, 0x7fc0, v3, vcc_lo
	v_add_co_u32 v0, vcc_lo, v0, s0
	v_add_co_ci_u32_e32 v1, vcc_lo, s1, v1, vcc_lo
	global_store_b16 v[0:1], v2, off
.LBB137_10:
	s_nop 0
	s_sendmsg sendmsg(MSG_DEALLOC_VGPRS)
	s_endpgm
	.section	.rodata,"a",@progbits
	.p2align	6, 0x0
	.amdhsa_kernel _ZN12_GLOBAL__N_120softmax_warp_forwardIN3c108BFloat16ES2_fLi3ELb1ELb0ELi64EEEvPT0_PKT_iiiPKbib
		.amdhsa_group_segment_fixed_size 0
		.amdhsa_private_segment_fixed_size 0
		.amdhsa_kernarg_size 304
		.amdhsa_user_sgpr_count 15
		.amdhsa_user_sgpr_dispatch_ptr 0
		.amdhsa_user_sgpr_queue_ptr 0
		.amdhsa_user_sgpr_kernarg_segment_ptr 1
		.amdhsa_user_sgpr_dispatch_id 0
		.amdhsa_user_sgpr_private_segment_size 0
		.amdhsa_wavefront_size32 1
		.amdhsa_uses_dynamic_stack 0
		.amdhsa_enable_private_segment 0
		.amdhsa_system_sgpr_workgroup_id_x 1
		.amdhsa_system_sgpr_workgroup_id_y 0
		.amdhsa_system_sgpr_workgroup_id_z 0
		.amdhsa_system_sgpr_workgroup_info 0
		.amdhsa_system_vgpr_workitem_id 1
		.amdhsa_next_free_vgpr 14
		.amdhsa_next_free_sgpr 16
		.amdhsa_reserve_vcc 1
		.amdhsa_float_round_mode_32 0
		.amdhsa_float_round_mode_16_64 0
		.amdhsa_float_denorm_mode_32 3
		.amdhsa_float_denorm_mode_16_64 3
		.amdhsa_dx10_clamp 1
		.amdhsa_ieee_mode 1
		.amdhsa_fp16_overflow 0
		.amdhsa_workgroup_processor_mode 1
		.amdhsa_memory_ordered 1
		.amdhsa_forward_progress 0
		.amdhsa_shared_vgpr_count 0
		.amdhsa_exception_fp_ieee_invalid_op 0
		.amdhsa_exception_fp_denorm_src 0
		.amdhsa_exception_fp_ieee_div_zero 0
		.amdhsa_exception_fp_ieee_overflow 0
		.amdhsa_exception_fp_ieee_underflow 0
		.amdhsa_exception_fp_ieee_inexact 0
		.amdhsa_exception_int_div_zero 0
	.end_amdhsa_kernel
	.section	.text._ZN12_GLOBAL__N_120softmax_warp_forwardIN3c108BFloat16ES2_fLi3ELb1ELb0ELi64EEEvPT0_PKT_iiiPKbib,"axG",@progbits,_ZN12_GLOBAL__N_120softmax_warp_forwardIN3c108BFloat16ES2_fLi3ELb1ELb0ELi64EEEvPT0_PKT_iiiPKbib,comdat
.Lfunc_end137:
	.size	_ZN12_GLOBAL__N_120softmax_warp_forwardIN3c108BFloat16ES2_fLi3ELb1ELb0ELi64EEEvPT0_PKT_iiiPKbib, .Lfunc_end137-_ZN12_GLOBAL__N_120softmax_warp_forwardIN3c108BFloat16ES2_fLi3ELb1ELb0ELi64EEEvPT0_PKT_iiiPKbib
                                        ; -- End function
	.section	.AMDGPU.csdata,"",@progbits
; Kernel info:
; codeLenInByte = 1320
; NumSgprs: 18
; NumVgprs: 14
; ScratchSize: 0
; MemoryBound: 0
; FloatMode: 240
; IeeeMode: 1
; LDSByteSize: 0 bytes/workgroup (compile time only)
; SGPRBlocks: 2
; VGPRBlocks: 1
; NumSGPRsForWavesPerEU: 18
; NumVGPRsForWavesPerEU: 14
; Occupancy: 16
; WaveLimiterHint : 0
; COMPUTE_PGM_RSRC2:SCRATCH_EN: 0
; COMPUTE_PGM_RSRC2:USER_SGPR: 15
; COMPUTE_PGM_RSRC2:TRAP_HANDLER: 0
; COMPUTE_PGM_RSRC2:TGID_X_EN: 1
; COMPUTE_PGM_RSRC2:TGID_Y_EN: 0
; COMPUTE_PGM_RSRC2:TGID_Z_EN: 0
; COMPUTE_PGM_RSRC2:TIDIG_COMP_CNT: 1
	.section	.text._ZN12_GLOBAL__N_120softmax_warp_forwardIN3c108BFloat16ES2_fLi3ELb1ELb0ELi32EEEvPT0_PKT_iiiPKbib,"axG",@progbits,_ZN12_GLOBAL__N_120softmax_warp_forwardIN3c108BFloat16ES2_fLi3ELb1ELb0ELi32EEEvPT0_PKT_iiiPKbib,comdat
	.globl	_ZN12_GLOBAL__N_120softmax_warp_forwardIN3c108BFloat16ES2_fLi3ELb1ELb0ELi32EEEvPT0_PKT_iiiPKbib ; -- Begin function _ZN12_GLOBAL__N_120softmax_warp_forwardIN3c108BFloat16ES2_fLi3ELb1ELb0ELi32EEEvPT0_PKT_iiiPKbib
	.p2align	8
	.type	_ZN12_GLOBAL__N_120softmax_warp_forwardIN3c108BFloat16ES2_fLi3ELb1ELb0ELi32EEEvPT0_PKT_iiiPKbib,@function
_ZN12_GLOBAL__N_120softmax_warp_forwardIN3c108BFloat16ES2_fLi3ELb1ELb0ELi32EEEvPT0_PKT_iiiPKbib: ; @_ZN12_GLOBAL__N_120softmax_warp_forwardIN3c108BFloat16ES2_fLi3ELb1ELb0ELi32EEEvPT0_PKT_iiiPKbib
; %bb.0:
	s_clause 0x1
	s_load_b32 s2, s[0:1], 0x3c
	s_load_b256 s[4:11], s[0:1], 0x0
	v_bfe_u32 v1, v0, 10, 10
	v_and_b32_e32 v2, 0x3ff, v0
	v_dual_mov_b32 v5, 0xff800000 :: v_dual_mov_b32 v6, 0xff800000
	s_waitcnt lgkmcnt(0)
	s_lshr_b32 s0, s2, 16
	s_delay_alu instid0(VALU_DEP_2) | instskip(SKIP_1) | instid1(SALU_CYCLE_1)
	v_cmp_gt_i32_e32 vcc_lo, s10, v2
	s_mul_i32 s15, s15, s0
	v_add_lshl_u32 v3, s15, v1, 1
	s_delay_alu instid0(VALU_DEP_1) | instskip(SKIP_1) | instid1(VALU_DEP_1)
	v_mad_u64_u32 v[0:1], null, v3, s9, v[2:3]
	v_sub_nc_u32_e32 v4, s8, v3
	v_cmp_lt_i32_e64 s0, 0, v4
	s_delay_alu instid0(VALU_DEP_3) | instskip(NEXT) | instid1(VALU_DEP_2)
	v_ashrrev_i32_e32 v1, 31, v0
	s_and_b32 s2, vcc_lo, s0
	s_delay_alu instid0(VALU_DEP_1) | instskip(NEXT) | instid1(VALU_DEP_1)
	v_lshlrev_b64 v[0:1], 1, v[0:1]
	v_add_co_u32 v2, s1, s6, v0
	s_delay_alu instid0(VALU_DEP_1)
	v_add_co_ci_u32_e64 v3, s1, s7, v1, s1
	s_and_saveexec_b32 s1, s2
	s_cbranch_execz .LBB138_2
; %bb.1:
	global_load_u16 v6, v[2:3], off
	s_waitcnt vmcnt(0)
	v_lshlrev_b32_e32 v6, 16, v6
.LBB138_2:
	s_or_b32 exec_lo, exec_lo, s1
	v_cmp_lt_i32_e64 s1, 1, v4
	s_delay_alu instid0(VALU_DEP_1) | instskip(NEXT) | instid1(SALU_CYCLE_1)
	s_and_b32 s1, vcc_lo, s1
	s_and_saveexec_b32 s2, s1
	s_cbranch_execz .LBB138_4
; %bb.3:
	s_mov_b32 s11, 0
	s_delay_alu instid0(SALU_CYCLE_1) | instskip(NEXT) | instid1(SALU_CYCLE_1)
	s_lshl_b64 s[6:7], s[10:11], 1
	v_add_co_u32 v2, s1, v2, s6
	s_delay_alu instid0(VALU_DEP_1)
	v_add_co_ci_u32_e64 v3, s1, s7, v3, s1
	global_load_u16 v2, v[2:3], off
	s_waitcnt vmcnt(0)
	v_lshlrev_b32_e32 v5, 16, v2
.LBB138_4:
	s_or_b32 exec_lo, exec_lo, s2
	v_mbcnt_lo_u32_b32 v2, -1, 0
	s_delay_alu instid0(VALU_DEP_1) | instskip(SKIP_3) | instid1(VALU_DEP_4)
	v_and_b32_e32 v3, 24, v2
	v_xor_b32_e32 v7, 4, v2
	v_xor_b32_e32 v10, 2, v2
	;; [unrolled: 1-line block ×3, first 2 shown]
	v_add_nc_u32_e32 v3, 8, v3
	s_delay_alu instid0(VALU_DEP_1) | instskip(NEXT) | instid1(VALU_DEP_1)
	v_cmp_lt_i32_e64 s1, v7, v3
	v_cndmask_b32_e64 v7, v2, v7, s1
	v_cmp_lt_i32_e64 s1, v10, v3
	s_delay_alu instid0(VALU_DEP_2) | instskip(NEXT) | instid1(VALU_DEP_2)
	v_lshlrev_b32_e32 v7, 2, v7
	v_cndmask_b32_e64 v10, v2, v10, s1
	ds_bpermute_b32 v8, v7, v6
	ds_bpermute_b32 v9, v7, v5
	v_lshlrev_b32_e32 v10, 2, v10
	s_waitcnt lgkmcnt(1)
	v_cmp_lt_f32_e64 s1, v6, v8
	s_delay_alu instid0(VALU_DEP_1)
	v_cndmask_b32_e64 v8, v6, v8, s1
	s_waitcnt lgkmcnt(0)
	v_cmp_lt_f32_e64 s1, v5, v9
	ds_bpermute_b32 v11, v10, v8
	v_cndmask_b32_e64 v9, v5, v9, s1
	v_cmp_lt_i32_e64 s1, v13, v3
	ds_bpermute_b32 v12, v10, v9
	v_cndmask_b32_e64 v2, v2, v13, s1
	s_delay_alu instid0(VALU_DEP_1) | instskip(SKIP_2) | instid1(VALU_DEP_1)
	v_lshlrev_b32_e32 v13, 2, v2
	s_waitcnt lgkmcnt(1)
	v_cmp_lt_f32_e64 s1, v8, v11
	v_cndmask_b32_e64 v2, v8, v11, s1
	s_waitcnt lgkmcnt(0)
	v_cmp_lt_f32_e64 s1, v9, v12
	ds_bpermute_b32 v8, v13, v2
	v_cndmask_b32_e64 v3, v9, v12, s1
	ds_bpermute_b32 v9, v13, v3
	s_waitcnt lgkmcnt(1)
	v_cmp_lt_f32_e64 s1, v2, v8
	s_delay_alu instid0(VALU_DEP_1) | instskip(SKIP_2) | instid1(VALU_DEP_1)
	v_cndmask_b32_e64 v2, v2, v8, s1
	s_waitcnt lgkmcnt(0)
	v_cmp_lt_f32_e64 s1, v3, v9
	v_cndmask_b32_e64 v8, v3, v9, s1
	s_delay_alu instid0(VALU_DEP_1) | instskip(NEXT) | instid1(VALU_DEP_1)
	v_dual_sub_f32 v3, v6, v2 :: v_dual_sub_f32 v2, v5, v8
	v_mul_f32_e32 v5, 0x3fb8aa3b, v3
	v_cmp_ngt_f32_e64 s1, 0xc2ce8ed0, v3
	s_delay_alu instid0(VALU_DEP_3) | instskip(NEXT) | instid1(VALU_DEP_3)
	v_mul_f32_e32 v6, 0x3fb8aa3b, v2
	v_fma_f32 v8, 0x3fb8aa3b, v3, -v5
	v_rndne_f32_e32 v9, v5
	s_delay_alu instid0(VALU_DEP_3) | instskip(NEXT) | instid1(VALU_DEP_3)
	v_fma_f32 v11, 0x3fb8aa3b, v2, -v6
	v_fmac_f32_e32 v8, 0x32a5705f, v3
	v_rndne_f32_e32 v12, v6
	s_delay_alu instid0(VALU_DEP_1) | instskip(NEXT) | instid1(VALU_DEP_1)
	v_dual_fmac_f32 v11, 0x32a5705f, v2 :: v_dual_sub_f32 v6, v6, v12
	v_dual_sub_f32 v5, v5, v9 :: v_dual_add_f32 v6, v6, v11
	s_delay_alu instid0(VALU_DEP_1) | instskip(SKIP_2) | instid1(VALU_DEP_4)
	v_add_f32_e32 v5, v5, v8
	v_cvt_i32_f32_e32 v8, v9
	v_cvt_i32_f32_e32 v9, v12
	v_exp_f32_e32 v6, v6
	s_delay_alu instid0(VALU_DEP_3) | instskip(SKIP_3) | instid1(VALU_DEP_1)
	v_exp_f32_e32 v5, v5
	s_waitcnt_depctr 0xfff
	v_ldexp_f32 v6, v6, v9
	v_ldexp_f32 v5, v5, v8
	v_cndmask_b32_e64 v5, 0, v5, s1
	v_cmp_ngt_f32_e64 s1, 0xc2ce8ed0, v2
	s_delay_alu instid0(VALU_DEP_1) | instskip(SKIP_1) | instid1(VALU_DEP_1)
	v_cndmask_b32_e64 v6, 0, v6, s1
	v_cmp_nlt_f32_e64 s1, 0x42b17218, v3
	v_cndmask_b32_e64 v5, 0x7f800000, v5, s1
	v_cmp_nlt_f32_e64 s1, 0x42b17218, v2
	ds_bpermute_b32 v8, v7, v5
	v_cndmask_b32_e64 v6, 0x7f800000, v6, s1
	ds_bpermute_b32 v7, v7, v6
	s_waitcnt lgkmcnt(0)
	v_dual_add_f32 v5, v5, v8 :: v_dual_add_f32 v6, v6, v7
	ds_bpermute_b32 v7, v10, v5
	ds_bpermute_b32 v8, v10, v6
	s_waitcnt lgkmcnt(1)
	v_add_f32_e32 v7, v5, v7
	s_waitcnt lgkmcnt(0)
	v_add_f32_e32 v5, v6, v8
	ds_bpermute_b32 v8, v13, v7
	ds_bpermute_b32 v6, v13, v5
	s_and_saveexec_b32 s1, s0
	s_cbranch_execz .LBB138_10
; %bb.5:
	v_add_co_u32 v0, s0, s4, v0
	s_delay_alu instid0(VALU_DEP_1)
	v_add_co_ci_u32_e64 v1, s0, s5, v1, s0
	s_and_saveexec_b32 s2, vcc_lo
	s_cbranch_execz .LBB138_7
; %bb.6:
	s_waitcnt lgkmcnt(1)
	v_add_f32_e32 v7, v7, v8
	s_delay_alu instid0(VALU_DEP_1) | instskip(NEXT) | instid1(VALU_DEP_1)
	v_cmp_gt_f32_e64 s0, 0x800000, v7
	v_cndmask_b32_e64 v8, 1.0, 0x4f800000, s0
	s_delay_alu instid0(VALU_DEP_1) | instskip(NEXT) | instid1(VALU_DEP_1)
	v_mul_f32_e32 v7, v7, v8
	v_log_f32_e32 v7, v7
	s_waitcnt_depctr 0xfff
	v_mul_f32_e32 v8, 0x3f317217, v7
	v_cmp_gt_f32_e64 s1, 0x7f800000, |v7|
	s_delay_alu instid0(VALU_DEP_2) | instskip(NEXT) | instid1(VALU_DEP_1)
	v_fma_f32 v9, 0x3f317217, v7, -v8
	v_fmamk_f32 v9, v7, 0x3377d1cf, v9
	s_delay_alu instid0(VALU_DEP_1) | instskip(NEXT) | instid1(VALU_DEP_1)
	v_add_f32_e32 v8, v8, v9
	v_cndmask_b32_e64 v7, v7, v8, s1
	v_cndmask_b32_e64 v8, 0, 0x41b17218, s0
	s_delay_alu instid0(VALU_DEP_1) | instskip(NEXT) | instid1(VALU_DEP_1)
	v_sub_f32_e32 v7, v7, v8
	v_sub_f32_e32 v3, v3, v7
	s_delay_alu instid0(VALU_DEP_1) | instskip(SKIP_1) | instid1(VALU_DEP_2)
	v_bfe_u32 v7, v3, 16, 1
	v_cmp_o_f32_e64 s0, v3, v3
	v_add3_u32 v7, v3, v7, 0x7fff
	s_delay_alu instid0(VALU_DEP_1) | instskip(NEXT) | instid1(VALU_DEP_1)
	v_lshrrev_b32_e32 v7, 16, v7
	v_cndmask_b32_e64 v3, 0x7fc0, v7, s0
	global_store_b16 v[0:1], v3, off
.LBB138_7:
	s_or_b32 exec_lo, exec_lo, s2
	v_cmp_ne_u32_e64 s0, 1, v4
	s_delay_alu instid0(VALU_DEP_1)
	s_and_b32 exec_lo, exec_lo, s0
	s_cbranch_execz .LBB138_10
; %bb.8:
	s_and_b32 exec_lo, exec_lo, vcc_lo
	s_cbranch_execz .LBB138_10
; %bb.9:
	s_waitcnt lgkmcnt(0)
	v_add_f32_e32 v3, v5, v6
	s_mov_b32 s11, 0
	s_delay_alu instid0(SALU_CYCLE_1) | instskip(NEXT) | instid1(VALU_DEP_1)
	s_lshl_b64 s[0:1], s[10:11], 1
	v_cmp_gt_f32_e32 vcc_lo, 0x800000, v3
	v_cndmask_b32_e64 v4, 1.0, 0x4f800000, vcc_lo
	s_delay_alu instid0(VALU_DEP_1) | instskip(NEXT) | instid1(VALU_DEP_1)
	v_mul_f32_e32 v3, v3, v4
	v_log_f32_e32 v3, v3
	s_waitcnt_depctr 0xfff
	v_mul_f32_e32 v4, 0x3f317217, v3
	s_delay_alu instid0(VALU_DEP_1) | instskip(NEXT) | instid1(VALU_DEP_1)
	v_fma_f32 v5, 0x3f317217, v3, -v4
	v_fmamk_f32 v5, v3, 0x3377d1cf, v5
	s_delay_alu instid0(VALU_DEP_1) | instskip(SKIP_2) | instid1(VALU_DEP_3)
	v_add_f32_e32 v4, v4, v5
	v_cndmask_b32_e64 v5, 0, 0x41b17218, vcc_lo
	v_cmp_gt_f32_e64 vcc_lo, 0x7f800000, |v3|
	v_cndmask_b32_e32 v3, v3, v4, vcc_lo
	s_delay_alu instid0(VALU_DEP_1) | instskip(NEXT) | instid1(VALU_DEP_1)
	v_sub_f32_e32 v3, v3, v5
	v_sub_f32_e32 v2, v2, v3
	s_delay_alu instid0(VALU_DEP_1) | instskip(SKIP_1) | instid1(VALU_DEP_2)
	v_bfe_u32 v3, v2, 16, 1
	v_cmp_o_f32_e32 vcc_lo, v2, v2
	v_add3_u32 v3, v2, v3, 0x7fff
	s_delay_alu instid0(VALU_DEP_1) | instskip(NEXT) | instid1(VALU_DEP_1)
	v_lshrrev_b32_e32 v3, 16, v3
	v_cndmask_b32_e32 v2, 0x7fc0, v3, vcc_lo
	v_add_co_u32 v0, vcc_lo, v0, s0
	v_add_co_ci_u32_e32 v1, vcc_lo, s1, v1, vcc_lo
	global_store_b16 v[0:1], v2, off
.LBB138_10:
	s_nop 0
	s_sendmsg sendmsg(MSG_DEALLOC_VGPRS)
	s_endpgm
	.section	.rodata,"a",@progbits
	.p2align	6, 0x0
	.amdhsa_kernel _ZN12_GLOBAL__N_120softmax_warp_forwardIN3c108BFloat16ES2_fLi3ELb1ELb0ELi32EEEvPT0_PKT_iiiPKbib
		.amdhsa_group_segment_fixed_size 0
		.amdhsa_private_segment_fixed_size 0
		.amdhsa_kernarg_size 304
		.amdhsa_user_sgpr_count 15
		.amdhsa_user_sgpr_dispatch_ptr 0
		.amdhsa_user_sgpr_queue_ptr 0
		.amdhsa_user_sgpr_kernarg_segment_ptr 1
		.amdhsa_user_sgpr_dispatch_id 0
		.amdhsa_user_sgpr_private_segment_size 0
		.amdhsa_wavefront_size32 1
		.amdhsa_uses_dynamic_stack 0
		.amdhsa_enable_private_segment 0
		.amdhsa_system_sgpr_workgroup_id_x 1
		.amdhsa_system_sgpr_workgroup_id_y 0
		.amdhsa_system_sgpr_workgroup_id_z 0
		.amdhsa_system_sgpr_workgroup_info 0
		.amdhsa_system_vgpr_workitem_id 1
		.amdhsa_next_free_vgpr 14
		.amdhsa_next_free_sgpr 16
		.amdhsa_reserve_vcc 1
		.amdhsa_float_round_mode_32 0
		.amdhsa_float_round_mode_16_64 0
		.amdhsa_float_denorm_mode_32 3
		.amdhsa_float_denorm_mode_16_64 3
		.amdhsa_dx10_clamp 1
		.amdhsa_ieee_mode 1
		.amdhsa_fp16_overflow 0
		.amdhsa_workgroup_processor_mode 1
		.amdhsa_memory_ordered 1
		.amdhsa_forward_progress 0
		.amdhsa_shared_vgpr_count 0
		.amdhsa_exception_fp_ieee_invalid_op 0
		.amdhsa_exception_fp_denorm_src 0
		.amdhsa_exception_fp_ieee_div_zero 0
		.amdhsa_exception_fp_ieee_overflow 0
		.amdhsa_exception_fp_ieee_underflow 0
		.amdhsa_exception_fp_ieee_inexact 0
		.amdhsa_exception_int_div_zero 0
	.end_amdhsa_kernel
	.section	.text._ZN12_GLOBAL__N_120softmax_warp_forwardIN3c108BFloat16ES2_fLi3ELb1ELb0ELi32EEEvPT0_PKT_iiiPKbib,"axG",@progbits,_ZN12_GLOBAL__N_120softmax_warp_forwardIN3c108BFloat16ES2_fLi3ELb1ELb0ELi32EEEvPT0_PKT_iiiPKbib,comdat
.Lfunc_end138:
	.size	_ZN12_GLOBAL__N_120softmax_warp_forwardIN3c108BFloat16ES2_fLi3ELb1ELb0ELi32EEEvPT0_PKT_iiiPKbib, .Lfunc_end138-_ZN12_GLOBAL__N_120softmax_warp_forwardIN3c108BFloat16ES2_fLi3ELb1ELb0ELi32EEEvPT0_PKT_iiiPKbib
                                        ; -- End function
	.section	.AMDGPU.csdata,"",@progbits
; Kernel info:
; codeLenInByte = 1320
; NumSgprs: 18
; NumVgprs: 14
; ScratchSize: 0
; MemoryBound: 0
; FloatMode: 240
; IeeeMode: 1
; LDSByteSize: 0 bytes/workgroup (compile time only)
; SGPRBlocks: 2
; VGPRBlocks: 1
; NumSGPRsForWavesPerEU: 18
; NumVGPRsForWavesPerEU: 14
; Occupancy: 16
; WaveLimiterHint : 0
; COMPUTE_PGM_RSRC2:SCRATCH_EN: 0
; COMPUTE_PGM_RSRC2:USER_SGPR: 15
; COMPUTE_PGM_RSRC2:TRAP_HANDLER: 0
; COMPUTE_PGM_RSRC2:TGID_X_EN: 1
; COMPUTE_PGM_RSRC2:TGID_Y_EN: 0
; COMPUTE_PGM_RSRC2:TGID_Z_EN: 0
; COMPUTE_PGM_RSRC2:TIDIG_COMP_CNT: 1
	.section	.text._ZN12_GLOBAL__N_120softmax_warp_forwardIN3c108BFloat16ES2_fLi4ELb1ELb0ELi64EEEvPT0_PKT_iiiPKbib,"axG",@progbits,_ZN12_GLOBAL__N_120softmax_warp_forwardIN3c108BFloat16ES2_fLi4ELb1ELb0ELi64EEEvPT0_PKT_iiiPKbib,comdat
	.globl	_ZN12_GLOBAL__N_120softmax_warp_forwardIN3c108BFloat16ES2_fLi4ELb1ELb0ELi64EEEvPT0_PKT_iiiPKbib ; -- Begin function _ZN12_GLOBAL__N_120softmax_warp_forwardIN3c108BFloat16ES2_fLi4ELb1ELb0ELi64EEEvPT0_PKT_iiiPKbib
	.p2align	8
	.type	_ZN12_GLOBAL__N_120softmax_warp_forwardIN3c108BFloat16ES2_fLi4ELb1ELb0ELi64EEEvPT0_PKT_iiiPKbib,@function
_ZN12_GLOBAL__N_120softmax_warp_forwardIN3c108BFloat16ES2_fLi4ELb1ELb0ELi64EEEvPT0_PKT_iiiPKbib: ; @_ZN12_GLOBAL__N_120softmax_warp_forwardIN3c108BFloat16ES2_fLi4ELb1ELb0ELi64EEEvPT0_PKT_iiiPKbib
; %bb.0:
	s_clause 0x1
	s_load_b32 s2, s[0:1], 0x3c
	s_load_b256 s[4:11], s[0:1], 0x0
	v_bfe_u32 v1, v0, 10, 10
	v_and_b32_e32 v2, 0x3ff, v0
	v_dual_mov_b32 v5, 0xff800000 :: v_dual_mov_b32 v6, 0xff800000
	s_waitcnt lgkmcnt(0)
	s_lshr_b32 s0, s2, 16
	s_delay_alu instid0(VALU_DEP_2) | instskip(SKIP_1) | instid1(SALU_CYCLE_1)
	v_cmp_gt_i32_e32 vcc_lo, s10, v2
	s_mul_i32 s15, s15, s0
	v_add_lshl_u32 v3, s15, v1, 1
	s_delay_alu instid0(VALU_DEP_1) | instskip(SKIP_1) | instid1(VALU_DEP_1)
	v_mad_u64_u32 v[0:1], null, v3, s9, v[2:3]
	v_sub_nc_u32_e32 v4, s8, v3
	v_cmp_lt_i32_e64 s0, 0, v4
	s_delay_alu instid0(VALU_DEP_3) | instskip(NEXT) | instid1(VALU_DEP_2)
	v_ashrrev_i32_e32 v1, 31, v0
	s_and_b32 s2, vcc_lo, s0
	s_delay_alu instid0(VALU_DEP_1) | instskip(NEXT) | instid1(VALU_DEP_1)
	v_lshlrev_b64 v[0:1], 1, v[0:1]
	v_add_co_u32 v2, s1, s6, v0
	s_delay_alu instid0(VALU_DEP_1)
	v_add_co_ci_u32_e64 v3, s1, s7, v1, s1
	s_and_saveexec_b32 s1, s2
	s_cbranch_execz .LBB139_2
; %bb.1:
	global_load_u16 v6, v[2:3], off
	s_waitcnt vmcnt(0)
	v_lshlrev_b32_e32 v6, 16, v6
.LBB139_2:
	s_or_b32 exec_lo, exec_lo, s1
	v_cmp_lt_i32_e64 s1, 1, v4
	s_delay_alu instid0(VALU_DEP_1) | instskip(NEXT) | instid1(SALU_CYCLE_1)
	s_and_b32 s1, vcc_lo, s1
	s_and_saveexec_b32 s2, s1
	s_cbranch_execz .LBB139_4
; %bb.3:
	s_mov_b32 s11, 0
	s_delay_alu instid0(SALU_CYCLE_1) | instskip(NEXT) | instid1(SALU_CYCLE_1)
	s_lshl_b64 s[6:7], s[10:11], 1
	v_add_co_u32 v2, s1, v2, s6
	s_delay_alu instid0(VALU_DEP_1)
	v_add_co_ci_u32_e64 v3, s1, s7, v3, s1
	global_load_u16 v2, v[2:3], off
	s_waitcnt vmcnt(0)
	v_lshlrev_b32_e32 v5, 16, v2
.LBB139_4:
	s_or_b32 exec_lo, exec_lo, s2
	v_mbcnt_lo_u32_b32 v2, -1, 0
	s_delay_alu instid0(VALU_DEP_1)
	v_and_b32_e32 v3, 16, v2
	v_xor_b32_e32 v7, 8, v2
	v_xor_b32_e32 v10, 4, v2
	v_xor_b32_e32 v13, 2, v2
	v_xor_b32_e32 v14, 1, v2
	v_add_nc_u32_e32 v3, 16, v3
	s_delay_alu instid0(VALU_DEP_1) | instskip(NEXT) | instid1(VALU_DEP_1)
	v_cmp_lt_i32_e64 s1, v7, v3
	v_cndmask_b32_e64 v7, v2, v7, s1
	v_cmp_lt_i32_e64 s1, v10, v3
	s_delay_alu instid0(VALU_DEP_2) | instskip(NEXT) | instid1(VALU_DEP_2)
	v_lshlrev_b32_e32 v7, 2, v7
	v_cndmask_b32_e64 v10, v2, v10, s1
	ds_bpermute_b32 v8, v7, v6
	ds_bpermute_b32 v9, v7, v5
	v_lshlrev_b32_e32 v10, 2, v10
	s_waitcnt lgkmcnt(1)
	v_cmp_lt_f32_e64 s1, v6, v8
	s_delay_alu instid0(VALU_DEP_1)
	v_cndmask_b32_e64 v8, v6, v8, s1
	s_waitcnt lgkmcnt(0)
	v_cmp_lt_f32_e64 s1, v5, v9
	ds_bpermute_b32 v11, v10, v8
	v_cndmask_b32_e64 v9, v5, v9, s1
	v_cmp_lt_i32_e64 s1, v13, v3
	ds_bpermute_b32 v12, v10, v9
	v_cndmask_b32_e64 v13, v2, v13, s1
	s_delay_alu instid0(VALU_DEP_1) | instskip(SKIP_2) | instid1(VALU_DEP_1)
	v_lshlrev_b32_e32 v13, 2, v13
	s_waitcnt lgkmcnt(1)
	v_cmp_lt_f32_e64 s1, v8, v11
	v_cndmask_b32_e64 v8, v8, v11, s1
	s_waitcnt lgkmcnt(0)
	v_cmp_lt_f32_e64 s1, v9, v12
	ds_bpermute_b32 v11, v13, v8
	v_cndmask_b32_e64 v9, v9, v12, s1
	v_cmp_lt_i32_e64 s1, v14, v3
	ds_bpermute_b32 v12, v13, v9
	v_cndmask_b32_e64 v2, v2, v14, s1
	s_delay_alu instid0(VALU_DEP_1) | instskip(SKIP_2) | instid1(VALU_DEP_1)
	v_lshlrev_b32_e32 v14, 2, v2
	s_waitcnt lgkmcnt(1)
	v_cmp_lt_f32_e64 s1, v8, v11
	v_cndmask_b32_e64 v2, v8, v11, s1
	s_waitcnt lgkmcnt(0)
	v_cmp_lt_f32_e64 s1, v9, v12
	ds_bpermute_b32 v8, v14, v2
	v_cndmask_b32_e64 v3, v9, v12, s1
	ds_bpermute_b32 v9, v14, v3
	s_waitcnt lgkmcnt(1)
	v_cmp_lt_f32_e64 s1, v2, v8
	s_delay_alu instid0(VALU_DEP_1) | instskip(SKIP_2) | instid1(VALU_DEP_1)
	v_cndmask_b32_e64 v2, v2, v8, s1
	s_waitcnt lgkmcnt(0)
	v_cmp_lt_f32_e64 s1, v3, v9
	v_cndmask_b32_e64 v8, v3, v9, s1
	s_delay_alu instid0(VALU_DEP_1) | instskip(NEXT) | instid1(VALU_DEP_1)
	v_dual_sub_f32 v3, v6, v2 :: v_dual_sub_f32 v2, v5, v8
	v_mul_f32_e32 v5, 0x3fb8aa3b, v3
	v_cmp_ngt_f32_e64 s1, 0xc2ce8ed0, v3
	s_delay_alu instid0(VALU_DEP_3) | instskip(NEXT) | instid1(VALU_DEP_3)
	v_mul_f32_e32 v6, 0x3fb8aa3b, v2
	v_fma_f32 v8, 0x3fb8aa3b, v3, -v5
	v_rndne_f32_e32 v9, v5
	s_delay_alu instid0(VALU_DEP_3) | instskip(SKIP_1) | instid1(VALU_DEP_3)
	v_fma_f32 v11, 0x3fb8aa3b, v2, -v6
	v_rndne_f32_e32 v12, v6
	v_dual_sub_f32 v5, v5, v9 :: v_dual_fmac_f32 v8, 0x32a5705f, v3
	s_delay_alu instid0(VALU_DEP_2) | instskip(NEXT) | instid1(VALU_DEP_2)
	v_dual_fmac_f32 v11, 0x32a5705f, v2 :: v_dual_sub_f32 v6, v6, v12
	v_add_f32_e32 v5, v5, v8
	v_cvt_i32_f32_e32 v8, v9
	v_cvt_i32_f32_e32 v9, v12
	s_delay_alu instid0(VALU_DEP_4) | instskip(NEXT) | instid1(VALU_DEP_4)
	v_add_f32_e32 v6, v6, v11
	v_exp_f32_e32 v5, v5
	s_delay_alu instid0(VALU_DEP_1) | instskip(SKIP_3) | instid1(VALU_DEP_2)
	v_exp_f32_e32 v6, v6
	s_waitcnt_depctr 0xfff
	v_ldexp_f32 v5, v5, v8
	v_ldexp_f32 v6, v6, v9
	v_cndmask_b32_e64 v5, 0, v5, s1
	v_cmp_ngt_f32_e64 s1, 0xc2ce8ed0, v2
	s_delay_alu instid0(VALU_DEP_1) | instskip(SKIP_1) | instid1(VALU_DEP_1)
	v_cndmask_b32_e64 v6, 0, v6, s1
	v_cmp_nlt_f32_e64 s1, 0x42b17218, v3
	v_cndmask_b32_e64 v5, 0x7f800000, v5, s1
	v_cmp_nlt_f32_e64 s1, 0x42b17218, v2
	ds_bpermute_b32 v8, v7, v5
	v_cndmask_b32_e64 v6, 0x7f800000, v6, s1
	ds_bpermute_b32 v7, v7, v6
	s_waitcnt lgkmcnt(0)
	v_dual_add_f32 v5, v5, v8 :: v_dual_add_f32 v6, v6, v7
	ds_bpermute_b32 v7, v10, v5
	ds_bpermute_b32 v8, v10, v6
	s_waitcnt lgkmcnt(0)
	v_dual_add_f32 v5, v5, v7 :: v_dual_add_f32 v6, v6, v8
	ds_bpermute_b32 v7, v13, v5
	ds_bpermute_b32 v8, v13, v6
	s_waitcnt lgkmcnt(1)
	v_add_f32_e32 v7, v5, v7
	s_waitcnt lgkmcnt(0)
	v_add_f32_e32 v5, v6, v8
	ds_bpermute_b32 v8, v14, v7
	ds_bpermute_b32 v6, v14, v5
	s_and_saveexec_b32 s1, s0
	s_cbranch_execz .LBB139_10
; %bb.5:
	v_add_co_u32 v0, s0, s4, v0
	s_delay_alu instid0(VALU_DEP_1)
	v_add_co_ci_u32_e64 v1, s0, s5, v1, s0
	s_and_saveexec_b32 s2, vcc_lo
	s_cbranch_execz .LBB139_7
; %bb.6:
	s_waitcnt lgkmcnt(1)
	v_add_f32_e32 v7, v7, v8
	s_delay_alu instid0(VALU_DEP_1) | instskip(NEXT) | instid1(VALU_DEP_1)
	v_cmp_gt_f32_e64 s0, 0x800000, v7
	v_cndmask_b32_e64 v8, 1.0, 0x4f800000, s0
	s_delay_alu instid0(VALU_DEP_1) | instskip(NEXT) | instid1(VALU_DEP_1)
	v_mul_f32_e32 v7, v7, v8
	v_log_f32_e32 v7, v7
	s_waitcnt_depctr 0xfff
	v_mul_f32_e32 v8, 0x3f317217, v7
	v_cmp_gt_f32_e64 s1, 0x7f800000, |v7|
	s_delay_alu instid0(VALU_DEP_2) | instskip(NEXT) | instid1(VALU_DEP_1)
	v_fma_f32 v9, 0x3f317217, v7, -v8
	v_fmamk_f32 v9, v7, 0x3377d1cf, v9
	s_delay_alu instid0(VALU_DEP_1) | instskip(NEXT) | instid1(VALU_DEP_1)
	v_add_f32_e32 v8, v8, v9
	v_cndmask_b32_e64 v7, v7, v8, s1
	v_cndmask_b32_e64 v8, 0, 0x41b17218, s0
	s_delay_alu instid0(VALU_DEP_1) | instskip(NEXT) | instid1(VALU_DEP_1)
	v_sub_f32_e32 v7, v7, v8
	v_sub_f32_e32 v3, v3, v7
	s_delay_alu instid0(VALU_DEP_1) | instskip(SKIP_1) | instid1(VALU_DEP_2)
	v_bfe_u32 v7, v3, 16, 1
	v_cmp_o_f32_e64 s0, v3, v3
	v_add3_u32 v7, v3, v7, 0x7fff
	s_delay_alu instid0(VALU_DEP_1) | instskip(NEXT) | instid1(VALU_DEP_1)
	v_lshrrev_b32_e32 v7, 16, v7
	v_cndmask_b32_e64 v3, 0x7fc0, v7, s0
	global_store_b16 v[0:1], v3, off
.LBB139_7:
	s_or_b32 exec_lo, exec_lo, s2
	v_cmp_ne_u32_e64 s0, 1, v4
	s_delay_alu instid0(VALU_DEP_1)
	s_and_b32 exec_lo, exec_lo, s0
	s_cbranch_execz .LBB139_10
; %bb.8:
	s_and_b32 exec_lo, exec_lo, vcc_lo
	s_cbranch_execz .LBB139_10
; %bb.9:
	s_waitcnt lgkmcnt(0)
	v_add_f32_e32 v3, v5, v6
	s_mov_b32 s11, 0
	s_delay_alu instid0(SALU_CYCLE_1) | instskip(NEXT) | instid1(VALU_DEP_1)
	s_lshl_b64 s[0:1], s[10:11], 1
	v_cmp_gt_f32_e32 vcc_lo, 0x800000, v3
	v_cndmask_b32_e64 v4, 1.0, 0x4f800000, vcc_lo
	s_delay_alu instid0(VALU_DEP_1) | instskip(NEXT) | instid1(VALU_DEP_1)
	v_mul_f32_e32 v3, v3, v4
	v_log_f32_e32 v3, v3
	s_waitcnt_depctr 0xfff
	v_mul_f32_e32 v4, 0x3f317217, v3
	s_delay_alu instid0(VALU_DEP_1) | instskip(NEXT) | instid1(VALU_DEP_1)
	v_fma_f32 v5, 0x3f317217, v3, -v4
	v_fmamk_f32 v5, v3, 0x3377d1cf, v5
	s_delay_alu instid0(VALU_DEP_1) | instskip(SKIP_2) | instid1(VALU_DEP_3)
	v_add_f32_e32 v4, v4, v5
	v_cndmask_b32_e64 v5, 0, 0x41b17218, vcc_lo
	v_cmp_gt_f32_e64 vcc_lo, 0x7f800000, |v3|
	v_cndmask_b32_e32 v3, v3, v4, vcc_lo
	s_delay_alu instid0(VALU_DEP_1) | instskip(NEXT) | instid1(VALU_DEP_1)
	v_sub_f32_e32 v3, v3, v5
	v_sub_f32_e32 v2, v2, v3
	s_delay_alu instid0(VALU_DEP_1) | instskip(SKIP_1) | instid1(VALU_DEP_2)
	v_bfe_u32 v3, v2, 16, 1
	v_cmp_o_f32_e32 vcc_lo, v2, v2
	v_add3_u32 v3, v2, v3, 0x7fff
	s_delay_alu instid0(VALU_DEP_1) | instskip(NEXT) | instid1(VALU_DEP_1)
	v_lshrrev_b32_e32 v3, 16, v3
	v_cndmask_b32_e32 v2, 0x7fc0, v3, vcc_lo
	v_add_co_u32 v0, vcc_lo, v0, s0
	v_add_co_ci_u32_e32 v1, vcc_lo, s1, v1, vcc_lo
	global_store_b16 v[0:1], v2, off
.LBB139_10:
	s_nop 0
	s_sendmsg sendmsg(MSG_DEALLOC_VGPRS)
	s_endpgm
	.section	.rodata,"a",@progbits
	.p2align	6, 0x0
	.amdhsa_kernel _ZN12_GLOBAL__N_120softmax_warp_forwardIN3c108BFloat16ES2_fLi4ELb1ELb0ELi64EEEvPT0_PKT_iiiPKbib
		.amdhsa_group_segment_fixed_size 0
		.amdhsa_private_segment_fixed_size 0
		.amdhsa_kernarg_size 304
		.amdhsa_user_sgpr_count 15
		.amdhsa_user_sgpr_dispatch_ptr 0
		.amdhsa_user_sgpr_queue_ptr 0
		.amdhsa_user_sgpr_kernarg_segment_ptr 1
		.amdhsa_user_sgpr_dispatch_id 0
		.amdhsa_user_sgpr_private_segment_size 0
		.amdhsa_wavefront_size32 1
		.amdhsa_uses_dynamic_stack 0
		.amdhsa_enable_private_segment 0
		.amdhsa_system_sgpr_workgroup_id_x 1
		.amdhsa_system_sgpr_workgroup_id_y 0
		.amdhsa_system_sgpr_workgroup_id_z 0
		.amdhsa_system_sgpr_workgroup_info 0
		.amdhsa_system_vgpr_workitem_id 1
		.amdhsa_next_free_vgpr 15
		.amdhsa_next_free_sgpr 16
		.amdhsa_reserve_vcc 1
		.amdhsa_float_round_mode_32 0
		.amdhsa_float_round_mode_16_64 0
		.amdhsa_float_denorm_mode_32 3
		.amdhsa_float_denorm_mode_16_64 3
		.amdhsa_dx10_clamp 1
		.amdhsa_ieee_mode 1
		.amdhsa_fp16_overflow 0
		.amdhsa_workgroup_processor_mode 1
		.amdhsa_memory_ordered 1
		.amdhsa_forward_progress 0
		.amdhsa_shared_vgpr_count 0
		.amdhsa_exception_fp_ieee_invalid_op 0
		.amdhsa_exception_fp_denorm_src 0
		.amdhsa_exception_fp_ieee_div_zero 0
		.amdhsa_exception_fp_ieee_overflow 0
		.amdhsa_exception_fp_ieee_underflow 0
		.amdhsa_exception_fp_ieee_inexact 0
		.amdhsa_exception_int_div_zero 0
	.end_amdhsa_kernel
	.section	.text._ZN12_GLOBAL__N_120softmax_warp_forwardIN3c108BFloat16ES2_fLi4ELb1ELb0ELi64EEEvPT0_PKT_iiiPKbib,"axG",@progbits,_ZN12_GLOBAL__N_120softmax_warp_forwardIN3c108BFloat16ES2_fLi4ELb1ELb0ELi64EEEvPT0_PKT_iiiPKbib,comdat
.Lfunc_end139:
	.size	_ZN12_GLOBAL__N_120softmax_warp_forwardIN3c108BFloat16ES2_fLi4ELb1ELb0ELi64EEEvPT0_PKT_iiiPKbib, .Lfunc_end139-_ZN12_GLOBAL__N_120softmax_warp_forwardIN3c108BFloat16ES2_fLi4ELb1ELb0ELi64EEEvPT0_PKT_iiiPKbib
                                        ; -- End function
	.section	.AMDGPU.csdata,"",@progbits
; Kernel info:
; codeLenInByte = 1432
; NumSgprs: 18
; NumVgprs: 15
; ScratchSize: 0
; MemoryBound: 0
; FloatMode: 240
; IeeeMode: 1
; LDSByteSize: 0 bytes/workgroup (compile time only)
; SGPRBlocks: 2
; VGPRBlocks: 1
; NumSGPRsForWavesPerEU: 18
; NumVGPRsForWavesPerEU: 15
; Occupancy: 16
; WaveLimiterHint : 0
; COMPUTE_PGM_RSRC2:SCRATCH_EN: 0
; COMPUTE_PGM_RSRC2:USER_SGPR: 15
; COMPUTE_PGM_RSRC2:TRAP_HANDLER: 0
; COMPUTE_PGM_RSRC2:TGID_X_EN: 1
; COMPUTE_PGM_RSRC2:TGID_Y_EN: 0
; COMPUTE_PGM_RSRC2:TGID_Z_EN: 0
; COMPUTE_PGM_RSRC2:TIDIG_COMP_CNT: 1
	.section	.text._ZN12_GLOBAL__N_120softmax_warp_forwardIN3c108BFloat16ES2_fLi4ELb1ELb0ELi32EEEvPT0_PKT_iiiPKbib,"axG",@progbits,_ZN12_GLOBAL__N_120softmax_warp_forwardIN3c108BFloat16ES2_fLi4ELb1ELb0ELi32EEEvPT0_PKT_iiiPKbib,comdat
	.globl	_ZN12_GLOBAL__N_120softmax_warp_forwardIN3c108BFloat16ES2_fLi4ELb1ELb0ELi32EEEvPT0_PKT_iiiPKbib ; -- Begin function _ZN12_GLOBAL__N_120softmax_warp_forwardIN3c108BFloat16ES2_fLi4ELb1ELb0ELi32EEEvPT0_PKT_iiiPKbib
	.p2align	8
	.type	_ZN12_GLOBAL__N_120softmax_warp_forwardIN3c108BFloat16ES2_fLi4ELb1ELb0ELi32EEEvPT0_PKT_iiiPKbib,@function
_ZN12_GLOBAL__N_120softmax_warp_forwardIN3c108BFloat16ES2_fLi4ELb1ELb0ELi32EEEvPT0_PKT_iiiPKbib: ; @_ZN12_GLOBAL__N_120softmax_warp_forwardIN3c108BFloat16ES2_fLi4ELb1ELb0ELi32EEEvPT0_PKT_iiiPKbib
; %bb.0:
	s_clause 0x1
	s_load_b32 s2, s[0:1], 0x3c
	s_load_b256 s[4:11], s[0:1], 0x0
	v_bfe_u32 v1, v0, 10, 10
	v_and_b32_e32 v2, 0x3ff, v0
	v_dual_mov_b32 v5, 0xff800000 :: v_dual_mov_b32 v6, 0xff800000
	s_waitcnt lgkmcnt(0)
	s_lshr_b32 s0, s2, 16
	s_delay_alu instid0(VALU_DEP_2) | instskip(SKIP_1) | instid1(SALU_CYCLE_1)
	v_cmp_gt_i32_e32 vcc_lo, s10, v2
	s_mul_i32 s15, s15, s0
	v_add_lshl_u32 v3, s15, v1, 1
	s_delay_alu instid0(VALU_DEP_1) | instskip(SKIP_1) | instid1(VALU_DEP_1)
	v_mad_u64_u32 v[0:1], null, v3, s9, v[2:3]
	v_sub_nc_u32_e32 v4, s8, v3
	v_cmp_lt_i32_e64 s0, 0, v4
	s_delay_alu instid0(VALU_DEP_3) | instskip(NEXT) | instid1(VALU_DEP_2)
	v_ashrrev_i32_e32 v1, 31, v0
	s_and_b32 s2, vcc_lo, s0
	s_delay_alu instid0(VALU_DEP_1) | instskip(NEXT) | instid1(VALU_DEP_1)
	v_lshlrev_b64 v[0:1], 1, v[0:1]
	v_add_co_u32 v2, s1, s6, v0
	s_delay_alu instid0(VALU_DEP_1)
	v_add_co_ci_u32_e64 v3, s1, s7, v1, s1
	s_and_saveexec_b32 s1, s2
	s_cbranch_execz .LBB140_2
; %bb.1:
	global_load_u16 v6, v[2:3], off
	s_waitcnt vmcnt(0)
	v_lshlrev_b32_e32 v6, 16, v6
.LBB140_2:
	s_or_b32 exec_lo, exec_lo, s1
	v_cmp_lt_i32_e64 s1, 1, v4
	s_delay_alu instid0(VALU_DEP_1) | instskip(NEXT) | instid1(SALU_CYCLE_1)
	s_and_b32 s1, vcc_lo, s1
	s_and_saveexec_b32 s2, s1
	s_cbranch_execz .LBB140_4
; %bb.3:
	s_mov_b32 s11, 0
	s_delay_alu instid0(SALU_CYCLE_1) | instskip(NEXT) | instid1(SALU_CYCLE_1)
	s_lshl_b64 s[6:7], s[10:11], 1
	v_add_co_u32 v2, s1, v2, s6
	s_delay_alu instid0(VALU_DEP_1)
	v_add_co_ci_u32_e64 v3, s1, s7, v3, s1
	global_load_u16 v2, v[2:3], off
	s_waitcnt vmcnt(0)
	v_lshlrev_b32_e32 v5, 16, v2
.LBB140_4:
	s_or_b32 exec_lo, exec_lo, s2
	v_mbcnt_lo_u32_b32 v2, -1, 0
	s_delay_alu instid0(VALU_DEP_1)
	v_and_b32_e32 v3, 16, v2
	v_xor_b32_e32 v7, 8, v2
	v_xor_b32_e32 v10, 4, v2
	;; [unrolled: 1-line block ×4, first 2 shown]
	v_add_nc_u32_e32 v3, 16, v3
	s_delay_alu instid0(VALU_DEP_1) | instskip(NEXT) | instid1(VALU_DEP_1)
	v_cmp_lt_i32_e64 s1, v7, v3
	v_cndmask_b32_e64 v7, v2, v7, s1
	v_cmp_lt_i32_e64 s1, v10, v3
	s_delay_alu instid0(VALU_DEP_2) | instskip(NEXT) | instid1(VALU_DEP_2)
	v_lshlrev_b32_e32 v7, 2, v7
	v_cndmask_b32_e64 v10, v2, v10, s1
	ds_bpermute_b32 v8, v7, v6
	ds_bpermute_b32 v9, v7, v5
	v_lshlrev_b32_e32 v10, 2, v10
	s_waitcnt lgkmcnt(1)
	v_cmp_lt_f32_e64 s1, v6, v8
	s_delay_alu instid0(VALU_DEP_1)
	v_cndmask_b32_e64 v8, v6, v8, s1
	s_waitcnt lgkmcnt(0)
	v_cmp_lt_f32_e64 s1, v5, v9
	ds_bpermute_b32 v11, v10, v8
	v_cndmask_b32_e64 v9, v5, v9, s1
	v_cmp_lt_i32_e64 s1, v13, v3
	ds_bpermute_b32 v12, v10, v9
	v_cndmask_b32_e64 v13, v2, v13, s1
	s_delay_alu instid0(VALU_DEP_1) | instskip(SKIP_2) | instid1(VALU_DEP_1)
	v_lshlrev_b32_e32 v13, 2, v13
	s_waitcnt lgkmcnt(1)
	v_cmp_lt_f32_e64 s1, v8, v11
	v_cndmask_b32_e64 v8, v8, v11, s1
	s_waitcnt lgkmcnt(0)
	v_cmp_lt_f32_e64 s1, v9, v12
	ds_bpermute_b32 v11, v13, v8
	v_cndmask_b32_e64 v9, v9, v12, s1
	v_cmp_lt_i32_e64 s1, v14, v3
	ds_bpermute_b32 v12, v13, v9
	v_cndmask_b32_e64 v2, v2, v14, s1
	s_delay_alu instid0(VALU_DEP_1) | instskip(SKIP_2) | instid1(VALU_DEP_1)
	v_lshlrev_b32_e32 v14, 2, v2
	s_waitcnt lgkmcnt(1)
	v_cmp_lt_f32_e64 s1, v8, v11
	v_cndmask_b32_e64 v2, v8, v11, s1
	s_waitcnt lgkmcnt(0)
	v_cmp_lt_f32_e64 s1, v9, v12
	ds_bpermute_b32 v8, v14, v2
	v_cndmask_b32_e64 v3, v9, v12, s1
	ds_bpermute_b32 v9, v14, v3
	s_waitcnt lgkmcnt(1)
	v_cmp_lt_f32_e64 s1, v2, v8
	s_delay_alu instid0(VALU_DEP_1) | instskip(SKIP_2) | instid1(VALU_DEP_1)
	v_cndmask_b32_e64 v2, v2, v8, s1
	s_waitcnt lgkmcnt(0)
	v_cmp_lt_f32_e64 s1, v3, v9
	v_cndmask_b32_e64 v8, v3, v9, s1
	s_delay_alu instid0(VALU_DEP_1) | instskip(NEXT) | instid1(VALU_DEP_1)
	v_dual_sub_f32 v3, v6, v2 :: v_dual_sub_f32 v2, v5, v8
	v_mul_f32_e32 v5, 0x3fb8aa3b, v3
	v_cmp_ngt_f32_e64 s1, 0xc2ce8ed0, v3
	s_delay_alu instid0(VALU_DEP_3) | instskip(NEXT) | instid1(VALU_DEP_3)
	v_mul_f32_e32 v6, 0x3fb8aa3b, v2
	v_fma_f32 v8, 0x3fb8aa3b, v3, -v5
	v_rndne_f32_e32 v9, v5
	s_delay_alu instid0(VALU_DEP_3) | instskip(SKIP_1) | instid1(VALU_DEP_3)
	v_fma_f32 v11, 0x3fb8aa3b, v2, -v6
	v_rndne_f32_e32 v12, v6
	v_dual_sub_f32 v5, v5, v9 :: v_dual_fmac_f32 v8, 0x32a5705f, v3
	s_delay_alu instid0(VALU_DEP_2) | instskip(NEXT) | instid1(VALU_DEP_2)
	v_dual_fmac_f32 v11, 0x32a5705f, v2 :: v_dual_sub_f32 v6, v6, v12
	v_add_f32_e32 v5, v5, v8
	v_cvt_i32_f32_e32 v8, v9
	v_cvt_i32_f32_e32 v9, v12
	s_delay_alu instid0(VALU_DEP_4) | instskip(NEXT) | instid1(VALU_DEP_4)
	v_add_f32_e32 v6, v6, v11
	v_exp_f32_e32 v5, v5
	s_delay_alu instid0(VALU_DEP_1) | instskip(SKIP_3) | instid1(VALU_DEP_2)
	v_exp_f32_e32 v6, v6
	s_waitcnt_depctr 0xfff
	v_ldexp_f32 v5, v5, v8
	v_ldexp_f32 v6, v6, v9
	v_cndmask_b32_e64 v5, 0, v5, s1
	v_cmp_ngt_f32_e64 s1, 0xc2ce8ed0, v2
	s_delay_alu instid0(VALU_DEP_1) | instskip(SKIP_1) | instid1(VALU_DEP_1)
	v_cndmask_b32_e64 v6, 0, v6, s1
	v_cmp_nlt_f32_e64 s1, 0x42b17218, v3
	v_cndmask_b32_e64 v5, 0x7f800000, v5, s1
	v_cmp_nlt_f32_e64 s1, 0x42b17218, v2
	ds_bpermute_b32 v8, v7, v5
	v_cndmask_b32_e64 v6, 0x7f800000, v6, s1
	ds_bpermute_b32 v7, v7, v6
	s_waitcnt lgkmcnt(0)
	v_dual_add_f32 v5, v5, v8 :: v_dual_add_f32 v6, v6, v7
	ds_bpermute_b32 v7, v10, v5
	ds_bpermute_b32 v8, v10, v6
	s_waitcnt lgkmcnt(0)
	v_dual_add_f32 v5, v5, v7 :: v_dual_add_f32 v6, v6, v8
	ds_bpermute_b32 v7, v13, v5
	ds_bpermute_b32 v8, v13, v6
	s_waitcnt lgkmcnt(1)
	v_add_f32_e32 v7, v5, v7
	s_waitcnt lgkmcnt(0)
	v_add_f32_e32 v5, v6, v8
	ds_bpermute_b32 v8, v14, v7
	ds_bpermute_b32 v6, v14, v5
	s_and_saveexec_b32 s1, s0
	s_cbranch_execz .LBB140_10
; %bb.5:
	v_add_co_u32 v0, s0, s4, v0
	s_delay_alu instid0(VALU_DEP_1)
	v_add_co_ci_u32_e64 v1, s0, s5, v1, s0
	s_and_saveexec_b32 s2, vcc_lo
	s_cbranch_execz .LBB140_7
; %bb.6:
	s_waitcnt lgkmcnt(1)
	v_add_f32_e32 v7, v7, v8
	s_delay_alu instid0(VALU_DEP_1) | instskip(NEXT) | instid1(VALU_DEP_1)
	v_cmp_gt_f32_e64 s0, 0x800000, v7
	v_cndmask_b32_e64 v8, 1.0, 0x4f800000, s0
	s_delay_alu instid0(VALU_DEP_1) | instskip(NEXT) | instid1(VALU_DEP_1)
	v_mul_f32_e32 v7, v7, v8
	v_log_f32_e32 v7, v7
	s_waitcnt_depctr 0xfff
	v_mul_f32_e32 v8, 0x3f317217, v7
	v_cmp_gt_f32_e64 s1, 0x7f800000, |v7|
	s_delay_alu instid0(VALU_DEP_2) | instskip(NEXT) | instid1(VALU_DEP_1)
	v_fma_f32 v9, 0x3f317217, v7, -v8
	v_fmamk_f32 v9, v7, 0x3377d1cf, v9
	s_delay_alu instid0(VALU_DEP_1) | instskip(NEXT) | instid1(VALU_DEP_1)
	v_add_f32_e32 v8, v8, v9
	v_cndmask_b32_e64 v7, v7, v8, s1
	v_cndmask_b32_e64 v8, 0, 0x41b17218, s0
	s_delay_alu instid0(VALU_DEP_1) | instskip(NEXT) | instid1(VALU_DEP_1)
	v_sub_f32_e32 v7, v7, v8
	v_sub_f32_e32 v3, v3, v7
	s_delay_alu instid0(VALU_DEP_1) | instskip(SKIP_1) | instid1(VALU_DEP_2)
	v_bfe_u32 v7, v3, 16, 1
	v_cmp_o_f32_e64 s0, v3, v3
	v_add3_u32 v7, v3, v7, 0x7fff
	s_delay_alu instid0(VALU_DEP_1) | instskip(NEXT) | instid1(VALU_DEP_1)
	v_lshrrev_b32_e32 v7, 16, v7
	v_cndmask_b32_e64 v3, 0x7fc0, v7, s0
	global_store_b16 v[0:1], v3, off
.LBB140_7:
	s_or_b32 exec_lo, exec_lo, s2
	v_cmp_ne_u32_e64 s0, 1, v4
	s_delay_alu instid0(VALU_DEP_1)
	s_and_b32 exec_lo, exec_lo, s0
	s_cbranch_execz .LBB140_10
; %bb.8:
	s_and_b32 exec_lo, exec_lo, vcc_lo
	s_cbranch_execz .LBB140_10
; %bb.9:
	s_waitcnt lgkmcnt(0)
	v_add_f32_e32 v3, v5, v6
	s_mov_b32 s11, 0
	s_delay_alu instid0(SALU_CYCLE_1) | instskip(NEXT) | instid1(VALU_DEP_1)
	s_lshl_b64 s[0:1], s[10:11], 1
	v_cmp_gt_f32_e32 vcc_lo, 0x800000, v3
	v_cndmask_b32_e64 v4, 1.0, 0x4f800000, vcc_lo
	s_delay_alu instid0(VALU_DEP_1) | instskip(NEXT) | instid1(VALU_DEP_1)
	v_mul_f32_e32 v3, v3, v4
	v_log_f32_e32 v3, v3
	s_waitcnt_depctr 0xfff
	v_mul_f32_e32 v4, 0x3f317217, v3
	s_delay_alu instid0(VALU_DEP_1) | instskip(NEXT) | instid1(VALU_DEP_1)
	v_fma_f32 v5, 0x3f317217, v3, -v4
	v_fmamk_f32 v5, v3, 0x3377d1cf, v5
	s_delay_alu instid0(VALU_DEP_1) | instskip(SKIP_2) | instid1(VALU_DEP_3)
	v_add_f32_e32 v4, v4, v5
	v_cndmask_b32_e64 v5, 0, 0x41b17218, vcc_lo
	v_cmp_gt_f32_e64 vcc_lo, 0x7f800000, |v3|
	v_cndmask_b32_e32 v3, v3, v4, vcc_lo
	s_delay_alu instid0(VALU_DEP_1) | instskip(NEXT) | instid1(VALU_DEP_1)
	v_sub_f32_e32 v3, v3, v5
	v_sub_f32_e32 v2, v2, v3
	s_delay_alu instid0(VALU_DEP_1) | instskip(SKIP_1) | instid1(VALU_DEP_2)
	v_bfe_u32 v3, v2, 16, 1
	v_cmp_o_f32_e32 vcc_lo, v2, v2
	v_add3_u32 v3, v2, v3, 0x7fff
	s_delay_alu instid0(VALU_DEP_1) | instskip(NEXT) | instid1(VALU_DEP_1)
	v_lshrrev_b32_e32 v3, 16, v3
	v_cndmask_b32_e32 v2, 0x7fc0, v3, vcc_lo
	v_add_co_u32 v0, vcc_lo, v0, s0
	v_add_co_ci_u32_e32 v1, vcc_lo, s1, v1, vcc_lo
	global_store_b16 v[0:1], v2, off
.LBB140_10:
	s_nop 0
	s_sendmsg sendmsg(MSG_DEALLOC_VGPRS)
	s_endpgm
	.section	.rodata,"a",@progbits
	.p2align	6, 0x0
	.amdhsa_kernel _ZN12_GLOBAL__N_120softmax_warp_forwardIN3c108BFloat16ES2_fLi4ELb1ELb0ELi32EEEvPT0_PKT_iiiPKbib
		.amdhsa_group_segment_fixed_size 0
		.amdhsa_private_segment_fixed_size 0
		.amdhsa_kernarg_size 304
		.amdhsa_user_sgpr_count 15
		.amdhsa_user_sgpr_dispatch_ptr 0
		.amdhsa_user_sgpr_queue_ptr 0
		.amdhsa_user_sgpr_kernarg_segment_ptr 1
		.amdhsa_user_sgpr_dispatch_id 0
		.amdhsa_user_sgpr_private_segment_size 0
		.amdhsa_wavefront_size32 1
		.amdhsa_uses_dynamic_stack 0
		.amdhsa_enable_private_segment 0
		.amdhsa_system_sgpr_workgroup_id_x 1
		.amdhsa_system_sgpr_workgroup_id_y 0
		.amdhsa_system_sgpr_workgroup_id_z 0
		.amdhsa_system_sgpr_workgroup_info 0
		.amdhsa_system_vgpr_workitem_id 1
		.amdhsa_next_free_vgpr 15
		.amdhsa_next_free_sgpr 16
		.amdhsa_reserve_vcc 1
		.amdhsa_float_round_mode_32 0
		.amdhsa_float_round_mode_16_64 0
		.amdhsa_float_denorm_mode_32 3
		.amdhsa_float_denorm_mode_16_64 3
		.amdhsa_dx10_clamp 1
		.amdhsa_ieee_mode 1
		.amdhsa_fp16_overflow 0
		.amdhsa_workgroup_processor_mode 1
		.amdhsa_memory_ordered 1
		.amdhsa_forward_progress 0
		.amdhsa_shared_vgpr_count 0
		.amdhsa_exception_fp_ieee_invalid_op 0
		.amdhsa_exception_fp_denorm_src 0
		.amdhsa_exception_fp_ieee_div_zero 0
		.amdhsa_exception_fp_ieee_overflow 0
		.amdhsa_exception_fp_ieee_underflow 0
		.amdhsa_exception_fp_ieee_inexact 0
		.amdhsa_exception_int_div_zero 0
	.end_amdhsa_kernel
	.section	.text._ZN12_GLOBAL__N_120softmax_warp_forwardIN3c108BFloat16ES2_fLi4ELb1ELb0ELi32EEEvPT0_PKT_iiiPKbib,"axG",@progbits,_ZN12_GLOBAL__N_120softmax_warp_forwardIN3c108BFloat16ES2_fLi4ELb1ELb0ELi32EEEvPT0_PKT_iiiPKbib,comdat
.Lfunc_end140:
	.size	_ZN12_GLOBAL__N_120softmax_warp_forwardIN3c108BFloat16ES2_fLi4ELb1ELb0ELi32EEEvPT0_PKT_iiiPKbib, .Lfunc_end140-_ZN12_GLOBAL__N_120softmax_warp_forwardIN3c108BFloat16ES2_fLi4ELb1ELb0ELi32EEEvPT0_PKT_iiiPKbib
                                        ; -- End function
	.section	.AMDGPU.csdata,"",@progbits
; Kernel info:
; codeLenInByte = 1432
; NumSgprs: 18
; NumVgprs: 15
; ScratchSize: 0
; MemoryBound: 0
; FloatMode: 240
; IeeeMode: 1
; LDSByteSize: 0 bytes/workgroup (compile time only)
; SGPRBlocks: 2
; VGPRBlocks: 1
; NumSGPRsForWavesPerEU: 18
; NumVGPRsForWavesPerEU: 15
; Occupancy: 16
; WaveLimiterHint : 0
; COMPUTE_PGM_RSRC2:SCRATCH_EN: 0
; COMPUTE_PGM_RSRC2:USER_SGPR: 15
; COMPUTE_PGM_RSRC2:TRAP_HANDLER: 0
; COMPUTE_PGM_RSRC2:TGID_X_EN: 1
; COMPUTE_PGM_RSRC2:TGID_Y_EN: 0
; COMPUTE_PGM_RSRC2:TGID_Z_EN: 0
; COMPUTE_PGM_RSRC2:TIDIG_COMP_CNT: 1
	.section	.text._ZN12_GLOBAL__N_120softmax_warp_forwardIN3c108BFloat16ES2_fLi5ELb1ELb0ELi64EEEvPT0_PKT_iiiPKbib,"axG",@progbits,_ZN12_GLOBAL__N_120softmax_warp_forwardIN3c108BFloat16ES2_fLi5ELb1ELb0ELi64EEEvPT0_PKT_iiiPKbib,comdat
	.globl	_ZN12_GLOBAL__N_120softmax_warp_forwardIN3c108BFloat16ES2_fLi5ELb1ELb0ELi64EEEvPT0_PKT_iiiPKbib ; -- Begin function _ZN12_GLOBAL__N_120softmax_warp_forwardIN3c108BFloat16ES2_fLi5ELb1ELb0ELi64EEEvPT0_PKT_iiiPKbib
	.p2align	8
	.type	_ZN12_GLOBAL__N_120softmax_warp_forwardIN3c108BFloat16ES2_fLi5ELb1ELb0ELi64EEEvPT0_PKT_iiiPKbib,@function
_ZN12_GLOBAL__N_120softmax_warp_forwardIN3c108BFloat16ES2_fLi5ELb1ELb0ELi64EEEvPT0_PKT_iiiPKbib: ; @_ZN12_GLOBAL__N_120softmax_warp_forwardIN3c108BFloat16ES2_fLi5ELb1ELb0ELi64EEEvPT0_PKT_iiiPKbib
; %bb.0:
	s_clause 0x1
	s_load_b32 s2, s[0:1], 0x3c
	s_load_b256 s[4:11], s[0:1], 0x0
	v_bfe_u32 v1, v0, 10, 10
	v_and_b32_e32 v2, 0x3ff, v0
	v_dual_mov_b32 v5, 0xff800000 :: v_dual_mov_b32 v6, 0xff800000
	s_waitcnt lgkmcnt(0)
	s_lshr_b32 s0, s2, 16
	s_delay_alu instid0(VALU_DEP_2) | instskip(SKIP_1) | instid1(SALU_CYCLE_1)
	v_cmp_gt_i32_e32 vcc_lo, s10, v2
	s_mul_i32 s15, s15, s0
	v_add_lshl_u32 v3, s15, v1, 1
	s_delay_alu instid0(VALU_DEP_1) | instskip(SKIP_1) | instid1(VALU_DEP_1)
	v_mad_u64_u32 v[0:1], null, v3, s9, v[2:3]
	v_sub_nc_u32_e32 v4, s8, v3
	v_cmp_lt_i32_e64 s0, 0, v4
	s_delay_alu instid0(VALU_DEP_3) | instskip(NEXT) | instid1(VALU_DEP_2)
	v_ashrrev_i32_e32 v1, 31, v0
	s_and_b32 s2, vcc_lo, s0
	s_delay_alu instid0(VALU_DEP_1) | instskip(NEXT) | instid1(VALU_DEP_1)
	v_lshlrev_b64 v[0:1], 1, v[0:1]
	v_add_co_u32 v2, s1, s6, v0
	s_delay_alu instid0(VALU_DEP_1)
	v_add_co_ci_u32_e64 v3, s1, s7, v1, s1
	s_and_saveexec_b32 s1, s2
	s_cbranch_execz .LBB141_2
; %bb.1:
	global_load_u16 v6, v[2:3], off
	s_waitcnt vmcnt(0)
	v_lshlrev_b32_e32 v6, 16, v6
.LBB141_2:
	s_or_b32 exec_lo, exec_lo, s1
	v_cmp_lt_i32_e64 s1, 1, v4
	s_delay_alu instid0(VALU_DEP_1) | instskip(NEXT) | instid1(SALU_CYCLE_1)
	s_and_b32 s1, vcc_lo, s1
	s_and_saveexec_b32 s2, s1
	s_cbranch_execz .LBB141_4
; %bb.3:
	s_mov_b32 s11, 0
	s_delay_alu instid0(SALU_CYCLE_1) | instskip(NEXT) | instid1(SALU_CYCLE_1)
	s_lshl_b64 s[6:7], s[10:11], 1
	v_add_co_u32 v2, s1, v2, s6
	s_delay_alu instid0(VALU_DEP_1)
	v_add_co_ci_u32_e64 v3, s1, s7, v3, s1
	global_load_u16 v2, v[2:3], off
	s_waitcnt vmcnt(0)
	v_lshlrev_b32_e32 v5, 16, v2
.LBB141_4:
	s_or_b32 exec_lo, exec_lo, s2
	v_mbcnt_lo_u32_b32 v2, -1, 0
	s_delay_alu instid0(VALU_DEP_1)
	v_xor_b32_e32 v3, 16, v2
	v_xor_b32_e32 v9, 8, v2
	;; [unrolled: 1-line block ×5, first 2 shown]
	v_cmp_gt_i32_e64 s1, 32, v3
	s_delay_alu instid0(VALU_DEP_1) | instskip(SKIP_1) | instid1(VALU_DEP_2)
	v_cndmask_b32_e64 v3, v2, v3, s1
	v_cmp_gt_i32_e64 s1, 32, v9
	v_lshlrev_b32_e32 v7, 2, v3
	s_delay_alu instid0(VALU_DEP_2)
	v_cndmask_b32_e64 v9, v2, v9, s1
	ds_bpermute_b32 v3, v7, v6
	ds_bpermute_b32 v8, v7, v5
	v_lshlrev_b32_e32 v9, 2, v9
	s_waitcnt lgkmcnt(1)
	v_cmp_lt_f32_e64 s1, v6, v3
	s_delay_alu instid0(VALU_DEP_1)
	v_cndmask_b32_e64 v3, v6, v3, s1
	s_waitcnt lgkmcnt(0)
	v_cmp_lt_f32_e64 s1, v5, v8
	ds_bpermute_b32 v10, v9, v3
	v_cndmask_b32_e64 v8, v5, v8, s1
	v_cmp_gt_i32_e64 s1, 32, v12
	ds_bpermute_b32 v11, v9, v8
	v_cndmask_b32_e64 v12, v2, v12, s1
	s_delay_alu instid0(VALU_DEP_1) | instskip(SKIP_2) | instid1(VALU_DEP_1)
	v_lshlrev_b32_e32 v12, 2, v12
	s_waitcnt lgkmcnt(1)
	v_cmp_lt_f32_e64 s1, v3, v10
	v_cndmask_b32_e64 v3, v3, v10, s1
	s_waitcnt lgkmcnt(0)
	v_cmp_lt_f32_e64 s1, v8, v11
	ds_bpermute_b32 v10, v12, v3
	v_cndmask_b32_e64 v8, v8, v11, s1
	v_cmp_gt_i32_e64 s1, 32, v13
	ds_bpermute_b32 v11, v12, v8
	v_cndmask_b32_e64 v13, v2, v13, s1
	s_delay_alu instid0(VALU_DEP_1) | instskip(SKIP_2) | instid1(VALU_DEP_1)
	v_lshlrev_b32_e32 v13, 2, v13
	s_waitcnt lgkmcnt(1)
	v_cmp_lt_f32_e64 s1, v3, v10
	;; [unrolled: 12-line block ×3, first 2 shown]
	v_cndmask_b32_e64 v2, v3, v10, s1
	s_waitcnt lgkmcnt(0)
	v_cmp_lt_f32_e64 s1, v8, v11
	s_delay_alu instid0(VALU_DEP_1) | instskip(SKIP_4) | instid1(VALU_DEP_1)
	v_cndmask_b32_e64 v3, v8, v11, s1
	ds_bpermute_b32 v8, v14, v2
	ds_bpermute_b32 v10, v14, v3
	s_waitcnt lgkmcnt(1)
	v_cmp_lt_f32_e64 s1, v2, v8
	v_cndmask_b32_e64 v2, v2, v8, s1
	s_waitcnt lgkmcnt(0)
	v_cmp_lt_f32_e64 s1, v3, v10
	s_delay_alu instid0(VALU_DEP_1) | instskip(NEXT) | instid1(VALU_DEP_1)
	v_cndmask_b32_e64 v8, v3, v10, s1
	v_dual_sub_f32 v3, v6, v2 :: v_dual_sub_f32 v2, v5, v8
	s_delay_alu instid0(VALU_DEP_1) | instskip(SKIP_1) | instid1(VALU_DEP_3)
	v_mul_f32_e32 v5, 0x3fb8aa3b, v3
	v_cmp_ngt_f32_e64 s1, 0xc2ce8ed0, v3
	v_mul_f32_e32 v6, 0x3fb8aa3b, v2
	s_delay_alu instid0(VALU_DEP_3) | instskip(SKIP_1) | instid1(VALU_DEP_3)
	v_fma_f32 v8, 0x3fb8aa3b, v3, -v5
	v_rndne_f32_e32 v10, v5
	v_fma_f32 v11, 0x3fb8aa3b, v2, -v6
	v_rndne_f32_e32 v15, v6
	s_delay_alu instid0(VALU_DEP_3) | instskip(NEXT) | instid1(VALU_DEP_2)
	v_dual_fmac_f32 v8, 0x32a5705f, v3 :: v_dual_sub_f32 v5, v5, v10
	v_dual_fmac_f32 v11, 0x32a5705f, v2 :: v_dual_sub_f32 v6, v6, v15
	s_delay_alu instid0(VALU_DEP_2) | instskip(SKIP_2) | instid1(VALU_DEP_4)
	v_add_f32_e32 v5, v5, v8
	v_cvt_i32_f32_e32 v8, v10
	v_cvt_i32_f32_e32 v10, v15
	v_add_f32_e32 v6, v6, v11
	s_delay_alu instid0(VALU_DEP_4) | instskip(NEXT) | instid1(VALU_DEP_1)
	v_exp_f32_e32 v5, v5
	v_exp_f32_e32 v6, v6
	s_waitcnt_depctr 0xfff
	v_ldexp_f32 v5, v5, v8
	v_ldexp_f32 v6, v6, v10
	s_delay_alu instid0(VALU_DEP_2) | instskip(SKIP_1) | instid1(VALU_DEP_1)
	v_cndmask_b32_e64 v5, 0, v5, s1
	v_cmp_ngt_f32_e64 s1, 0xc2ce8ed0, v2
	v_cndmask_b32_e64 v6, 0, v6, s1
	v_cmp_nlt_f32_e64 s1, 0x42b17218, v3
	s_delay_alu instid0(VALU_DEP_1)
	v_cndmask_b32_e64 v5, 0x7f800000, v5, s1
	v_cmp_nlt_f32_e64 s1, 0x42b17218, v2
	ds_bpermute_b32 v8, v7, v5
	v_cndmask_b32_e64 v6, 0x7f800000, v6, s1
	ds_bpermute_b32 v7, v7, v6
	s_waitcnt lgkmcnt(0)
	v_dual_add_f32 v5, v5, v8 :: v_dual_add_f32 v6, v6, v7
	ds_bpermute_b32 v7, v9, v5
	ds_bpermute_b32 v8, v9, v6
	s_waitcnt lgkmcnt(0)
	v_dual_add_f32 v5, v5, v7 :: v_dual_add_f32 v6, v6, v8
	ds_bpermute_b32 v7, v12, v5
	;; [unrolled: 4-line block ×3, first 2 shown]
	ds_bpermute_b32 v8, v13, v6
	s_waitcnt lgkmcnt(1)
	v_add_f32_e32 v7, v5, v7
	s_waitcnt lgkmcnt(0)
	v_add_f32_e32 v5, v6, v8
	ds_bpermute_b32 v8, v14, v7
	ds_bpermute_b32 v6, v14, v5
	s_and_saveexec_b32 s1, s0
	s_cbranch_execz .LBB141_10
; %bb.5:
	v_add_co_u32 v0, s0, s4, v0
	s_delay_alu instid0(VALU_DEP_1)
	v_add_co_ci_u32_e64 v1, s0, s5, v1, s0
	s_and_saveexec_b32 s2, vcc_lo
	s_cbranch_execz .LBB141_7
; %bb.6:
	s_waitcnt lgkmcnt(1)
	v_add_f32_e32 v7, v7, v8
	s_delay_alu instid0(VALU_DEP_1) | instskip(NEXT) | instid1(VALU_DEP_1)
	v_cmp_gt_f32_e64 s0, 0x800000, v7
	v_cndmask_b32_e64 v8, 1.0, 0x4f800000, s0
	s_delay_alu instid0(VALU_DEP_1) | instskip(NEXT) | instid1(VALU_DEP_1)
	v_mul_f32_e32 v7, v7, v8
	v_log_f32_e32 v7, v7
	s_waitcnt_depctr 0xfff
	v_mul_f32_e32 v8, 0x3f317217, v7
	v_cmp_gt_f32_e64 s1, 0x7f800000, |v7|
	s_delay_alu instid0(VALU_DEP_2) | instskip(NEXT) | instid1(VALU_DEP_1)
	v_fma_f32 v9, 0x3f317217, v7, -v8
	v_fmamk_f32 v9, v7, 0x3377d1cf, v9
	s_delay_alu instid0(VALU_DEP_1) | instskip(NEXT) | instid1(VALU_DEP_1)
	v_add_f32_e32 v8, v8, v9
	v_cndmask_b32_e64 v7, v7, v8, s1
	v_cndmask_b32_e64 v8, 0, 0x41b17218, s0
	s_delay_alu instid0(VALU_DEP_1) | instskip(NEXT) | instid1(VALU_DEP_1)
	v_sub_f32_e32 v7, v7, v8
	v_sub_f32_e32 v3, v3, v7
	s_delay_alu instid0(VALU_DEP_1) | instskip(SKIP_1) | instid1(VALU_DEP_2)
	v_bfe_u32 v7, v3, 16, 1
	v_cmp_o_f32_e64 s0, v3, v3
	v_add3_u32 v7, v3, v7, 0x7fff
	s_delay_alu instid0(VALU_DEP_1) | instskip(NEXT) | instid1(VALU_DEP_1)
	v_lshrrev_b32_e32 v7, 16, v7
	v_cndmask_b32_e64 v3, 0x7fc0, v7, s0
	global_store_b16 v[0:1], v3, off
.LBB141_7:
	s_or_b32 exec_lo, exec_lo, s2
	v_cmp_ne_u32_e64 s0, 1, v4
	s_delay_alu instid0(VALU_DEP_1)
	s_and_b32 exec_lo, exec_lo, s0
	s_cbranch_execz .LBB141_10
; %bb.8:
	s_and_b32 exec_lo, exec_lo, vcc_lo
	s_cbranch_execz .LBB141_10
; %bb.9:
	s_waitcnt lgkmcnt(0)
	v_add_f32_e32 v3, v5, v6
	s_mov_b32 s11, 0
	s_delay_alu instid0(SALU_CYCLE_1) | instskip(NEXT) | instid1(VALU_DEP_1)
	s_lshl_b64 s[0:1], s[10:11], 1
	v_cmp_gt_f32_e32 vcc_lo, 0x800000, v3
	v_cndmask_b32_e64 v4, 1.0, 0x4f800000, vcc_lo
	s_delay_alu instid0(VALU_DEP_1) | instskip(NEXT) | instid1(VALU_DEP_1)
	v_mul_f32_e32 v3, v3, v4
	v_log_f32_e32 v3, v3
	s_waitcnt_depctr 0xfff
	v_mul_f32_e32 v4, 0x3f317217, v3
	s_delay_alu instid0(VALU_DEP_1) | instskip(NEXT) | instid1(VALU_DEP_1)
	v_fma_f32 v5, 0x3f317217, v3, -v4
	v_fmamk_f32 v5, v3, 0x3377d1cf, v5
	s_delay_alu instid0(VALU_DEP_1) | instskip(SKIP_2) | instid1(VALU_DEP_3)
	v_add_f32_e32 v4, v4, v5
	v_cndmask_b32_e64 v5, 0, 0x41b17218, vcc_lo
	v_cmp_gt_f32_e64 vcc_lo, 0x7f800000, |v3|
	v_cndmask_b32_e32 v3, v3, v4, vcc_lo
	s_delay_alu instid0(VALU_DEP_1) | instskip(NEXT) | instid1(VALU_DEP_1)
	v_sub_f32_e32 v3, v3, v5
	v_sub_f32_e32 v2, v2, v3
	s_delay_alu instid0(VALU_DEP_1) | instskip(SKIP_1) | instid1(VALU_DEP_2)
	v_bfe_u32 v3, v2, 16, 1
	v_cmp_o_f32_e32 vcc_lo, v2, v2
	v_add3_u32 v3, v2, v3, 0x7fff
	s_delay_alu instid0(VALU_DEP_1) | instskip(NEXT) | instid1(VALU_DEP_1)
	v_lshrrev_b32_e32 v3, 16, v3
	v_cndmask_b32_e32 v2, 0x7fc0, v3, vcc_lo
	v_add_co_u32 v0, vcc_lo, v0, s0
	v_add_co_ci_u32_e32 v1, vcc_lo, s1, v1, vcc_lo
	global_store_b16 v[0:1], v2, off
.LBB141_10:
	s_nop 0
	s_sendmsg sendmsg(MSG_DEALLOC_VGPRS)
	s_endpgm
	.section	.rodata,"a",@progbits
	.p2align	6, 0x0
	.amdhsa_kernel _ZN12_GLOBAL__N_120softmax_warp_forwardIN3c108BFloat16ES2_fLi5ELb1ELb0ELi64EEEvPT0_PKT_iiiPKbib
		.amdhsa_group_segment_fixed_size 0
		.amdhsa_private_segment_fixed_size 0
		.amdhsa_kernarg_size 304
		.amdhsa_user_sgpr_count 15
		.amdhsa_user_sgpr_dispatch_ptr 0
		.amdhsa_user_sgpr_queue_ptr 0
		.amdhsa_user_sgpr_kernarg_segment_ptr 1
		.amdhsa_user_sgpr_dispatch_id 0
		.amdhsa_user_sgpr_private_segment_size 0
		.amdhsa_wavefront_size32 1
		.amdhsa_uses_dynamic_stack 0
		.amdhsa_enable_private_segment 0
		.amdhsa_system_sgpr_workgroup_id_x 1
		.amdhsa_system_sgpr_workgroup_id_y 0
		.amdhsa_system_sgpr_workgroup_id_z 0
		.amdhsa_system_sgpr_workgroup_info 0
		.amdhsa_system_vgpr_workitem_id 1
		.amdhsa_next_free_vgpr 16
		.amdhsa_next_free_sgpr 16
		.amdhsa_reserve_vcc 1
		.amdhsa_float_round_mode_32 0
		.amdhsa_float_round_mode_16_64 0
		.amdhsa_float_denorm_mode_32 3
		.amdhsa_float_denorm_mode_16_64 3
		.amdhsa_dx10_clamp 1
		.amdhsa_ieee_mode 1
		.amdhsa_fp16_overflow 0
		.amdhsa_workgroup_processor_mode 1
		.amdhsa_memory_ordered 1
		.amdhsa_forward_progress 0
		.amdhsa_shared_vgpr_count 0
		.amdhsa_exception_fp_ieee_invalid_op 0
		.amdhsa_exception_fp_denorm_src 0
		.amdhsa_exception_fp_ieee_div_zero 0
		.amdhsa_exception_fp_ieee_overflow 0
		.amdhsa_exception_fp_ieee_underflow 0
		.amdhsa_exception_fp_ieee_inexact 0
		.amdhsa_exception_int_div_zero 0
	.end_amdhsa_kernel
	.section	.text._ZN12_GLOBAL__N_120softmax_warp_forwardIN3c108BFloat16ES2_fLi5ELb1ELb0ELi64EEEvPT0_PKT_iiiPKbib,"axG",@progbits,_ZN12_GLOBAL__N_120softmax_warp_forwardIN3c108BFloat16ES2_fLi5ELb1ELb0ELi64EEEvPT0_PKT_iiiPKbib,comdat
.Lfunc_end141:
	.size	_ZN12_GLOBAL__N_120softmax_warp_forwardIN3c108BFloat16ES2_fLi5ELb1ELb0ELi64EEEvPT0_PKT_iiiPKbib, .Lfunc_end141-_ZN12_GLOBAL__N_120softmax_warp_forwardIN3c108BFloat16ES2_fLi5ELb1ELb0ELi64EEEvPT0_PKT_iiiPKbib
                                        ; -- End function
	.section	.AMDGPU.csdata,"",@progbits
; Kernel info:
; codeLenInByte = 1540
; NumSgprs: 18
; NumVgprs: 16
; ScratchSize: 0
; MemoryBound: 0
; FloatMode: 240
; IeeeMode: 1
; LDSByteSize: 0 bytes/workgroup (compile time only)
; SGPRBlocks: 2
; VGPRBlocks: 1
; NumSGPRsForWavesPerEU: 18
; NumVGPRsForWavesPerEU: 16
; Occupancy: 16
; WaveLimiterHint : 0
; COMPUTE_PGM_RSRC2:SCRATCH_EN: 0
; COMPUTE_PGM_RSRC2:USER_SGPR: 15
; COMPUTE_PGM_RSRC2:TRAP_HANDLER: 0
; COMPUTE_PGM_RSRC2:TGID_X_EN: 1
; COMPUTE_PGM_RSRC2:TGID_Y_EN: 0
; COMPUTE_PGM_RSRC2:TGID_Z_EN: 0
; COMPUTE_PGM_RSRC2:TIDIG_COMP_CNT: 1
	.section	.text._ZN12_GLOBAL__N_120softmax_warp_forwardIN3c108BFloat16ES2_fLi5ELb1ELb0ELi32EEEvPT0_PKT_iiiPKbib,"axG",@progbits,_ZN12_GLOBAL__N_120softmax_warp_forwardIN3c108BFloat16ES2_fLi5ELb1ELb0ELi32EEEvPT0_PKT_iiiPKbib,comdat
	.globl	_ZN12_GLOBAL__N_120softmax_warp_forwardIN3c108BFloat16ES2_fLi5ELb1ELb0ELi32EEEvPT0_PKT_iiiPKbib ; -- Begin function _ZN12_GLOBAL__N_120softmax_warp_forwardIN3c108BFloat16ES2_fLi5ELb1ELb0ELi32EEEvPT0_PKT_iiiPKbib
	.p2align	8
	.type	_ZN12_GLOBAL__N_120softmax_warp_forwardIN3c108BFloat16ES2_fLi5ELb1ELb0ELi32EEEvPT0_PKT_iiiPKbib,@function
_ZN12_GLOBAL__N_120softmax_warp_forwardIN3c108BFloat16ES2_fLi5ELb1ELb0ELi32EEEvPT0_PKT_iiiPKbib: ; @_ZN12_GLOBAL__N_120softmax_warp_forwardIN3c108BFloat16ES2_fLi5ELb1ELb0ELi32EEEvPT0_PKT_iiiPKbib
; %bb.0:
	s_clause 0x1
	s_load_b32 s2, s[0:1], 0x3c
	s_load_b256 s[4:11], s[0:1], 0x0
	v_bfe_u32 v1, v0, 10, 10
	v_and_b32_e32 v2, 0x3ff, v0
	v_dual_mov_b32 v5, 0xff800000 :: v_dual_mov_b32 v6, 0xff800000
	s_waitcnt lgkmcnt(0)
	s_lshr_b32 s0, s2, 16
	s_delay_alu instid0(VALU_DEP_2) | instskip(SKIP_1) | instid1(SALU_CYCLE_1)
	v_cmp_gt_i32_e32 vcc_lo, s10, v2
	s_mul_i32 s15, s15, s0
	v_add_lshl_u32 v3, s15, v1, 1
	s_delay_alu instid0(VALU_DEP_1) | instskip(SKIP_1) | instid1(VALU_DEP_1)
	v_mad_u64_u32 v[0:1], null, v3, s9, v[2:3]
	v_sub_nc_u32_e32 v4, s8, v3
	v_cmp_lt_i32_e64 s0, 0, v4
	s_delay_alu instid0(VALU_DEP_3) | instskip(NEXT) | instid1(VALU_DEP_2)
	v_ashrrev_i32_e32 v1, 31, v0
	s_and_b32 s2, vcc_lo, s0
	s_delay_alu instid0(VALU_DEP_1) | instskip(NEXT) | instid1(VALU_DEP_1)
	v_lshlrev_b64 v[0:1], 1, v[0:1]
	v_add_co_u32 v2, s1, s6, v0
	s_delay_alu instid0(VALU_DEP_1)
	v_add_co_ci_u32_e64 v3, s1, s7, v1, s1
	s_and_saveexec_b32 s1, s2
	s_cbranch_execz .LBB142_2
; %bb.1:
	global_load_u16 v6, v[2:3], off
	s_waitcnt vmcnt(0)
	v_lshlrev_b32_e32 v6, 16, v6
.LBB142_2:
	s_or_b32 exec_lo, exec_lo, s1
	v_cmp_lt_i32_e64 s1, 1, v4
	s_delay_alu instid0(VALU_DEP_1) | instskip(NEXT) | instid1(SALU_CYCLE_1)
	s_and_b32 s1, vcc_lo, s1
	s_and_saveexec_b32 s2, s1
	s_cbranch_execz .LBB142_4
; %bb.3:
	s_mov_b32 s11, 0
	s_delay_alu instid0(SALU_CYCLE_1) | instskip(NEXT) | instid1(SALU_CYCLE_1)
	s_lshl_b64 s[6:7], s[10:11], 1
	v_add_co_u32 v2, s1, v2, s6
	s_delay_alu instid0(VALU_DEP_1)
	v_add_co_ci_u32_e64 v3, s1, s7, v3, s1
	global_load_u16 v2, v[2:3], off
	s_waitcnt vmcnt(0)
	v_lshlrev_b32_e32 v5, 16, v2
.LBB142_4:
	s_or_b32 exec_lo, exec_lo, s2
	v_mbcnt_lo_u32_b32 v2, -1, 0
	s_delay_alu instid0(VALU_DEP_1)
	v_xor_b32_e32 v3, 16, v2
	v_xor_b32_e32 v9, 8, v2
	;; [unrolled: 1-line block ×5, first 2 shown]
	v_cmp_gt_i32_e64 s1, 32, v3
	s_delay_alu instid0(VALU_DEP_1) | instskip(SKIP_1) | instid1(VALU_DEP_2)
	v_cndmask_b32_e64 v3, v2, v3, s1
	v_cmp_gt_i32_e64 s1, 32, v9
	v_lshlrev_b32_e32 v7, 2, v3
	s_delay_alu instid0(VALU_DEP_2)
	v_cndmask_b32_e64 v9, v2, v9, s1
	ds_bpermute_b32 v3, v7, v6
	ds_bpermute_b32 v8, v7, v5
	v_lshlrev_b32_e32 v9, 2, v9
	s_waitcnt lgkmcnt(1)
	v_cmp_lt_f32_e64 s1, v6, v3
	s_delay_alu instid0(VALU_DEP_1)
	v_cndmask_b32_e64 v3, v6, v3, s1
	s_waitcnt lgkmcnt(0)
	v_cmp_lt_f32_e64 s1, v5, v8
	ds_bpermute_b32 v10, v9, v3
	v_cndmask_b32_e64 v8, v5, v8, s1
	v_cmp_gt_i32_e64 s1, 32, v12
	ds_bpermute_b32 v11, v9, v8
	v_cndmask_b32_e64 v12, v2, v12, s1
	s_delay_alu instid0(VALU_DEP_1) | instskip(SKIP_2) | instid1(VALU_DEP_1)
	v_lshlrev_b32_e32 v12, 2, v12
	s_waitcnt lgkmcnt(1)
	v_cmp_lt_f32_e64 s1, v3, v10
	v_cndmask_b32_e64 v3, v3, v10, s1
	s_waitcnt lgkmcnt(0)
	v_cmp_lt_f32_e64 s1, v8, v11
	ds_bpermute_b32 v10, v12, v3
	v_cndmask_b32_e64 v8, v8, v11, s1
	v_cmp_gt_i32_e64 s1, 32, v13
	ds_bpermute_b32 v11, v12, v8
	v_cndmask_b32_e64 v13, v2, v13, s1
	s_delay_alu instid0(VALU_DEP_1) | instskip(SKIP_2) | instid1(VALU_DEP_1)
	v_lshlrev_b32_e32 v13, 2, v13
	s_waitcnt lgkmcnt(1)
	v_cmp_lt_f32_e64 s1, v3, v10
	;; [unrolled: 12-line block ×3, first 2 shown]
	v_cndmask_b32_e64 v2, v3, v10, s1
	s_waitcnt lgkmcnt(0)
	v_cmp_lt_f32_e64 s1, v8, v11
	s_delay_alu instid0(VALU_DEP_1) | instskip(SKIP_4) | instid1(VALU_DEP_1)
	v_cndmask_b32_e64 v3, v8, v11, s1
	ds_bpermute_b32 v8, v14, v2
	ds_bpermute_b32 v10, v14, v3
	s_waitcnt lgkmcnt(1)
	v_cmp_lt_f32_e64 s1, v2, v8
	v_cndmask_b32_e64 v2, v2, v8, s1
	s_waitcnt lgkmcnt(0)
	v_cmp_lt_f32_e64 s1, v3, v10
	s_delay_alu instid0(VALU_DEP_1) | instskip(NEXT) | instid1(VALU_DEP_1)
	v_cndmask_b32_e64 v8, v3, v10, s1
	v_dual_sub_f32 v3, v6, v2 :: v_dual_sub_f32 v2, v5, v8
	s_delay_alu instid0(VALU_DEP_1) | instskip(SKIP_1) | instid1(VALU_DEP_3)
	v_mul_f32_e32 v5, 0x3fb8aa3b, v3
	v_cmp_ngt_f32_e64 s1, 0xc2ce8ed0, v3
	v_mul_f32_e32 v6, 0x3fb8aa3b, v2
	s_delay_alu instid0(VALU_DEP_3) | instskip(SKIP_1) | instid1(VALU_DEP_3)
	v_fma_f32 v8, 0x3fb8aa3b, v3, -v5
	v_rndne_f32_e32 v10, v5
	v_fma_f32 v11, 0x3fb8aa3b, v2, -v6
	v_rndne_f32_e32 v15, v6
	s_delay_alu instid0(VALU_DEP_3) | instskip(NEXT) | instid1(VALU_DEP_2)
	v_dual_fmac_f32 v8, 0x32a5705f, v3 :: v_dual_sub_f32 v5, v5, v10
	v_dual_fmac_f32 v11, 0x32a5705f, v2 :: v_dual_sub_f32 v6, v6, v15
	s_delay_alu instid0(VALU_DEP_2) | instskip(SKIP_2) | instid1(VALU_DEP_4)
	v_add_f32_e32 v5, v5, v8
	v_cvt_i32_f32_e32 v8, v10
	v_cvt_i32_f32_e32 v10, v15
	v_add_f32_e32 v6, v6, v11
	s_delay_alu instid0(VALU_DEP_4) | instskip(NEXT) | instid1(VALU_DEP_1)
	v_exp_f32_e32 v5, v5
	v_exp_f32_e32 v6, v6
	s_waitcnt_depctr 0xfff
	v_ldexp_f32 v5, v5, v8
	v_ldexp_f32 v6, v6, v10
	s_delay_alu instid0(VALU_DEP_2) | instskip(SKIP_1) | instid1(VALU_DEP_1)
	v_cndmask_b32_e64 v5, 0, v5, s1
	v_cmp_ngt_f32_e64 s1, 0xc2ce8ed0, v2
	v_cndmask_b32_e64 v6, 0, v6, s1
	v_cmp_nlt_f32_e64 s1, 0x42b17218, v3
	s_delay_alu instid0(VALU_DEP_1)
	v_cndmask_b32_e64 v5, 0x7f800000, v5, s1
	v_cmp_nlt_f32_e64 s1, 0x42b17218, v2
	ds_bpermute_b32 v8, v7, v5
	v_cndmask_b32_e64 v6, 0x7f800000, v6, s1
	ds_bpermute_b32 v7, v7, v6
	s_waitcnt lgkmcnt(0)
	v_dual_add_f32 v5, v5, v8 :: v_dual_add_f32 v6, v6, v7
	ds_bpermute_b32 v7, v9, v5
	ds_bpermute_b32 v8, v9, v6
	s_waitcnt lgkmcnt(0)
	v_dual_add_f32 v5, v5, v7 :: v_dual_add_f32 v6, v6, v8
	ds_bpermute_b32 v7, v12, v5
	;; [unrolled: 4-line block ×3, first 2 shown]
	ds_bpermute_b32 v8, v13, v6
	s_waitcnt lgkmcnt(1)
	v_add_f32_e32 v7, v5, v7
	s_waitcnt lgkmcnt(0)
	v_add_f32_e32 v5, v6, v8
	ds_bpermute_b32 v8, v14, v7
	ds_bpermute_b32 v6, v14, v5
	s_and_saveexec_b32 s1, s0
	s_cbranch_execz .LBB142_10
; %bb.5:
	v_add_co_u32 v0, s0, s4, v0
	s_delay_alu instid0(VALU_DEP_1)
	v_add_co_ci_u32_e64 v1, s0, s5, v1, s0
	s_and_saveexec_b32 s2, vcc_lo
	s_cbranch_execz .LBB142_7
; %bb.6:
	s_waitcnt lgkmcnt(1)
	v_add_f32_e32 v7, v7, v8
	s_delay_alu instid0(VALU_DEP_1) | instskip(NEXT) | instid1(VALU_DEP_1)
	v_cmp_gt_f32_e64 s0, 0x800000, v7
	v_cndmask_b32_e64 v8, 1.0, 0x4f800000, s0
	s_delay_alu instid0(VALU_DEP_1) | instskip(NEXT) | instid1(VALU_DEP_1)
	v_mul_f32_e32 v7, v7, v8
	v_log_f32_e32 v7, v7
	s_waitcnt_depctr 0xfff
	v_mul_f32_e32 v8, 0x3f317217, v7
	v_cmp_gt_f32_e64 s1, 0x7f800000, |v7|
	s_delay_alu instid0(VALU_DEP_2) | instskip(NEXT) | instid1(VALU_DEP_1)
	v_fma_f32 v9, 0x3f317217, v7, -v8
	v_fmamk_f32 v9, v7, 0x3377d1cf, v9
	s_delay_alu instid0(VALU_DEP_1) | instskip(NEXT) | instid1(VALU_DEP_1)
	v_add_f32_e32 v8, v8, v9
	v_cndmask_b32_e64 v7, v7, v8, s1
	v_cndmask_b32_e64 v8, 0, 0x41b17218, s0
	s_delay_alu instid0(VALU_DEP_1) | instskip(NEXT) | instid1(VALU_DEP_1)
	v_sub_f32_e32 v7, v7, v8
	v_sub_f32_e32 v3, v3, v7
	s_delay_alu instid0(VALU_DEP_1) | instskip(SKIP_1) | instid1(VALU_DEP_2)
	v_bfe_u32 v7, v3, 16, 1
	v_cmp_o_f32_e64 s0, v3, v3
	v_add3_u32 v7, v3, v7, 0x7fff
	s_delay_alu instid0(VALU_DEP_1) | instskip(NEXT) | instid1(VALU_DEP_1)
	v_lshrrev_b32_e32 v7, 16, v7
	v_cndmask_b32_e64 v3, 0x7fc0, v7, s0
	global_store_b16 v[0:1], v3, off
.LBB142_7:
	s_or_b32 exec_lo, exec_lo, s2
	v_cmp_ne_u32_e64 s0, 1, v4
	s_delay_alu instid0(VALU_DEP_1)
	s_and_b32 exec_lo, exec_lo, s0
	s_cbranch_execz .LBB142_10
; %bb.8:
	s_and_b32 exec_lo, exec_lo, vcc_lo
	s_cbranch_execz .LBB142_10
; %bb.9:
	s_waitcnt lgkmcnt(0)
	v_add_f32_e32 v3, v5, v6
	s_mov_b32 s11, 0
	s_delay_alu instid0(SALU_CYCLE_1) | instskip(NEXT) | instid1(VALU_DEP_1)
	s_lshl_b64 s[0:1], s[10:11], 1
	v_cmp_gt_f32_e32 vcc_lo, 0x800000, v3
	v_cndmask_b32_e64 v4, 1.0, 0x4f800000, vcc_lo
	s_delay_alu instid0(VALU_DEP_1) | instskip(NEXT) | instid1(VALU_DEP_1)
	v_mul_f32_e32 v3, v3, v4
	v_log_f32_e32 v3, v3
	s_waitcnt_depctr 0xfff
	v_mul_f32_e32 v4, 0x3f317217, v3
	s_delay_alu instid0(VALU_DEP_1) | instskip(NEXT) | instid1(VALU_DEP_1)
	v_fma_f32 v5, 0x3f317217, v3, -v4
	v_fmamk_f32 v5, v3, 0x3377d1cf, v5
	s_delay_alu instid0(VALU_DEP_1) | instskip(SKIP_2) | instid1(VALU_DEP_3)
	v_add_f32_e32 v4, v4, v5
	v_cndmask_b32_e64 v5, 0, 0x41b17218, vcc_lo
	v_cmp_gt_f32_e64 vcc_lo, 0x7f800000, |v3|
	v_cndmask_b32_e32 v3, v3, v4, vcc_lo
	s_delay_alu instid0(VALU_DEP_1) | instskip(NEXT) | instid1(VALU_DEP_1)
	v_sub_f32_e32 v3, v3, v5
	v_sub_f32_e32 v2, v2, v3
	s_delay_alu instid0(VALU_DEP_1) | instskip(SKIP_1) | instid1(VALU_DEP_2)
	v_bfe_u32 v3, v2, 16, 1
	v_cmp_o_f32_e32 vcc_lo, v2, v2
	v_add3_u32 v3, v2, v3, 0x7fff
	s_delay_alu instid0(VALU_DEP_1) | instskip(NEXT) | instid1(VALU_DEP_1)
	v_lshrrev_b32_e32 v3, 16, v3
	v_cndmask_b32_e32 v2, 0x7fc0, v3, vcc_lo
	v_add_co_u32 v0, vcc_lo, v0, s0
	v_add_co_ci_u32_e32 v1, vcc_lo, s1, v1, vcc_lo
	global_store_b16 v[0:1], v2, off
.LBB142_10:
	s_nop 0
	s_sendmsg sendmsg(MSG_DEALLOC_VGPRS)
	s_endpgm
	.section	.rodata,"a",@progbits
	.p2align	6, 0x0
	.amdhsa_kernel _ZN12_GLOBAL__N_120softmax_warp_forwardIN3c108BFloat16ES2_fLi5ELb1ELb0ELi32EEEvPT0_PKT_iiiPKbib
		.amdhsa_group_segment_fixed_size 0
		.amdhsa_private_segment_fixed_size 0
		.amdhsa_kernarg_size 304
		.amdhsa_user_sgpr_count 15
		.amdhsa_user_sgpr_dispatch_ptr 0
		.amdhsa_user_sgpr_queue_ptr 0
		.amdhsa_user_sgpr_kernarg_segment_ptr 1
		.amdhsa_user_sgpr_dispatch_id 0
		.amdhsa_user_sgpr_private_segment_size 0
		.amdhsa_wavefront_size32 1
		.amdhsa_uses_dynamic_stack 0
		.amdhsa_enable_private_segment 0
		.amdhsa_system_sgpr_workgroup_id_x 1
		.amdhsa_system_sgpr_workgroup_id_y 0
		.amdhsa_system_sgpr_workgroup_id_z 0
		.amdhsa_system_sgpr_workgroup_info 0
		.amdhsa_system_vgpr_workitem_id 1
		.amdhsa_next_free_vgpr 16
		.amdhsa_next_free_sgpr 16
		.amdhsa_reserve_vcc 1
		.amdhsa_float_round_mode_32 0
		.amdhsa_float_round_mode_16_64 0
		.amdhsa_float_denorm_mode_32 3
		.amdhsa_float_denorm_mode_16_64 3
		.amdhsa_dx10_clamp 1
		.amdhsa_ieee_mode 1
		.amdhsa_fp16_overflow 0
		.amdhsa_workgroup_processor_mode 1
		.amdhsa_memory_ordered 1
		.amdhsa_forward_progress 0
		.amdhsa_shared_vgpr_count 0
		.amdhsa_exception_fp_ieee_invalid_op 0
		.amdhsa_exception_fp_denorm_src 0
		.amdhsa_exception_fp_ieee_div_zero 0
		.amdhsa_exception_fp_ieee_overflow 0
		.amdhsa_exception_fp_ieee_underflow 0
		.amdhsa_exception_fp_ieee_inexact 0
		.amdhsa_exception_int_div_zero 0
	.end_amdhsa_kernel
	.section	.text._ZN12_GLOBAL__N_120softmax_warp_forwardIN3c108BFloat16ES2_fLi5ELb1ELb0ELi32EEEvPT0_PKT_iiiPKbib,"axG",@progbits,_ZN12_GLOBAL__N_120softmax_warp_forwardIN3c108BFloat16ES2_fLi5ELb1ELb0ELi32EEEvPT0_PKT_iiiPKbib,comdat
.Lfunc_end142:
	.size	_ZN12_GLOBAL__N_120softmax_warp_forwardIN3c108BFloat16ES2_fLi5ELb1ELb0ELi32EEEvPT0_PKT_iiiPKbib, .Lfunc_end142-_ZN12_GLOBAL__N_120softmax_warp_forwardIN3c108BFloat16ES2_fLi5ELb1ELb0ELi32EEEvPT0_PKT_iiiPKbib
                                        ; -- End function
	.section	.AMDGPU.csdata,"",@progbits
; Kernel info:
; codeLenInByte = 1540
; NumSgprs: 18
; NumVgprs: 16
; ScratchSize: 0
; MemoryBound: 0
; FloatMode: 240
; IeeeMode: 1
; LDSByteSize: 0 bytes/workgroup (compile time only)
; SGPRBlocks: 2
; VGPRBlocks: 1
; NumSGPRsForWavesPerEU: 18
; NumVGPRsForWavesPerEU: 16
; Occupancy: 16
; WaveLimiterHint : 0
; COMPUTE_PGM_RSRC2:SCRATCH_EN: 0
; COMPUTE_PGM_RSRC2:USER_SGPR: 15
; COMPUTE_PGM_RSRC2:TRAP_HANDLER: 0
; COMPUTE_PGM_RSRC2:TGID_X_EN: 1
; COMPUTE_PGM_RSRC2:TGID_Y_EN: 0
; COMPUTE_PGM_RSRC2:TGID_Z_EN: 0
; COMPUTE_PGM_RSRC2:TIDIG_COMP_CNT: 1
	.section	.text._ZN12_GLOBAL__N_120softmax_warp_forwardIN3c108BFloat16ES2_fLi6ELb1ELb0ELi64EEEvPT0_PKT_iiiPKbib,"axG",@progbits,_ZN12_GLOBAL__N_120softmax_warp_forwardIN3c108BFloat16ES2_fLi6ELb1ELb0ELi64EEEvPT0_PKT_iiiPKbib,comdat
	.globl	_ZN12_GLOBAL__N_120softmax_warp_forwardIN3c108BFloat16ES2_fLi6ELb1ELb0ELi64EEEvPT0_PKT_iiiPKbib ; -- Begin function _ZN12_GLOBAL__N_120softmax_warp_forwardIN3c108BFloat16ES2_fLi6ELb1ELb0ELi64EEEvPT0_PKT_iiiPKbib
	.p2align	8
	.type	_ZN12_GLOBAL__N_120softmax_warp_forwardIN3c108BFloat16ES2_fLi6ELb1ELb0ELi64EEEvPT0_PKT_iiiPKbib,@function
_ZN12_GLOBAL__N_120softmax_warp_forwardIN3c108BFloat16ES2_fLi6ELb1ELb0ELi64EEEvPT0_PKT_iiiPKbib: ; @_ZN12_GLOBAL__N_120softmax_warp_forwardIN3c108BFloat16ES2_fLi6ELb1ELb0ELi64EEEvPT0_PKT_iiiPKbib
; %bb.0:
	s_clause 0x1
	s_load_b32 s2, s[0:1], 0x3c
	s_load_b256 s[4:11], s[0:1], 0x0
	v_bfe_u32 v1, v0, 10, 10
	v_and_b32_e32 v2, 0x3ff, v0
	v_dual_mov_b32 v5, 0xff800000 :: v_dual_mov_b32 v6, 0xff800000
	s_waitcnt lgkmcnt(0)
	s_lshr_b32 s0, s2, 16
	s_delay_alu instid0(VALU_DEP_2) | instskip(SKIP_1) | instid1(SALU_CYCLE_1)
	v_cmp_gt_i32_e32 vcc_lo, s10, v2
	s_mul_i32 s15, s15, s0
	v_add_lshl_u32 v3, s15, v1, 1
	s_delay_alu instid0(VALU_DEP_1) | instskip(SKIP_1) | instid1(VALU_DEP_1)
	v_mad_u64_u32 v[0:1], null, v3, s9, v[2:3]
	v_sub_nc_u32_e32 v4, s8, v3
	v_cmp_lt_i32_e64 s0, 0, v4
	s_delay_alu instid0(VALU_DEP_3) | instskip(NEXT) | instid1(VALU_DEP_2)
	v_ashrrev_i32_e32 v1, 31, v0
	s_and_b32 s2, vcc_lo, s0
	s_delay_alu instid0(VALU_DEP_1) | instskip(NEXT) | instid1(VALU_DEP_1)
	v_lshlrev_b64 v[0:1], 1, v[0:1]
	v_add_co_u32 v2, s1, s6, v0
	s_delay_alu instid0(VALU_DEP_1)
	v_add_co_ci_u32_e64 v3, s1, s7, v1, s1
	s_and_saveexec_b32 s1, s2
	s_cbranch_execz .LBB143_2
; %bb.1:
	global_load_u16 v6, v[2:3], off
	s_waitcnt vmcnt(0)
	v_lshlrev_b32_e32 v6, 16, v6
.LBB143_2:
	s_or_b32 exec_lo, exec_lo, s1
	v_cmp_lt_i32_e64 s1, 1, v4
	s_delay_alu instid0(VALU_DEP_1) | instskip(NEXT) | instid1(SALU_CYCLE_1)
	s_and_b32 s1, vcc_lo, s1
	s_and_saveexec_b32 s2, s1
	s_cbranch_execz .LBB143_4
; %bb.3:
	s_mov_b32 s11, 0
	s_delay_alu instid0(SALU_CYCLE_1) | instskip(NEXT) | instid1(SALU_CYCLE_1)
	s_lshl_b64 s[6:7], s[10:11], 1
	v_add_co_u32 v2, s1, v2, s6
	s_delay_alu instid0(VALU_DEP_1)
	v_add_co_ci_u32_e64 v3, s1, s7, v3, s1
	global_load_u16 v2, v[2:3], off
	s_waitcnt vmcnt(0)
	v_lshlrev_b32_e32 v5, 16, v2
.LBB143_4:
	s_or_b32 exec_lo, exec_lo, s2
	v_mbcnt_lo_u32_b32 v2, -1, 0
	s_delay_alu instid0(VALU_DEP_1)
	v_or_b32_e32 v3, 32, v2
	v_xor_b32_e32 v9, 16, v2
	v_xor_b32_e32 v12, 8, v2
	;; [unrolled: 1-line block ×4, first 2 shown]
	v_cmp_gt_i32_e64 s1, 64, v3
	v_xor_b32_e32 v15, 1, v2
	s_delay_alu instid0(VALU_DEP_2) | instskip(SKIP_1) | instid1(VALU_DEP_2)
	v_cndmask_b32_e64 v3, v2, v3, s1
	v_cmp_gt_i32_e64 s1, 64, v9
	v_lshlrev_b32_e32 v7, 2, v3
	s_delay_alu instid0(VALU_DEP_2)
	v_cndmask_b32_e64 v9, v2, v9, s1
	ds_bpermute_b32 v3, v7, v6
	ds_bpermute_b32 v8, v7, v5
	v_lshlrev_b32_e32 v9, 2, v9
	s_waitcnt lgkmcnt(1)
	v_cmp_lt_f32_e64 s1, v6, v3
	s_delay_alu instid0(VALU_DEP_1)
	v_cndmask_b32_e64 v3, v6, v3, s1
	s_waitcnt lgkmcnt(0)
	v_cmp_lt_f32_e64 s1, v5, v8
	ds_bpermute_b32 v10, v9, v3
	v_cndmask_b32_e64 v8, v5, v8, s1
	v_cmp_gt_i32_e64 s1, 64, v12
	ds_bpermute_b32 v11, v9, v8
	v_cndmask_b32_e64 v12, v2, v12, s1
	s_delay_alu instid0(VALU_DEP_1) | instskip(SKIP_2) | instid1(VALU_DEP_1)
	v_lshlrev_b32_e32 v12, 2, v12
	s_waitcnt lgkmcnt(1)
	v_cmp_lt_f32_e64 s1, v3, v10
	v_cndmask_b32_e64 v3, v3, v10, s1
	s_waitcnt lgkmcnt(0)
	v_cmp_lt_f32_e64 s1, v8, v11
	ds_bpermute_b32 v10, v12, v3
	v_cndmask_b32_e64 v8, v8, v11, s1
	v_cmp_gt_i32_e64 s1, 64, v13
	ds_bpermute_b32 v11, v12, v8
	v_cndmask_b32_e64 v13, v2, v13, s1
	s_delay_alu instid0(VALU_DEP_1) | instskip(SKIP_2) | instid1(VALU_DEP_1)
	v_lshlrev_b32_e32 v13, 2, v13
	s_waitcnt lgkmcnt(1)
	v_cmp_lt_f32_e64 s1, v3, v10
	;; [unrolled: 12-line block ×4, first 2 shown]
	v_cndmask_b32_e64 v2, v3, v10, s1
	s_waitcnt lgkmcnt(0)
	v_cmp_lt_f32_e64 s1, v8, v11
	s_delay_alu instid0(VALU_DEP_1) | instskip(SKIP_4) | instid1(VALU_DEP_1)
	v_cndmask_b32_e64 v3, v8, v11, s1
	ds_bpermute_b32 v8, v15, v2
	ds_bpermute_b32 v10, v15, v3
	s_waitcnt lgkmcnt(1)
	v_cmp_lt_f32_e64 s1, v2, v8
	v_cndmask_b32_e64 v2, v2, v8, s1
	s_waitcnt lgkmcnt(0)
	v_cmp_lt_f32_e64 s1, v3, v10
	s_delay_alu instid0(VALU_DEP_1) | instskip(NEXT) | instid1(VALU_DEP_1)
	v_cndmask_b32_e64 v8, v3, v10, s1
	v_dual_sub_f32 v3, v6, v2 :: v_dual_sub_f32 v2, v5, v8
	s_delay_alu instid0(VALU_DEP_1) | instskip(SKIP_1) | instid1(VALU_DEP_3)
	v_mul_f32_e32 v5, 0x3fb8aa3b, v3
	v_cmp_ngt_f32_e64 s1, 0xc2ce8ed0, v3
	v_mul_f32_e32 v6, 0x3fb8aa3b, v2
	s_delay_alu instid0(VALU_DEP_3) | instskip(SKIP_1) | instid1(VALU_DEP_3)
	v_fma_f32 v8, 0x3fb8aa3b, v3, -v5
	v_rndne_f32_e32 v10, v5
	v_fma_f32 v11, 0x3fb8aa3b, v2, -v6
	v_rndne_f32_e32 v16, v6
	s_delay_alu instid0(VALU_DEP_2) | instskip(NEXT) | instid1(VALU_DEP_2)
	v_dual_fmac_f32 v8, 0x32a5705f, v3 :: v_dual_fmac_f32 v11, 0x32a5705f, v2
	v_dual_sub_f32 v6, v6, v16 :: v_dual_sub_f32 v5, v5, v10
	s_delay_alu instid0(VALU_DEP_1) | instskip(SKIP_2) | instid1(VALU_DEP_3)
	v_dual_add_f32 v6, v6, v11 :: v_dual_add_f32 v5, v5, v8
	v_cvt_i32_f32_e32 v8, v10
	v_cvt_i32_f32_e32 v10, v16
	v_exp_f32_e32 v6, v6
	s_delay_alu instid0(VALU_DEP_3) | instskip(SKIP_3) | instid1(VALU_DEP_1)
	v_exp_f32_e32 v5, v5
	s_waitcnt_depctr 0xfff
	v_ldexp_f32 v6, v6, v10
	v_ldexp_f32 v5, v5, v8
	v_cndmask_b32_e64 v5, 0, v5, s1
	v_cmp_ngt_f32_e64 s1, 0xc2ce8ed0, v2
	s_delay_alu instid0(VALU_DEP_1) | instskip(SKIP_1) | instid1(VALU_DEP_1)
	v_cndmask_b32_e64 v6, 0, v6, s1
	v_cmp_nlt_f32_e64 s1, 0x42b17218, v3
	v_cndmask_b32_e64 v5, 0x7f800000, v5, s1
	v_cmp_nlt_f32_e64 s1, 0x42b17218, v2
	ds_bpermute_b32 v8, v7, v5
	v_cndmask_b32_e64 v6, 0x7f800000, v6, s1
	ds_bpermute_b32 v7, v7, v6
	s_waitcnt lgkmcnt(0)
	v_dual_add_f32 v5, v5, v8 :: v_dual_add_f32 v6, v6, v7
	ds_bpermute_b32 v7, v9, v5
	ds_bpermute_b32 v8, v9, v6
	s_waitcnt lgkmcnt(0)
	v_dual_add_f32 v5, v5, v7 :: v_dual_add_f32 v6, v6, v8
	ds_bpermute_b32 v7, v12, v5
	;; [unrolled: 4-line block ×4, first 2 shown]
	ds_bpermute_b32 v8, v14, v6
	s_waitcnt lgkmcnt(1)
	v_add_f32_e32 v7, v5, v7
	s_waitcnt lgkmcnt(0)
	v_add_f32_e32 v5, v6, v8
	ds_bpermute_b32 v8, v15, v7
	ds_bpermute_b32 v6, v15, v5
	s_and_saveexec_b32 s1, s0
	s_cbranch_execz .LBB143_10
; %bb.5:
	v_add_co_u32 v0, s0, s4, v0
	s_delay_alu instid0(VALU_DEP_1)
	v_add_co_ci_u32_e64 v1, s0, s5, v1, s0
	s_and_saveexec_b32 s2, vcc_lo
	s_cbranch_execz .LBB143_7
; %bb.6:
	s_waitcnt lgkmcnt(1)
	v_add_f32_e32 v7, v7, v8
	s_delay_alu instid0(VALU_DEP_1) | instskip(NEXT) | instid1(VALU_DEP_1)
	v_cmp_gt_f32_e64 s0, 0x800000, v7
	v_cndmask_b32_e64 v8, 1.0, 0x4f800000, s0
	s_delay_alu instid0(VALU_DEP_1) | instskip(NEXT) | instid1(VALU_DEP_1)
	v_mul_f32_e32 v7, v7, v8
	v_log_f32_e32 v7, v7
	s_waitcnt_depctr 0xfff
	v_mul_f32_e32 v8, 0x3f317217, v7
	v_cmp_gt_f32_e64 s1, 0x7f800000, |v7|
	s_delay_alu instid0(VALU_DEP_2) | instskip(NEXT) | instid1(VALU_DEP_1)
	v_fma_f32 v9, 0x3f317217, v7, -v8
	v_fmamk_f32 v9, v7, 0x3377d1cf, v9
	s_delay_alu instid0(VALU_DEP_1) | instskip(NEXT) | instid1(VALU_DEP_1)
	v_add_f32_e32 v8, v8, v9
	v_cndmask_b32_e64 v7, v7, v8, s1
	v_cndmask_b32_e64 v8, 0, 0x41b17218, s0
	s_delay_alu instid0(VALU_DEP_1) | instskip(NEXT) | instid1(VALU_DEP_1)
	v_sub_f32_e32 v7, v7, v8
	v_sub_f32_e32 v3, v3, v7
	s_delay_alu instid0(VALU_DEP_1) | instskip(SKIP_1) | instid1(VALU_DEP_2)
	v_bfe_u32 v7, v3, 16, 1
	v_cmp_o_f32_e64 s0, v3, v3
	v_add3_u32 v7, v3, v7, 0x7fff
	s_delay_alu instid0(VALU_DEP_1) | instskip(NEXT) | instid1(VALU_DEP_1)
	v_lshrrev_b32_e32 v7, 16, v7
	v_cndmask_b32_e64 v3, 0x7fc0, v7, s0
	global_store_b16 v[0:1], v3, off
.LBB143_7:
	s_or_b32 exec_lo, exec_lo, s2
	v_cmp_ne_u32_e64 s0, 1, v4
	s_delay_alu instid0(VALU_DEP_1)
	s_and_b32 exec_lo, exec_lo, s0
	s_cbranch_execz .LBB143_10
; %bb.8:
	s_and_b32 exec_lo, exec_lo, vcc_lo
	s_cbranch_execz .LBB143_10
; %bb.9:
	s_waitcnt lgkmcnt(0)
	v_add_f32_e32 v3, v5, v6
	s_mov_b32 s11, 0
	s_delay_alu instid0(SALU_CYCLE_1) | instskip(NEXT) | instid1(VALU_DEP_1)
	s_lshl_b64 s[0:1], s[10:11], 1
	v_cmp_gt_f32_e32 vcc_lo, 0x800000, v3
	v_cndmask_b32_e64 v4, 1.0, 0x4f800000, vcc_lo
	s_delay_alu instid0(VALU_DEP_1) | instskip(NEXT) | instid1(VALU_DEP_1)
	v_mul_f32_e32 v3, v3, v4
	v_log_f32_e32 v3, v3
	s_waitcnt_depctr 0xfff
	v_mul_f32_e32 v4, 0x3f317217, v3
	s_delay_alu instid0(VALU_DEP_1) | instskip(NEXT) | instid1(VALU_DEP_1)
	v_fma_f32 v5, 0x3f317217, v3, -v4
	v_fmamk_f32 v5, v3, 0x3377d1cf, v5
	s_delay_alu instid0(VALU_DEP_1) | instskip(SKIP_2) | instid1(VALU_DEP_3)
	v_add_f32_e32 v4, v4, v5
	v_cndmask_b32_e64 v5, 0, 0x41b17218, vcc_lo
	v_cmp_gt_f32_e64 vcc_lo, 0x7f800000, |v3|
	v_cndmask_b32_e32 v3, v3, v4, vcc_lo
	s_delay_alu instid0(VALU_DEP_1) | instskip(NEXT) | instid1(VALU_DEP_1)
	v_sub_f32_e32 v3, v3, v5
	v_sub_f32_e32 v2, v2, v3
	s_delay_alu instid0(VALU_DEP_1) | instskip(SKIP_1) | instid1(VALU_DEP_2)
	v_bfe_u32 v3, v2, 16, 1
	v_cmp_o_f32_e32 vcc_lo, v2, v2
	v_add3_u32 v3, v2, v3, 0x7fff
	s_delay_alu instid0(VALU_DEP_1) | instskip(NEXT) | instid1(VALU_DEP_1)
	v_lshrrev_b32_e32 v3, 16, v3
	v_cndmask_b32_e32 v2, 0x7fc0, v3, vcc_lo
	v_add_co_u32 v0, vcc_lo, v0, s0
	v_add_co_ci_u32_e32 v1, vcc_lo, s1, v1, vcc_lo
	global_store_b16 v[0:1], v2, off
.LBB143_10:
	s_nop 0
	s_sendmsg sendmsg(MSG_DEALLOC_VGPRS)
	s_endpgm
	.section	.rodata,"a",@progbits
	.p2align	6, 0x0
	.amdhsa_kernel _ZN12_GLOBAL__N_120softmax_warp_forwardIN3c108BFloat16ES2_fLi6ELb1ELb0ELi64EEEvPT0_PKT_iiiPKbib
		.amdhsa_group_segment_fixed_size 0
		.amdhsa_private_segment_fixed_size 0
		.amdhsa_kernarg_size 304
		.amdhsa_user_sgpr_count 15
		.amdhsa_user_sgpr_dispatch_ptr 0
		.amdhsa_user_sgpr_queue_ptr 0
		.amdhsa_user_sgpr_kernarg_segment_ptr 1
		.amdhsa_user_sgpr_dispatch_id 0
		.amdhsa_user_sgpr_private_segment_size 0
		.amdhsa_wavefront_size32 1
		.amdhsa_uses_dynamic_stack 0
		.amdhsa_enable_private_segment 0
		.amdhsa_system_sgpr_workgroup_id_x 1
		.amdhsa_system_sgpr_workgroup_id_y 0
		.amdhsa_system_sgpr_workgroup_id_z 0
		.amdhsa_system_sgpr_workgroup_info 0
		.amdhsa_system_vgpr_workitem_id 1
		.amdhsa_next_free_vgpr 17
		.amdhsa_next_free_sgpr 16
		.amdhsa_reserve_vcc 1
		.amdhsa_float_round_mode_32 0
		.amdhsa_float_round_mode_16_64 0
		.amdhsa_float_denorm_mode_32 3
		.amdhsa_float_denorm_mode_16_64 3
		.amdhsa_dx10_clamp 1
		.amdhsa_ieee_mode 1
		.amdhsa_fp16_overflow 0
		.amdhsa_workgroup_processor_mode 1
		.amdhsa_memory_ordered 1
		.amdhsa_forward_progress 0
		.amdhsa_shared_vgpr_count 0
		.amdhsa_exception_fp_ieee_invalid_op 0
		.amdhsa_exception_fp_denorm_src 0
		.amdhsa_exception_fp_ieee_div_zero 0
		.amdhsa_exception_fp_ieee_overflow 0
		.amdhsa_exception_fp_ieee_underflow 0
		.amdhsa_exception_fp_ieee_inexact 0
		.amdhsa_exception_int_div_zero 0
	.end_amdhsa_kernel
	.section	.text._ZN12_GLOBAL__N_120softmax_warp_forwardIN3c108BFloat16ES2_fLi6ELb1ELb0ELi64EEEvPT0_PKT_iiiPKbib,"axG",@progbits,_ZN12_GLOBAL__N_120softmax_warp_forwardIN3c108BFloat16ES2_fLi6ELb1ELb0ELi64EEEvPT0_PKT_iiiPKbib,comdat
.Lfunc_end143:
	.size	_ZN12_GLOBAL__N_120softmax_warp_forwardIN3c108BFloat16ES2_fLi6ELb1ELb0ELi64EEEvPT0_PKT_iiiPKbib, .Lfunc_end143-_ZN12_GLOBAL__N_120softmax_warp_forwardIN3c108BFloat16ES2_fLi6ELb1ELb0ELi64EEEvPT0_PKT_iiiPKbib
                                        ; -- End function
	.section	.AMDGPU.csdata,"",@progbits
; Kernel info:
; codeLenInByte = 1644
; NumSgprs: 18
; NumVgprs: 17
; ScratchSize: 0
; MemoryBound: 0
; FloatMode: 240
; IeeeMode: 1
; LDSByteSize: 0 bytes/workgroup (compile time only)
; SGPRBlocks: 2
; VGPRBlocks: 2
; NumSGPRsForWavesPerEU: 18
; NumVGPRsForWavesPerEU: 17
; Occupancy: 16
; WaveLimiterHint : 0
; COMPUTE_PGM_RSRC2:SCRATCH_EN: 0
; COMPUTE_PGM_RSRC2:USER_SGPR: 15
; COMPUTE_PGM_RSRC2:TRAP_HANDLER: 0
; COMPUTE_PGM_RSRC2:TGID_X_EN: 1
; COMPUTE_PGM_RSRC2:TGID_Y_EN: 0
; COMPUTE_PGM_RSRC2:TGID_Z_EN: 0
; COMPUTE_PGM_RSRC2:TIDIG_COMP_CNT: 1
	.section	.text._ZN12_GLOBAL__N_120softmax_warp_forwardIN3c108BFloat16ES2_fLi6ELb1ELb0ELi32EEEvPT0_PKT_iiiPKbib,"axG",@progbits,_ZN12_GLOBAL__N_120softmax_warp_forwardIN3c108BFloat16ES2_fLi6ELb1ELb0ELi32EEEvPT0_PKT_iiiPKbib,comdat
	.globl	_ZN12_GLOBAL__N_120softmax_warp_forwardIN3c108BFloat16ES2_fLi6ELb1ELb0ELi32EEEvPT0_PKT_iiiPKbib ; -- Begin function _ZN12_GLOBAL__N_120softmax_warp_forwardIN3c108BFloat16ES2_fLi6ELb1ELb0ELi32EEEvPT0_PKT_iiiPKbib
	.p2align	8
	.type	_ZN12_GLOBAL__N_120softmax_warp_forwardIN3c108BFloat16ES2_fLi6ELb1ELb0ELi32EEEvPT0_PKT_iiiPKbib,@function
_ZN12_GLOBAL__N_120softmax_warp_forwardIN3c108BFloat16ES2_fLi6ELb1ELb0ELi32EEEvPT0_PKT_iiiPKbib: ; @_ZN12_GLOBAL__N_120softmax_warp_forwardIN3c108BFloat16ES2_fLi6ELb1ELb0ELi32EEEvPT0_PKT_iiiPKbib
; %bb.0:
	s_clause 0x1
	s_load_b32 s2, s[0:1], 0x3c
	s_load_b256 s[4:11], s[0:1], 0x0
	v_bfe_u32 v1, v0, 10, 10
	v_and_b32_e32 v4, 0x3ff, v0
	v_dual_mov_b32 v6, 0xff800000 :: v_dual_mov_b32 v7, 0xff800000
	s_waitcnt lgkmcnt(0)
	s_lshr_b32 s0, s2, 16
	s_delay_alu instid0(SALU_CYCLE_1) | instskip(SKIP_2) | instid1(VALU_DEP_1)
	s_mul_i32 s15, s15, s0
	v_cmp_gt_i32_e64 s0, s10, v4
	v_add_lshl_u32 v2, s15, v1, 1
	v_mad_u64_u32 v[0:1], null, v2, s9, v[4:5]
	v_sub_nc_u32_e32 v5, s8, v2
	s_delay_alu instid0(VALU_DEP_1) | instskip(NEXT) | instid1(VALU_DEP_3)
	v_cmp_lt_i32_e64 s1, 0, v5
	v_ashrrev_i32_e32 v1, 31, v0
	s_delay_alu instid0(VALU_DEP_2) | instskip(NEXT) | instid1(VALU_DEP_1)
	s_and_b32 s3, s1, s0
	v_lshlrev_b64 v[0:1], 1, v[0:1]
	s_delay_alu instid0(VALU_DEP_1) | instskip(NEXT) | instid1(VALU_DEP_2)
	v_add_co_u32 v2, vcc_lo, s6, v0
	v_add_co_ci_u32_e32 v3, vcc_lo, s7, v1, vcc_lo
	s_and_saveexec_b32 s2, s3
	s_cbranch_execz .LBB144_2
; %bb.1:
	global_load_u16 v7, v[2:3], off
	s_waitcnt vmcnt(0)
	v_lshlrev_b32_e32 v7, 16, v7
.LBB144_2:
	s_or_b32 exec_lo, exec_lo, s2
	v_add_nc_u32_e32 v4, 32, v4
	s_delay_alu instid0(VALU_DEP_1) | instskip(SKIP_1) | instid1(SALU_CYCLE_1)
	v_cmp_gt_i32_e32 vcc_lo, s10, v4
	s_and_b32 s3, s1, vcc_lo
	s_and_saveexec_b32 s2, s3
	s_cbranch_execz .LBB144_4
; %bb.3:
	global_load_u16 v4, v[2:3], off offset:64
	s_waitcnt vmcnt(0)
	v_lshlrev_b32_e32 v6, 16, v4
.LBB144_4:
	s_or_b32 exec_lo, exec_lo, s2
	v_cmp_lt_i32_e64 s2, 1, v5
	v_mov_b32_e32 v4, 0xff800000
	v_mov_b32_e32 v8, 0xff800000
	s_delay_alu instid0(VALU_DEP_3) | instskip(NEXT) | instid1(SALU_CYCLE_1)
	s_and_b32 s3, s2, s0
	s_and_saveexec_b32 s6, s3
	s_cbranch_execz .LBB144_6
; %bb.5:
	s_mov_b32 s11, 0
	s_delay_alu instid0(SALU_CYCLE_1) | instskip(NEXT) | instid1(SALU_CYCLE_1)
	s_lshl_b64 s[8:9], s[10:11], 1
	v_add_co_u32 v8, s3, v2, s8
	s_delay_alu instid0(VALU_DEP_1)
	v_add_co_ci_u32_e64 v9, s3, s9, v3, s3
	global_load_u16 v8, v[8:9], off
	s_waitcnt vmcnt(0)
	v_lshlrev_b32_e32 v8, 16, v8
.LBB144_6:
	s_or_b32 exec_lo, exec_lo, s6
	s_and_b32 s2, s2, vcc_lo
	s_delay_alu instid0(SALU_CYCLE_1)
	s_and_saveexec_b32 s3, s2
	s_cbranch_execz .LBB144_8
; %bb.7:
	s_mov_b32 s11, 0
	s_delay_alu instid0(SALU_CYCLE_1) | instskip(NEXT) | instid1(SALU_CYCLE_1)
	s_lshl_b64 s[6:7], s[10:11], 1
	v_add_co_u32 v2, s2, v2, s6
	s_delay_alu instid0(VALU_DEP_1)
	v_add_co_ci_u32_e64 v3, s2, s7, v3, s2
	global_load_u16 v2, v[2:3], off offset:64
	s_waitcnt vmcnt(0)
	v_lshlrev_b32_e32 v4, 16, v2
.LBB144_8:
	s_or_b32 exec_lo, exec_lo, s3
	v_mbcnt_lo_u32_b32 v2, -1, 0
	s_delay_alu instid0(VALU_DEP_1)
	v_xor_b32_e32 v3, 16, v2
	v_xor_b32_e32 v13, 8, v2
	;; [unrolled: 1-line block ×5, first 2 shown]
	v_cmp_gt_i32_e64 s2, 32, v3
	s_delay_alu instid0(VALU_DEP_1) | instskip(SKIP_1) | instid1(VALU_DEP_2)
	v_cndmask_b32_e64 v3, v2, v3, s2
	v_cmp_gt_f32_e64 s2, v7, v6
	v_lshlrev_b32_e32 v10, 2, v3
	s_delay_alu instid0(VALU_DEP_2)
	v_cndmask_b32_e64 v9, v6, v7, s2
	v_cmp_gt_f32_e64 s2, v8, v4
	ds_bpermute_b32 v11, v10, v9
	v_cndmask_b32_e64 v3, v4, v8, s2
	v_cmp_gt_i32_e64 s2, 32, v13
	ds_bpermute_b32 v12, v10, v3
	v_cndmask_b32_e64 v13, v2, v13, s2
	s_delay_alu instid0(VALU_DEP_1) | instskip(SKIP_2) | instid1(VALU_DEP_1)
	v_lshlrev_b32_e32 v13, 2, v13
	s_waitcnt lgkmcnt(1)
	v_cmp_lt_f32_e64 s2, v9, v11
	v_cndmask_b32_e64 v9, v9, v11, s2
	s_waitcnt lgkmcnt(0)
	v_cmp_lt_f32_e64 s2, v3, v12
	ds_bpermute_b32 v11, v13, v9
	v_cndmask_b32_e64 v3, v3, v12, s2
	v_cmp_gt_i32_e64 s2, 32, v14
	ds_bpermute_b32 v12, v13, v3
	v_cndmask_b32_e64 v14, v2, v14, s2
	s_delay_alu instid0(VALU_DEP_1) | instskip(SKIP_2) | instid1(VALU_DEP_1)
	v_lshlrev_b32_e32 v14, 2, v14
	s_waitcnt lgkmcnt(1)
	v_cmp_lt_f32_e64 s2, v9, v11
	v_cndmask_b32_e64 v9, v9, v11, s2
	s_waitcnt lgkmcnt(0)
	v_cmp_lt_f32_e64 s2, v3, v12
	;; [unrolled: 12-line block ×4, first 2 shown]
	ds_bpermute_b32 v9, v16, v2
	v_cndmask_b32_e64 v3, v3, v12, s2
	ds_bpermute_b32 v11, v16, v3
	s_waitcnt lgkmcnt(1)
	v_cmp_lt_f32_e64 s2, v2, v9
	s_delay_alu instid0(VALU_DEP_1) | instskip(SKIP_2) | instid1(VALU_DEP_2)
	v_cndmask_b32_e64 v2, v2, v9, s2
	s_waitcnt lgkmcnt(0)
	v_cmp_lt_f32_e64 s2, v3, v11
	v_sub_f32_e32 v7, v7, v2
	s_delay_alu instid0(VALU_DEP_2) | instskip(SKIP_1) | instid1(VALU_DEP_3)
	v_cndmask_b32_e64 v9, v3, v11, s2
	v_sub_f32_e32 v6, v6, v2
	v_cmp_ngt_f32_e64 s2, 0xc2ce8ed0, v7
	s_delay_alu instid0(VALU_DEP_3) | instskip(SKIP_2) | instid1(VALU_DEP_3)
	v_sub_f32_e32 v3, v8, v9
	v_sub_f32_e32 v2, v4, v9
	v_mul_f32_e32 v4, 0x3fb8aa3b, v7
	v_mul_f32_e32 v9, 0x3fb8aa3b, v3
	s_delay_alu instid0(VALU_DEP_3) | instskip(NEXT) | instid1(VALU_DEP_3)
	v_mul_f32_e32 v11, 0x3fb8aa3b, v2
	v_fma_f32 v12, 0x3fb8aa3b, v7, -v4
	v_rndne_f32_e32 v17, v4
	s_delay_alu instid0(VALU_DEP_4)
	v_fma_f32 v20, 0x3fb8aa3b, v3, -v9
	v_rndne_f32_e32 v21, v9
	v_mul_f32_e32 v8, 0x3fb8aa3b, v6
	v_fma_f32 v22, 0x3fb8aa3b, v2, -v11
	v_rndne_f32_e32 v23, v11
	v_sub_f32_e32 v4, v4, v17
	v_dual_fmac_f32 v20, 0x32a5705f, v3 :: v_dual_sub_f32 v9, v9, v21
	v_fma_f32 v18, 0x3fb8aa3b, v6, -v8
	s_delay_alu instid0(VALU_DEP_4) | instskip(SKIP_1) | instid1(VALU_DEP_4)
	v_sub_f32_e32 v11, v11, v23
	v_rndne_f32_e32 v19, v8
	v_dual_fmac_f32 v12, 0x32a5705f, v7 :: v_dual_add_f32 v9, v9, v20
	s_delay_alu instid0(VALU_DEP_4) | instskip(SKIP_1) | instid1(VALU_DEP_4)
	v_fmac_f32_e32 v18, 0x32a5705f, v6
	v_fmac_f32_e32 v22, 0x32a5705f, v2
	v_sub_f32_e32 v8, v8, v19
	s_delay_alu instid0(VALU_DEP_4)
	v_add_f32_e32 v4, v4, v12
	v_cvt_i32_f32_e32 v12, v17
	v_exp_f32_e32 v9, v9
	v_add_f32_e32 v11, v11, v22
	v_add_f32_e32 v8, v8, v18
	v_exp_f32_e32 v4, v4
	v_cvt_i32_f32_e32 v17, v19
	v_cvt_i32_f32_e32 v18, v21
	v_exp_f32_e32 v11, v11
	v_exp_f32_e32 v8, v8
	v_cvt_i32_f32_e32 v19, v23
	s_delay_alu instid0(VALU_DEP_2) | instskip(NEXT) | instid1(TRANS32_DEP_3)
	v_ldexp_f32 v9, v9, v18
	v_ldexp_f32 v4, v4, v12
	s_waitcnt_depctr 0xfff
	v_ldexp_f32 v11, v11, v19
	v_ldexp_f32 v8, v8, v17
	v_cndmask_b32_e64 v4, 0, v4, s2
	v_cmp_ngt_f32_e64 s2, 0xc2ce8ed0, v6
	s_delay_alu instid0(VALU_DEP_1) | instskip(SKIP_1) | instid1(VALU_DEP_1)
	v_cndmask_b32_e64 v8, 0, v8, s2
	v_cmp_ngt_f32_e64 s2, 0xc2ce8ed0, v3
	v_cndmask_b32_e64 v9, 0, v9, s2
	v_cmp_ngt_f32_e64 s2, 0xc2ce8ed0, v2
	s_delay_alu instid0(VALU_DEP_1) | instskip(SKIP_1) | instid1(VALU_DEP_1)
	v_cndmask_b32_e64 v11, 0, v11, s2
	v_cmp_nlt_f32_e64 s2, 0x42b17218, v7
	v_cndmask_b32_e64 v4, 0x7f800000, v4, s2
	v_cmp_nlt_f32_e64 s2, 0x42b17218, v6
	s_delay_alu instid0(VALU_DEP_1) | instskip(SKIP_1) | instid1(VALU_DEP_2)
	v_cndmask_b32_e64 v8, 0x7f800000, v8, s2
	v_cmp_nlt_f32_e64 s2, 0x42b17218, v3
	v_add_f32_e32 v4, v4, v8
	s_delay_alu instid0(VALU_DEP_2) | instskip(SKIP_1) | instid1(VALU_DEP_1)
	v_cndmask_b32_e64 v9, 0x7f800000, v9, s2
	v_cmp_nlt_f32_e64 s2, 0x42b17218, v2
	v_cndmask_b32_e64 v11, 0x7f800000, v11, s2
	s_delay_alu instid0(VALU_DEP_1)
	v_add_f32_e32 v8, v9, v11
	ds_bpermute_b32 v9, v10, v4
	ds_bpermute_b32 v10, v10, v8
	s_waitcnt lgkmcnt(1)
	v_add_f32_e32 v4, v4, v9
	s_waitcnt lgkmcnt(0)
	v_add_f32_e32 v8, v8, v10
	ds_bpermute_b32 v9, v13, v4
	ds_bpermute_b32 v10, v13, v8
	s_waitcnt lgkmcnt(1)
	v_add_f32_e32 v4, v4, v9
	s_waitcnt lgkmcnt(0)
	;; [unrolled: 6-line block ×4, first 2 shown]
	v_add_f32_e32 v4, v8, v10
	ds_bpermute_b32 v10, v16, v9
	ds_bpermute_b32 v8, v16, v4
	s_and_saveexec_b32 s2, s1
	s_cbranch_execz .LBB144_16
; %bb.9:
	v_add_co_u32 v0, s1, s4, v0
	s_delay_alu instid0(VALU_DEP_1)
	v_add_co_ci_u32_e64 v1, s1, s5, v1, s1
	s_and_saveexec_b32 s3, s0
	s_cbranch_execz .LBB144_12
; %bb.10:
	s_waitcnt lgkmcnt(1)
	v_add_f32_e32 v9, v9, v10
	s_delay_alu instid0(VALU_DEP_1) | instskip(NEXT) | instid1(VALU_DEP_1)
	v_cmp_gt_f32_e64 s1, 0x800000, v9
	v_cndmask_b32_e64 v10, 1.0, 0x4f800000, s1
	s_delay_alu instid0(VALU_DEP_1) | instskip(NEXT) | instid1(VALU_DEP_1)
	v_mul_f32_e32 v9, v9, v10
	v_log_f32_e32 v9, v9
	s_waitcnt_depctr 0xfff
	v_mul_f32_e32 v10, 0x3f317217, v9
	v_cmp_gt_f32_e64 s2, 0x7f800000, |v9|
	s_delay_alu instid0(VALU_DEP_2) | instskip(NEXT) | instid1(VALU_DEP_1)
	v_fma_f32 v11, 0x3f317217, v9, -v10
	v_fmamk_f32 v11, v9, 0x3377d1cf, v11
	s_delay_alu instid0(VALU_DEP_1) | instskip(NEXT) | instid1(VALU_DEP_1)
	v_add_f32_e32 v10, v10, v11
	v_cndmask_b32_e64 v9, v9, v10, s2
	v_cndmask_b32_e64 v10, 0, 0x41b17218, s1
	s_delay_alu instid0(VALU_DEP_1) | instskip(NEXT) | instid1(VALU_DEP_1)
	v_sub_f32_e32 v9, v9, v10
	v_sub_f32_e32 v7, v7, v9
	s_delay_alu instid0(VALU_DEP_1) | instskip(SKIP_1) | instid1(VALU_DEP_2)
	v_bfe_u32 v10, v7, 16, 1
	v_cmp_o_f32_e64 s1, v7, v7
	v_add3_u32 v10, v7, v10, 0x7fff
	s_delay_alu instid0(VALU_DEP_1) | instskip(NEXT) | instid1(VALU_DEP_1)
	v_lshrrev_b32_e32 v10, 16, v10
	v_cndmask_b32_e64 v7, 0x7fc0, v10, s1
	global_store_b16 v[0:1], v7, off
	s_and_b32 exec_lo, exec_lo, vcc_lo
	s_cbranch_execz .LBB144_12
; %bb.11:
	v_sub_f32_e32 v6, v6, v9
	s_delay_alu instid0(VALU_DEP_1) | instskip(SKIP_1) | instid1(VALU_DEP_2)
	v_bfe_u32 v7, v6, 16, 1
	v_cmp_o_f32_e64 s1, v6, v6
	v_add3_u32 v7, v6, v7, 0x7fff
	s_delay_alu instid0(VALU_DEP_1) | instskip(NEXT) | instid1(VALU_DEP_1)
	v_lshrrev_b32_e32 v7, 16, v7
	v_cndmask_b32_e64 v6, 0x7fc0, v7, s1
	global_store_b16 v[0:1], v6, off offset:64
.LBB144_12:
	s_or_b32 exec_lo, exec_lo, s3
	v_cmp_ne_u32_e64 s1, 1, v5
	s_delay_alu instid0(VALU_DEP_1)
	s_and_b32 exec_lo, exec_lo, s1
	s_cbranch_execz .LBB144_16
; %bb.13:
	s_and_b32 exec_lo, exec_lo, s0
	s_cbranch_execz .LBB144_16
; %bb.14:
	s_waitcnt lgkmcnt(0)
	v_add_f32_e32 v4, v4, v8
	s_mov_b32 s11, 0
	s_delay_alu instid0(SALU_CYCLE_1) | instskip(NEXT) | instid1(VALU_DEP_1)
	s_lshl_b64 s[2:3], s[10:11], 1
	v_cmp_gt_f32_e64 s0, 0x800000, v4
	s_delay_alu instid0(VALU_DEP_1) | instskip(NEXT) | instid1(VALU_DEP_1)
	v_cndmask_b32_e64 v5, 1.0, 0x4f800000, s0
	v_mul_f32_e32 v4, v4, v5
	s_delay_alu instid0(VALU_DEP_1) | instskip(SKIP_2) | instid1(VALU_DEP_1)
	v_log_f32_e32 v4, v4
	s_waitcnt_depctr 0xfff
	v_mul_f32_e32 v5, 0x3f317217, v4
	v_fma_f32 v6, 0x3f317217, v4, -v5
	s_delay_alu instid0(VALU_DEP_1) | instskip(NEXT) | instid1(VALU_DEP_1)
	v_fmamk_f32 v6, v4, 0x3377d1cf, v6
	v_add_f32_e32 v5, v5, v6
	v_cndmask_b32_e64 v6, 0, 0x41b17218, s0
	v_cmp_gt_f32_e64 s0, 0x7f800000, |v4|
	s_delay_alu instid0(VALU_DEP_1) | instskip(NEXT) | instid1(VALU_DEP_1)
	v_cndmask_b32_e64 v4, v4, v5, s0
	v_sub_f32_e32 v4, v4, v6
	s_delay_alu instid0(VALU_DEP_1) | instskip(NEXT) | instid1(VALU_DEP_1)
	v_sub_f32_e32 v3, v3, v4
	v_bfe_u32 v5, v3, 16, 1
	v_cmp_o_f32_e64 s0, v3, v3
	s_delay_alu instid0(VALU_DEP_2) | instskip(NEXT) | instid1(VALU_DEP_1)
	v_add3_u32 v5, v3, v5, 0x7fff
	v_lshrrev_b32_e32 v5, 16, v5
	s_delay_alu instid0(VALU_DEP_1) | instskip(SKIP_1) | instid1(VALU_DEP_1)
	v_cndmask_b32_e64 v3, 0x7fc0, v5, s0
	v_add_co_u32 v5, s0, v0, s2
	v_add_co_ci_u32_e64 v6, s0, s3, v1, s0
	global_store_b16 v[5:6], v3, off
	s_and_b32 exec_lo, exec_lo, vcc_lo
	s_cbranch_execz .LBB144_16
; %bb.15:
	v_sub_f32_e32 v2, v2, v4
	s_ashr_i32 s11, s10, 31
	s_delay_alu instid0(SALU_CYCLE_1) | instskip(NEXT) | instid1(VALU_DEP_1)
	s_lshl_b64 s[0:1], s[10:11], 1
	v_bfe_u32 v3, v2, 16, 1
	v_cmp_o_f32_e32 vcc_lo, v2, v2
	s_delay_alu instid0(VALU_DEP_2) | instskip(NEXT) | instid1(VALU_DEP_1)
	v_add3_u32 v3, v2, v3, 0x7fff
	v_lshrrev_b32_e32 v3, 16, v3
	s_delay_alu instid0(VALU_DEP_1)
	v_cndmask_b32_e32 v2, 0x7fc0, v3, vcc_lo
	v_add_co_u32 v0, vcc_lo, v0, s0
	v_add_co_ci_u32_e32 v1, vcc_lo, s1, v1, vcc_lo
	global_store_b16 v[0:1], v2, off offset:64
.LBB144_16:
	s_nop 0
	s_sendmsg sendmsg(MSG_DEALLOC_VGPRS)
	s_endpgm
	.section	.rodata,"a",@progbits
	.p2align	6, 0x0
	.amdhsa_kernel _ZN12_GLOBAL__N_120softmax_warp_forwardIN3c108BFloat16ES2_fLi6ELb1ELb0ELi32EEEvPT0_PKT_iiiPKbib
		.amdhsa_group_segment_fixed_size 0
		.amdhsa_private_segment_fixed_size 0
		.amdhsa_kernarg_size 304
		.amdhsa_user_sgpr_count 15
		.amdhsa_user_sgpr_dispatch_ptr 0
		.amdhsa_user_sgpr_queue_ptr 0
		.amdhsa_user_sgpr_kernarg_segment_ptr 1
		.amdhsa_user_sgpr_dispatch_id 0
		.amdhsa_user_sgpr_private_segment_size 0
		.amdhsa_wavefront_size32 1
		.amdhsa_uses_dynamic_stack 0
		.amdhsa_enable_private_segment 0
		.amdhsa_system_sgpr_workgroup_id_x 1
		.amdhsa_system_sgpr_workgroup_id_y 0
		.amdhsa_system_sgpr_workgroup_id_z 0
		.amdhsa_system_sgpr_workgroup_info 0
		.amdhsa_system_vgpr_workitem_id 1
		.amdhsa_next_free_vgpr 24
		.amdhsa_next_free_sgpr 16
		.amdhsa_reserve_vcc 1
		.amdhsa_float_round_mode_32 0
		.amdhsa_float_round_mode_16_64 0
		.amdhsa_float_denorm_mode_32 3
		.amdhsa_float_denorm_mode_16_64 3
		.amdhsa_dx10_clamp 1
		.amdhsa_ieee_mode 1
		.amdhsa_fp16_overflow 0
		.amdhsa_workgroup_processor_mode 1
		.amdhsa_memory_ordered 1
		.amdhsa_forward_progress 0
		.amdhsa_shared_vgpr_count 0
		.amdhsa_exception_fp_ieee_invalid_op 0
		.amdhsa_exception_fp_denorm_src 0
		.amdhsa_exception_fp_ieee_div_zero 0
		.amdhsa_exception_fp_ieee_overflow 0
		.amdhsa_exception_fp_ieee_underflow 0
		.amdhsa_exception_fp_ieee_inexact 0
		.amdhsa_exception_int_div_zero 0
	.end_amdhsa_kernel
	.section	.text._ZN12_GLOBAL__N_120softmax_warp_forwardIN3c108BFloat16ES2_fLi6ELb1ELb0ELi32EEEvPT0_PKT_iiiPKbib,"axG",@progbits,_ZN12_GLOBAL__N_120softmax_warp_forwardIN3c108BFloat16ES2_fLi6ELb1ELb0ELi32EEEvPT0_PKT_iiiPKbib,comdat
.Lfunc_end144:
	.size	_ZN12_GLOBAL__N_120softmax_warp_forwardIN3c108BFloat16ES2_fLi6ELb1ELb0ELi32EEEvPT0_PKT_iiiPKbib, .Lfunc_end144-_ZN12_GLOBAL__N_120softmax_warp_forwardIN3c108BFloat16ES2_fLi6ELb1ELb0ELi32EEEvPT0_PKT_iiiPKbib
                                        ; -- End function
	.section	.AMDGPU.csdata,"",@progbits
; Kernel info:
; codeLenInByte = 2128
; NumSgprs: 18
; NumVgprs: 24
; ScratchSize: 0
; MemoryBound: 0
; FloatMode: 240
; IeeeMode: 1
; LDSByteSize: 0 bytes/workgroup (compile time only)
; SGPRBlocks: 2
; VGPRBlocks: 2
; NumSGPRsForWavesPerEU: 18
; NumVGPRsForWavesPerEU: 24
; Occupancy: 16
; WaveLimiterHint : 0
; COMPUTE_PGM_RSRC2:SCRATCH_EN: 0
; COMPUTE_PGM_RSRC2:USER_SGPR: 15
; COMPUTE_PGM_RSRC2:TRAP_HANDLER: 0
; COMPUTE_PGM_RSRC2:TGID_X_EN: 1
; COMPUTE_PGM_RSRC2:TGID_Y_EN: 0
; COMPUTE_PGM_RSRC2:TGID_Z_EN: 0
; COMPUTE_PGM_RSRC2:TIDIG_COMP_CNT: 1
	.section	.text._ZN12_GLOBAL__N_120softmax_warp_forwardIN3c108BFloat16ES2_fLi7ELb1ELb0ELi64EEEvPT0_PKT_iiiPKbib,"axG",@progbits,_ZN12_GLOBAL__N_120softmax_warp_forwardIN3c108BFloat16ES2_fLi7ELb1ELb0ELi64EEEvPT0_PKT_iiiPKbib,comdat
	.globl	_ZN12_GLOBAL__N_120softmax_warp_forwardIN3c108BFloat16ES2_fLi7ELb1ELb0ELi64EEEvPT0_PKT_iiiPKbib ; -- Begin function _ZN12_GLOBAL__N_120softmax_warp_forwardIN3c108BFloat16ES2_fLi7ELb1ELb0ELi64EEEvPT0_PKT_iiiPKbib
	.p2align	8
	.type	_ZN12_GLOBAL__N_120softmax_warp_forwardIN3c108BFloat16ES2_fLi7ELb1ELb0ELi64EEEvPT0_PKT_iiiPKbib,@function
_ZN12_GLOBAL__N_120softmax_warp_forwardIN3c108BFloat16ES2_fLi7ELb1ELb0ELi64EEEvPT0_PKT_iiiPKbib: ; @_ZN12_GLOBAL__N_120softmax_warp_forwardIN3c108BFloat16ES2_fLi7ELb1ELb0ELi64EEEvPT0_PKT_iiiPKbib
; %bb.0:
	s_clause 0x1
	s_load_b32 s2, s[0:1], 0x3c
	s_load_b256 s[4:11], s[0:1], 0x0
	v_bfe_u32 v1, v0, 10, 10
	v_and_b32_e32 v4, 0x3ff, v0
	v_dual_mov_b32 v6, 0xff800000 :: v_dual_mov_b32 v7, 0xff800000
	s_waitcnt lgkmcnt(0)
	s_lshr_b32 s0, s2, 16
	s_delay_alu instid0(SALU_CYCLE_1) | instskip(SKIP_2) | instid1(VALU_DEP_1)
	s_mul_i32 s15, s15, s0
	v_cmp_gt_i32_e64 s0, s10, v4
	v_add_lshl_u32 v2, s15, v1, 1
	v_mad_u64_u32 v[0:1], null, v2, s9, v[4:5]
	v_sub_nc_u32_e32 v5, s8, v2
	s_delay_alu instid0(VALU_DEP_1) | instskip(NEXT) | instid1(VALU_DEP_3)
	v_cmp_lt_i32_e64 s1, 0, v5
	v_ashrrev_i32_e32 v1, 31, v0
	s_delay_alu instid0(VALU_DEP_2) | instskip(NEXT) | instid1(VALU_DEP_1)
	s_and_b32 s3, s1, s0
	v_lshlrev_b64 v[0:1], 1, v[0:1]
	s_delay_alu instid0(VALU_DEP_1) | instskip(NEXT) | instid1(VALU_DEP_2)
	v_add_co_u32 v2, vcc_lo, s6, v0
	v_add_co_ci_u32_e32 v3, vcc_lo, s7, v1, vcc_lo
	s_and_saveexec_b32 s2, s3
	s_cbranch_execz .LBB145_2
; %bb.1:
	global_load_u16 v7, v[2:3], off
	s_waitcnt vmcnt(0)
	v_lshlrev_b32_e32 v7, 16, v7
.LBB145_2:
	s_or_b32 exec_lo, exec_lo, s2
	v_add_nc_u32_e32 v4, 64, v4
	s_delay_alu instid0(VALU_DEP_1) | instskip(SKIP_1) | instid1(SALU_CYCLE_1)
	v_cmp_gt_i32_e32 vcc_lo, s10, v4
	s_and_b32 s3, s1, vcc_lo
	s_and_saveexec_b32 s2, s3
	s_cbranch_execz .LBB145_4
; %bb.3:
	global_load_u16 v4, v[2:3], off offset:128
	s_waitcnt vmcnt(0)
	v_lshlrev_b32_e32 v6, 16, v4
.LBB145_4:
	s_or_b32 exec_lo, exec_lo, s2
	v_cmp_lt_i32_e64 s2, 1, v5
	v_mov_b32_e32 v4, 0xff800000
	v_mov_b32_e32 v8, 0xff800000
	s_delay_alu instid0(VALU_DEP_3) | instskip(NEXT) | instid1(SALU_CYCLE_1)
	s_and_b32 s3, s2, s0
	s_and_saveexec_b32 s6, s3
	s_cbranch_execz .LBB145_6
; %bb.5:
	s_mov_b32 s11, 0
	s_delay_alu instid0(SALU_CYCLE_1) | instskip(NEXT) | instid1(SALU_CYCLE_1)
	s_lshl_b64 s[8:9], s[10:11], 1
	v_add_co_u32 v8, s3, v2, s8
	s_delay_alu instid0(VALU_DEP_1)
	v_add_co_ci_u32_e64 v9, s3, s9, v3, s3
	global_load_u16 v8, v[8:9], off
	s_waitcnt vmcnt(0)
	v_lshlrev_b32_e32 v8, 16, v8
.LBB145_6:
	s_or_b32 exec_lo, exec_lo, s6
	s_and_b32 s2, s2, vcc_lo
	s_delay_alu instid0(SALU_CYCLE_1)
	s_and_saveexec_b32 s3, s2
	s_cbranch_execz .LBB145_8
; %bb.7:
	s_mov_b32 s11, 0
	s_delay_alu instid0(SALU_CYCLE_1) | instskip(NEXT) | instid1(SALU_CYCLE_1)
	s_lshl_b64 s[6:7], s[10:11], 1
	v_add_co_u32 v2, s2, v2, s6
	s_delay_alu instid0(VALU_DEP_1)
	v_add_co_ci_u32_e64 v3, s2, s7, v3, s2
	global_load_u16 v2, v[2:3], off offset:128
	s_waitcnt vmcnt(0)
	v_lshlrev_b32_e32 v4, 16, v2
.LBB145_8:
	s_or_b32 exec_lo, exec_lo, s3
	v_mbcnt_lo_u32_b32 v2, -1, 0
	s_delay_alu instid0(VALU_DEP_1)
	v_or_b32_e32 v3, 32, v2
	v_xor_b32_e32 v13, 16, v2
	v_xor_b32_e32 v14, 8, v2
	v_xor_b32_e32 v15, 4, v2
	v_xor_b32_e32 v16, 2, v2
	v_cmp_gt_i32_e64 s2, 64, v3
	v_xor_b32_e32 v17, 1, v2
	s_delay_alu instid0(VALU_DEP_2) | instskip(SKIP_1) | instid1(VALU_DEP_2)
	v_cndmask_b32_e64 v3, v2, v3, s2
	v_cmp_gt_f32_e64 s2, v7, v6
	v_lshlrev_b32_e32 v10, 2, v3
	s_delay_alu instid0(VALU_DEP_2)
	v_cndmask_b32_e64 v9, v6, v7, s2
	v_cmp_gt_f32_e64 s2, v8, v4
	ds_bpermute_b32 v11, v10, v9
	v_cndmask_b32_e64 v3, v4, v8, s2
	v_cmp_gt_i32_e64 s2, 64, v13
	ds_bpermute_b32 v12, v10, v3
	v_cndmask_b32_e64 v13, v2, v13, s2
	s_delay_alu instid0(VALU_DEP_1) | instskip(SKIP_2) | instid1(VALU_DEP_1)
	v_lshlrev_b32_e32 v13, 2, v13
	s_waitcnt lgkmcnt(1)
	v_cmp_lt_f32_e64 s2, v9, v11
	v_cndmask_b32_e64 v9, v9, v11, s2
	s_waitcnt lgkmcnt(0)
	v_cmp_lt_f32_e64 s2, v3, v12
	ds_bpermute_b32 v11, v13, v9
	v_cndmask_b32_e64 v3, v3, v12, s2
	v_cmp_gt_i32_e64 s2, 64, v14
	ds_bpermute_b32 v12, v13, v3
	v_cndmask_b32_e64 v14, v2, v14, s2
	s_delay_alu instid0(VALU_DEP_1) | instskip(SKIP_2) | instid1(VALU_DEP_1)
	v_lshlrev_b32_e32 v14, 2, v14
	s_waitcnt lgkmcnt(1)
	v_cmp_lt_f32_e64 s2, v9, v11
	v_cndmask_b32_e64 v9, v9, v11, s2
	s_waitcnt lgkmcnt(0)
	v_cmp_lt_f32_e64 s2, v3, v12
	;; [unrolled: 12-line block ×5, first 2 shown]
	ds_bpermute_b32 v9, v17, v2
	v_cndmask_b32_e64 v3, v3, v12, s2
	ds_bpermute_b32 v11, v17, v3
	s_waitcnt lgkmcnt(1)
	v_cmp_lt_f32_e64 s2, v2, v9
	s_delay_alu instid0(VALU_DEP_1) | instskip(SKIP_2) | instid1(VALU_DEP_2)
	v_cndmask_b32_e64 v2, v2, v9, s2
	s_waitcnt lgkmcnt(0)
	v_cmp_lt_f32_e64 s2, v3, v11
	v_sub_f32_e32 v7, v7, v2
	s_delay_alu instid0(VALU_DEP_2) | instskip(SKIP_1) | instid1(VALU_DEP_3)
	v_cndmask_b32_e64 v9, v3, v11, s2
	v_sub_f32_e32 v6, v6, v2
	v_cmp_ngt_f32_e64 s2, 0xc2ce8ed0, v7
	s_delay_alu instid0(VALU_DEP_3) | instskip(SKIP_1) | instid1(VALU_DEP_2)
	v_sub_f32_e32 v2, v4, v9
	v_dual_mul_f32 v4, 0x3fb8aa3b, v7 :: v_dual_sub_f32 v3, v8, v9
	v_mul_f32_e32 v11, 0x3fb8aa3b, v2
	s_delay_alu instid0(VALU_DEP_2) | instskip(NEXT) | instid1(VALU_DEP_3)
	v_fma_f32 v12, 0x3fb8aa3b, v7, -v4
	v_mul_f32_e32 v9, 0x3fb8aa3b, v3
	v_rndne_f32_e32 v18, v4
	s_delay_alu instid0(VALU_DEP_4) | instskip(SKIP_1) | instid1(VALU_DEP_4)
	v_rndne_f32_e32 v24, v11
	v_mul_f32_e32 v8, 0x3fb8aa3b, v6
	v_fma_f32 v21, 0x3fb8aa3b, v3, -v9
	v_rndne_f32_e32 v22, v9
	v_fma_f32 v23, 0x3fb8aa3b, v2, -v11
	v_sub_f32_e32 v11, v11, v24
	v_fma_f32 v19, 0x3fb8aa3b, v6, -v8
	v_rndne_f32_e32 v20, v8
	v_fmac_f32_e32 v12, 0x32a5705f, v7
	v_dual_sub_f32 v4, v4, v18 :: v_dual_fmac_f32 v21, 0x32a5705f, v3
	s_delay_alu instid0(VALU_DEP_3) | instskip(NEXT) | instid1(VALU_DEP_2)
	v_dual_fmac_f32 v19, 0x32a5705f, v6 :: v_dual_sub_f32 v8, v8, v20
	v_dual_sub_f32 v9, v9, v22 :: v_dual_add_f32 v4, v4, v12
	v_fmac_f32_e32 v23, 0x32a5705f, v2
	v_cvt_i32_f32_e32 v12, v18
	s_delay_alu instid0(VALU_DEP_3) | instskip(NEXT) | instid1(VALU_DEP_4)
	v_dual_add_f32 v8, v8, v19 :: v_dual_add_f32 v9, v9, v21
	v_exp_f32_e32 v4, v4
	s_delay_alu instid0(VALU_DEP_3) | instskip(SKIP_1) | instid1(VALU_DEP_3)
	v_add_f32_e32 v11, v11, v23
	v_cvt_i32_f32_e32 v18, v20
	v_exp_f32_e32 v8, v8
	v_exp_f32_e32 v9, v9
	v_cvt_i32_f32_e32 v19, v22
	v_exp_f32_e32 v11, v11
	v_cvt_i32_f32_e32 v20, v24
	v_ldexp_f32 v4, v4, v12
	s_delay_alu instid0(TRANS32_DEP_3)
	v_ldexp_f32 v8, v8, v18
	s_waitcnt_depctr 0xfff
	v_ldexp_f32 v9, v9, v19
	v_cndmask_b32_e64 v4, 0, v4, s2
	v_cmp_ngt_f32_e64 s2, 0xc2ce8ed0, v6
	v_ldexp_f32 v11, v11, v20
	s_delay_alu instid0(VALU_DEP_2) | instskip(SKIP_1) | instid1(VALU_DEP_1)
	v_cndmask_b32_e64 v8, 0, v8, s2
	v_cmp_ngt_f32_e64 s2, 0xc2ce8ed0, v3
	v_cndmask_b32_e64 v9, 0, v9, s2
	v_cmp_ngt_f32_e64 s2, 0xc2ce8ed0, v2
	s_delay_alu instid0(VALU_DEP_1) | instskip(SKIP_1) | instid1(VALU_DEP_1)
	v_cndmask_b32_e64 v11, 0, v11, s2
	v_cmp_nlt_f32_e64 s2, 0x42b17218, v7
	v_cndmask_b32_e64 v4, 0x7f800000, v4, s2
	v_cmp_nlt_f32_e64 s2, 0x42b17218, v6
	s_delay_alu instid0(VALU_DEP_1) | instskip(SKIP_1) | instid1(VALU_DEP_2)
	v_cndmask_b32_e64 v8, 0x7f800000, v8, s2
	v_cmp_nlt_f32_e64 s2, 0x42b17218, v3
	v_add_f32_e32 v4, v4, v8
	s_delay_alu instid0(VALU_DEP_2) | instskip(SKIP_1) | instid1(VALU_DEP_1)
	v_cndmask_b32_e64 v9, 0x7f800000, v9, s2
	v_cmp_nlt_f32_e64 s2, 0x42b17218, v2
	v_cndmask_b32_e64 v11, 0x7f800000, v11, s2
	s_delay_alu instid0(VALU_DEP_1)
	v_add_f32_e32 v8, v9, v11
	ds_bpermute_b32 v9, v10, v4
	s_waitcnt lgkmcnt(0)
	v_add_f32_e32 v4, v4, v9
	ds_bpermute_b32 v9, v13, v4
	s_waitcnt lgkmcnt(0)
	;; [unrolled: 3-line block ×10, first 2 shown]
	v_add_f32_e32 v4, v8, v10
	ds_bpermute_b32 v10, v17, v9
	ds_bpermute_b32 v8, v17, v4
	s_and_saveexec_b32 s2, s1
	s_cbranch_execz .LBB145_16
; %bb.9:
	v_add_co_u32 v0, s1, s4, v0
	s_delay_alu instid0(VALU_DEP_1)
	v_add_co_ci_u32_e64 v1, s1, s5, v1, s1
	s_and_saveexec_b32 s3, s0
	s_cbranch_execz .LBB145_12
; %bb.10:
	s_waitcnt lgkmcnt(1)
	v_add_f32_e32 v9, v9, v10
	s_delay_alu instid0(VALU_DEP_1) | instskip(NEXT) | instid1(VALU_DEP_1)
	v_cmp_gt_f32_e64 s1, 0x800000, v9
	v_cndmask_b32_e64 v10, 1.0, 0x4f800000, s1
	s_delay_alu instid0(VALU_DEP_1) | instskip(NEXT) | instid1(VALU_DEP_1)
	v_mul_f32_e32 v9, v9, v10
	v_log_f32_e32 v9, v9
	s_waitcnt_depctr 0xfff
	v_mul_f32_e32 v10, 0x3f317217, v9
	v_cmp_gt_f32_e64 s2, 0x7f800000, |v9|
	s_delay_alu instid0(VALU_DEP_2) | instskip(NEXT) | instid1(VALU_DEP_1)
	v_fma_f32 v11, 0x3f317217, v9, -v10
	v_fmamk_f32 v11, v9, 0x3377d1cf, v11
	s_delay_alu instid0(VALU_DEP_1) | instskip(NEXT) | instid1(VALU_DEP_1)
	v_add_f32_e32 v10, v10, v11
	v_cndmask_b32_e64 v9, v9, v10, s2
	v_cndmask_b32_e64 v10, 0, 0x41b17218, s1
	s_delay_alu instid0(VALU_DEP_1) | instskip(NEXT) | instid1(VALU_DEP_1)
	v_sub_f32_e32 v9, v9, v10
	v_sub_f32_e32 v7, v7, v9
	s_delay_alu instid0(VALU_DEP_1) | instskip(SKIP_1) | instid1(VALU_DEP_2)
	v_bfe_u32 v10, v7, 16, 1
	v_cmp_o_f32_e64 s1, v7, v7
	v_add3_u32 v10, v7, v10, 0x7fff
	s_delay_alu instid0(VALU_DEP_1) | instskip(NEXT) | instid1(VALU_DEP_1)
	v_lshrrev_b32_e32 v10, 16, v10
	v_cndmask_b32_e64 v7, 0x7fc0, v10, s1
	global_store_b16 v[0:1], v7, off
	s_and_b32 exec_lo, exec_lo, vcc_lo
	s_cbranch_execz .LBB145_12
; %bb.11:
	v_sub_f32_e32 v6, v6, v9
	s_delay_alu instid0(VALU_DEP_1) | instskip(SKIP_1) | instid1(VALU_DEP_2)
	v_bfe_u32 v7, v6, 16, 1
	v_cmp_o_f32_e64 s1, v6, v6
	v_add3_u32 v7, v6, v7, 0x7fff
	s_delay_alu instid0(VALU_DEP_1) | instskip(NEXT) | instid1(VALU_DEP_1)
	v_lshrrev_b32_e32 v7, 16, v7
	v_cndmask_b32_e64 v6, 0x7fc0, v7, s1
	global_store_b16 v[0:1], v6, off offset:128
.LBB145_12:
	s_or_b32 exec_lo, exec_lo, s3
	v_cmp_ne_u32_e64 s1, 1, v5
	s_delay_alu instid0(VALU_DEP_1)
	s_and_b32 exec_lo, exec_lo, s1
	s_cbranch_execz .LBB145_16
; %bb.13:
	s_and_b32 exec_lo, exec_lo, s0
	s_cbranch_execz .LBB145_16
; %bb.14:
	s_waitcnt lgkmcnt(0)
	v_add_f32_e32 v4, v4, v8
	s_mov_b32 s11, 0
	s_delay_alu instid0(SALU_CYCLE_1) | instskip(NEXT) | instid1(VALU_DEP_1)
	s_lshl_b64 s[2:3], s[10:11], 1
	v_cmp_gt_f32_e64 s0, 0x800000, v4
	s_delay_alu instid0(VALU_DEP_1) | instskip(NEXT) | instid1(VALU_DEP_1)
	v_cndmask_b32_e64 v5, 1.0, 0x4f800000, s0
	v_mul_f32_e32 v4, v4, v5
	s_delay_alu instid0(VALU_DEP_1) | instskip(SKIP_2) | instid1(VALU_DEP_1)
	v_log_f32_e32 v4, v4
	s_waitcnt_depctr 0xfff
	v_mul_f32_e32 v5, 0x3f317217, v4
	v_fma_f32 v6, 0x3f317217, v4, -v5
	s_delay_alu instid0(VALU_DEP_1) | instskip(NEXT) | instid1(VALU_DEP_1)
	v_fmamk_f32 v6, v4, 0x3377d1cf, v6
	v_add_f32_e32 v5, v5, v6
	v_cndmask_b32_e64 v6, 0, 0x41b17218, s0
	v_cmp_gt_f32_e64 s0, 0x7f800000, |v4|
	s_delay_alu instid0(VALU_DEP_1) | instskip(NEXT) | instid1(VALU_DEP_1)
	v_cndmask_b32_e64 v4, v4, v5, s0
	v_sub_f32_e32 v4, v4, v6
	s_delay_alu instid0(VALU_DEP_1) | instskip(NEXT) | instid1(VALU_DEP_1)
	v_sub_f32_e32 v3, v3, v4
	v_bfe_u32 v5, v3, 16, 1
	v_cmp_o_f32_e64 s0, v3, v3
	s_delay_alu instid0(VALU_DEP_2) | instskip(NEXT) | instid1(VALU_DEP_1)
	v_add3_u32 v5, v3, v5, 0x7fff
	v_lshrrev_b32_e32 v5, 16, v5
	s_delay_alu instid0(VALU_DEP_1) | instskip(SKIP_1) | instid1(VALU_DEP_1)
	v_cndmask_b32_e64 v3, 0x7fc0, v5, s0
	v_add_co_u32 v5, s0, v0, s2
	v_add_co_ci_u32_e64 v6, s0, s3, v1, s0
	global_store_b16 v[5:6], v3, off
	s_and_b32 exec_lo, exec_lo, vcc_lo
	s_cbranch_execz .LBB145_16
; %bb.15:
	v_sub_f32_e32 v2, v2, v4
	s_ashr_i32 s11, s10, 31
	s_delay_alu instid0(SALU_CYCLE_1) | instskip(NEXT) | instid1(VALU_DEP_1)
	s_lshl_b64 s[0:1], s[10:11], 1
	v_bfe_u32 v3, v2, 16, 1
	v_cmp_o_f32_e32 vcc_lo, v2, v2
	s_delay_alu instid0(VALU_DEP_2) | instskip(NEXT) | instid1(VALU_DEP_1)
	v_add3_u32 v3, v2, v3, 0x7fff
	v_lshrrev_b32_e32 v3, 16, v3
	s_delay_alu instid0(VALU_DEP_1)
	v_cndmask_b32_e32 v2, 0x7fc0, v3, vcc_lo
	v_add_co_u32 v0, vcc_lo, v0, s0
	v_add_co_ci_u32_e32 v1, vcc_lo, s1, v1, vcc_lo
	global_store_b16 v[0:1], v2, off offset:128
.LBB145_16:
	s_nop 0
	s_sendmsg sendmsg(MSG_DEALLOC_VGPRS)
	s_endpgm
	.section	.rodata,"a",@progbits
	.p2align	6, 0x0
	.amdhsa_kernel _ZN12_GLOBAL__N_120softmax_warp_forwardIN3c108BFloat16ES2_fLi7ELb1ELb0ELi64EEEvPT0_PKT_iiiPKbib
		.amdhsa_group_segment_fixed_size 0
		.amdhsa_private_segment_fixed_size 0
		.amdhsa_kernarg_size 304
		.amdhsa_user_sgpr_count 15
		.amdhsa_user_sgpr_dispatch_ptr 0
		.amdhsa_user_sgpr_queue_ptr 0
		.amdhsa_user_sgpr_kernarg_segment_ptr 1
		.amdhsa_user_sgpr_dispatch_id 0
		.amdhsa_user_sgpr_private_segment_size 0
		.amdhsa_wavefront_size32 1
		.amdhsa_uses_dynamic_stack 0
		.amdhsa_enable_private_segment 0
		.amdhsa_system_sgpr_workgroup_id_x 1
		.amdhsa_system_sgpr_workgroup_id_y 0
		.amdhsa_system_sgpr_workgroup_id_z 0
		.amdhsa_system_sgpr_workgroup_info 0
		.amdhsa_system_vgpr_workitem_id 1
		.amdhsa_next_free_vgpr 25
		.amdhsa_next_free_sgpr 16
		.amdhsa_reserve_vcc 1
		.amdhsa_float_round_mode_32 0
		.amdhsa_float_round_mode_16_64 0
		.amdhsa_float_denorm_mode_32 3
		.amdhsa_float_denorm_mode_16_64 3
		.amdhsa_dx10_clamp 1
		.amdhsa_ieee_mode 1
		.amdhsa_fp16_overflow 0
		.amdhsa_workgroup_processor_mode 1
		.amdhsa_memory_ordered 1
		.amdhsa_forward_progress 0
		.amdhsa_shared_vgpr_count 0
		.amdhsa_exception_fp_ieee_invalid_op 0
		.amdhsa_exception_fp_denorm_src 0
		.amdhsa_exception_fp_ieee_div_zero 0
		.amdhsa_exception_fp_ieee_overflow 0
		.amdhsa_exception_fp_ieee_underflow 0
		.amdhsa_exception_fp_ieee_inexact 0
		.amdhsa_exception_int_div_zero 0
	.end_amdhsa_kernel
	.section	.text._ZN12_GLOBAL__N_120softmax_warp_forwardIN3c108BFloat16ES2_fLi7ELb1ELb0ELi64EEEvPT0_PKT_iiiPKbib,"axG",@progbits,_ZN12_GLOBAL__N_120softmax_warp_forwardIN3c108BFloat16ES2_fLi7ELb1ELb0ELi64EEEvPT0_PKT_iiiPKbib,comdat
.Lfunc_end145:
	.size	_ZN12_GLOBAL__N_120softmax_warp_forwardIN3c108BFloat16ES2_fLi7ELb1ELb0ELi64EEEvPT0_PKT_iiiPKbib, .Lfunc_end145-_ZN12_GLOBAL__N_120softmax_warp_forwardIN3c108BFloat16ES2_fLi7ELb1ELb0ELi64EEEvPT0_PKT_iiiPKbib
                                        ; -- End function
	.section	.AMDGPU.csdata,"",@progbits
; Kernel info:
; codeLenInByte = 2244
; NumSgprs: 18
; NumVgprs: 25
; ScratchSize: 0
; MemoryBound: 0
; FloatMode: 240
; IeeeMode: 1
; LDSByteSize: 0 bytes/workgroup (compile time only)
; SGPRBlocks: 2
; VGPRBlocks: 3
; NumSGPRsForWavesPerEU: 18
; NumVGPRsForWavesPerEU: 25
; Occupancy: 16
; WaveLimiterHint : 0
; COMPUTE_PGM_RSRC2:SCRATCH_EN: 0
; COMPUTE_PGM_RSRC2:USER_SGPR: 15
; COMPUTE_PGM_RSRC2:TRAP_HANDLER: 0
; COMPUTE_PGM_RSRC2:TGID_X_EN: 1
; COMPUTE_PGM_RSRC2:TGID_Y_EN: 0
; COMPUTE_PGM_RSRC2:TGID_Z_EN: 0
; COMPUTE_PGM_RSRC2:TIDIG_COMP_CNT: 1
	.section	.text._ZN12_GLOBAL__N_120softmax_warp_forwardIN3c108BFloat16ES2_fLi7ELb1ELb0ELi32EEEvPT0_PKT_iiiPKbib,"axG",@progbits,_ZN12_GLOBAL__N_120softmax_warp_forwardIN3c108BFloat16ES2_fLi7ELb1ELb0ELi32EEEvPT0_PKT_iiiPKbib,comdat
	.globl	_ZN12_GLOBAL__N_120softmax_warp_forwardIN3c108BFloat16ES2_fLi7ELb1ELb0ELi32EEEvPT0_PKT_iiiPKbib ; -- Begin function _ZN12_GLOBAL__N_120softmax_warp_forwardIN3c108BFloat16ES2_fLi7ELb1ELb0ELi32EEEvPT0_PKT_iiiPKbib
	.p2align	8
	.type	_ZN12_GLOBAL__N_120softmax_warp_forwardIN3c108BFloat16ES2_fLi7ELb1ELb0ELi32EEEvPT0_PKT_iiiPKbib,@function
_ZN12_GLOBAL__N_120softmax_warp_forwardIN3c108BFloat16ES2_fLi7ELb1ELb0ELi32EEEvPT0_PKT_iiiPKbib: ; @_ZN12_GLOBAL__N_120softmax_warp_forwardIN3c108BFloat16ES2_fLi7ELb1ELb0ELi32EEEvPT0_PKT_iiiPKbib
; %bb.0:
	s_clause 0x1
	s_load_b32 s2, s[0:1], 0x3c
	s_load_b256 s[16:23], s[0:1], 0x0
	v_bfe_u32 v1, v0, 10, 10
	v_and_b32_e32 v4, 0x3ff, v0
	v_dual_mov_b32 v6, 0xff800000 :: v_dual_mov_b32 v7, 0xff800000
	s_waitcnt lgkmcnt(0)
	s_lshr_b32 s0, s2, 16
	s_delay_alu instid0(VALU_DEP_2) | instskip(SKIP_1) | instid1(SALU_CYCLE_1)
	v_cmp_gt_i32_e64 s2, s22, v4
	s_mul_i32 s15, s15, s0
	v_add_lshl_u32 v2, s15, v1, 1
	s_delay_alu instid0(VALU_DEP_1) | instskip(SKIP_1) | instid1(VALU_DEP_1)
	v_mad_u64_u32 v[0:1], null, v2, s21, v[4:5]
	v_sub_nc_u32_e32 v5, s20, v2
	v_cmp_lt_i32_e64 s3, 0, v5
	s_delay_alu instid0(VALU_DEP_3) | instskip(NEXT) | instid1(VALU_DEP_2)
	v_ashrrev_i32_e32 v1, 31, v0
	s_and_b32 s1, s3, s2
	s_delay_alu instid0(VALU_DEP_1) | instskip(NEXT) | instid1(VALU_DEP_1)
	v_lshlrev_b64 v[0:1], 1, v[0:1]
	v_add_co_u32 v2, vcc_lo, s18, v0
	s_delay_alu instid0(VALU_DEP_2)
	v_add_co_ci_u32_e32 v3, vcc_lo, s19, v1, vcc_lo
	s_and_saveexec_b32 s0, s1
	s_cbranch_execz .LBB146_2
; %bb.1:
	global_load_u16 v7, v[2:3], off
	s_waitcnt vmcnt(0)
	v_lshlrev_b32_e32 v7, 16, v7
.LBB146_2:
	s_or_b32 exec_lo, exec_lo, s0
	v_add_nc_u32_e32 v8, 32, v4
	s_delay_alu instid0(VALU_DEP_1) | instskip(SKIP_1) | instid1(SALU_CYCLE_1)
	v_cmp_gt_i32_e32 vcc_lo, s22, v8
	s_and_b32 s1, s3, vcc_lo
	s_and_saveexec_b32 s0, s1
	s_cbranch_execz .LBB146_4
; %bb.3:
	global_load_u16 v6, v[2:3], off offset:64
	s_waitcnt vmcnt(0)
	v_lshlrev_b32_e32 v6, 16, v6
.LBB146_4:
	s_or_b32 exec_lo, exec_lo, s0
	v_dual_mov_b32 v9, 0xff800000 :: v_dual_add_nc_u32 v8, 64, v4
	v_mov_b32_e32 v10, 0xff800000
	s_delay_alu instid0(VALU_DEP_2) | instskip(NEXT) | instid1(VALU_DEP_1)
	v_cmp_gt_i32_e64 s0, s22, v8
	s_and_b32 s4, s3, s0
	s_delay_alu instid0(SALU_CYCLE_1)
	s_and_saveexec_b32 s1, s4
	s_cbranch_execz .LBB146_6
; %bb.5:
	global_load_u16 v8, v[2:3], off offset:128
	s_waitcnt vmcnt(0)
	v_lshlrev_b32_e32 v9, 16, v8
.LBB146_6:
	s_or_b32 exec_lo, exec_lo, s1
	v_add_nc_u32_e32 v4, 0x60, v4
	s_delay_alu instid0(VALU_DEP_1) | instskip(NEXT) | instid1(VALU_DEP_1)
	v_cmp_gt_i32_e64 s1, s22, v4
	s_and_b32 s5, s3, s1
	s_delay_alu instid0(SALU_CYCLE_1)
	s_and_saveexec_b32 s4, s5
	s_cbranch_execz .LBB146_8
; %bb.7:
	global_load_u16 v4, v[2:3], off offset:192
	s_waitcnt vmcnt(0)
	v_lshlrev_b32_e32 v10, 16, v4
.LBB146_8:
	s_or_b32 exec_lo, exec_lo, s4
	v_cmp_lt_i32_e64 s4, 1, v5
	v_mov_b32_e32 v4, 0xff800000
	v_mov_b32_e32 v12, 0xff800000
	s_delay_alu instid0(VALU_DEP_3) | instskip(NEXT) | instid1(SALU_CYCLE_1)
	s_and_b32 s5, s4, s2
	s_and_saveexec_b32 s6, s5
	s_cbranch_execz .LBB146_10
; %bb.9:
	s_mov_b32 s23, 0
	s_delay_alu instid0(SALU_CYCLE_1) | instskip(NEXT) | instid1(SALU_CYCLE_1)
	s_lshl_b64 s[8:9], s[22:23], 1
	v_add_co_u32 v11, s5, v2, s8
	s_delay_alu instid0(VALU_DEP_1)
	v_add_co_ci_u32_e64 v12, s5, s9, v3, s5
	global_load_u16 v8, v[11:12], off
	s_waitcnt vmcnt(0)
	v_lshlrev_b32_e32 v12, 16, v8
.LBB146_10:
	s_or_b32 exec_lo, exec_lo, s6
	s_and_b32 s5, s4, vcc_lo
	s_delay_alu instid0(SALU_CYCLE_1)
	s_and_saveexec_b32 s6, s5
	s_cbranch_execz .LBB146_12
; %bb.11:
	s_mov_b32 s23, 0
	s_delay_alu instid0(SALU_CYCLE_1) | instskip(NEXT) | instid1(SALU_CYCLE_1)
	s_lshl_b64 s[8:9], s[22:23], 1
	v_add_co_u32 v13, s5, v2, s8
	s_delay_alu instid0(VALU_DEP_1)
	v_add_co_ci_u32_e64 v14, s5, s9, v3, s5
	global_load_u16 v4, v[13:14], off offset:64
	s_waitcnt vmcnt(0)
	v_lshlrev_b32_e32 v4, 16, v4
.LBB146_12:
	s_or_b32 exec_lo, exec_lo, s6
	v_mov_b32_e32 v11, 0xff800000
	v_mov_b32_e32 v13, 0xff800000
	s_and_b32 s5, s4, s0
	s_delay_alu instid0(SALU_CYCLE_1)
	s_and_saveexec_b32 s6, s5
	s_cbranch_execz .LBB146_14
; %bb.13:
	s_mov_b32 s23, 0
	s_delay_alu instid0(SALU_CYCLE_1) | instskip(NEXT) | instid1(SALU_CYCLE_1)
	s_lshl_b64 s[8:9], s[22:23], 1
	v_add_co_u32 v13, s5, v2, s8
	s_delay_alu instid0(VALU_DEP_1)
	v_add_co_ci_u32_e64 v14, s5, s9, v3, s5
	global_load_u16 v8, v[13:14], off offset:128
	s_waitcnt vmcnt(0)
	v_lshlrev_b32_e32 v13, 16, v8
.LBB146_14:
	s_or_b32 exec_lo, exec_lo, s6
	s_and_b32 s4, s4, s1
	s_delay_alu instid0(SALU_CYCLE_1)
	s_and_saveexec_b32 s5, s4
	s_cbranch_execz .LBB146_16
; %bb.15:
	s_mov_b32 s23, 0
	s_delay_alu instid0(SALU_CYCLE_1) | instskip(NEXT) | instid1(SALU_CYCLE_1)
	s_lshl_b64 s[6:7], s[22:23], 1
	v_add_co_u32 v2, s4, v2, s6
	s_delay_alu instid0(VALU_DEP_1)
	v_add_co_ci_u32_e64 v3, s4, s7, v3, s4
	global_load_u16 v2, v[2:3], off offset:192
	s_waitcnt vmcnt(0)
	v_lshlrev_b32_e32 v11, 16, v2
.LBB146_16:
	s_or_b32 exec_lo, exec_lo, s5
	v_cmp_gt_f32_e64 s4, v7, v6
	v_mbcnt_lo_u32_b32 v2, -1, 0
	s_delay_alu instid0(VALU_DEP_2) | instskip(SKIP_1) | instid1(VALU_DEP_3)
	v_cndmask_b32_e64 v3, v6, v7, s4
	v_cmp_gt_f32_e64 s4, v12, v4
	v_xor_b32_e32 v8, 16, v2
	v_xor_b32_e32 v17, 8, v2
	;; [unrolled: 1-line block ×4, first 2 shown]
	v_cndmask_b32_e64 v14, v4, v12, s4
	v_cmp_gt_f32_e64 s4, v3, v9
	v_xor_b32_e32 v20, 1, v2
	s_delay_alu instid0(VALU_DEP_2) | instskip(SKIP_1) | instid1(VALU_DEP_1)
	v_cndmask_b32_e64 v3, v9, v3, s4
	v_cmp_gt_i32_e64 s4, 32, v8
	v_cndmask_b32_e64 v8, v2, v8, s4
	v_cmp_gt_f32_e64 s4, v14, v13
	s_delay_alu instid0(VALU_DEP_2) | instskip(NEXT) | instid1(VALU_DEP_2)
	v_lshlrev_b32_e32 v15, 2, v8
	v_cndmask_b32_e64 v14, v13, v14, s4
	v_cmp_gt_f32_e64 s4, v3, v10
	s_delay_alu instid0(VALU_DEP_1) | instskip(NEXT) | instid1(VALU_DEP_3)
	v_cndmask_b32_e64 v3, v10, v3, s4
	v_cmp_gt_f32_e64 s4, v14, v11
	s_delay_alu instid0(VALU_DEP_1) | instskip(SKIP_4) | instid1(VALU_DEP_1)
	v_cndmask_b32_e64 v8, v11, v14, s4
	ds_bpermute_b32 v14, v15, v3
	v_cmp_gt_i32_e64 s4, 32, v17
	ds_bpermute_b32 v16, v15, v8
	v_cndmask_b32_e64 v17, v2, v17, s4
	v_lshlrev_b32_e32 v17, 2, v17
	s_waitcnt lgkmcnt(1)
	v_cmp_lt_f32_e64 s4, v3, v14
	s_delay_alu instid0(VALU_DEP_1)
	v_cndmask_b32_e64 v3, v3, v14, s4
	s_waitcnt lgkmcnt(0)
	v_cmp_lt_f32_e64 s4, v8, v16
	ds_bpermute_b32 v14, v17, v3
	v_cndmask_b32_e64 v8, v8, v16, s4
	v_cmp_gt_i32_e64 s4, 32, v18
	ds_bpermute_b32 v16, v17, v8
	v_cndmask_b32_e64 v18, v2, v18, s4
	s_delay_alu instid0(VALU_DEP_1) | instskip(SKIP_2) | instid1(VALU_DEP_1)
	v_lshlrev_b32_e32 v18, 2, v18
	s_waitcnt lgkmcnt(1)
	v_cmp_lt_f32_e64 s4, v3, v14
	v_cndmask_b32_e64 v3, v3, v14, s4
	s_waitcnt lgkmcnt(0)
	v_cmp_lt_f32_e64 s4, v8, v16
	ds_bpermute_b32 v14, v18, v3
	v_cndmask_b32_e64 v8, v8, v16, s4
	v_cmp_gt_i32_e64 s4, 32, v19
	ds_bpermute_b32 v16, v18, v8
	v_cndmask_b32_e64 v19, v2, v19, s4
	s_delay_alu instid0(VALU_DEP_1) | instskip(SKIP_2) | instid1(VALU_DEP_1)
	v_lshlrev_b32_e32 v19, 2, v19
	s_waitcnt lgkmcnt(1)
	v_cmp_lt_f32_e64 s4, v3, v14
	v_cndmask_b32_e64 v3, v3, v14, s4
	s_waitcnt lgkmcnt(0)
	v_cmp_lt_f32_e64 s4, v8, v16
	ds_bpermute_b32 v14, v19, v3
	v_cndmask_b32_e64 v8, v8, v16, s4
	v_cmp_gt_i32_e64 s4, 32, v20
	ds_bpermute_b32 v16, v19, v8
	v_cndmask_b32_e64 v2, v2, v20, s4
	s_delay_alu instid0(VALU_DEP_1) | instskip(SKIP_2) | instid1(VALU_DEP_1)
	v_lshlrev_b32_e32 v20, 2, v2
	s_waitcnt lgkmcnt(1)
	v_cmp_lt_f32_e64 s4, v3, v14
	v_cndmask_b32_e64 v2, v3, v14, s4
	s_waitcnt lgkmcnt(0)
	v_cmp_lt_f32_e64 s4, v8, v16
	s_delay_alu instid0(VALU_DEP_1) | instskip(SKIP_4) | instid1(VALU_DEP_1)
	v_cndmask_b32_e64 v3, v8, v16, s4
	ds_bpermute_b32 v8, v20, v2
	ds_bpermute_b32 v14, v20, v3
	s_waitcnt lgkmcnt(1)
	v_cmp_lt_f32_e64 s4, v2, v8
	v_cndmask_b32_e64 v2, v2, v8, s4
	s_waitcnt lgkmcnt(0)
	v_cmp_lt_f32_e64 s4, v3, v14
	s_delay_alu instid0(VALU_DEP_2) | instskip(NEXT) | instid1(VALU_DEP_2)
	v_sub_f32_e32 v8, v6, v2
	v_cndmask_b32_e64 v14, v3, v14, s4
	v_sub_f32_e32 v7, v7, v2
	v_sub_f32_e32 v10, v10, v2
	s_delay_alu instid0(VALU_DEP_3) | instskip(SKIP_4) | instid1(VALU_DEP_4)
	v_sub_f32_e32 v6, v12, v14
	v_dual_mul_f32 v12, 0x3fb8aa3b, v8 :: v_dual_sub_f32 v3, v13, v14
	v_sub_f32_e32 v9, v9, v2
	v_sub_f32_e32 v2, v4, v14
	v_dual_sub_f32 v4, v11, v14 :: v_dual_mul_f32 v11, 0x3fb8aa3b, v7
	v_fma_f32 v26, 0x3fb8aa3b, v8, -v12
	v_rndne_f32_e32 v27, v12
	v_cmp_ngt_f32_e64 s4, 0xc2ce8ed0, v7
	s_delay_alu instid0(VALU_DEP_4) | instskip(SKIP_4) | instid1(VALU_DEP_4)
	v_fma_f32 v24, 0x3fb8aa3b, v7, -v11
	v_rndne_f32_e32 v25, v11
	v_mul_f32_e32 v14, 0x3fb8aa3b, v10
	v_sub_f32_e32 v12, v12, v27
	v_cvt_i32_f32_e32 v27, v27
	v_dual_fmac_f32 v24, 0x32a5705f, v7 :: v_dual_sub_f32 v11, v11, v25
	v_dual_mul_f32 v22, 0x3fb8aa3b, v3 :: v_dual_mul_f32 v13, 0x3fb8aa3b, v9
	v_fma_f32 v30, 0x3fb8aa3b, v10, -v14
	v_rndne_f32_e32 v31, v14
	s_delay_alu instid0(VALU_DEP_4)
	v_add_f32_e32 v11, v11, v24
	v_cvt_i32_f32_e32 v25, v25
	v_rndne_f32_e32 v29, v13
	v_fma_f32 v28, 0x3fb8aa3b, v9, -v13
	v_fma_f32 v36, 0x3fb8aa3b, v3, -v22
	v_exp_f32_e32 v11, v11
	v_rndne_f32_e32 v37, v22
	v_sub_f32_e32 v13, v13, v29
	v_mul_f32_e32 v23, 0x3fb8aa3b, v4
	v_mul_f32_e32 v21, 0x3fb8aa3b, v2
	v_fmac_f32_e32 v28, 0x32a5705f, v9
	v_fmac_f32_e32 v30, 0x32a5705f, v10
	v_cvt_i32_f32_e32 v29, v29
	v_rndne_f32_e32 v39, v23
	v_fmac_f32_e32 v26, 0x32a5705f, v8
	v_fma_f32 v34, 0x3fb8aa3b, v2, -v21
	v_rndne_f32_e32 v35, v21
	v_mul_f32_e32 v16, 0x3fb8aa3b, v6
	v_fma_f32 v38, 0x3fb8aa3b, v4, -v23
	v_dual_sub_f32 v23, v23, v39 :: v_dual_add_f32 v12, v12, v26
	s_delay_alu instid0(VALU_DEP_4) | instskip(NEXT) | instid1(VALU_DEP_4)
	v_dual_fmac_f32 v34, 0x32a5705f, v2 :: v_dual_sub_f32 v21, v21, v35
	v_fma_f32 v32, 0x3fb8aa3b, v6, -v16
	v_rndne_f32_e32 v33, v16
	v_dual_sub_f32 v14, v14, v31 :: v_dual_add_f32 v13, v13, v28
	s_delay_alu instid0(VALU_DEP_4)
	v_add_f32_e32 v21, v21, v34
	v_exp_f32_e32 v12, v12
	v_fmac_f32_e32 v32, 0x32a5705f, v6
	v_fmac_f32_e32 v38, 0x32a5705f, v4
	v_sub_f32_e32 v16, v16, v33
	v_add_f32_e32 v14, v14, v30
	v_exp_f32_e32 v13, v13
	v_ldexp_f32 v11, v11, v25
	s_delay_alu instid0(VALU_DEP_3) | instskip(NEXT) | instid1(VALU_DEP_3)
	v_dual_add_f32 v23, v23, v38 :: v_dual_add_f32 v16, v16, v32
	v_exp_f32_e32 v14, v14
	s_delay_alu instid0(TRANS32_DEP_3) | instskip(NEXT) | instid1(VALU_DEP_3)
	v_ldexp_f32 v12, v12, v27
	v_cndmask_b32_e64 v11, 0, v11, s4
	v_cmp_ngt_f32_e64 s4, 0xc2ce8ed0, v8
	v_cvt_i32_f32_e32 v31, v31
	v_fmac_f32_e32 v36, 0x32a5705f, v3
	v_sub_f32_e32 v22, v22, v37
	v_exp_f32_e32 v16, v16
	v_ldexp_f32 v13, v13, v29
	v_cndmask_b32_e64 v12, 0, v12, s4
	v_cmp_ngt_f32_e64 s4, 0xc2ce8ed0, v9
	v_cvt_i32_f32_e32 v33, v33
	v_add_f32_e32 v22, v22, v36
	v_exp_f32_e32 v21, v21
	v_ldexp_f32 v14, v14, v31
	v_cndmask_b32_e64 v13, 0, v13, s4
	v_cmp_ngt_f32_e64 s4, 0xc2ce8ed0, v10
	v_cvt_i32_f32_e32 v35, v35
	v_exp_f32_e32 v22, v22
	v_ldexp_f32 v16, v16, v33
	v_exp_f32_e32 v23, v23
	v_cndmask_b32_e64 v14, 0, v14, s4
	v_cmp_ngt_f32_e64 s4, 0xc2ce8ed0, v6
	v_cvt_i32_f32_e32 v24, v37
	v_ldexp_f32 v21, v21, v35
	v_cvt_i32_f32_e32 v26, v39
	s_delay_alu instid0(VALU_DEP_4)
	v_cndmask_b32_e64 v16, 0, v16, s4
	v_cmp_ngt_f32_e64 s4, 0xc2ce8ed0, v2
	v_ldexp_f32 v22, v22, v24
	s_delay_alu instid0(TRANS32_DEP_1) | instid1(VALU_DEP_4)
	v_ldexp_f32 v23, v23, v26
	s_delay_alu instid0(VALU_DEP_3) | instskip(SKIP_1) | instid1(VALU_DEP_1)
	v_cndmask_b32_e64 v21, 0, v21, s4
	v_cmp_ngt_f32_e64 s4, 0xc2ce8ed0, v3
	v_cndmask_b32_e64 v22, 0, v22, s4
	v_cmp_ngt_f32_e64 s4, 0xc2ce8ed0, v4
	s_delay_alu instid0(VALU_DEP_1) | instskip(SKIP_1) | instid1(VALU_DEP_1)
	v_cndmask_b32_e64 v23, 0, v23, s4
	v_cmp_nlt_f32_e64 s4, 0x42b17218, v7
	v_cndmask_b32_e64 v11, 0x7f800000, v11, s4
	v_cmp_nlt_f32_e64 s4, 0x42b17218, v8
	s_delay_alu instid0(VALU_DEP_1) | instskip(SKIP_1) | instid1(VALU_DEP_2)
	v_cndmask_b32_e64 v12, 0x7f800000, v12, s4
	v_cmp_nlt_f32_e64 s4, 0x42b17218, v6
	v_add_f32_e32 v11, v11, v12
	s_delay_alu instid0(VALU_DEP_2) | instskip(SKIP_1) | instid1(VALU_DEP_1)
	v_cndmask_b32_e64 v16, 0x7f800000, v16, s4
	v_cmp_nlt_f32_e64 s4, 0x42b17218, v2
	v_cndmask_b32_e64 v21, 0x7f800000, v21, s4
	v_cmp_nlt_f32_e64 s4, 0x42b17218, v9
	s_delay_alu instid0(VALU_DEP_2) | instskip(NEXT) | instid1(VALU_DEP_2)
	v_add_f32_e32 v12, v16, v21
	v_cndmask_b32_e64 v13, 0x7f800000, v13, s4
	v_cmp_nlt_f32_e64 s4, 0x42b17218, v3
	s_delay_alu instid0(VALU_DEP_2) | instskip(NEXT) | instid1(VALU_DEP_2)
	v_add_f32_e32 v11, v11, v13
	;; [unrolled: 4-line block ×4, first 2 shown]
	v_cndmask_b32_e64 v16, 0x7f800000, v23, s4
	ds_bpermute_b32 v13, v15, v11
	v_add_f32_e32 v12, v12, v16
	ds_bpermute_b32 v14, v15, v12
	s_waitcnt lgkmcnt(1)
	v_add_f32_e32 v11, v11, v13
	ds_bpermute_b32 v13, v17, v11
	s_waitcnt lgkmcnt(1)
	;; [unrolled: 3-line block ×7, first 2 shown]
	v_add_f32_e32 v13, v11, v13
	s_waitcnt lgkmcnt(0)
	v_add_f32_e32 v11, v12, v14
	ds_bpermute_b32 v14, v20, v13
	ds_bpermute_b32 v12, v20, v11
	s_and_saveexec_b32 s4, s3
	s_cbranch_execz .LBB146_28
; %bb.17:
	v_add_co_u32 v0, s3, s16, v0
	s_delay_alu instid0(VALU_DEP_1)
	v_add_co_ci_u32_e64 v1, s3, s17, v1, s3
	s_and_saveexec_b32 s5, s2
	s_cbranch_execz .LBB146_22
; %bb.18:
	s_waitcnt lgkmcnt(1)
	v_add_f32_e32 v13, v13, v14
	s_delay_alu instid0(VALU_DEP_1) | instskip(NEXT) | instid1(VALU_DEP_1)
	v_cmp_gt_f32_e64 s3, 0x800000, v13
	v_cndmask_b32_e64 v14, 1.0, 0x4f800000, s3
	s_delay_alu instid0(VALU_DEP_1) | instskip(NEXT) | instid1(VALU_DEP_1)
	v_mul_f32_e32 v13, v13, v14
	v_log_f32_e32 v13, v13
	s_waitcnt_depctr 0xfff
	v_mul_f32_e32 v14, 0x3f317217, v13
	v_cmp_gt_f32_e64 s4, 0x7f800000, |v13|
	s_delay_alu instid0(VALU_DEP_2) | instskip(NEXT) | instid1(VALU_DEP_1)
	v_fma_f32 v15, 0x3f317217, v13, -v14
	v_fmamk_f32 v15, v13, 0x3377d1cf, v15
	s_delay_alu instid0(VALU_DEP_1) | instskip(NEXT) | instid1(VALU_DEP_1)
	v_add_f32_e32 v14, v14, v15
	v_cndmask_b32_e64 v13, v13, v14, s4
	v_cndmask_b32_e64 v14, 0, 0x41b17218, s3
	s_delay_alu instid0(VALU_DEP_1) | instskip(NEXT) | instid1(VALU_DEP_1)
	v_sub_f32_e32 v13, v13, v14
	v_sub_f32_e32 v7, v7, v13
	s_delay_alu instid0(VALU_DEP_1) | instskip(SKIP_1) | instid1(VALU_DEP_2)
	v_bfe_u32 v14, v7, 16, 1
	v_cmp_o_f32_e64 s3, v7, v7
	v_add3_u32 v14, v7, v14, 0x7fff
	s_delay_alu instid0(VALU_DEP_1) | instskip(NEXT) | instid1(VALU_DEP_1)
	v_lshrrev_b32_e32 v14, 16, v14
	v_cndmask_b32_e64 v7, 0x7fc0, v14, s3
	global_store_b16 v[0:1], v7, off
	s_and_b32 exec_lo, exec_lo, vcc_lo
	s_cbranch_execz .LBB146_22
; %bb.19:
	v_sub_f32_e32 v7, v8, v13
	s_delay_alu instid0(VALU_DEP_1) | instskip(SKIP_1) | instid1(VALU_DEP_2)
	v_bfe_u32 v8, v7, 16, 1
	v_cmp_o_f32_e64 s3, v7, v7
	v_add3_u32 v8, v7, v8, 0x7fff
	s_delay_alu instid0(VALU_DEP_1) | instskip(NEXT) | instid1(VALU_DEP_1)
	v_lshrrev_b32_e32 v8, 16, v8
	v_cndmask_b32_e64 v7, 0x7fc0, v8, s3
	global_store_b16 v[0:1], v7, off offset:64
	s_and_b32 exec_lo, exec_lo, s0
	s_cbranch_execz .LBB146_22
; %bb.20:
	v_sub_f32_e32 v7, v9, v13
	s_delay_alu instid0(VALU_DEP_1) | instskip(SKIP_1) | instid1(VALU_DEP_2)
	v_bfe_u32 v8, v7, 16, 1
	v_cmp_o_f32_e64 s3, v7, v7
	v_add3_u32 v8, v7, v8, 0x7fff
	s_delay_alu instid0(VALU_DEP_1) | instskip(NEXT) | instid1(VALU_DEP_1)
	v_lshrrev_b32_e32 v8, 16, v8
	v_cndmask_b32_e64 v7, 0x7fc0, v8, s3
	global_store_b16 v[0:1], v7, off offset:128
	s_and_b32 exec_lo, exec_lo, s1
	s_cbranch_execz .LBB146_22
; %bb.21:
	v_sub_f32_e32 v7, v10, v13
	s_delay_alu instid0(VALU_DEP_1) | instskip(SKIP_1) | instid1(VALU_DEP_2)
	v_bfe_u32 v8, v7, 16, 1
	v_cmp_o_f32_e64 s3, v7, v7
	v_add3_u32 v8, v7, v8, 0x7fff
	s_delay_alu instid0(VALU_DEP_1) | instskip(NEXT) | instid1(VALU_DEP_1)
	v_lshrrev_b32_e32 v8, 16, v8
	v_cndmask_b32_e64 v7, 0x7fc0, v8, s3
	global_store_b16 v[0:1], v7, off offset:192
.LBB146_22:
	s_or_b32 exec_lo, exec_lo, s5
	v_cmp_ne_u32_e64 s3, 1, v5
	s_delay_alu instid0(VALU_DEP_1)
	s_and_b32 exec_lo, exec_lo, s3
	s_cbranch_execz .LBB146_28
; %bb.23:
	s_and_b32 exec_lo, exec_lo, s2
	s_cbranch_execz .LBB146_28
; %bb.24:
	s_waitcnt lgkmcnt(0)
	v_add_f32_e32 v5, v11, v12
	s_ashr_i32 s23, s22, 31
	s_delay_alu instid0(SALU_CYCLE_1) | instskip(NEXT) | instid1(VALU_DEP_1)
	s_lshl_b64 s[4:5], s[22:23], 1
	v_cmp_gt_f32_e64 s2, 0x800000, v5
	s_delay_alu instid0(VALU_DEP_1) | instskip(NEXT) | instid1(VALU_DEP_1)
	v_cndmask_b32_e64 v7, 1.0, 0x4f800000, s2
	v_mul_f32_e32 v5, v5, v7
	s_delay_alu instid0(VALU_DEP_1) | instskip(SKIP_2) | instid1(VALU_DEP_1)
	v_log_f32_e32 v5, v5
	s_waitcnt_depctr 0xfff
	v_mul_f32_e32 v7, 0x3f317217, v5
	v_fma_f32 v8, 0x3f317217, v5, -v7
	s_delay_alu instid0(VALU_DEP_1) | instskip(NEXT) | instid1(VALU_DEP_1)
	v_fmamk_f32 v8, v5, 0x3377d1cf, v8
	v_add_f32_e32 v7, v7, v8
	v_cndmask_b32_e64 v8, 0, 0x41b17218, s2
	v_cmp_gt_f32_e64 s2, 0x7f800000, |v5|
	s_delay_alu instid0(VALU_DEP_1) | instskip(NEXT) | instid1(VALU_DEP_1)
	v_cndmask_b32_e64 v5, v5, v7, s2
	v_sub_f32_e32 v5, v5, v8
	s_delay_alu instid0(VALU_DEP_1) | instskip(NEXT) | instid1(VALU_DEP_1)
	v_sub_f32_e32 v6, v6, v5
	v_bfe_u32 v7, v6, 16, 1
	v_cmp_o_f32_e64 s2, v6, v6
	s_delay_alu instid0(VALU_DEP_2) | instskip(NEXT) | instid1(VALU_DEP_1)
	v_add3_u32 v7, v6, v7, 0x7fff
	v_lshrrev_b32_e32 v7, 16, v7
	s_delay_alu instid0(VALU_DEP_1) | instskip(SKIP_1) | instid1(VALU_DEP_1)
	v_cndmask_b32_e64 v6, 0x7fc0, v7, s2
	v_add_co_u32 v0, s2, v0, s4
	v_add_co_ci_u32_e64 v1, s2, s5, v1, s2
	global_store_b16 v[0:1], v6, off
	s_and_b32 exec_lo, exec_lo, vcc_lo
	s_cbranch_execz .LBB146_28
; %bb.25:
	v_sub_f32_e32 v2, v2, v5
	s_delay_alu instid0(VALU_DEP_1) | instskip(SKIP_1) | instid1(VALU_DEP_2)
	v_bfe_u32 v6, v2, 16, 1
	v_cmp_o_f32_e32 vcc_lo, v2, v2
	v_add3_u32 v6, v2, v6, 0x7fff
	s_delay_alu instid0(VALU_DEP_1) | instskip(NEXT) | instid1(VALU_DEP_1)
	v_lshrrev_b32_e32 v6, 16, v6
	v_cndmask_b32_e32 v2, 0x7fc0, v6, vcc_lo
	global_store_b16 v[0:1], v2, off offset:64
	s_and_b32 exec_lo, exec_lo, s0
	s_cbranch_execz .LBB146_28
; %bb.26:
	v_sub_f32_e32 v2, v3, v5
	s_delay_alu instid0(VALU_DEP_1) | instskip(SKIP_1) | instid1(VALU_DEP_2)
	v_bfe_u32 v3, v2, 16, 1
	v_cmp_o_f32_e32 vcc_lo, v2, v2
	v_add3_u32 v3, v2, v3, 0x7fff
	s_delay_alu instid0(VALU_DEP_1) | instskip(NEXT) | instid1(VALU_DEP_1)
	v_lshrrev_b32_e32 v3, 16, v3
	v_cndmask_b32_e32 v2, 0x7fc0, v3, vcc_lo
	global_store_b16 v[0:1], v2, off offset:128
	s_and_b32 exec_lo, exec_lo, s1
	s_cbranch_execz .LBB146_28
; %bb.27:
	v_sub_f32_e32 v2, v4, v5
	s_delay_alu instid0(VALU_DEP_1) | instskip(SKIP_1) | instid1(VALU_DEP_2)
	v_bfe_u32 v3, v2, 16, 1
	v_cmp_o_f32_e32 vcc_lo, v2, v2
	v_add3_u32 v3, v2, v3, 0x7fff
	s_delay_alu instid0(VALU_DEP_1) | instskip(NEXT) | instid1(VALU_DEP_1)
	v_lshrrev_b32_e32 v3, 16, v3
	v_cndmask_b32_e32 v2, 0x7fc0, v3, vcc_lo
	global_store_b16 v[0:1], v2, off offset:192
.LBB146_28:
	s_nop 0
	s_sendmsg sendmsg(MSG_DEALLOC_VGPRS)
	s_endpgm
	.section	.rodata,"a",@progbits
	.p2align	6, 0x0
	.amdhsa_kernel _ZN12_GLOBAL__N_120softmax_warp_forwardIN3c108BFloat16ES2_fLi7ELb1ELb0ELi32EEEvPT0_PKT_iiiPKbib
		.amdhsa_group_segment_fixed_size 0
		.amdhsa_private_segment_fixed_size 0
		.amdhsa_kernarg_size 304
		.amdhsa_user_sgpr_count 15
		.amdhsa_user_sgpr_dispatch_ptr 0
		.amdhsa_user_sgpr_queue_ptr 0
		.amdhsa_user_sgpr_kernarg_segment_ptr 1
		.amdhsa_user_sgpr_dispatch_id 0
		.amdhsa_user_sgpr_private_segment_size 0
		.amdhsa_wavefront_size32 1
		.amdhsa_uses_dynamic_stack 0
		.amdhsa_enable_private_segment 0
		.amdhsa_system_sgpr_workgroup_id_x 1
		.amdhsa_system_sgpr_workgroup_id_y 0
		.amdhsa_system_sgpr_workgroup_id_z 0
		.amdhsa_system_sgpr_workgroup_info 0
		.amdhsa_system_vgpr_workitem_id 1
		.amdhsa_next_free_vgpr 40
		.amdhsa_next_free_sgpr 24
		.amdhsa_reserve_vcc 1
		.amdhsa_float_round_mode_32 0
		.amdhsa_float_round_mode_16_64 0
		.amdhsa_float_denorm_mode_32 3
		.amdhsa_float_denorm_mode_16_64 3
		.amdhsa_dx10_clamp 1
		.amdhsa_ieee_mode 1
		.amdhsa_fp16_overflow 0
		.amdhsa_workgroup_processor_mode 1
		.amdhsa_memory_ordered 1
		.amdhsa_forward_progress 0
		.amdhsa_shared_vgpr_count 0
		.amdhsa_exception_fp_ieee_invalid_op 0
		.amdhsa_exception_fp_denorm_src 0
		.amdhsa_exception_fp_ieee_div_zero 0
		.amdhsa_exception_fp_ieee_overflow 0
		.amdhsa_exception_fp_ieee_underflow 0
		.amdhsa_exception_fp_ieee_inexact 0
		.amdhsa_exception_int_div_zero 0
	.end_amdhsa_kernel
	.section	.text._ZN12_GLOBAL__N_120softmax_warp_forwardIN3c108BFloat16ES2_fLi7ELb1ELb0ELi32EEEvPT0_PKT_iiiPKbib,"axG",@progbits,_ZN12_GLOBAL__N_120softmax_warp_forwardIN3c108BFloat16ES2_fLi7ELb1ELb0ELi32EEEvPT0_PKT_iiiPKbib,comdat
.Lfunc_end146:
	.size	_ZN12_GLOBAL__N_120softmax_warp_forwardIN3c108BFloat16ES2_fLi7ELb1ELb0ELi32EEEvPT0_PKT_iiiPKbib, .Lfunc_end146-_ZN12_GLOBAL__N_120softmax_warp_forwardIN3c108BFloat16ES2_fLi7ELb1ELb0ELi32EEEvPT0_PKT_iiiPKbib
                                        ; -- End function
	.section	.AMDGPU.csdata,"",@progbits
; Kernel info:
; codeLenInByte = 3172
; NumSgprs: 26
; NumVgprs: 40
; ScratchSize: 0
; MemoryBound: 0
; FloatMode: 240
; IeeeMode: 1
; LDSByteSize: 0 bytes/workgroup (compile time only)
; SGPRBlocks: 3
; VGPRBlocks: 4
; NumSGPRsForWavesPerEU: 26
; NumVGPRsForWavesPerEU: 40
; Occupancy: 16
; WaveLimiterHint : 0
; COMPUTE_PGM_RSRC2:SCRATCH_EN: 0
; COMPUTE_PGM_RSRC2:USER_SGPR: 15
; COMPUTE_PGM_RSRC2:TRAP_HANDLER: 0
; COMPUTE_PGM_RSRC2:TGID_X_EN: 1
; COMPUTE_PGM_RSRC2:TGID_Y_EN: 0
; COMPUTE_PGM_RSRC2:TGID_Z_EN: 0
; COMPUTE_PGM_RSRC2:TIDIG_COMP_CNT: 1
	.section	.text._ZN12_GLOBAL__N_120softmax_warp_forwardIN3c108BFloat16ES2_fLi8ELb1ELb0ELi64EEEvPT0_PKT_iiiPKbib,"axG",@progbits,_ZN12_GLOBAL__N_120softmax_warp_forwardIN3c108BFloat16ES2_fLi8ELb1ELb0ELi64EEEvPT0_PKT_iiiPKbib,comdat
	.globl	_ZN12_GLOBAL__N_120softmax_warp_forwardIN3c108BFloat16ES2_fLi8ELb1ELb0ELi64EEEvPT0_PKT_iiiPKbib ; -- Begin function _ZN12_GLOBAL__N_120softmax_warp_forwardIN3c108BFloat16ES2_fLi8ELb1ELb0ELi64EEEvPT0_PKT_iiiPKbib
	.p2align	8
	.type	_ZN12_GLOBAL__N_120softmax_warp_forwardIN3c108BFloat16ES2_fLi8ELb1ELb0ELi64EEEvPT0_PKT_iiiPKbib,@function
_ZN12_GLOBAL__N_120softmax_warp_forwardIN3c108BFloat16ES2_fLi8ELb1ELb0ELi64EEEvPT0_PKT_iiiPKbib: ; @_ZN12_GLOBAL__N_120softmax_warp_forwardIN3c108BFloat16ES2_fLi8ELb1ELb0ELi64EEEvPT0_PKT_iiiPKbib
; %bb.0:
	s_clause 0x1
	s_load_b32 s2, s[0:1], 0x3c
	s_load_b256 s[4:11], s[0:1], 0x0
	v_bfe_u32 v1, v0, 10, 10
	v_mov_b32_e32 v6, 0xff800000
	v_mov_b32_e32 v8, 0xff800000
	s_waitcnt lgkmcnt(0)
	s_lshr_b32 s0, s2, 16
	s_delay_alu instid0(SALU_CYCLE_1) | instskip(SKIP_1) | instid1(VALU_DEP_1)
	v_mad_u64_u32 v[3:4], null, s15, s0, v[1:2]
	v_and_b32_e32 v2, 0x3ff, v0
	v_cmp_gt_i32_e64 s2, s10, v2
	s_delay_alu instid0(VALU_DEP_3) | instskip(SKIP_1) | instid1(VALU_DEP_1)
	v_mad_u64_u32 v[0:1], null, v3, s9, v[2:3]
	v_sub_nc_u32_e32 v5, s8, v3
	v_cmp_lt_i32_e64 s3, 0, v5
	s_delay_alu instid0(VALU_DEP_3) | instskip(NEXT) | instid1(VALU_DEP_2)
	v_ashrrev_i32_e32 v1, 31, v0
	s_and_b32 s1, s3, s2
	s_delay_alu instid0(VALU_DEP_1) | instskip(NEXT) | instid1(VALU_DEP_1)
	v_lshlrev_b64 v[0:1], 1, v[0:1]
	v_add_co_u32 v3, vcc_lo, s6, v0
	s_delay_alu instid0(VALU_DEP_2)
	v_add_co_ci_u32_e32 v4, vcc_lo, s7, v1, vcc_lo
	s_and_saveexec_b32 s0, s1
	s_cbranch_execz .LBB147_2
; %bb.1:
	global_load_u16 v7, v[3:4], off
	s_waitcnt vmcnt(0)
	v_lshlrev_b32_e32 v8, 16, v7
.LBB147_2:
	s_or_b32 exec_lo, exec_lo, s0
	v_add_nc_u32_e32 v7, 64, v2
	s_delay_alu instid0(VALU_DEP_1) | instskip(SKIP_1) | instid1(SALU_CYCLE_1)
	v_cmp_gt_i32_e32 vcc_lo, s10, v7
	s_and_b32 s1, s3, vcc_lo
	s_and_saveexec_b32 s0, s1
	s_cbranch_execz .LBB147_4
; %bb.3:
	global_load_u16 v6, v[3:4], off offset:128
	s_waitcnt vmcnt(0)
	v_lshlrev_b32_e32 v6, 16, v6
.LBB147_4:
	s_or_b32 exec_lo, exec_lo, s0
	v_add_nc_u32_e32 v7, 0x80, v2
	v_mov_b32_e32 v9, 0xff800000
	s_delay_alu instid0(VALU_DEP_2) | instskip(SKIP_1) | instid1(VALU_DEP_2)
	v_cmp_gt_i32_e64 s0, s10, v7
	v_mov_b32_e32 v7, 0xff800000
	s_and_b32 s6, s3, s0
	s_delay_alu instid0(SALU_CYCLE_1)
	s_and_saveexec_b32 s1, s6
	s_cbranch_execz .LBB147_6
; %bb.5:
	global_load_u16 v9, v[3:4], off offset:256
	s_waitcnt vmcnt(0)
	v_lshlrev_b32_e32 v9, 16, v9
.LBB147_6:
	s_or_b32 exec_lo, exec_lo, s1
	v_add_nc_u32_e32 v2, 0xc0, v2
	s_delay_alu instid0(VALU_DEP_1) | instskip(NEXT) | instid1(VALU_DEP_1)
	v_cmp_gt_i32_e64 s1, s10, v2
	s_and_b32 s6, s3, s1
	s_delay_alu instid0(SALU_CYCLE_1)
	s_and_saveexec_b32 s3, s6
	s_cbranch_execz .LBB147_8
; %bb.7:
	global_load_u16 v2, v[3:4], off offset:384
	s_waitcnt vmcnt(0)
	v_lshlrev_b32_e32 v7, 16, v2
.LBB147_8:
	s_or_b32 exec_lo, exec_lo, s3
	v_cmp_gt_f32_e64 s3, v8, v6
	v_mbcnt_lo_u32_b32 v2, -1, 0
	s_mov_b32 s6, exec_lo
	s_delay_alu instid0(VALU_DEP_2) | instskip(NEXT) | instid1(VALU_DEP_2)
	v_cndmask_b32_e64 v3, v6, v8, s3
	v_or_b32_e32 v4, 32, v2
	v_xor_b32_e32 v11, 16, v2
	v_xor_b32_e32 v12, 8, v2
	;; [unrolled: 1-line block ×3, first 2 shown]
	v_cmp_gt_f32_e64 s3, v3, v9
	v_xor_b32_e32 v14, 2, v2
	v_xor_b32_e32 v15, 1, v2
	s_delay_alu instid0(VALU_DEP_3) | instskip(SKIP_1) | instid1(VALU_DEP_1)
	v_cndmask_b32_e64 v3, v9, v3, s3
	v_cmp_gt_i32_e64 s3, 64, v4
	v_cndmask_b32_e64 v4, v2, v4, s3
	s_delay_alu instid0(VALU_DEP_3) | instskip(NEXT) | instid1(VALU_DEP_2)
	v_cmp_gt_f32_e64 s3, v3, v7
	v_lshlrev_b32_e32 v10, 2, v4
	s_delay_alu instid0(VALU_DEP_2) | instskip(SKIP_3) | instid1(VALU_DEP_1)
	v_cndmask_b32_e64 v3, v7, v3, s3
	v_cmp_gt_i32_e64 s3, 64, v11
	ds_bpermute_b32 v4, v10, v3
	v_cndmask_b32_e64 v11, v2, v11, s3
	v_lshlrev_b32_e32 v11, 2, v11
	s_waitcnt lgkmcnt(0)
	v_cmp_lt_f32_e64 s3, v3, v4
	s_delay_alu instid0(VALU_DEP_1) | instskip(SKIP_3) | instid1(VALU_DEP_1)
	v_cndmask_b32_e64 v3, v3, v4, s3
	v_cmp_gt_i32_e64 s3, 64, v12
	ds_bpermute_b32 v4, v11, v3
	v_cndmask_b32_e64 v12, v2, v12, s3
	v_lshlrev_b32_e32 v12, 2, v12
	s_waitcnt lgkmcnt(0)
	v_cmp_lt_f32_e64 s3, v3, v4
	s_delay_alu instid0(VALU_DEP_1) | instskip(SKIP_3) | instid1(VALU_DEP_1)
	v_cndmask_b32_e64 v3, v3, v4, s3
	v_cmp_gt_i32_e64 s3, 64, v13
	ds_bpermute_b32 v4, v12, v3
	v_cndmask_b32_e64 v13, v2, v13, s3
	v_lshlrev_b32_e32 v13, 2, v13
	s_waitcnt lgkmcnt(0)
	v_cmp_lt_f32_e64 s3, v3, v4
	s_delay_alu instid0(VALU_DEP_1) | instskip(SKIP_3) | instid1(VALU_DEP_1)
	v_cndmask_b32_e64 v3, v3, v4, s3
	v_cmp_gt_i32_e64 s3, 64, v14
	ds_bpermute_b32 v4, v13, v3
	v_cndmask_b32_e64 v14, v2, v14, s3
	v_lshlrev_b32_e32 v14, 2, v14
	s_waitcnt lgkmcnt(0)
	v_cmp_lt_f32_e64 s3, v3, v4
	s_delay_alu instid0(VALU_DEP_1) | instskip(SKIP_3) | instid1(VALU_DEP_1)
	v_cndmask_b32_e64 v3, v3, v4, s3
	v_cmp_gt_i32_e64 s3, 64, v15
	ds_bpermute_b32 v4, v14, v3
	v_cndmask_b32_e64 v2, v2, v15, s3
	v_lshlrev_b32_e32 v15, 2, v2
	s_waitcnt lgkmcnt(0)
	v_cmp_lt_f32_e64 s3, v3, v4
	s_delay_alu instid0(VALU_DEP_1) | instskip(SKIP_3) | instid1(VALU_DEP_1)
	v_cndmask_b32_e64 v2, v3, v4, s3
	ds_bpermute_b32 v3, v15, v2
	s_waitcnt lgkmcnt(0)
	v_cmp_lt_f32_e64 s3, v2, v3
	v_cndmask_b32_e64 v16, v2, v3, s3
	s_delay_alu instid0(VALU_DEP_1) | instskip(SKIP_2) | instid1(VALU_DEP_3)
	v_sub_f32_e32 v2, v8, v16
	v_sub_f32_e32 v3, v6, v16
	;; [unrolled: 1-line block ×3, first 2 shown]
	v_dual_sub_f32 v4, v9, v16 :: v_dual_mul_f32 v7, 0x3fb8aa3b, v2
	s_delay_alu instid0(VALU_DEP_3) | instskip(SKIP_1) | instid1(VALU_DEP_3)
	v_mul_f32_e32 v8, 0x3fb8aa3b, v3
	v_cmp_ngt_f32_e64 s3, 0xc2ce8ed0, v2
	v_mul_f32_e32 v9, 0x3fb8aa3b, v4
	s_delay_alu instid0(VALU_DEP_4)
	v_fma_f32 v17, 0x3fb8aa3b, v2, -v7
	v_rndne_f32_e32 v18, v7
	v_rndne_f32_e32 v20, v8
	v_fma_f32 v19, 0x3fb8aa3b, v3, -v8
	v_fma_f32 v21, 0x3fb8aa3b, v4, -v9
	v_fmac_f32_e32 v17, 0x32a5705f, v2
	s_delay_alu instid0(VALU_DEP_4) | instskip(SKIP_3) | instid1(VALU_DEP_4)
	v_dual_sub_f32 v7, v7, v18 :: v_dual_sub_f32 v8, v8, v20
	v_mul_f32_e32 v16, 0x3fb8aa3b, v6
	v_rndne_f32_e32 v22, v9
	v_cvt_i32_f32_e32 v18, v18
	v_add_f32_e32 v7, v7, v17
	s_delay_alu instid0(VALU_DEP_4) | instskip(SKIP_2) | instid1(VALU_DEP_4)
	v_fma_f32 v23, 0x3fb8aa3b, v6, -v16
	v_rndne_f32_e32 v17, v16
	v_fmac_f32_e32 v19, 0x32a5705f, v3
	v_exp_f32_e32 v7, v7
	s_delay_alu instid0(VALU_DEP_2) | instskip(NEXT) | instid1(VALU_DEP_2)
	v_dual_fmac_f32 v23, 0x32a5705f, v6 :: v_dual_sub_f32 v16, v16, v17
	v_dual_fmac_f32 v21, 0x32a5705f, v4 :: v_dual_add_f32 v8, v8, v19
	v_sub_f32_e32 v9, v9, v22
	v_cvt_i32_f32_e32 v19, v20
	s_delay_alu instid0(VALU_DEP_4) | instskip(SKIP_3) | instid1(TRANS32_DEP_2)
	v_add_f32_e32 v16, v16, v23
	v_cvt_i32_f32_e32 v20, v22
	v_exp_f32_e32 v8, v8
	v_add_f32_e32 v9, v9, v21
	v_ldexp_f32 v7, v7, v18
	v_exp_f32_e32 v16, v16
	v_cvt_i32_f32_e32 v17, v17
	s_delay_alu instid0(VALU_DEP_3) | instskip(NEXT) | instid1(VALU_DEP_2)
	v_exp_f32_e32 v9, v9
	v_cndmask_b32_e64 v7, 0, v7, s3
	v_cmp_ngt_f32_e64 s3, 0xc2ce8ed0, v3
	s_delay_alu instid0(TRANS32_DEP_3)
	v_ldexp_f32 v8, v8, v19
	s_waitcnt_depctr 0xfff
	v_ldexp_f32 v16, v16, v17
	v_cndmask_b32_e64 v8, 0, v8, s3
	v_ldexp_f32 v9, v9, v20
	v_cmp_ngt_f32_e64 s3, 0xc2ce8ed0, v4
	s_delay_alu instid0(VALU_DEP_1) | instskip(SKIP_1) | instid1(VALU_DEP_1)
	v_cndmask_b32_e64 v9, 0, v9, s3
	v_cmp_nlt_f32_e64 s3, 0x42b17218, v2
	v_cndmask_b32_e64 v7, 0x7f800000, v7, s3
	v_cmp_nlt_f32_e64 s3, 0x42b17218, v3
	s_delay_alu instid0(VALU_DEP_1) | instskip(SKIP_1) | instid1(VALU_DEP_2)
	v_cndmask_b32_e64 v8, 0x7f800000, v8, s3
	v_cmp_nlt_f32_e64 s3, 0x42b17218, v4
	v_add_f32_e32 v7, v7, v8
	s_delay_alu instid0(VALU_DEP_2) | instskip(SKIP_1) | instid1(VALU_DEP_2)
	v_cndmask_b32_e64 v9, 0x7f800000, v9, s3
	v_cmp_ngt_f32_e64 s3, 0xc2ce8ed0, v6
	v_add_f32_e32 v7, v7, v9
	s_delay_alu instid0(VALU_DEP_2) | instskip(SKIP_1) | instid1(VALU_DEP_1)
	v_cndmask_b32_e64 v8, 0, v16, s3
	v_cmp_nlt_f32_e64 s3, 0x42b17218, v6
	v_cndmask_b32_e64 v8, 0x7f800000, v8, s3
	s_delay_alu instid0(VALU_DEP_1)
	v_add_f32_e32 v7, v7, v8
	ds_bpermute_b32 v8, v10, v7
	s_waitcnt lgkmcnt(0)
	v_add_f32_e32 v7, v7, v8
	ds_bpermute_b32 v8, v11, v7
	s_waitcnt lgkmcnt(0)
	;; [unrolled: 3-line block ×5, first 2 shown]
	v_add_f32_e32 v7, v7, v8
	ds_bpermute_b32 v8, v15, v7
	v_cmpx_lt_i32_e32 0, v5
	s_cbranch_execz .LBB147_14
; %bb.9:
	s_and_b32 exec_lo, exec_lo, s2
	s_cbranch_execz .LBB147_14
; %bb.10:
	s_waitcnt lgkmcnt(0)
	v_add_f32_e32 v5, v7, v8
	s_delay_alu instid0(VALU_DEP_1) | instskip(NEXT) | instid1(VALU_DEP_1)
	v_cmp_gt_f32_e64 s2, 0x800000, v5
	v_cndmask_b32_e64 v7, 1.0, 0x4f800000, s2
	s_delay_alu instid0(VALU_DEP_1) | instskip(NEXT) | instid1(VALU_DEP_1)
	v_mul_f32_e32 v5, v5, v7
	v_log_f32_e32 v5, v5
	s_waitcnt_depctr 0xfff
	v_mul_f32_e32 v7, 0x3f317217, v5
	s_delay_alu instid0(VALU_DEP_1) | instskip(NEXT) | instid1(VALU_DEP_1)
	v_fma_f32 v8, 0x3f317217, v5, -v7
	v_fmamk_f32 v8, v5, 0x3377d1cf, v8
	s_delay_alu instid0(VALU_DEP_1) | instskip(SKIP_2) | instid1(VALU_DEP_1)
	v_add_f32_e32 v7, v7, v8
	v_cndmask_b32_e64 v8, 0, 0x41b17218, s2
	v_cmp_gt_f32_e64 s2, 0x7f800000, |v5|
	v_cndmask_b32_e64 v5, v5, v7, s2
	v_add_co_u32 v0, s2, s4, v0
	s_delay_alu instid0(VALU_DEP_1) | instskip(NEXT) | instid1(VALU_DEP_3)
	v_add_co_ci_u32_e64 v1, s2, s5, v1, s2
	v_sub_f32_e32 v5, v5, v8
	s_delay_alu instid0(VALU_DEP_1) | instskip(NEXT) | instid1(VALU_DEP_1)
	v_sub_f32_e32 v2, v2, v5
	v_bfe_u32 v7, v2, 16, 1
	v_cmp_o_f32_e64 s2, v2, v2
	s_delay_alu instid0(VALU_DEP_2) | instskip(NEXT) | instid1(VALU_DEP_1)
	v_add3_u32 v7, v2, v7, 0x7fff
	v_lshrrev_b32_e32 v7, 16, v7
	s_delay_alu instid0(VALU_DEP_1)
	v_cndmask_b32_e64 v2, 0x7fc0, v7, s2
	global_store_b16 v[0:1], v2, off
	s_and_b32 exec_lo, exec_lo, vcc_lo
	s_cbranch_execz .LBB147_14
; %bb.11:
	v_sub_f32_e32 v2, v3, v5
	s_delay_alu instid0(VALU_DEP_1) | instskip(SKIP_1) | instid1(VALU_DEP_2)
	v_bfe_u32 v3, v2, 16, 1
	v_cmp_o_f32_e32 vcc_lo, v2, v2
	v_add3_u32 v3, v2, v3, 0x7fff
	s_delay_alu instid0(VALU_DEP_1) | instskip(NEXT) | instid1(VALU_DEP_1)
	v_lshrrev_b32_e32 v3, 16, v3
	v_cndmask_b32_e32 v2, 0x7fc0, v3, vcc_lo
	global_store_b16 v[0:1], v2, off offset:128
	s_and_b32 exec_lo, exec_lo, s0
	s_cbranch_execz .LBB147_14
; %bb.12:
	v_sub_f32_e32 v2, v4, v5
	s_delay_alu instid0(VALU_DEP_1) | instskip(SKIP_1) | instid1(VALU_DEP_2)
	v_bfe_u32 v3, v2, 16, 1
	v_cmp_o_f32_e32 vcc_lo, v2, v2
	v_add3_u32 v3, v2, v3, 0x7fff
	s_delay_alu instid0(VALU_DEP_1) | instskip(NEXT) | instid1(VALU_DEP_1)
	v_lshrrev_b32_e32 v3, 16, v3
	v_cndmask_b32_e32 v2, 0x7fc0, v3, vcc_lo
	global_store_b16 v[0:1], v2, off offset:256
	s_and_b32 exec_lo, exec_lo, s1
	s_cbranch_execz .LBB147_14
; %bb.13:
	v_sub_f32_e32 v2, v6, v5
	s_delay_alu instid0(VALU_DEP_1) | instskip(SKIP_1) | instid1(VALU_DEP_2)
	v_bfe_u32 v3, v2, 16, 1
	v_cmp_o_f32_e32 vcc_lo, v2, v2
	v_add3_u32 v3, v2, v3, 0x7fff
	s_delay_alu instid0(VALU_DEP_1) | instskip(NEXT) | instid1(VALU_DEP_1)
	v_lshrrev_b32_e32 v3, 16, v3
	v_cndmask_b32_e32 v2, 0x7fc0, v3, vcc_lo
	global_store_b16 v[0:1], v2, off offset:384
.LBB147_14:
	s_nop 0
	s_sendmsg sendmsg(MSG_DEALLOC_VGPRS)
	s_endpgm
	.section	.rodata,"a",@progbits
	.p2align	6, 0x0
	.amdhsa_kernel _ZN12_GLOBAL__N_120softmax_warp_forwardIN3c108BFloat16ES2_fLi8ELb1ELb0ELi64EEEvPT0_PKT_iiiPKbib
		.amdhsa_group_segment_fixed_size 0
		.amdhsa_private_segment_fixed_size 0
		.amdhsa_kernarg_size 304
		.amdhsa_user_sgpr_count 15
		.amdhsa_user_sgpr_dispatch_ptr 0
		.amdhsa_user_sgpr_queue_ptr 0
		.amdhsa_user_sgpr_kernarg_segment_ptr 1
		.amdhsa_user_sgpr_dispatch_id 0
		.amdhsa_user_sgpr_private_segment_size 0
		.amdhsa_wavefront_size32 1
		.amdhsa_uses_dynamic_stack 0
		.amdhsa_enable_private_segment 0
		.amdhsa_system_sgpr_workgroup_id_x 1
		.amdhsa_system_sgpr_workgroup_id_y 0
		.amdhsa_system_sgpr_workgroup_id_z 0
		.amdhsa_system_sgpr_workgroup_info 0
		.amdhsa_system_vgpr_workitem_id 1
		.amdhsa_next_free_vgpr 24
		.amdhsa_next_free_sgpr 16
		.amdhsa_reserve_vcc 1
		.amdhsa_float_round_mode_32 0
		.amdhsa_float_round_mode_16_64 0
		.amdhsa_float_denorm_mode_32 3
		.amdhsa_float_denorm_mode_16_64 3
		.amdhsa_dx10_clamp 1
		.amdhsa_ieee_mode 1
		.amdhsa_fp16_overflow 0
		.amdhsa_workgroup_processor_mode 1
		.amdhsa_memory_ordered 1
		.amdhsa_forward_progress 0
		.amdhsa_shared_vgpr_count 0
		.amdhsa_exception_fp_ieee_invalid_op 0
		.amdhsa_exception_fp_denorm_src 0
		.amdhsa_exception_fp_ieee_div_zero 0
		.amdhsa_exception_fp_ieee_overflow 0
		.amdhsa_exception_fp_ieee_underflow 0
		.amdhsa_exception_fp_ieee_inexact 0
		.amdhsa_exception_int_div_zero 0
	.end_amdhsa_kernel
	.section	.text._ZN12_GLOBAL__N_120softmax_warp_forwardIN3c108BFloat16ES2_fLi8ELb1ELb0ELi64EEEvPT0_PKT_iiiPKbib,"axG",@progbits,_ZN12_GLOBAL__N_120softmax_warp_forwardIN3c108BFloat16ES2_fLi8ELb1ELb0ELi64EEEvPT0_PKT_iiiPKbib,comdat
.Lfunc_end147:
	.size	_ZN12_GLOBAL__N_120softmax_warp_forwardIN3c108BFloat16ES2_fLi8ELb1ELb0ELi64EEEvPT0_PKT_iiiPKbib, .Lfunc_end147-_ZN12_GLOBAL__N_120softmax_warp_forwardIN3c108BFloat16ES2_fLi8ELb1ELb0ELi64EEEvPT0_PKT_iiiPKbib
                                        ; -- End function
	.section	.AMDGPU.csdata,"",@progbits
; Kernel info:
; codeLenInByte = 1764
; NumSgprs: 18
; NumVgprs: 24
; ScratchSize: 0
; MemoryBound: 0
; FloatMode: 240
; IeeeMode: 1
; LDSByteSize: 0 bytes/workgroup (compile time only)
; SGPRBlocks: 2
; VGPRBlocks: 2
; NumSGPRsForWavesPerEU: 18
; NumVGPRsForWavesPerEU: 24
; Occupancy: 16
; WaveLimiterHint : 0
; COMPUTE_PGM_RSRC2:SCRATCH_EN: 0
; COMPUTE_PGM_RSRC2:USER_SGPR: 15
; COMPUTE_PGM_RSRC2:TRAP_HANDLER: 0
; COMPUTE_PGM_RSRC2:TGID_X_EN: 1
; COMPUTE_PGM_RSRC2:TGID_Y_EN: 0
; COMPUTE_PGM_RSRC2:TGID_Z_EN: 0
; COMPUTE_PGM_RSRC2:TIDIG_COMP_CNT: 1
	.section	.text._ZN12_GLOBAL__N_120softmax_warp_forwardIN3c108BFloat16ES2_fLi8ELb1ELb0ELi32EEEvPT0_PKT_iiiPKbib,"axG",@progbits,_ZN12_GLOBAL__N_120softmax_warp_forwardIN3c108BFloat16ES2_fLi8ELb1ELb0ELi32EEEvPT0_PKT_iiiPKbib,comdat
	.globl	_ZN12_GLOBAL__N_120softmax_warp_forwardIN3c108BFloat16ES2_fLi8ELb1ELb0ELi32EEEvPT0_PKT_iiiPKbib ; -- Begin function _ZN12_GLOBAL__N_120softmax_warp_forwardIN3c108BFloat16ES2_fLi8ELb1ELb0ELi32EEEvPT0_PKT_iiiPKbib
	.p2align	8
	.type	_ZN12_GLOBAL__N_120softmax_warp_forwardIN3c108BFloat16ES2_fLi8ELb1ELb0ELi32EEEvPT0_PKT_iiiPKbib,@function
_ZN12_GLOBAL__N_120softmax_warp_forwardIN3c108BFloat16ES2_fLi8ELb1ELb0ELi32EEEvPT0_PKT_iiiPKbib: ; @_ZN12_GLOBAL__N_120softmax_warp_forwardIN3c108BFloat16ES2_fLi8ELb1ELb0ELi32EEEvPT0_PKT_iiiPKbib
; %bb.0:
	s_clause 0x1
	s_load_b32 s2, s[0:1], 0x3c
	s_load_b256 s[16:23], s[0:1], 0x0
	v_bfe_u32 v1, v0, 10, 10
	v_dual_mov_b32 v6, 0xff800000 :: v_dual_mov_b32 v9, 0xff800000
	s_waitcnt lgkmcnt(0)
	s_lshr_b32 s0, s2, 16
	s_delay_alu instid0(VALU_DEP_2) | instid1(SALU_CYCLE_1)
	v_mad_u64_u32 v[3:4], null, s15, s0, v[1:2]
	v_and_b32_e32 v2, 0x3ff, v0
	s_delay_alu instid0(VALU_DEP_1) | instskip(NEXT) | instid1(VALU_DEP_3)
	v_cmp_gt_i32_e64 s3, s22, v2
	v_mad_u64_u32 v[0:1], null, v3, s21, v[2:3]
	v_sub_nc_u32_e32 v5, s20, v3
	s_delay_alu instid0(VALU_DEP_1) | instskip(NEXT) | instid1(VALU_DEP_3)
	v_cmp_lt_i32_e64 s7, 0, v5
	v_ashrrev_i32_e32 v1, 31, v0
	s_delay_alu instid0(VALU_DEP_2) | instskip(NEXT) | instid1(VALU_DEP_1)
	s_and_b32 s1, s7, s3
	v_lshlrev_b64 v[0:1], 1, v[0:1]
	s_delay_alu instid0(VALU_DEP_1) | instskip(NEXT) | instid1(VALU_DEP_2)
	v_add_co_u32 v3, vcc_lo, s18, v0
	v_add_co_ci_u32_e32 v4, vcc_lo, s19, v1, vcc_lo
	s_and_saveexec_b32 s0, s1
	s_cbranch_execz .LBB148_2
; %bb.1:
	global_load_u16 v7, v[3:4], off
	s_waitcnt vmcnt(0)
	v_lshlrev_b32_e32 v9, 16, v7
.LBB148_2:
	s_or_b32 exec_lo, exec_lo, s0
	v_add_nc_u32_e32 v7, 32, v2
	s_delay_alu instid0(VALU_DEP_1) | instskip(SKIP_1) | instid1(SALU_CYCLE_1)
	v_cmp_gt_i32_e32 vcc_lo, s22, v7
	s_and_b32 s1, s7, vcc_lo
	s_and_saveexec_b32 s0, s1
	s_cbranch_execz .LBB148_4
; %bb.3:
	global_load_u16 v6, v[3:4], off offset:64
	s_waitcnt vmcnt(0)
	v_lshlrev_b32_e32 v6, 16, v6
.LBB148_4:
	s_or_b32 exec_lo, exec_lo, s0
	v_add_nc_u32_e32 v7, 64, v2
	v_mov_b32_e32 v11, 0xff800000
	s_delay_alu instid0(VALU_DEP_2) | instskip(SKIP_1) | instid1(VALU_DEP_2)
	v_cmp_gt_i32_e64 s0, s22, v7
	v_mov_b32_e32 v7, 0xff800000
	s_and_b32 s2, s7, s0
	s_delay_alu instid0(SALU_CYCLE_1)
	s_and_saveexec_b32 s1, s2
	s_cbranch_execz .LBB148_6
; %bb.5:
	global_load_u16 v8, v[3:4], off offset:128
	s_waitcnt vmcnt(0)
	v_lshlrev_b32_e32 v11, 16, v8
.LBB148_6:
	s_or_b32 exec_lo, exec_lo, s1
	v_add_nc_u32_e32 v8, 0x60, v2
	s_delay_alu instid0(VALU_DEP_1) | instskip(NEXT) | instid1(VALU_DEP_1)
	v_cmp_gt_i32_e64 s1, s22, v8
	s_and_b32 s4, s7, s1
	s_delay_alu instid0(SALU_CYCLE_1)
	s_and_saveexec_b32 s2, s4
	s_cbranch_execz .LBB148_8
; %bb.7:
	global_load_u16 v7, v[3:4], off offset:192
	s_waitcnt vmcnt(0)
	v_lshlrev_b32_e32 v7, 16, v7
.LBB148_8:
	s_or_b32 exec_lo, exec_lo, s2
	v_add_nc_u32_e32 v8, 0x80, v2
	v_mov_b32_e32 v12, 0xff800000
	s_delay_alu instid0(VALU_DEP_2) | instskip(SKIP_1) | instid1(VALU_DEP_2)
	v_cmp_gt_i32_e64 s2, s22, v8
	v_mov_b32_e32 v8, 0xff800000
	s_and_b32 s5, s7, s2
	s_delay_alu instid0(SALU_CYCLE_1)
	s_and_saveexec_b32 s4, s5
	s_cbranch_execz .LBB148_10
; %bb.9:
	global_load_u16 v10, v[3:4], off offset:256
	s_waitcnt vmcnt(0)
	v_lshlrev_b32_e32 v12, 16, v10
.LBB148_10:
	s_or_b32 exec_lo, exec_lo, s4
	v_add_nc_u32_e32 v10, 0xa0, v2
	s_delay_alu instid0(VALU_DEP_1) | instskip(NEXT) | instid1(VALU_DEP_1)
	v_cmp_gt_i32_e64 s4, s22, v10
	s_and_b32 s6, s7, s4
	s_delay_alu instid0(SALU_CYCLE_1)
	;; [unrolled: 28-line block ×3, first 2 shown]
	s_and_saveexec_b32 s7, s8
	s_cbranch_execz .LBB148_16
; %bb.15:
	global_load_u16 v2, v[3:4], off offset:448
	s_waitcnt vmcnt(0)
	v_lshlrev_b32_e32 v10, 16, v2
.LBB148_16:
	s_or_b32 exec_lo, exec_lo, s7
	v_cmp_gt_f32_e64 s7, v9, v6
	v_mbcnt_lo_u32_b32 v3, -1, 0
	s_mov_b32 s8, exec_lo
	s_delay_alu instid0(VALU_DEP_2) | instskip(NEXT) | instid1(VALU_DEP_2)
	v_cndmask_b32_e64 v2, v6, v9, s7
	v_xor_b32_e32 v4, 16, v3
	v_xor_b32_e32 v15, 8, v3
	;; [unrolled: 1-line block ×4, first 2 shown]
	v_cmp_gt_f32_e64 s7, v2, v11
	v_xor_b32_e32 v18, 1, v3
	s_delay_alu instid0(VALU_DEP_2) | instskip(NEXT) | instid1(VALU_DEP_1)
	v_cndmask_b32_e64 v2, v11, v2, s7
	v_cmp_gt_f32_e64 s7, v2, v7
	s_delay_alu instid0(VALU_DEP_1) | instskip(NEXT) | instid1(VALU_DEP_1)
	v_cndmask_b32_e64 v2, v7, v2, s7
	v_cmp_gt_f32_e64 s7, v2, v12
	s_delay_alu instid0(VALU_DEP_1) | instskip(NEXT) | instid1(VALU_DEP_1)
	v_cndmask_b32_e64 v2, v12, v2, s7
	v_cmp_gt_f32_e64 s7, v2, v8
	s_delay_alu instid0(VALU_DEP_1) | instskip(SKIP_1) | instid1(VALU_DEP_1)
	v_cndmask_b32_e64 v2, v8, v2, s7
	v_cmp_gt_i32_e64 s7, 32, v4
	v_cndmask_b32_e64 v4, v3, v4, s7
	s_delay_alu instid0(VALU_DEP_3) | instskip(NEXT) | instid1(VALU_DEP_2)
	v_cmp_gt_f32_e64 s7, v2, v13
	v_lshlrev_b32_e32 v14, 2, v4
	s_delay_alu instid0(VALU_DEP_2) | instskip(NEXT) | instid1(VALU_DEP_1)
	v_cndmask_b32_e64 v2, v13, v2, s7
	v_cmp_gt_f32_e64 s7, v2, v10
	s_delay_alu instid0(VALU_DEP_1) | instskip(SKIP_3) | instid1(VALU_DEP_1)
	v_cndmask_b32_e64 v2, v10, v2, s7
	v_cmp_gt_i32_e64 s7, 32, v15
	ds_bpermute_b32 v4, v14, v2
	v_cndmask_b32_e64 v15, v3, v15, s7
	v_lshlrev_b32_e32 v15, 2, v15
	s_waitcnt lgkmcnt(0)
	v_cmp_lt_f32_e64 s7, v2, v4
	s_delay_alu instid0(VALU_DEP_1) | instskip(SKIP_3) | instid1(VALU_DEP_1)
	v_cndmask_b32_e64 v2, v2, v4, s7
	v_cmp_gt_i32_e64 s7, 32, v16
	ds_bpermute_b32 v4, v15, v2
	v_cndmask_b32_e64 v16, v3, v16, s7
	v_lshlrev_b32_e32 v16, 2, v16
	s_waitcnt lgkmcnt(0)
	v_cmp_lt_f32_e64 s7, v2, v4
	;; [unrolled: 8-line block ×4, first 2 shown]
	s_delay_alu instid0(VALU_DEP_1) | instskip(SKIP_3) | instid1(VALU_DEP_1)
	v_cndmask_b32_e64 v2, v2, v4, s7
	ds_bpermute_b32 v3, v18, v2
	s_waitcnt lgkmcnt(0)
	v_cmp_lt_f32_e64 s7, v2, v3
	v_cndmask_b32_e64 v19, v2, v3, s7
	s_delay_alu instid0(VALU_DEP_1)
	v_sub_f32_e32 v2, v9, v19
	v_sub_f32_e32 v3, v6, v19
	;; [unrolled: 1-line block ×5, first 2 shown]
	v_dual_mul_f32 v11, 0x3fb8aa3b, v2 :: v_dual_sub_f32 v10, v10, v19
	v_sub_f32_e32 v8, v8, v19
	v_cmp_ngt_f32_e64 s7, 0xc2ce8ed0, v2
	s_delay_alu instid0(VALU_DEP_3) | instskip(NEXT) | instid1(VALU_DEP_4)
	v_fma_f32 v24, 0x3fb8aa3b, v2, -v11
	v_mul_f32_e32 v23, 0x3fb8aa3b, v10
	v_sub_f32_e32 v9, v13, v19
	v_mul_f32_e32 v19, 0x3fb8aa3b, v6
	v_mul_f32_e32 v13, 0x3fb8aa3b, v4
	v_fmac_f32_e32 v24, 0x32a5705f, v2
	v_rndne_f32_e32 v25, v11
	v_mul_f32_e32 v12, 0x3fb8aa3b, v3
	v_rndne_f32_e32 v31, v19
	v_fma_f32 v28, 0x3fb8aa3b, v4, -v13
	v_rndne_f32_e32 v29, v13
	v_sub_f32_e32 v11, v11, v25
	v_fma_f32 v26, 0x3fb8aa3b, v3, -v12
	v_rndne_f32_e32 v27, v12
	s_delay_alu instid0(VALU_DEP_4) | instskip(SKIP_1) | instid1(VALU_DEP_4)
	v_dual_mul_f32 v20, 0x3fb8aa3b, v7 :: v_dual_sub_f32 v13, v13, v29
	v_fma_f32 v30, 0x3fb8aa3b, v6, -v19
	v_dual_fmac_f32 v26, 0x32a5705f, v3 :: v_dual_add_f32 v11, v11, v24
	v_dual_fmac_f32 v28, 0x32a5705f, v4 :: v_dual_sub_f32 v19, v19, v31
	v_sub_f32_e32 v12, v12, v27
	v_cvt_i32_f32_e32 v25, v25
	s_delay_alu instid0(VALU_DEP_4) | instskip(NEXT) | instid1(VALU_DEP_3)
	v_exp_f32_e32 v11, v11
	v_add_f32_e32 v13, v13, v28
	s_delay_alu instid0(VALU_DEP_3) | instskip(SKIP_2) | instid1(VALU_DEP_4)
	v_dual_mul_f32 v21, 0x3fb8aa3b, v8 :: v_dual_add_f32 v12, v12, v26
	v_cvt_i32_f32_e32 v27, v27
	v_fma_f32 v32, 0x3fb8aa3b, v7, -v20
	v_exp_f32_e32 v13, v13
	s_delay_alu instid0(VALU_DEP_3) | instskip(SKIP_2) | instid1(TRANS32_DEP_3)
	v_rndne_f32_e32 v35, v21
	v_exp_f32_e32 v12, v12
	v_cvt_i32_f32_e32 v29, v29
	v_ldexp_f32 v11, v11, v25
	v_fmac_f32_e32 v30, 0x32a5705f, v6
	v_fma_f32 v34, 0x3fb8aa3b, v8, -v21
	v_sub_f32_e32 v21, v21, v35
	v_fmac_f32_e32 v32, 0x32a5705f, v7
	v_cndmask_b32_e64 v11, 0, v11, s7
	v_add_f32_e32 v19, v19, v30
	v_cmp_ngt_f32_e64 s7, 0xc2ce8ed0, v3
	v_ldexp_f32 v12, v12, v27
	v_ldexp_f32 v13, v13, v29
	v_cvt_i32_f32_e32 v31, v31
	v_exp_f32_e32 v19, v19
	v_mul_f32_e32 v22, 0x3fb8aa3b, v9
	v_cndmask_b32_e64 v12, 0, v12, s7
	v_cmp_ngt_f32_e64 s7, 0xc2ce8ed0, v4
	v_rndne_f32_e32 v33, v20
	v_rndne_f32_e32 v39, v23
	v_rndne_f32_e32 v37, v22
	v_fma_f32 v36, 0x3fb8aa3b, v9, -v22
	v_cndmask_b32_e64 v13, 0, v13, s7
	v_cmp_nlt_f32_e64 s7, 0x42b17218, v2
	v_ldexp_f32 v19, v19, v31
	v_sub_f32_e32 v20, v20, v33
	v_fma_f32 v38, 0x3fb8aa3b, v10, -v23
	v_sub_f32_e32 v23, v23, v39
	v_cndmask_b32_e64 v11, 0x7f800000, v11, s7
	v_cmp_nlt_f32_e64 s7, 0x42b17218, v3
	v_add_f32_e32 v20, v20, v32
	v_cvt_i32_f32_e32 v33, v33
	v_cvt_i32_f32_e32 v35, v35
	;; [unrolled: 1-line block ×3, first 2 shown]
	v_cndmask_b32_e64 v12, 0x7f800000, v12, s7
	v_cmp_ngt_f32_e64 s7, 0xc2ce8ed0, v6
	v_sub_f32_e32 v22, v22, v37
	v_exp_f32_e32 v20, v20
	v_cvt_i32_f32_e32 v26, v39
	v_add_f32_e32 v11, v11, v12
	v_cndmask_b32_e64 v19, 0, v19, s7
	v_cmp_nlt_f32_e64 s7, 0x42b17218, v4
	s_delay_alu instid0(VALU_DEP_1) | instskip(SKIP_1) | instid1(TRANS32_DEP_1)
	v_cndmask_b32_e64 v13, 0x7f800000, v13, s7
	v_fmac_f32_e32 v38, 0x32a5705f, v10
	v_ldexp_f32 v20, v20, v33
	v_cmp_ngt_f32_e64 s7, 0xc2ce8ed0, v7
	s_delay_alu instid0(VALU_DEP_4) | instskip(NEXT) | instid1(VALU_DEP_4)
	v_dual_add_f32 v11, v11, v13 :: v_dual_fmac_f32 v34, 0x32a5705f, v8
	v_dual_add_f32 v23, v23, v38 :: v_dual_fmac_f32 v36, 0x32a5705f, v9
	s_delay_alu instid0(VALU_DEP_3) | instskip(SKIP_1) | instid1(VALU_DEP_4)
	v_cndmask_b32_e64 v12, 0, v20, s7
	v_cmp_nlt_f32_e64 s7, 0x42b17218, v6
	v_add_f32_e32 v21, v21, v34
	s_delay_alu instid0(VALU_DEP_4) | instskip(SKIP_1) | instid1(VALU_DEP_3)
	v_exp_f32_e32 v23, v23
	v_add_f32_e32 v22, v22, v36
	v_cndmask_b32_e64 v19, 0x7f800000, v19, s7
	s_delay_alu instid0(VALU_DEP_3) | instskip(SKIP_1) | instid1(VALU_DEP_3)
	v_exp_f32_e32 v21, v21
	v_cmp_ngt_f32_e64 s7, 0xc2ce8ed0, v8
	v_exp_f32_e32 v22, v22
	s_delay_alu instid0(VALU_DEP_2) | instskip(SKIP_3) | instid1(VALU_DEP_2)
	v_add_f32_e32 v11, v11, v19
	s_waitcnt_depctr 0xfff
	v_ldexp_f32 v21, v21, v35
	v_ldexp_f32 v22, v22, v24
	v_cndmask_b32_e64 v13, 0, v21, s7
	v_cmp_nlt_f32_e64 s7, 0x42b17218, v7
	s_delay_alu instid0(VALU_DEP_1) | instskip(SKIP_1) | instid1(VALU_DEP_2)
	v_cndmask_b32_e64 v12, 0x7f800000, v12, s7
	v_cmp_ngt_f32_e64 s7, 0xc2ce8ed0, v9
	v_add_f32_e32 v11, v11, v12
	s_delay_alu instid0(VALU_DEP_2) | instskip(SKIP_2) | instid1(VALU_DEP_2)
	v_cndmask_b32_e64 v19, 0, v22, s7
	v_cmp_nlt_f32_e64 s7, 0x42b17218, v8
	v_ldexp_f32 v12, v23, v26
	v_cndmask_b32_e64 v13, 0x7f800000, v13, s7
	v_cmp_nlt_f32_e64 s7, 0x42b17218, v9
	s_delay_alu instid0(VALU_DEP_2) | instskip(NEXT) | instid1(VALU_DEP_2)
	v_add_f32_e32 v11, v11, v13
	v_cndmask_b32_e64 v19, 0x7f800000, v19, s7
	v_cmp_ngt_f32_e64 s7, 0xc2ce8ed0, v10
	s_delay_alu instid0(VALU_DEP_2) | instskip(NEXT) | instid1(VALU_DEP_2)
	v_add_f32_e32 v11, v11, v19
	v_cndmask_b32_e64 v12, 0, v12, s7
	v_cmp_nlt_f32_e64 s7, 0x42b17218, v10
	s_delay_alu instid0(VALU_DEP_1) | instskip(NEXT) | instid1(VALU_DEP_1)
	v_cndmask_b32_e64 v12, 0x7f800000, v12, s7
	v_add_f32_e32 v11, v11, v12
	ds_bpermute_b32 v12, v14, v11
	s_waitcnt lgkmcnt(0)
	v_add_f32_e32 v11, v11, v12
	ds_bpermute_b32 v12, v15, v11
	s_waitcnt lgkmcnt(0)
	;; [unrolled: 3-line block ×4, first 2 shown]
	v_add_f32_e32 v11, v11, v12
	ds_bpermute_b32 v12, v18, v11
	v_cmpx_lt_i32_e32 0, v5
	s_cbranch_execz .LBB148_26
; %bb.17:
	s_and_b32 exec_lo, exec_lo, s3
	s_cbranch_execz .LBB148_26
; %bb.18:
	s_waitcnt lgkmcnt(0)
	v_add_f32_e32 v5, v11, v12
	s_delay_alu instid0(VALU_DEP_1) | instskip(NEXT) | instid1(VALU_DEP_1)
	v_cmp_gt_f32_e64 s3, 0x800000, v5
	v_cndmask_b32_e64 v11, 1.0, 0x4f800000, s3
	s_delay_alu instid0(VALU_DEP_1) | instskip(NEXT) | instid1(VALU_DEP_1)
	v_mul_f32_e32 v5, v5, v11
	v_log_f32_e32 v5, v5
	s_waitcnt_depctr 0xfff
	v_mul_f32_e32 v11, 0x3f317217, v5
	s_delay_alu instid0(VALU_DEP_1) | instskip(NEXT) | instid1(VALU_DEP_1)
	v_fma_f32 v12, 0x3f317217, v5, -v11
	v_fmamk_f32 v12, v5, 0x3377d1cf, v12
	s_delay_alu instid0(VALU_DEP_1) | instskip(SKIP_2) | instid1(VALU_DEP_1)
	v_add_f32_e32 v11, v11, v12
	v_cndmask_b32_e64 v12, 0, 0x41b17218, s3
	v_cmp_gt_f32_e64 s3, 0x7f800000, |v5|
	v_cndmask_b32_e64 v5, v5, v11, s3
	v_add_co_u32 v0, s3, s16, v0
	s_delay_alu instid0(VALU_DEP_1) | instskip(NEXT) | instid1(VALU_DEP_3)
	v_add_co_ci_u32_e64 v1, s3, s17, v1, s3
	v_sub_f32_e32 v5, v5, v12
	s_delay_alu instid0(VALU_DEP_1) | instskip(NEXT) | instid1(VALU_DEP_1)
	v_sub_f32_e32 v2, v2, v5
	v_bfe_u32 v11, v2, 16, 1
	v_cmp_o_f32_e64 s3, v2, v2
	s_delay_alu instid0(VALU_DEP_2) | instskip(NEXT) | instid1(VALU_DEP_1)
	v_add3_u32 v11, v2, v11, 0x7fff
	v_lshrrev_b32_e32 v11, 16, v11
	s_delay_alu instid0(VALU_DEP_1)
	v_cndmask_b32_e64 v2, 0x7fc0, v11, s3
	global_store_b16 v[0:1], v2, off
	s_and_b32 exec_lo, exec_lo, vcc_lo
	s_cbranch_execz .LBB148_26
; %bb.19:
	v_sub_f32_e32 v2, v3, v5
	s_delay_alu instid0(VALU_DEP_1) | instskip(SKIP_1) | instid1(VALU_DEP_2)
	v_bfe_u32 v3, v2, 16, 1
	v_cmp_o_f32_e32 vcc_lo, v2, v2
	v_add3_u32 v3, v2, v3, 0x7fff
	s_delay_alu instid0(VALU_DEP_1) | instskip(NEXT) | instid1(VALU_DEP_1)
	v_lshrrev_b32_e32 v3, 16, v3
	v_cndmask_b32_e32 v2, 0x7fc0, v3, vcc_lo
	global_store_b16 v[0:1], v2, off offset:64
	s_and_b32 exec_lo, exec_lo, s0
	s_cbranch_execz .LBB148_26
; %bb.20:
	v_sub_f32_e32 v2, v4, v5
	s_delay_alu instid0(VALU_DEP_1) | instskip(SKIP_1) | instid1(VALU_DEP_2)
	v_bfe_u32 v3, v2, 16, 1
	v_cmp_o_f32_e32 vcc_lo, v2, v2
	v_add3_u32 v3, v2, v3, 0x7fff
	s_delay_alu instid0(VALU_DEP_1) | instskip(NEXT) | instid1(VALU_DEP_1)
	v_lshrrev_b32_e32 v3, 16, v3
	v_cndmask_b32_e32 v2, 0x7fc0, v3, vcc_lo
	global_store_b16 v[0:1], v2, off offset:128
	s_and_b32 exec_lo, exec_lo, s1
	;; [unrolled: 12-line block ×6, first 2 shown]
	s_cbranch_execz .LBB148_26
; %bb.25:
	v_sub_f32_e32 v2, v10, v5
	s_delay_alu instid0(VALU_DEP_1) | instskip(SKIP_1) | instid1(VALU_DEP_2)
	v_bfe_u32 v3, v2, 16, 1
	v_cmp_o_f32_e32 vcc_lo, v2, v2
	v_add3_u32 v3, v2, v3, 0x7fff
	s_delay_alu instid0(VALU_DEP_1) | instskip(NEXT) | instid1(VALU_DEP_1)
	v_lshrrev_b32_e32 v3, 16, v3
	v_cndmask_b32_e32 v2, 0x7fc0, v3, vcc_lo
	global_store_b16 v[0:1], v2, off offset:448
.LBB148_26:
	s_nop 0
	s_sendmsg sendmsg(MSG_DEALLOC_VGPRS)
	s_endpgm
	.section	.rodata,"a",@progbits
	.p2align	6, 0x0
	.amdhsa_kernel _ZN12_GLOBAL__N_120softmax_warp_forwardIN3c108BFloat16ES2_fLi8ELb1ELb0ELi32EEEvPT0_PKT_iiiPKbib
		.amdhsa_group_segment_fixed_size 0
		.amdhsa_private_segment_fixed_size 0
		.amdhsa_kernarg_size 304
		.amdhsa_user_sgpr_count 15
		.amdhsa_user_sgpr_dispatch_ptr 0
		.amdhsa_user_sgpr_queue_ptr 0
		.amdhsa_user_sgpr_kernarg_segment_ptr 1
		.amdhsa_user_sgpr_dispatch_id 0
		.amdhsa_user_sgpr_private_segment_size 0
		.amdhsa_wavefront_size32 1
		.amdhsa_uses_dynamic_stack 0
		.amdhsa_enable_private_segment 0
		.amdhsa_system_sgpr_workgroup_id_x 1
		.amdhsa_system_sgpr_workgroup_id_y 0
		.amdhsa_system_sgpr_workgroup_id_z 0
		.amdhsa_system_sgpr_workgroup_info 0
		.amdhsa_system_vgpr_workitem_id 1
		.amdhsa_next_free_vgpr 40
		.amdhsa_next_free_sgpr 24
		.amdhsa_reserve_vcc 1
		.amdhsa_float_round_mode_32 0
		.amdhsa_float_round_mode_16_64 0
		.amdhsa_float_denorm_mode_32 3
		.amdhsa_float_denorm_mode_16_64 3
		.amdhsa_dx10_clamp 1
		.amdhsa_ieee_mode 1
		.amdhsa_fp16_overflow 0
		.amdhsa_workgroup_processor_mode 1
		.amdhsa_memory_ordered 1
		.amdhsa_forward_progress 0
		.amdhsa_shared_vgpr_count 0
		.amdhsa_exception_fp_ieee_invalid_op 0
		.amdhsa_exception_fp_denorm_src 0
		.amdhsa_exception_fp_ieee_div_zero 0
		.amdhsa_exception_fp_ieee_overflow 0
		.amdhsa_exception_fp_ieee_underflow 0
		.amdhsa_exception_fp_ieee_inexact 0
		.amdhsa_exception_int_div_zero 0
	.end_amdhsa_kernel
	.section	.text._ZN12_GLOBAL__N_120softmax_warp_forwardIN3c108BFloat16ES2_fLi8ELb1ELb0ELi32EEEvPT0_PKT_iiiPKbib,"axG",@progbits,_ZN12_GLOBAL__N_120softmax_warp_forwardIN3c108BFloat16ES2_fLi8ELb1ELb0ELi32EEEvPT0_PKT_iiiPKbib,comdat
.Lfunc_end148:
	.size	_ZN12_GLOBAL__N_120softmax_warp_forwardIN3c108BFloat16ES2_fLi8ELb1ELb0ELi32EEEvPT0_PKT_iiiPKbib, .Lfunc_end148-_ZN12_GLOBAL__N_120softmax_warp_forwardIN3c108BFloat16ES2_fLi8ELb1ELb0ELi32EEEvPT0_PKT_iiiPKbib
                                        ; -- End function
	.section	.AMDGPU.csdata,"",@progbits
; Kernel info:
; codeLenInByte = 2720
; NumSgprs: 26
; NumVgprs: 40
; ScratchSize: 0
; MemoryBound: 0
; FloatMode: 240
; IeeeMode: 1
; LDSByteSize: 0 bytes/workgroup (compile time only)
; SGPRBlocks: 3
; VGPRBlocks: 4
; NumSGPRsForWavesPerEU: 26
; NumVGPRsForWavesPerEU: 40
; Occupancy: 16
; WaveLimiterHint : 0
; COMPUTE_PGM_RSRC2:SCRATCH_EN: 0
; COMPUTE_PGM_RSRC2:USER_SGPR: 15
; COMPUTE_PGM_RSRC2:TRAP_HANDLER: 0
; COMPUTE_PGM_RSRC2:TGID_X_EN: 1
; COMPUTE_PGM_RSRC2:TGID_Y_EN: 0
; COMPUTE_PGM_RSRC2:TGID_Z_EN: 0
; COMPUTE_PGM_RSRC2:TIDIG_COMP_CNT: 1
	.section	.text._ZN12_GLOBAL__N_120softmax_warp_forwardIN3c108BFloat16ES2_fLi9ELb1ELb0ELi64EEEvPT0_PKT_iiiPKbib,"axG",@progbits,_ZN12_GLOBAL__N_120softmax_warp_forwardIN3c108BFloat16ES2_fLi9ELb1ELb0ELi64EEEvPT0_PKT_iiiPKbib,comdat
	.globl	_ZN12_GLOBAL__N_120softmax_warp_forwardIN3c108BFloat16ES2_fLi9ELb1ELb0ELi64EEEvPT0_PKT_iiiPKbib ; -- Begin function _ZN12_GLOBAL__N_120softmax_warp_forwardIN3c108BFloat16ES2_fLi9ELb1ELb0ELi64EEEvPT0_PKT_iiiPKbib
	.p2align	8
	.type	_ZN12_GLOBAL__N_120softmax_warp_forwardIN3c108BFloat16ES2_fLi9ELb1ELb0ELi64EEEvPT0_PKT_iiiPKbib,@function
_ZN12_GLOBAL__N_120softmax_warp_forwardIN3c108BFloat16ES2_fLi9ELb1ELb0ELi64EEEvPT0_PKT_iiiPKbib: ; @_ZN12_GLOBAL__N_120softmax_warp_forwardIN3c108BFloat16ES2_fLi9ELb1ELb0ELi64EEEvPT0_PKT_iiiPKbib
; %bb.0:
	s_clause 0x1
	s_load_b32 s2, s[0:1], 0x3c
	s_load_b256 s[16:23], s[0:1], 0x0
	v_bfe_u32 v1, v0, 10, 10
	v_dual_mov_b32 v6, 0xff800000 :: v_dual_mov_b32 v9, 0xff800000
	s_waitcnt lgkmcnt(0)
	s_lshr_b32 s0, s2, 16
	s_delay_alu instid0(VALU_DEP_2) | instid1(SALU_CYCLE_1)
	v_mad_u64_u32 v[3:4], null, s15, s0, v[1:2]
	v_and_b32_e32 v2, 0x3ff, v0
	s_delay_alu instid0(VALU_DEP_1) | instskip(NEXT) | instid1(VALU_DEP_3)
	v_cmp_gt_i32_e64 s3, s22, v2
	v_mad_u64_u32 v[0:1], null, v3, s21, v[2:3]
	v_sub_nc_u32_e32 v5, s20, v3
	s_delay_alu instid0(VALU_DEP_1) | instskip(NEXT) | instid1(VALU_DEP_3)
	v_cmp_lt_i32_e64 s7, 0, v5
	v_ashrrev_i32_e32 v1, 31, v0
	s_delay_alu instid0(VALU_DEP_2) | instskip(NEXT) | instid1(VALU_DEP_1)
	s_and_b32 s1, s7, s3
	v_lshlrev_b64 v[0:1], 1, v[0:1]
	s_delay_alu instid0(VALU_DEP_1) | instskip(NEXT) | instid1(VALU_DEP_2)
	v_add_co_u32 v3, vcc_lo, s18, v0
	v_add_co_ci_u32_e32 v4, vcc_lo, s19, v1, vcc_lo
	s_and_saveexec_b32 s0, s1
	s_cbranch_execz .LBB149_2
; %bb.1:
	global_load_u16 v7, v[3:4], off
	s_waitcnt vmcnt(0)
	v_lshlrev_b32_e32 v9, 16, v7
.LBB149_2:
	s_or_b32 exec_lo, exec_lo, s0
	v_add_nc_u32_e32 v7, 64, v2
	s_delay_alu instid0(VALU_DEP_1) | instskip(SKIP_1) | instid1(SALU_CYCLE_1)
	v_cmp_gt_i32_e32 vcc_lo, s22, v7
	s_and_b32 s1, s7, vcc_lo
	s_and_saveexec_b32 s0, s1
	s_cbranch_execz .LBB149_4
; %bb.3:
	global_load_u16 v6, v[3:4], off offset:128
	s_waitcnt vmcnt(0)
	v_lshlrev_b32_e32 v6, 16, v6
.LBB149_4:
	s_or_b32 exec_lo, exec_lo, s0
	v_add_nc_u32_e32 v7, 0x80, v2
	v_mov_b32_e32 v11, 0xff800000
	s_delay_alu instid0(VALU_DEP_2) | instskip(SKIP_1) | instid1(VALU_DEP_2)
	v_cmp_gt_i32_e64 s0, s22, v7
	v_mov_b32_e32 v7, 0xff800000
	s_and_b32 s2, s7, s0
	s_delay_alu instid0(SALU_CYCLE_1)
	s_and_saveexec_b32 s1, s2
	s_cbranch_execz .LBB149_6
; %bb.5:
	global_load_u16 v8, v[3:4], off offset:256
	s_waitcnt vmcnt(0)
	v_lshlrev_b32_e32 v11, 16, v8
.LBB149_6:
	s_or_b32 exec_lo, exec_lo, s1
	v_add_nc_u32_e32 v8, 0xc0, v2
	s_delay_alu instid0(VALU_DEP_1) | instskip(NEXT) | instid1(VALU_DEP_1)
	v_cmp_gt_i32_e64 s1, s22, v8
	s_and_b32 s4, s7, s1
	s_delay_alu instid0(SALU_CYCLE_1)
	s_and_saveexec_b32 s2, s4
	s_cbranch_execz .LBB149_8
; %bb.7:
	global_load_u16 v7, v[3:4], off offset:384
	s_waitcnt vmcnt(0)
	v_lshlrev_b32_e32 v7, 16, v7
.LBB149_8:
	s_or_b32 exec_lo, exec_lo, s2
	v_add_nc_u32_e32 v8, 0x100, v2
	v_mov_b32_e32 v12, 0xff800000
	s_delay_alu instid0(VALU_DEP_2) | instskip(SKIP_1) | instid1(VALU_DEP_2)
	v_cmp_gt_i32_e64 s2, s22, v8
	v_mov_b32_e32 v8, 0xff800000
	s_and_b32 s5, s7, s2
	s_delay_alu instid0(SALU_CYCLE_1)
	s_and_saveexec_b32 s4, s5
	s_cbranch_execz .LBB149_10
; %bb.9:
	global_load_u16 v10, v[3:4], off offset:512
	s_waitcnt vmcnt(0)
	v_lshlrev_b32_e32 v12, 16, v10
.LBB149_10:
	s_or_b32 exec_lo, exec_lo, s4
	v_add_nc_u32_e32 v10, 0x140, v2
	s_delay_alu instid0(VALU_DEP_1) | instskip(NEXT) | instid1(VALU_DEP_1)
	v_cmp_gt_i32_e64 s4, s22, v10
	s_and_b32 s6, s7, s4
	s_delay_alu instid0(SALU_CYCLE_1)
	;; [unrolled: 28-line block ×3, first 2 shown]
	s_and_saveexec_b32 s7, s8
	s_cbranch_execz .LBB149_16
; %bb.15:
	global_load_u16 v2, v[3:4], off offset:896
	s_waitcnt vmcnt(0)
	v_lshlrev_b32_e32 v10, 16, v2
.LBB149_16:
	s_or_b32 exec_lo, exec_lo, s7
	v_cmp_gt_f32_e64 s7, v9, v6
	v_mbcnt_lo_u32_b32 v3, -1, 0
	s_mov_b32 s8, exec_lo
	s_delay_alu instid0(VALU_DEP_2) | instskip(NEXT) | instid1(VALU_DEP_2)
	v_cndmask_b32_e64 v2, v6, v9, s7
	v_or_b32_e32 v4, 32, v3
	v_xor_b32_e32 v15, 16, v3
	v_xor_b32_e32 v16, 8, v3
	;; [unrolled: 1-line block ×3, first 2 shown]
	v_cmp_gt_f32_e64 s7, v2, v11
	v_xor_b32_e32 v18, 2, v3
	v_xor_b32_e32 v19, 1, v3
	s_delay_alu instid0(VALU_DEP_3) | instskip(NEXT) | instid1(VALU_DEP_1)
	v_cndmask_b32_e64 v2, v11, v2, s7
	v_cmp_gt_f32_e64 s7, v2, v7
	s_delay_alu instid0(VALU_DEP_1) | instskip(NEXT) | instid1(VALU_DEP_1)
	v_cndmask_b32_e64 v2, v7, v2, s7
	v_cmp_gt_f32_e64 s7, v2, v12
	s_delay_alu instid0(VALU_DEP_1) | instskip(NEXT) | instid1(VALU_DEP_1)
	v_cndmask_b32_e64 v2, v12, v2, s7
	v_cmp_gt_f32_e64 s7, v2, v8
	s_delay_alu instid0(VALU_DEP_1) | instskip(SKIP_1) | instid1(VALU_DEP_1)
	v_cndmask_b32_e64 v2, v8, v2, s7
	v_cmp_gt_i32_e64 s7, 64, v4
	v_cndmask_b32_e64 v4, v3, v4, s7
	s_delay_alu instid0(VALU_DEP_3) | instskip(NEXT) | instid1(VALU_DEP_2)
	v_cmp_gt_f32_e64 s7, v2, v13
	v_lshlrev_b32_e32 v14, 2, v4
	s_delay_alu instid0(VALU_DEP_2) | instskip(NEXT) | instid1(VALU_DEP_1)
	v_cndmask_b32_e64 v2, v13, v2, s7
	v_cmp_gt_f32_e64 s7, v2, v10
	s_delay_alu instid0(VALU_DEP_1) | instskip(SKIP_3) | instid1(VALU_DEP_1)
	v_cndmask_b32_e64 v2, v10, v2, s7
	v_cmp_gt_i32_e64 s7, 64, v15
	ds_bpermute_b32 v4, v14, v2
	v_cndmask_b32_e64 v15, v3, v15, s7
	v_lshlrev_b32_e32 v15, 2, v15
	s_waitcnt lgkmcnt(0)
	v_cmp_lt_f32_e64 s7, v2, v4
	s_delay_alu instid0(VALU_DEP_1) | instskip(SKIP_3) | instid1(VALU_DEP_1)
	v_cndmask_b32_e64 v2, v2, v4, s7
	v_cmp_gt_i32_e64 s7, 64, v16
	ds_bpermute_b32 v4, v15, v2
	v_cndmask_b32_e64 v16, v3, v16, s7
	v_lshlrev_b32_e32 v16, 2, v16
	s_waitcnt lgkmcnt(0)
	v_cmp_lt_f32_e64 s7, v2, v4
	;; [unrolled: 8-line block ×5, first 2 shown]
	s_delay_alu instid0(VALU_DEP_1) | instskip(SKIP_3) | instid1(VALU_DEP_1)
	v_cndmask_b32_e64 v2, v2, v4, s7
	ds_bpermute_b32 v3, v19, v2
	s_waitcnt lgkmcnt(0)
	v_cmp_lt_f32_e64 s7, v2, v3
	v_cndmask_b32_e64 v20, v2, v3, s7
	s_delay_alu instid0(VALU_DEP_1) | instskip(SKIP_4) | instid1(VALU_DEP_4)
	v_sub_f32_e32 v2, v9, v20
	v_sub_f32_e32 v3, v6, v20
	;; [unrolled: 1-line block ×5, first 2 shown]
	v_dual_mul_f32 v11, 0x3fb8aa3b, v2 :: v_dual_mul_f32 v12, 0x3fb8aa3b, v3
	v_sub_f32_e32 v9, v13, v20
	s_delay_alu instid0(VALU_DEP_3) | instskip(NEXT) | instid1(VALU_DEP_3)
	v_dual_sub_f32 v8, v8, v20 :: v_dual_mul_f32 v21, 0x3fb8aa3b, v7
	v_fma_f32 v25, 0x3fb8aa3b, v2, -v11
	v_rndne_f32_e32 v26, v11
	v_sub_f32_e32 v10, v10, v20
	v_dual_mul_f32 v20, 0x3fb8aa3b, v6 :: v_dual_mul_f32 v23, 0x3fb8aa3b, v9
	s_delay_alu instid0(VALU_DEP_4) | instskip(NEXT) | instid1(VALU_DEP_3)
	v_fmac_f32_e32 v25, 0x32a5705f, v2
	v_dual_mul_f32 v13, 0x3fb8aa3b, v4 :: v_dual_mul_f32 v24, 0x3fb8aa3b, v10
	v_dual_mul_f32 v22, 0x3fb8aa3b, v8 :: v_dual_sub_f32 v11, v11, v26
	v_fma_f32 v27, 0x3fb8aa3b, v3, -v12
	v_rndne_f32_e32 v28, v12
	s_delay_alu instid0(VALU_DEP_4) | instskip(SKIP_2) | instid1(VALU_DEP_4)
	v_fma_f32 v29, 0x3fb8aa3b, v4, -v13
	v_rndne_f32_e32 v30, v13
	v_add_f32_e32 v11, v11, v25
	v_dual_fmac_f32 v27, 0x32a5705f, v3 :: v_dual_sub_f32 v12, v12, v28
	v_rndne_f32_e32 v32, v20
	v_fmac_f32_e32 v29, 0x32a5705f, v4
	v_sub_f32_e32 v13, v13, v30
	v_exp_f32_e32 v11, v11
	v_add_f32_e32 v12, v12, v27
	v_fma_f32 v31, 0x3fb8aa3b, v6, -v20
	v_sub_f32_e32 v20, v20, v32
	v_cvt_i32_f32_e32 v26, v26
	v_add_f32_e32 v13, v13, v29
	v_exp_f32_e32 v12, v12
	v_cvt_i32_f32_e32 v28, v28
	v_cmp_ngt_f32_e64 s7, 0xc2ce8ed0, v2
	v_rndne_f32_e32 v34, v21
	v_exp_f32_e32 v13, v13
	v_ldexp_f32 v11, v11, v26
	v_rndne_f32_e32 v36, v22
	v_cvt_i32_f32_e32 v30, v30
	v_fmac_f32_e32 v31, 0x32a5705f, v6
	v_fma_f32 v33, 0x3fb8aa3b, v7, -v21
	v_ldexp_f32 v12, v12, v28
	v_cndmask_b32_e64 v11, 0, v11, s7
	v_cmp_ngt_f32_e64 s7, 0xc2ce8ed0, v3
	v_fma_f32 v35, 0x3fb8aa3b, v8, -v22
	v_dual_sub_f32 v22, v22, v36 :: v_dual_sub_f32 v21, v21, v34
	v_add_f32_e32 v20, v20, v31
	v_ldexp_f32 v13, v13, v30
	v_cndmask_b32_e64 v12, 0, v12, s7
	v_cmp_ngt_f32_e64 s7, 0xc2ce8ed0, v4
	v_rndne_f32_e32 v40, v24
	v_fmac_f32_e32 v33, 0x32a5705f, v7
	v_exp_f32_e32 v20, v20
	v_fma_f32 v39, 0x3fb8aa3b, v10, -v24
	v_cndmask_b32_e64 v13, 0, v13, s7
	v_sub_f32_e32 v24, v24, v40
	v_cmp_nlt_f32_e64 s7, 0x42b17218, v2
	v_cvt_i32_f32_e32 v32, v32
	v_add_f32_e32 v21, v21, v33
	v_fma_f32 v37, 0x3fb8aa3b, v9, -v23
	v_fmac_f32_e32 v39, 0x32a5705f, v10
	v_cndmask_b32_e64 v11, 0x7f800000, v11, s7
	v_cmp_nlt_f32_e64 s7, 0x42b17218, v3
	v_fmac_f32_e32 v35, 0x32a5705f, v8
	v_exp_f32_e32 v21, v21
	v_add_f32_e32 v24, v24, v39
	v_ldexp_f32 v20, v20, v32
	v_cndmask_b32_e64 v12, 0x7f800000, v12, s7
	v_cmp_ngt_f32_e64 s7, 0xc2ce8ed0, v6
	v_rndne_f32_e32 v38, v23
	v_cvt_i32_f32_e32 v34, v34
	v_dual_fmac_f32 v37, 0x32a5705f, v9 :: v_dual_add_f32 v22, v22, v35
	s_delay_alu instid0(VALU_DEP_4)
	v_cndmask_b32_e64 v20, 0, v20, s7
	v_cmp_nlt_f32_e64 s7, 0x42b17218, v4
	v_sub_f32_e32 v23, v23, v38
	v_ldexp_f32 v21, v21, v34
	v_exp_f32_e32 v22, v22
	v_cvt_i32_f32_e32 v36, v36
	v_cndmask_b32_e64 v13, 0x7f800000, v13, s7
	v_cmp_ngt_f32_e64 s7, 0xc2ce8ed0, v7
	v_add_f32_e32 v23, v23, v37
	v_add_f32_e32 v11, v11, v12
	v_cvt_i32_f32_e32 v25, v38
	v_exp_f32_e32 v24, v24
	v_cndmask_b32_e64 v12, 0, v21, s7
	v_cmp_nlt_f32_e64 s7, 0x42b17218, v6
	v_exp_f32_e32 v23, v23
	v_ldexp_f32 v22, v22, v36
	v_add_f32_e32 v11, v11, v13
	v_cvt_i32_f32_e32 v27, v40
	v_cndmask_b32_e64 v20, 0x7f800000, v20, s7
	v_cmp_ngt_f32_e64 s7, 0xc2ce8ed0, v8
	s_delay_alu instid0(VALU_DEP_2) | instskip(NEXT) | instid1(VALU_DEP_2)
	v_add_f32_e32 v11, v11, v20
	v_cndmask_b32_e64 v13, 0, v22, s7
	v_cmp_nlt_f32_e64 s7, 0x42b17218, v7
	s_delay_alu instid0(TRANS32_DEP_1) | instskip(NEXT) | instid1(VALU_DEP_2)
	v_ldexp_f32 v23, v23, v25
	v_cndmask_b32_e64 v12, 0x7f800000, v12, s7
	v_cmp_ngt_f32_e64 s7, 0xc2ce8ed0, v9
	s_delay_alu instid0(VALU_DEP_2) | instskip(NEXT) | instid1(VALU_DEP_2)
	v_add_f32_e32 v11, v11, v12
	v_cndmask_b32_e64 v20, 0, v23, s7
	v_cmp_nlt_f32_e64 s7, 0x42b17218, v8
	v_ldexp_f32 v12, v24, v27
	s_delay_alu instid0(VALU_DEP_2) | instskip(SKIP_1) | instid1(VALU_DEP_2)
	v_cndmask_b32_e64 v13, 0x7f800000, v13, s7
	v_cmp_nlt_f32_e64 s7, 0x42b17218, v9
	v_add_f32_e32 v11, v11, v13
	s_delay_alu instid0(VALU_DEP_2) | instskip(SKIP_1) | instid1(VALU_DEP_2)
	v_cndmask_b32_e64 v20, 0x7f800000, v20, s7
	v_cmp_ngt_f32_e64 s7, 0xc2ce8ed0, v10
	v_add_f32_e32 v11, v11, v20
	s_delay_alu instid0(VALU_DEP_2) | instskip(SKIP_1) | instid1(VALU_DEP_1)
	v_cndmask_b32_e64 v12, 0, v12, s7
	v_cmp_nlt_f32_e64 s7, 0x42b17218, v10
	v_cndmask_b32_e64 v12, 0x7f800000, v12, s7
	s_delay_alu instid0(VALU_DEP_1)
	v_add_f32_e32 v11, v11, v12
	ds_bpermute_b32 v12, v14, v11
	s_waitcnt lgkmcnt(0)
	v_add_f32_e32 v11, v11, v12
	ds_bpermute_b32 v12, v15, v11
	s_waitcnt lgkmcnt(0)
	;; [unrolled: 3-line block ×5, first 2 shown]
	v_add_f32_e32 v11, v11, v12
	ds_bpermute_b32 v12, v19, v11
	v_cmpx_lt_i32_e32 0, v5
	s_cbranch_execz .LBB149_26
; %bb.17:
	s_and_b32 exec_lo, exec_lo, s3
	s_cbranch_execz .LBB149_26
; %bb.18:
	s_waitcnt lgkmcnt(0)
	v_add_f32_e32 v5, v11, v12
	s_delay_alu instid0(VALU_DEP_1) | instskip(NEXT) | instid1(VALU_DEP_1)
	v_cmp_gt_f32_e64 s3, 0x800000, v5
	v_cndmask_b32_e64 v11, 1.0, 0x4f800000, s3
	s_delay_alu instid0(VALU_DEP_1) | instskip(NEXT) | instid1(VALU_DEP_1)
	v_mul_f32_e32 v5, v5, v11
	v_log_f32_e32 v5, v5
	s_waitcnt_depctr 0xfff
	v_mul_f32_e32 v11, 0x3f317217, v5
	s_delay_alu instid0(VALU_DEP_1) | instskip(NEXT) | instid1(VALU_DEP_1)
	v_fma_f32 v12, 0x3f317217, v5, -v11
	v_fmamk_f32 v12, v5, 0x3377d1cf, v12
	s_delay_alu instid0(VALU_DEP_1) | instskip(SKIP_2) | instid1(VALU_DEP_1)
	v_add_f32_e32 v11, v11, v12
	v_cndmask_b32_e64 v12, 0, 0x41b17218, s3
	v_cmp_gt_f32_e64 s3, 0x7f800000, |v5|
	v_cndmask_b32_e64 v5, v5, v11, s3
	v_add_co_u32 v0, s3, s16, v0
	s_delay_alu instid0(VALU_DEP_1) | instskip(NEXT) | instid1(VALU_DEP_3)
	v_add_co_ci_u32_e64 v1, s3, s17, v1, s3
	v_sub_f32_e32 v5, v5, v12
	s_delay_alu instid0(VALU_DEP_1) | instskip(NEXT) | instid1(VALU_DEP_1)
	v_sub_f32_e32 v2, v2, v5
	v_bfe_u32 v11, v2, 16, 1
	v_cmp_o_f32_e64 s3, v2, v2
	s_delay_alu instid0(VALU_DEP_2) | instskip(NEXT) | instid1(VALU_DEP_1)
	v_add3_u32 v11, v2, v11, 0x7fff
	v_lshrrev_b32_e32 v11, 16, v11
	s_delay_alu instid0(VALU_DEP_1)
	v_cndmask_b32_e64 v2, 0x7fc0, v11, s3
	global_store_b16 v[0:1], v2, off
	s_and_b32 exec_lo, exec_lo, vcc_lo
	s_cbranch_execz .LBB149_26
; %bb.19:
	v_sub_f32_e32 v2, v3, v5
	s_delay_alu instid0(VALU_DEP_1) | instskip(SKIP_1) | instid1(VALU_DEP_2)
	v_bfe_u32 v3, v2, 16, 1
	v_cmp_o_f32_e32 vcc_lo, v2, v2
	v_add3_u32 v3, v2, v3, 0x7fff
	s_delay_alu instid0(VALU_DEP_1) | instskip(NEXT) | instid1(VALU_DEP_1)
	v_lshrrev_b32_e32 v3, 16, v3
	v_cndmask_b32_e32 v2, 0x7fc0, v3, vcc_lo
	global_store_b16 v[0:1], v2, off offset:128
	s_and_b32 exec_lo, exec_lo, s0
	s_cbranch_execz .LBB149_26
; %bb.20:
	v_sub_f32_e32 v2, v4, v5
	s_delay_alu instid0(VALU_DEP_1) | instskip(SKIP_1) | instid1(VALU_DEP_2)
	v_bfe_u32 v3, v2, 16, 1
	v_cmp_o_f32_e32 vcc_lo, v2, v2
	v_add3_u32 v3, v2, v3, 0x7fff
	s_delay_alu instid0(VALU_DEP_1) | instskip(NEXT) | instid1(VALU_DEP_1)
	v_lshrrev_b32_e32 v3, 16, v3
	v_cndmask_b32_e32 v2, 0x7fc0, v3, vcc_lo
	global_store_b16 v[0:1], v2, off offset:256
	s_and_b32 exec_lo, exec_lo, s1
	;; [unrolled: 12-line block ×6, first 2 shown]
	s_cbranch_execz .LBB149_26
; %bb.25:
	v_sub_f32_e32 v2, v10, v5
	s_delay_alu instid0(VALU_DEP_1) | instskip(SKIP_1) | instid1(VALU_DEP_2)
	v_bfe_u32 v3, v2, 16, 1
	v_cmp_o_f32_e32 vcc_lo, v2, v2
	v_add3_u32 v3, v2, v3, 0x7fff
	s_delay_alu instid0(VALU_DEP_1) | instskip(NEXT) | instid1(VALU_DEP_1)
	v_lshrrev_b32_e32 v3, 16, v3
	v_cndmask_b32_e32 v2, 0x7fc0, v3, vcc_lo
	global_store_b16 v[0:1], v2, off offset:896
.LBB149_26:
	s_nop 0
	s_sendmsg sendmsg(MSG_DEALLOC_VGPRS)
	s_endpgm
	.section	.rodata,"a",@progbits
	.p2align	6, 0x0
	.amdhsa_kernel _ZN12_GLOBAL__N_120softmax_warp_forwardIN3c108BFloat16ES2_fLi9ELb1ELb0ELi64EEEvPT0_PKT_iiiPKbib
		.amdhsa_group_segment_fixed_size 0
		.amdhsa_private_segment_fixed_size 0
		.amdhsa_kernarg_size 304
		.amdhsa_user_sgpr_count 15
		.amdhsa_user_sgpr_dispatch_ptr 0
		.amdhsa_user_sgpr_queue_ptr 0
		.amdhsa_user_sgpr_kernarg_segment_ptr 1
		.amdhsa_user_sgpr_dispatch_id 0
		.amdhsa_user_sgpr_private_segment_size 0
		.amdhsa_wavefront_size32 1
		.amdhsa_uses_dynamic_stack 0
		.amdhsa_enable_private_segment 0
		.amdhsa_system_sgpr_workgroup_id_x 1
		.amdhsa_system_sgpr_workgroup_id_y 0
		.amdhsa_system_sgpr_workgroup_id_z 0
		.amdhsa_system_sgpr_workgroup_info 0
		.amdhsa_system_vgpr_workitem_id 1
		.amdhsa_next_free_vgpr 41
		.amdhsa_next_free_sgpr 24
		.amdhsa_reserve_vcc 1
		.amdhsa_float_round_mode_32 0
		.amdhsa_float_round_mode_16_64 0
		.amdhsa_float_denorm_mode_32 3
		.amdhsa_float_denorm_mode_16_64 3
		.amdhsa_dx10_clamp 1
		.amdhsa_ieee_mode 1
		.amdhsa_fp16_overflow 0
		.amdhsa_workgroup_processor_mode 1
		.amdhsa_memory_ordered 1
		.amdhsa_forward_progress 0
		.amdhsa_shared_vgpr_count 0
		.amdhsa_exception_fp_ieee_invalid_op 0
		.amdhsa_exception_fp_denorm_src 0
		.amdhsa_exception_fp_ieee_div_zero 0
		.amdhsa_exception_fp_ieee_overflow 0
		.amdhsa_exception_fp_ieee_underflow 0
		.amdhsa_exception_fp_ieee_inexact 0
		.amdhsa_exception_int_div_zero 0
	.end_amdhsa_kernel
	.section	.text._ZN12_GLOBAL__N_120softmax_warp_forwardIN3c108BFloat16ES2_fLi9ELb1ELb0ELi64EEEvPT0_PKT_iiiPKbib,"axG",@progbits,_ZN12_GLOBAL__N_120softmax_warp_forwardIN3c108BFloat16ES2_fLi9ELb1ELb0ELi64EEEvPT0_PKT_iiiPKbib,comdat
.Lfunc_end149:
	.size	_ZN12_GLOBAL__N_120softmax_warp_forwardIN3c108BFloat16ES2_fLi9ELb1ELb0ELi64EEEvPT0_PKT_iiiPKbib, .Lfunc_end149-_ZN12_GLOBAL__N_120softmax_warp_forwardIN3c108BFloat16ES2_fLi9ELb1ELb0ELi64EEEvPT0_PKT_iiiPKbib
                                        ; -- End function
	.section	.AMDGPU.csdata,"",@progbits
; Kernel info:
; codeLenInByte = 2760
; NumSgprs: 26
; NumVgprs: 41
; ScratchSize: 0
; MemoryBound: 0
; FloatMode: 240
; IeeeMode: 1
; LDSByteSize: 0 bytes/workgroup (compile time only)
; SGPRBlocks: 3
; VGPRBlocks: 5
; NumSGPRsForWavesPerEU: 26
; NumVGPRsForWavesPerEU: 41
; Occupancy: 16
; WaveLimiterHint : 0
; COMPUTE_PGM_RSRC2:SCRATCH_EN: 0
; COMPUTE_PGM_RSRC2:USER_SGPR: 15
; COMPUTE_PGM_RSRC2:TRAP_HANDLER: 0
; COMPUTE_PGM_RSRC2:TGID_X_EN: 1
; COMPUTE_PGM_RSRC2:TGID_Y_EN: 0
; COMPUTE_PGM_RSRC2:TGID_Z_EN: 0
; COMPUTE_PGM_RSRC2:TIDIG_COMP_CNT: 1
	.section	.text._ZN12_GLOBAL__N_120softmax_warp_forwardIN3c108BFloat16ES2_fLi9ELb1ELb0ELi32EEEvPT0_PKT_iiiPKbib,"axG",@progbits,_ZN12_GLOBAL__N_120softmax_warp_forwardIN3c108BFloat16ES2_fLi9ELb1ELb0ELi32EEEvPT0_PKT_iiiPKbib,comdat
	.globl	_ZN12_GLOBAL__N_120softmax_warp_forwardIN3c108BFloat16ES2_fLi9ELb1ELb0ELi32EEEvPT0_PKT_iiiPKbib ; -- Begin function _ZN12_GLOBAL__N_120softmax_warp_forwardIN3c108BFloat16ES2_fLi9ELb1ELb0ELi32EEEvPT0_PKT_iiiPKbib
	.p2align	8
	.type	_ZN12_GLOBAL__N_120softmax_warp_forwardIN3c108BFloat16ES2_fLi9ELb1ELb0ELi32EEEvPT0_PKT_iiiPKbib,@function
_ZN12_GLOBAL__N_120softmax_warp_forwardIN3c108BFloat16ES2_fLi9ELb1ELb0ELi32EEEvPT0_PKT_iiiPKbib: ; @_ZN12_GLOBAL__N_120softmax_warp_forwardIN3c108BFloat16ES2_fLi9ELb1ELb0ELi32EEEvPT0_PKT_iiiPKbib
; %bb.0:
	s_clause 0x1
	s_load_b32 s2, s[0:1], 0x3c
	s_load_b256 s[16:23], s[0:1], 0x0
	v_bfe_u32 v1, v0, 10, 10
	v_dual_mov_b32 v6, 0xff800000 :: v_dual_mov_b32 v9, 0xff800000
	s_waitcnt lgkmcnt(0)
	s_lshr_b32 s0, s2, 16
	s_delay_alu instid0(VALU_DEP_2) | instid1(SALU_CYCLE_1)
	v_mad_u64_u32 v[3:4], null, s15, s0, v[1:2]
	v_and_b32_e32 v2, 0x3ff, v0
	s_delay_alu instid0(VALU_DEP_1) | instskip(NEXT) | instid1(VALU_DEP_3)
	v_cmp_gt_i32_e64 s3, s22, v2
	v_mad_u64_u32 v[0:1], null, v3, s21, v[2:3]
	v_sub_nc_u32_e32 v5, s20, v3
	s_delay_alu instid0(VALU_DEP_1) | instskip(NEXT) | instid1(VALU_DEP_3)
	v_cmp_lt_i32_e64 s15, 0, v5
	v_ashrrev_i32_e32 v1, 31, v0
	s_delay_alu instid0(VALU_DEP_2) | instskip(NEXT) | instid1(VALU_DEP_1)
	s_and_b32 s1, s15, s3
	v_lshlrev_b64 v[0:1], 1, v[0:1]
	s_delay_alu instid0(VALU_DEP_1) | instskip(NEXT) | instid1(VALU_DEP_2)
	v_add_co_u32 v3, vcc_lo, s18, v0
	v_add_co_ci_u32_e32 v4, vcc_lo, s19, v1, vcc_lo
	s_and_saveexec_b32 s0, s1
	s_cbranch_execz .LBB150_2
; %bb.1:
	global_load_u16 v7, v[3:4], off
	s_waitcnt vmcnt(0)
	v_lshlrev_b32_e32 v9, 16, v7
.LBB150_2:
	s_or_b32 exec_lo, exec_lo, s0
	v_add_nc_u32_e32 v7, 32, v2
	s_delay_alu instid0(VALU_DEP_1) | instskip(SKIP_1) | instid1(SALU_CYCLE_1)
	v_cmp_gt_i32_e32 vcc_lo, s22, v7
	s_and_b32 s1, s15, vcc_lo
	s_and_saveexec_b32 s0, s1
	s_cbranch_execz .LBB150_4
; %bb.3:
	global_load_u16 v6, v[3:4], off offset:64
	s_waitcnt vmcnt(0)
	v_lshlrev_b32_e32 v6, 16, v6
.LBB150_4:
	s_or_b32 exec_lo, exec_lo, s0
	v_dual_mov_b32 v12, 0xff800000 :: v_dual_add_nc_u32 v7, 64, v2
	s_delay_alu instid0(VALU_DEP_1) | instskip(SKIP_1) | instid1(VALU_DEP_2)
	v_cmp_gt_i32_e64 s0, s22, v7
	v_mov_b32_e32 v7, 0xff800000
	s_and_b32 s2, s15, s0
	s_delay_alu instid0(SALU_CYCLE_1)
	s_and_saveexec_b32 s1, s2
	s_cbranch_execz .LBB150_6
; %bb.5:
	global_load_u16 v8, v[3:4], off offset:128
	s_waitcnt vmcnt(0)
	v_lshlrev_b32_e32 v12, 16, v8
.LBB150_6:
	s_or_b32 exec_lo, exec_lo, s1
	v_add_nc_u32_e32 v8, 0x60, v2
	s_delay_alu instid0(VALU_DEP_1) | instskip(NEXT) | instid1(VALU_DEP_1)
	v_cmp_gt_i32_e64 s1, s22, v8
	s_and_b32 s4, s15, s1
	s_delay_alu instid0(SALU_CYCLE_1)
	s_and_saveexec_b32 s2, s4
	s_cbranch_execz .LBB150_8
; %bb.7:
	global_load_u16 v7, v[3:4], off offset:192
	s_waitcnt vmcnt(0)
	v_lshlrev_b32_e32 v7, 16, v7
.LBB150_8:
	s_or_b32 exec_lo, exec_lo, s2
	v_add_nc_u32_e32 v8, 0x80, v2
	v_dual_mov_b32 v10, 0xff800000 :: v_dual_mov_b32 v15, 0xff800000
	s_delay_alu instid0(VALU_DEP_2) | instskip(NEXT) | instid1(VALU_DEP_1)
	v_cmp_gt_i32_e64 s2, s22, v8
	s_and_b32 s5, s15, s2
	s_delay_alu instid0(SALU_CYCLE_1)
	s_and_saveexec_b32 s4, s5
	s_cbranch_execz .LBB150_10
; %bb.9:
	global_load_u16 v8, v[3:4], off offset:256
	s_waitcnt vmcnt(0)
	v_lshlrev_b32_e32 v15, 16, v8
.LBB150_10:
	s_or_b32 exec_lo, exec_lo, s4
	v_add_nc_u32_e32 v8, 0xa0, v2
	s_delay_alu instid0(VALU_DEP_1) | instskip(NEXT) | instid1(VALU_DEP_1)
	v_cmp_gt_i32_e64 s4, s22, v8
	s_and_b32 s6, s15, s4
	s_delay_alu instid0(SALU_CYCLE_1)
	s_and_saveexec_b32 s5, s6
	s_cbranch_execz .LBB150_12
; %bb.11:
	global_load_u16 v8, v[3:4], off offset:320
	s_waitcnt vmcnt(0)
	v_lshlrev_b32_e32 v10, 16, v8
.LBB150_12:
	s_or_b32 exec_lo, exec_lo, s5
	v_add_nc_u32_e32 v8, 0xc0, v2
	v_mov_b32_e32 v13, 0xff800000
	v_mov_b32_e32 v17, 0xff800000
	s_delay_alu instid0(VALU_DEP_3) | instskip(NEXT) | instid1(VALU_DEP_1)
	v_cmp_gt_i32_e64 s5, s22, v8
	s_and_b32 s7, s15, s5
	s_delay_alu instid0(SALU_CYCLE_1)
	s_and_saveexec_b32 s6, s7
	s_cbranch_execz .LBB150_14
; %bb.13:
	global_load_u16 v8, v[3:4], off offset:384
	s_waitcnt vmcnt(0)
	v_lshlrev_b32_e32 v17, 16, v8
.LBB150_14:
	s_or_b32 exec_lo, exec_lo, s6
	v_add_nc_u32_e32 v8, 0xe0, v2
	s_delay_alu instid0(VALU_DEP_1) | instskip(NEXT) | instid1(VALU_DEP_1)
	v_cmp_gt_i32_e64 s6, s22, v8
	s_and_b32 s8, s15, s6
	s_delay_alu instid0(SALU_CYCLE_1)
	s_and_saveexec_b32 s7, s8
	s_cbranch_execz .LBB150_16
; %bb.15:
	global_load_u16 v8, v[3:4], off offset:448
	s_waitcnt vmcnt(0)
	v_lshlrev_b32_e32 v13, 16, v8
.LBB150_16:
	s_or_b32 exec_lo, exec_lo, s7
	v_add_nc_u32_e32 v8, 0x100, v2
	v_mov_b32_e32 v16, 0xff800000
	v_mov_b32_e32 v20, 0xff800000
	s_delay_alu instid0(VALU_DEP_3) | instskip(NEXT) | instid1(VALU_DEP_1)
	v_cmp_gt_i32_e64 s7, s22, v8
	s_and_b32 s9, s15, s7
	s_delay_alu instid0(SALU_CYCLE_1)
	s_and_saveexec_b32 s8, s9
	s_cbranch_execz .LBB150_18
; %bb.17:
	global_load_u16 v8, v[3:4], off offset:512
	s_waitcnt vmcnt(0)
	v_lshlrev_b32_e32 v20, 16, v8
.LBB150_18:
	s_or_b32 exec_lo, exec_lo, s8
	v_add_nc_u32_e32 v8, 0x120, v2
	s_delay_alu instid0(VALU_DEP_1) | instskip(NEXT) | instid1(VALU_DEP_1)
	v_cmp_gt_i32_e64 s8, s22, v8
	s_and_b32 s10, s15, s8
	s_delay_alu instid0(SALU_CYCLE_1)
	s_and_saveexec_b32 s9, s10
	s_cbranch_execz .LBB150_20
; %bb.19:
	global_load_u16 v8, v[3:4], off offset:576
	s_waitcnt vmcnt(0)
	v_lshlrev_b32_e32 v16, 16, v8
.LBB150_20:
	s_or_b32 exec_lo, exec_lo, s9
	v_add_nc_u32_e32 v8, 0x140, v2
	v_dual_mov_b32 v19, 0xff800000 :: v_dual_mov_b32 v22, 0xff800000
	s_delay_alu instid0(VALU_DEP_2) | instskip(NEXT) | instid1(VALU_DEP_1)
	v_cmp_gt_i32_e64 s9, s22, v8
	s_and_b32 s11, s15, s9
	s_delay_alu instid0(SALU_CYCLE_1)
	s_and_saveexec_b32 s10, s11
	s_cbranch_execz .LBB150_22
; %bb.21:
	global_load_u16 v8, v[3:4], off offset:640
	s_waitcnt vmcnt(0)
	v_lshlrev_b32_e32 v22, 16, v8
.LBB150_22:
	s_or_b32 exec_lo, exec_lo, s10
	v_add_nc_u32_e32 v8, 0x160, v2
	s_delay_alu instid0(VALU_DEP_1) | instskip(NEXT) | instid1(VALU_DEP_1)
	v_cmp_gt_i32_e64 s10, s22, v8
	s_and_b32 s12, s15, s10
	s_delay_alu instid0(SALU_CYCLE_1)
	s_and_saveexec_b32 s11, s12
	s_cbranch_execz .LBB150_24
; %bb.23:
	global_load_u16 v8, v[3:4], off offset:704
	s_waitcnt vmcnt(0)
	v_lshlrev_b32_e32 v19, 16, v8
.LBB150_24:
	s_or_b32 exec_lo, exec_lo, s11
	v_add_nc_u32_e32 v8, 0x180, v2
	v_dual_mov_b32 v21, 0xff800000 :: v_dual_mov_b32 v24, 0xff800000
	s_delay_alu instid0(VALU_DEP_2) | instskip(NEXT) | instid1(VALU_DEP_1)
	v_cmp_gt_i32_e64 s11, s22, v8
	s_and_b32 s13, s15, s11
	s_delay_alu instid0(SALU_CYCLE_1)
	s_and_saveexec_b32 s12, s13
	s_cbranch_execz .LBB150_26
; %bb.25:
	global_load_u16 v8, v[3:4], off offset:768
	s_waitcnt vmcnt(0)
	v_lshlrev_b32_e32 v24, 16, v8
.LBB150_26:
	s_or_b32 exec_lo, exec_lo, s12
	v_add_nc_u32_e32 v8, 0x1a0, v2
	s_delay_alu instid0(VALU_DEP_1) | instskip(NEXT) | instid1(VALU_DEP_1)
	v_cmp_gt_i32_e64 s12, s22, v8
	s_and_b32 s14, s15, s12
	s_delay_alu instid0(SALU_CYCLE_1)
	s_and_saveexec_b32 s13, s14
	s_cbranch_execz .LBB150_28
; %bb.27:
	global_load_u16 v8, v[3:4], off offset:832
	s_waitcnt vmcnt(0)
	v_lshlrev_b32_e32 v21, 16, v8
.LBB150_28:
	s_or_b32 exec_lo, exec_lo, s13
	v_add_nc_u32_e32 v8, 0x1c0, v2
	v_mov_b32_e32 v23, 0xff800000
	v_mov_b32_e32 v25, 0xff800000
	s_delay_alu instid0(VALU_DEP_3) | instskip(NEXT) | instid1(VALU_DEP_1)
	v_cmp_gt_i32_e64 s13, s22, v8
	s_and_b32 s18, s15, s13
	s_delay_alu instid0(SALU_CYCLE_1)
	s_and_saveexec_b32 s14, s18
	s_cbranch_execz .LBB150_30
; %bb.29:
	global_load_u16 v8, v[3:4], off offset:896
	s_waitcnt vmcnt(0)
	v_lshlrev_b32_e32 v25, 16, v8
.LBB150_30:
	s_or_b32 exec_lo, exec_lo, s14
	v_add_nc_u32_e32 v2, 0x1e0, v2
	s_delay_alu instid0(VALU_DEP_1) | instskip(NEXT) | instid1(VALU_DEP_1)
	v_cmp_gt_i32_e64 s14, s22, v2
	s_and_b32 s18, s15, s14
	s_delay_alu instid0(SALU_CYCLE_1)
	s_and_saveexec_b32 s15, s18
	s_cbranch_execz .LBB150_32
; %bb.31:
	global_load_u16 v2, v[3:4], off offset:960
	s_waitcnt vmcnt(0)
	v_lshlrev_b32_e32 v23, 16, v2
.LBB150_32:
	s_or_b32 exec_lo, exec_lo, s15
	v_cmp_gt_f32_e64 s15, v9, v6
	v_mbcnt_lo_u32_b32 v3, -1, 0
	s_mov_b32 s18, exec_lo
	s_delay_alu instid0(VALU_DEP_2) | instskip(NEXT) | instid1(VALU_DEP_2)
	v_cndmask_b32_e64 v2, v6, v9, s15
	v_xor_b32_e32 v4, 16, v3
	s_delay_alu instid0(VALU_DEP_2) | instskip(NEXT) | instid1(VALU_DEP_1)
	v_cmp_gt_f32_e64 s15, v2, v12
	v_cndmask_b32_e64 v2, v12, v2, s15
	s_delay_alu instid0(VALU_DEP_1) | instskip(NEXT) | instid1(VALU_DEP_1)
	v_cmp_gt_f32_e64 s15, v2, v7
	v_cndmask_b32_e64 v2, v7, v2, s15
	s_delay_alu instid0(VALU_DEP_1) | instskip(NEXT) | instid1(VALU_DEP_1)
	;; [unrolled: 3-line block ×11, first 2 shown]
	v_cmp_gt_f32_e64 s15, v2, v21
	v_cndmask_b32_e64 v2, v21, v2, s15
	v_cmp_gt_i32_e64 s15, 32, v4
	s_delay_alu instid0(VALU_DEP_1) | instskip(NEXT) | instid1(VALU_DEP_3)
	v_cndmask_b32_e64 v4, v3, v4, s15
	v_cmp_gt_f32_e64 s15, v2, v25
	s_delay_alu instid0(VALU_DEP_1) | instskip(NEXT) | instid1(VALU_DEP_3)
	v_cndmask_b32_e64 v8, v25, v2, s15
	v_lshlrev_b32_e32 v2, 2, v4
	s_delay_alu instid0(VALU_DEP_2) | instskip(NEXT) | instid1(VALU_DEP_1)
	v_cmp_gt_f32_e64 s15, v8, v23
	v_cndmask_b32_e64 v4, v23, v8, s15
	v_xor_b32_e32 v8, 8, v3
	ds_bpermute_b32 v11, v2, v4
	v_cmp_gt_i32_e64 s15, 32, v8
	s_delay_alu instid0(VALU_DEP_1) | instskip(NEXT) | instid1(VALU_DEP_1)
	v_cndmask_b32_e64 v8, v3, v8, s15
	v_lshlrev_b32_e32 v8, 2, v8
	s_waitcnt lgkmcnt(0)
	v_cmp_lt_f32_e64 s15, v4, v11
	s_delay_alu instid0(VALU_DEP_1) | instskip(SKIP_3) | instid1(VALU_DEP_1)
	v_cndmask_b32_e64 v4, v4, v11, s15
	v_xor_b32_e32 v11, 4, v3
	ds_bpermute_b32 v14, v8, v4
	v_cmp_gt_i32_e64 s15, 32, v11
	v_cndmask_b32_e64 v11, v3, v11, s15
	s_delay_alu instid0(VALU_DEP_1) | instskip(SKIP_2) | instid1(VALU_DEP_1)
	v_lshlrev_b32_e32 v11, 2, v11
	s_waitcnt lgkmcnt(0)
	v_cmp_lt_f32_e64 s15, v4, v14
	v_cndmask_b32_e64 v4, v4, v14, s15
	v_xor_b32_e32 v14, 2, v3
	ds_bpermute_b32 v18, v11, v4
	v_cmp_gt_i32_e64 s15, 32, v14
	s_delay_alu instid0(VALU_DEP_1) | instskip(NEXT) | instid1(VALU_DEP_1)
	v_cndmask_b32_e64 v14, v3, v14, s15
	v_lshlrev_b32_e32 v14, 2, v14
	s_waitcnt lgkmcnt(0)
	v_cmp_lt_f32_e64 s15, v4, v18
	s_delay_alu instid0(VALU_DEP_1) | instskip(SKIP_3) | instid1(VALU_DEP_1)
	v_cndmask_b32_e64 v4, v4, v18, s15
	v_xor_b32_e32 v18, 1, v3
	ds_bpermute_b32 v26, v14, v4
	v_cmp_gt_i32_e64 s15, 32, v18
	v_cndmask_b32_e64 v3, v3, v18, s15
	s_delay_alu instid0(VALU_DEP_1) | instskip(SKIP_2) | instid1(VALU_DEP_1)
	v_lshlrev_b32_e32 v18, 2, v3
	s_waitcnt lgkmcnt(0)
	v_cmp_lt_f32_e64 s15, v4, v26
	v_cndmask_b32_e64 v3, v4, v26, s15
	ds_bpermute_b32 v4, v18, v3
	s_waitcnt lgkmcnt(0)
	v_cmp_lt_f32_e64 s15, v3, v4
	s_delay_alu instid0(VALU_DEP_1) | instskip(NEXT) | instid1(VALU_DEP_1)
	v_cndmask_b32_e64 v26, v3, v4, s15
	v_sub_f32_e32 v3, v9, v26
	v_sub_f32_e32 v9, v15, v26
	;; [unrolled: 1-line block ×6, first 2 shown]
	v_dual_mul_f32 v28, 0x3fb8aa3b, v9 :: v_dual_sub_f32 v19, v19, v26
	v_mul_f32_e32 v32, 0x3fb8aa3b, v15
	v_sub_f32_e32 v16, v16, v26
	v_sub_f32_e32 v13, v13, v26
	v_mul_f32_e32 v27, 0x3fb8aa3b, v7
	v_dual_mul_f32 v35, 0x3fb8aa3b, v19 :: v_dual_sub_f32 v12, v17, v26
	s_delay_alu instid0(VALU_DEP_4) | instskip(SKIP_1) | instid1(VALU_DEP_4)
	v_mul_f32_e32 v33, 0x3fb8aa3b, v16
	v_sub_f32_e32 v17, v22, v26
	v_fma_f32 v46, 0x3fb8aa3b, v7, -v27
	v_rndne_f32_e32 v47, v27
	v_dual_mul_f32 v30, 0x3fb8aa3b, v12 :: v_dual_sub_f32 v21, v21, v26
	s_delay_alu instid0(VALU_DEP_4) | instskip(SKIP_4) | instid1(VALU_DEP_4)
	v_mul_f32_e32 v34, 0x3fb8aa3b, v17
	v_sub_f32_e32 v20, v24, v26
	v_mul_f32_e32 v24, 0x3fb8aa3b, v3
	v_dual_sub_f32 v10, v10, v26 :: v_dual_mul_f32 v31, 0x3fb8aa3b, v13
	v_mul_f32_e32 v37, 0x3fb8aa3b, v21
	v_dual_sub_f32 v23, v23, v26 :: v_dual_mul_f32 v36, 0x3fb8aa3b, v20
	v_dual_sub_f32 v22, v25, v26 :: v_dual_mul_f32 v25, 0x3fb8aa3b, v4
	v_rndne_f32_e32 v41, v24
	s_delay_alu instid0(VALU_DEP_3)
	v_mul_f32_e32 v39, 0x3fb8aa3b, v23
	v_mul_f32_e32 v29, 0x3fb8aa3b, v10
	v_fma_f32 v40, 0x3fb8aa3b, v3, -v24
	v_fma_f32 v42, 0x3fb8aa3b, v4, -v25
	v_sub_f32_e32 v24, v24, v41
	v_rndne_f32_e32 v43, v25
	v_rndne_f32_e32 v51, v29
	v_mul_f32_e32 v26, 0x3fb8aa3b, v6
	v_fma_f32 v50, 0x3fb8aa3b, v10, -v29
	s_delay_alu instid0(VALU_DEP_4) | instskip(NEXT) | instid1(VALU_DEP_4)
	v_dual_fmac_f32 v42, 0x32a5705f, v4 :: v_dual_sub_f32 v25, v25, v43
	v_sub_f32_e32 v29, v29, v51
	v_fmac_f32_e32 v40, 0x32a5705f, v3
	v_fma_f32 v44, 0x3fb8aa3b, v6, -v26
	v_rndne_f32_e32 v45, v26
	v_add_f32_e32 v25, v25, v42
	v_rndne_f32_e32 v55, v31
	v_add_f32_e32 v24, v24, v40
	v_rndne_f32_e32 v59, v33
	v_fmac_f32_e32 v44, 0x32a5705f, v6
	v_sub_f32_e32 v26, v26, v45
	v_fma_f32 v54, 0x3fb8aa3b, v13, -v31
	v_exp_f32_e32 v24, v24
	v_fma_f32 v58, 0x3fb8aa3b, v16, -v33
	v_sub_f32_e32 v33, v33, v59
	v_cvt_i32_f32_e32 v41, v41
	v_dual_sub_f32 v31, v31, v55 :: v_dual_add_f32 v26, v26, v44
	v_exp_f32_e32 v25, v25
	v_rndne_f32_e32 v71, v39
	v_cvt_i32_f32_e32 v43, v43
	v_cmp_ngt_f32_e64 s15, 0xc2ce8ed0, v3
	v_exp_f32_e32 v26, v26
	v_ldexp_f32 v24, v24, v41
	v_dual_mul_f32 v38, 0x3fb8aa3b, v22 :: v_dual_sub_f32 v27, v27, v47
	v_fma_f32 v52, 0x3fb8aa3b, v12, -v30
	v_fma_f32 v70, 0x3fb8aa3b, v23, -v39
	v_cvt_i32_f32_e32 v45, v45
	v_dual_fmac_f32 v50, 0x32a5705f, v10 :: v_dual_sub_f32 v39, v39, v71
	v_fmac_f32_e32 v46, 0x32a5705f, v7
	v_ldexp_f32 v25, v25, v43
	v_cndmask_b32_e64 v24, 0, v24, s15
	s_delay_alu instid0(VALU_DEP_4)
	v_add_f32_e32 v29, v29, v50
	v_cmp_ngt_f32_e64 s15, 0xc2ce8ed0, v4
	v_fma_f32 v48, 0x3fb8aa3b, v9, -v28
	v_rndne_f32_e32 v49, v28
	v_dual_fmac_f32 v52, 0x32a5705f, v12 :: v_dual_add_f32 v27, v27, v46
	v_ldexp_f32 v26, v26, v45
	v_cndmask_b32_e64 v25, 0, v25, s15
	v_cmp_ngt_f32_e64 s15, 0xc2ce8ed0, v6
	v_rndne_f32_e32 v63, v35
	v_rndne_f32_e32 v67, v37
	v_fmac_f32_e32 v48, 0x32a5705f, v9
	v_sub_f32_e32 v28, v28, v49
	v_exp_f32_e32 v27, v27
	v_cndmask_b32_e64 v26, 0, v26, s15
	v_cmp_nlt_f32_e64 s15, 0x42b17218, v3
	v_fma_f32 v62, 0x3fb8aa3b, v19, -v35
	v_fma_f32 v66, 0x3fb8aa3b, v21, -v37
	v_sub_f32_e32 v37, v37, v67
	v_cvt_i32_f32_e32 v47, v47
	v_dual_sub_f32 v35, v35, v63 :: v_dual_add_f32 v28, v28, v48
	v_cndmask_b32_e64 v24, 0x7f800000, v24, s15
	v_cmp_nlt_f32_e64 s15, 0x42b17218, v4
	s_delay_alu instid0(VALU_DEP_4)
	v_ldexp_f32 v27, v27, v47
	v_rndne_f32_e32 v53, v30
	v_exp_f32_e32 v28, v28
	v_cvt_i32_f32_e32 v49, v49
	v_cndmask_b32_e64 v25, 0x7f800000, v25, s15
	v_cmp_ngt_f32_e64 s15, 0xc2ce8ed0, v7
	v_fmac_f32_e32 v70, 0x32a5705f, v23
	v_fmac_f32_e32 v58, 0x32a5705f, v16
	v_exp_f32_e32 v29, v29
	v_cvt_i32_f32_e32 v51, v51
	v_cndmask_b32_e64 v27, 0, v27, s15
	v_add_f32_e32 v39, v39, v70
	v_cmp_nlt_f32_e64 s15, 0x42b17218, v6
	v_dual_fmac_f32 v54, 0x32a5705f, v13 :: v_dual_add_f32 v33, v33, v58
	v_sub_f32_e32 v30, v30, v53
	v_ldexp_f32 v28, v28, v49
	s_delay_alu instid0(VALU_DEP_4) | instskip(NEXT) | instid1(VALU_DEP_4)
	v_cndmask_b32_e64 v26, 0x7f800000, v26, s15
	v_add_f32_e32 v31, v31, v54
	v_cmp_ngt_f32_e64 s15, 0xc2ce8ed0, v9
	v_add_f32_e32 v30, v30, v52
	v_add_f32_e32 v24, v24, v25
	v_ldexp_f32 v29, v29, v51
	v_fma_f32 v56, 0x3fb8aa3b, v15, -v32
	v_cndmask_b32_e64 v25, 0, v28, s15
	v_cmp_nlt_f32_e64 s15, 0x42b17218, v7
	v_exp_f32_e32 v30, v30
	v_rndne_f32_e32 v57, v32
	v_cvt_i32_f32_e32 v53, v53
	v_add_f32_e32 v24, v24, v26
	v_cndmask_b32_e64 v27, 0x7f800000, v27, s15
	v_cmp_ngt_f32_e64 s15, 0xc2ce8ed0, v10
	v_fmac_f32_e32 v62, 0x32a5705f, v19
	v_fmac_f32_e32 v56, 0x32a5705f, v15
	;; [unrolled: 1-line block ×3, first 2 shown]
	v_sub_f32_e32 v32, v32, v57
	v_cndmask_b32_e64 v26, 0, v29, s15
	v_cmp_nlt_f32_e64 s15, 0x42b17218, v9
	v_exp_f32_e32 v31, v31
	v_add_f32_e32 v37, v37, v66
	v_ldexp_f32 v30, v30, v53
	v_cvt_i32_f32_e32 v55, v55
	v_cndmask_b32_e64 v25, 0x7f800000, v25, s15
	v_cmp_ngt_f32_e64 s15, 0xc2ce8ed0, v12
	v_dual_add_f32 v35, v35, v62 :: v_dual_add_f32 v32, v32, v56
	v_add_f32_e32 v24, v24, v27
	v_fma_f32 v60, 0x3fb8aa3b, v17, -v34
	s_delay_alu instid0(VALU_DEP_4)
	v_cndmask_b32_e64 v27, 0, v30, s15
	v_cmp_nlt_f32_e64 s15, 0x42b17218, v10
	v_exp_f32_e32 v32, v32
	v_ldexp_f32 v31, v31, v55
	v_rndne_f32_e32 v61, v34
	v_cvt_i32_f32_e32 v57, v57
	v_cndmask_b32_e64 v26, 0x7f800000, v26, s15
	v_cmp_ngt_f32_e64 s15, 0xc2ce8ed0, v13
	v_add_f32_e32 v24, v24, v25
	v_fmac_f32_e32 v60, 0x32a5705f, v17
	v_sub_f32_e32 v34, v34, v61
	v_exp_f32_e32 v33, v33
	v_cndmask_b32_e64 v25, 0, v31, s15
	v_cmp_nlt_f32_e64 s15, 0x42b17218, v12
	v_ldexp_f32 v32, v32, v57
	v_cvt_i32_f32_e32 v59, v59
	v_add_f32_e32 v34, v34, v60
	v_add_f32_e32 v24, v24, v26
	v_cndmask_b32_e64 v27, 0x7f800000, v27, s15
	v_cmp_ngt_f32_e64 s15, 0xc2ce8ed0, v15
	v_fma_f32 v64, 0x3fb8aa3b, v20, -v36
	v_exp_f32_e32 v34, v34
	v_ldexp_f32 v33, v33, v59
	v_rndne_f32_e32 v65, v36
	v_cndmask_b32_e64 v26, 0, v32, s15
	v_cmp_nlt_f32_e64 s15, 0x42b17218, v13
	v_cvt_i32_f32_e32 v61, v61
	v_add_f32_e32 v24, v24, v27
	v_fmac_f32_e32 v64, 0x32a5705f, v20
	v_sub_f32_e32 v36, v36, v65
	v_cndmask_b32_e64 v25, 0x7f800000, v25, s15
	v_cmp_ngt_f32_e64 s15, 0xc2ce8ed0, v16
	v_exp_f32_e32 v35, v35
	v_ldexp_f32 v34, v34, v61
	v_cvt_i32_f32_e32 v63, v63
	v_add_f32_e32 v36, v36, v64
	v_cndmask_b32_e64 v27, 0, v33, s15
	v_cmp_nlt_f32_e64 s15, 0x42b17218, v15
	v_add_f32_e32 v24, v24, v25
	v_fma_f32 v68, 0x3fb8aa3b, v22, -v38
	v_exp_f32_e32 v36, v36
	v_rndne_f32_e32 v69, v38
	v_cndmask_b32_e64 v26, 0x7f800000, v26, s15
	v_cmp_ngt_f32_e64 s15, 0xc2ce8ed0, v17
	v_ldexp_f32 v35, v35, v63
	v_cvt_i32_f32_e32 v65, v65
	v_fmac_f32_e32 v68, 0x32a5705f, v22
	v_add_f32_e32 v24, v24, v26
	v_cndmask_b32_e64 v25, 0, v34, s15
	v_cmp_nlt_f32_e64 s15, 0x42b17218, v16
	v_sub_f32_e32 v38, v38, v69
	v_exp_f32_e32 v37, v37
	v_ldexp_f32 v36, v36, v65
	v_cvt_i32_f32_e32 v67, v67
	v_cndmask_b32_e64 v27, 0x7f800000, v27, s15
	v_cmp_ngt_f32_e64 s15, 0xc2ce8ed0, v19
	v_add_f32_e32 v38, v38, v68
	v_cvt_i32_f32_e32 v69, v69
	v_exp_f32_e32 v39, v39
	v_add_f32_e32 v24, v24, v27
	v_cndmask_b32_e64 v26, 0, v35, s15
	v_cmp_nlt_f32_e64 s15, 0x42b17218, v17
	v_exp_f32_e32 v38, v38
	v_ldexp_f32 v37, v37, v67
	v_cvt_i32_f32_e32 v71, v71
	s_delay_alu instid0(VALU_DEP_3) | instskip(SKIP_1) | instid1(VALU_DEP_2)
	v_cndmask_b32_e64 v25, 0x7f800000, v25, s15
	v_cmp_ngt_f32_e64 s15, 0xc2ce8ed0, v20
	v_add_f32_e32 v24, v24, v25
	s_delay_alu instid0(VALU_DEP_2) | instskip(SKIP_1) | instid1(TRANS32_DEP_1)
	v_cndmask_b32_e64 v27, 0, v36, s15
	v_cmp_nlt_f32_e64 s15, 0x42b17218, v19
	v_ldexp_f32 v38, v38, v69
	s_delay_alu instid0(VALU_DEP_2) | instskip(SKIP_1) | instid1(VALU_DEP_2)
	v_cndmask_b32_e64 v26, 0x7f800000, v26, s15
	v_cmp_ngt_f32_e64 s15, 0xc2ce8ed0, v21
	v_add_f32_e32 v24, v24, v26
	s_delay_alu instid0(VALU_DEP_2) | instskip(SKIP_1) | instid1(VALU_DEP_1)
	v_cndmask_b32_e64 v25, 0, v37, s15
	v_cmp_nlt_f32_e64 s15, 0x42b17218, v20
	v_cndmask_b32_e64 v27, 0x7f800000, v27, s15
	v_cmp_ngt_f32_e64 s15, 0xc2ce8ed0, v22
	s_delay_alu instid0(VALU_DEP_2) | instskip(NEXT) | instid1(VALU_DEP_2)
	v_add_f32_e32 v24, v24, v27
	v_cndmask_b32_e64 v26, 0, v38, s15
	v_cmp_nlt_f32_e64 s15, 0x42b17218, v21
	v_ldexp_f32 v27, v39, v71
	s_delay_alu instid0(VALU_DEP_2) | instskip(SKIP_1) | instid1(VALU_DEP_2)
	v_cndmask_b32_e64 v25, 0x7f800000, v25, s15
	v_cmp_nlt_f32_e64 s15, 0x42b17218, v22
	v_add_f32_e32 v24, v24, v25
	s_delay_alu instid0(VALU_DEP_2) | instskip(SKIP_1) | instid1(VALU_DEP_2)
	v_cndmask_b32_e64 v26, 0x7f800000, v26, s15
	v_cmp_ngt_f32_e64 s15, 0xc2ce8ed0, v23
	v_add_f32_e32 v24, v24, v26
	s_delay_alu instid0(VALU_DEP_2) | instskip(SKIP_1) | instid1(VALU_DEP_1)
	v_cndmask_b32_e64 v25, 0, v27, s15
	v_cmp_nlt_f32_e64 s15, 0x42b17218, v23
	v_cndmask_b32_e64 v25, 0x7f800000, v25, s15
	s_delay_alu instid0(VALU_DEP_1)
	v_add_f32_e32 v24, v24, v25
	ds_bpermute_b32 v2, v2, v24
	s_waitcnt lgkmcnt(0)
	v_add_f32_e32 v2, v24, v2
	ds_bpermute_b32 v8, v8, v2
	s_waitcnt lgkmcnt(0)
	;; [unrolled: 3-line block ×4, first 2 shown]
	v_add_f32_e32 v2, v2, v8
	ds_bpermute_b32 v8, v18, v2
	v_cmpx_lt_i32_e32 0, v5
	s_cbranch_execz .LBB150_50
; %bb.33:
	s_and_b32 exec_lo, exec_lo, s3
	s_cbranch_execz .LBB150_50
; %bb.34:
	s_waitcnt lgkmcnt(0)
	v_add_f32_e32 v2, v2, v8
	s_delay_alu instid0(VALU_DEP_1) | instskip(NEXT) | instid1(VALU_DEP_1)
	v_cmp_gt_f32_e64 s3, 0x800000, v2
	v_cndmask_b32_e64 v5, 1.0, 0x4f800000, s3
	s_delay_alu instid0(VALU_DEP_1) | instskip(NEXT) | instid1(VALU_DEP_1)
	v_mul_f32_e32 v2, v2, v5
	v_log_f32_e32 v2, v2
	s_waitcnt_depctr 0xfff
	v_mul_f32_e32 v5, 0x3f317217, v2
	s_delay_alu instid0(VALU_DEP_1) | instskip(NEXT) | instid1(VALU_DEP_1)
	v_fma_f32 v8, 0x3f317217, v2, -v5
	v_fmamk_f32 v8, v2, 0x3377d1cf, v8
	s_delay_alu instid0(VALU_DEP_1) | instskip(SKIP_2) | instid1(VALU_DEP_1)
	v_add_f32_e32 v5, v5, v8
	v_cndmask_b32_e64 v8, 0, 0x41b17218, s3
	v_cmp_gt_f32_e64 s3, 0x7f800000, |v2|
	v_cndmask_b32_e64 v2, v2, v5, s3
	v_add_co_u32 v0, s3, s16, v0
	s_delay_alu instid0(VALU_DEP_1) | instskip(NEXT) | instid1(VALU_DEP_3)
	v_add_co_ci_u32_e64 v1, s3, s17, v1, s3
	v_sub_f32_e32 v2, v2, v8
	s_delay_alu instid0(VALU_DEP_1) | instskip(NEXT) | instid1(VALU_DEP_1)
	v_sub_f32_e32 v3, v3, v2
	v_bfe_u32 v5, v3, 16, 1
	v_cmp_o_f32_e64 s3, v3, v3
	s_delay_alu instid0(VALU_DEP_2) | instskip(NEXT) | instid1(VALU_DEP_1)
	v_add3_u32 v5, v3, v5, 0x7fff
	v_lshrrev_b32_e32 v5, 16, v5
	s_delay_alu instid0(VALU_DEP_1)
	v_cndmask_b32_e64 v3, 0x7fc0, v5, s3
	global_store_b16 v[0:1], v3, off
	s_and_b32 exec_lo, exec_lo, vcc_lo
	s_cbranch_execz .LBB150_50
; %bb.35:
	v_sub_f32_e32 v3, v4, v2
	s_delay_alu instid0(VALU_DEP_1) | instskip(SKIP_1) | instid1(VALU_DEP_2)
	v_bfe_u32 v4, v3, 16, 1
	v_cmp_o_f32_e32 vcc_lo, v3, v3
	v_add3_u32 v4, v3, v4, 0x7fff
	s_delay_alu instid0(VALU_DEP_1) | instskip(NEXT) | instid1(VALU_DEP_1)
	v_lshrrev_b32_e32 v4, 16, v4
	v_cndmask_b32_e32 v3, 0x7fc0, v4, vcc_lo
	global_store_b16 v[0:1], v3, off offset:64
	s_and_b32 exec_lo, exec_lo, s0
	s_cbranch_execz .LBB150_50
; %bb.36:
	v_sub_f32_e32 v3, v6, v2
	s_delay_alu instid0(VALU_DEP_1) | instskip(SKIP_1) | instid1(VALU_DEP_2)
	v_bfe_u32 v4, v3, 16, 1
	v_cmp_o_f32_e32 vcc_lo, v3, v3
	v_add3_u32 v4, v3, v4, 0x7fff
	s_delay_alu instid0(VALU_DEP_1) | instskip(NEXT) | instid1(VALU_DEP_1)
	v_lshrrev_b32_e32 v4, 16, v4
	v_cndmask_b32_e32 v3, 0x7fc0, v4, vcc_lo
	global_store_b16 v[0:1], v3, off offset:128
	s_and_b32 exec_lo, exec_lo, s1
	;; [unrolled: 12-line block ×14, first 2 shown]
	s_cbranch_execz .LBB150_50
; %bb.49:
	v_sub_f32_e32 v2, v23, v2
	s_delay_alu instid0(VALU_DEP_1) | instskip(SKIP_1) | instid1(VALU_DEP_2)
	v_bfe_u32 v3, v2, 16, 1
	v_cmp_o_f32_e32 vcc_lo, v2, v2
	v_add3_u32 v3, v2, v3, 0x7fff
	s_delay_alu instid0(VALU_DEP_1) | instskip(NEXT) | instid1(VALU_DEP_1)
	v_lshrrev_b32_e32 v3, 16, v3
	v_cndmask_b32_e32 v2, 0x7fc0, v3, vcc_lo
	global_store_b16 v[0:1], v2, off offset:960
.LBB150_50:
	s_nop 0
	s_sendmsg sendmsg(MSG_DEALLOC_VGPRS)
	s_endpgm
	.section	.rodata,"a",@progbits
	.p2align	6, 0x0
	.amdhsa_kernel _ZN12_GLOBAL__N_120softmax_warp_forwardIN3c108BFloat16ES2_fLi9ELb1ELb0ELi32EEEvPT0_PKT_iiiPKbib
		.amdhsa_group_segment_fixed_size 0
		.amdhsa_private_segment_fixed_size 0
		.amdhsa_kernarg_size 304
		.amdhsa_user_sgpr_count 15
		.amdhsa_user_sgpr_dispatch_ptr 0
		.amdhsa_user_sgpr_queue_ptr 0
		.amdhsa_user_sgpr_kernarg_segment_ptr 1
		.amdhsa_user_sgpr_dispatch_id 0
		.amdhsa_user_sgpr_private_segment_size 0
		.amdhsa_wavefront_size32 1
		.amdhsa_uses_dynamic_stack 0
		.amdhsa_enable_private_segment 0
		.amdhsa_system_sgpr_workgroup_id_x 1
		.amdhsa_system_sgpr_workgroup_id_y 0
		.amdhsa_system_sgpr_workgroup_id_z 0
		.amdhsa_system_sgpr_workgroup_info 0
		.amdhsa_system_vgpr_workitem_id 1
		.amdhsa_next_free_vgpr 72
		.amdhsa_next_free_sgpr 24
		.amdhsa_reserve_vcc 1
		.amdhsa_float_round_mode_32 0
		.amdhsa_float_round_mode_16_64 0
		.amdhsa_float_denorm_mode_32 3
		.amdhsa_float_denorm_mode_16_64 3
		.amdhsa_dx10_clamp 1
		.amdhsa_ieee_mode 1
		.amdhsa_fp16_overflow 0
		.amdhsa_workgroup_processor_mode 1
		.amdhsa_memory_ordered 1
		.amdhsa_forward_progress 0
		.amdhsa_shared_vgpr_count 0
		.amdhsa_exception_fp_ieee_invalid_op 0
		.amdhsa_exception_fp_denorm_src 0
		.amdhsa_exception_fp_ieee_div_zero 0
		.amdhsa_exception_fp_ieee_overflow 0
		.amdhsa_exception_fp_ieee_underflow 0
		.amdhsa_exception_fp_ieee_inexact 0
		.amdhsa_exception_int_div_zero 0
	.end_amdhsa_kernel
	.section	.text._ZN12_GLOBAL__N_120softmax_warp_forwardIN3c108BFloat16ES2_fLi9ELb1ELb0ELi32EEEvPT0_PKT_iiiPKbib,"axG",@progbits,_ZN12_GLOBAL__N_120softmax_warp_forwardIN3c108BFloat16ES2_fLi9ELb1ELb0ELi32EEEvPT0_PKT_iiiPKbib,comdat
.Lfunc_end150:
	.size	_ZN12_GLOBAL__N_120softmax_warp_forwardIN3c108BFloat16ES2_fLi9ELb1ELb0ELi32EEEvPT0_PKT_iiiPKbib, .Lfunc_end150-_ZN12_GLOBAL__N_120softmax_warp_forwardIN3c108BFloat16ES2_fLi9ELb1ELb0ELi32EEEvPT0_PKT_iiiPKbib
                                        ; -- End function
	.section	.AMDGPU.csdata,"",@progbits
; Kernel info:
; codeLenInByte = 4764
; NumSgprs: 26
; NumVgprs: 72
; ScratchSize: 0
; MemoryBound: 0
; FloatMode: 240
; IeeeMode: 1
; LDSByteSize: 0 bytes/workgroup (compile time only)
; SGPRBlocks: 3
; VGPRBlocks: 8
; NumSGPRsForWavesPerEU: 26
; NumVGPRsForWavesPerEU: 72
; Occupancy: 16
; WaveLimiterHint : 0
; COMPUTE_PGM_RSRC2:SCRATCH_EN: 0
; COMPUTE_PGM_RSRC2:USER_SGPR: 15
; COMPUTE_PGM_RSRC2:TRAP_HANDLER: 0
; COMPUTE_PGM_RSRC2:TGID_X_EN: 1
; COMPUTE_PGM_RSRC2:TGID_Y_EN: 0
; COMPUTE_PGM_RSRC2:TGID_Z_EN: 0
; COMPUTE_PGM_RSRC2:TIDIG_COMP_CNT: 1
	.section	.text._ZN12_GLOBAL__N_120softmax_warp_forwardIN3c108BFloat16ES2_fLi10ELb1ELb0ELi64EEEvPT0_PKT_iiiPKbib,"axG",@progbits,_ZN12_GLOBAL__N_120softmax_warp_forwardIN3c108BFloat16ES2_fLi10ELb1ELb0ELi64EEEvPT0_PKT_iiiPKbib,comdat
	.globl	_ZN12_GLOBAL__N_120softmax_warp_forwardIN3c108BFloat16ES2_fLi10ELb1ELb0ELi64EEEvPT0_PKT_iiiPKbib ; -- Begin function _ZN12_GLOBAL__N_120softmax_warp_forwardIN3c108BFloat16ES2_fLi10ELb1ELb0ELi64EEEvPT0_PKT_iiiPKbib
	.p2align	8
	.type	_ZN12_GLOBAL__N_120softmax_warp_forwardIN3c108BFloat16ES2_fLi10ELb1ELb0ELi64EEEvPT0_PKT_iiiPKbib,@function
_ZN12_GLOBAL__N_120softmax_warp_forwardIN3c108BFloat16ES2_fLi10ELb1ELb0ELi64EEEvPT0_PKT_iiiPKbib: ; @_ZN12_GLOBAL__N_120softmax_warp_forwardIN3c108BFloat16ES2_fLi10ELb1ELb0ELi64EEEvPT0_PKT_iiiPKbib
; %bb.0:
	s_clause 0x1
	s_load_b32 s2, s[0:1], 0x3c
	s_load_b256 s[16:23], s[0:1], 0x0
	v_bfe_u32 v1, v0, 10, 10
	v_dual_mov_b32 v6, 0xff800000 :: v_dual_mov_b32 v7, 0xff800000
	s_waitcnt lgkmcnt(0)
	s_lshr_b32 s0, s2, 16
	s_delay_alu instid0(VALU_DEP_2) | instid1(SALU_CYCLE_1)
	v_mad_u64_u32 v[3:4], null, s15, s0, v[1:2]
	v_and_b32_e32 v2, 0x3ff, v0
	s_delay_alu instid0(VALU_DEP_1) | instskip(NEXT) | instid1(VALU_DEP_3)
	v_cmp_gt_i32_e64 s3, s22, v2
	v_mad_u64_u32 v[0:1], null, v3, s21, v[2:3]
	v_sub_nc_u32_e32 v5, s20, v3
	s_delay_alu instid0(VALU_DEP_1) | instskip(NEXT) | instid1(VALU_DEP_3)
	v_cmp_lt_i32_e64 s15, 0, v5
	v_ashrrev_i32_e32 v1, 31, v0
	s_delay_alu instid0(VALU_DEP_2) | instskip(NEXT) | instid1(VALU_DEP_1)
	s_and_b32 s1, s15, s3
	v_lshlrev_b64 v[0:1], 1, v[0:1]
	s_delay_alu instid0(VALU_DEP_1) | instskip(NEXT) | instid1(VALU_DEP_2)
	v_add_co_u32 v3, vcc_lo, s18, v0
	v_add_co_ci_u32_e32 v4, vcc_lo, s19, v1, vcc_lo
	s_and_saveexec_b32 s0, s1
	s_cbranch_execz .LBB151_2
; %bb.1:
	global_load_u16 v7, v[3:4], off
	s_waitcnt vmcnt(0)
	v_lshlrev_b32_e32 v7, 16, v7
.LBB151_2:
	s_or_b32 exec_lo, exec_lo, s0
	v_add_nc_u32_e32 v8, 64, v2
	s_delay_alu instid0(VALU_DEP_1) | instskip(SKIP_1) | instid1(SALU_CYCLE_1)
	v_cmp_gt_i32_e32 vcc_lo, s22, v8
	s_and_b32 s1, s15, vcc_lo
	s_and_saveexec_b32 s0, s1
	s_cbranch_execz .LBB151_4
; %bb.3:
	global_load_u16 v6, v[3:4], off offset:128
	s_waitcnt vmcnt(0)
	v_lshlrev_b32_e32 v6, 16, v6
.LBB151_4:
	s_or_b32 exec_lo, exec_lo, s0
	v_add_nc_u32_e32 v8, 0x80, v2
	v_mov_b32_e32 v10, 0xff800000
	s_delay_alu instid0(VALU_DEP_2) | instskip(SKIP_1) | instid1(VALU_DEP_2)
	v_cmp_gt_i32_e64 s0, s22, v8
	v_mov_b32_e32 v8, 0xff800000
	s_and_b32 s2, s15, s0
	s_delay_alu instid0(SALU_CYCLE_1)
	s_and_saveexec_b32 s1, s2
	s_cbranch_execz .LBB151_6
; %bb.5:
	global_load_u16 v9, v[3:4], off offset:256
	s_waitcnt vmcnt(0)
	v_lshlrev_b32_e32 v10, 16, v9
.LBB151_6:
	s_or_b32 exec_lo, exec_lo, s1
	v_add_nc_u32_e32 v9, 0xc0, v2
	s_delay_alu instid0(VALU_DEP_1) | instskip(NEXT) | instid1(VALU_DEP_1)
	v_cmp_gt_i32_e64 s1, s22, v9
	s_and_b32 s4, s15, s1
	s_delay_alu instid0(SALU_CYCLE_1)
	s_and_saveexec_b32 s2, s4
	s_cbranch_execz .LBB151_8
; %bb.7:
	global_load_u16 v8, v[3:4], off offset:384
	s_waitcnt vmcnt(0)
	v_lshlrev_b32_e32 v8, 16, v8
.LBB151_8:
	s_or_b32 exec_lo, exec_lo, s2
	v_add_nc_u32_e32 v9, 0x100, v2
	v_mov_b32_e32 v11, 0xff800000
	v_mov_b32_e32 v13, 0xff800000
	s_delay_alu instid0(VALU_DEP_3) | instskip(NEXT) | instid1(VALU_DEP_1)
	v_cmp_gt_i32_e64 s2, s22, v9
	s_and_b32 s5, s15, s2
	s_delay_alu instid0(SALU_CYCLE_1)
	s_and_saveexec_b32 s4, s5
	s_cbranch_execz .LBB151_10
; %bb.9:
	global_load_u16 v9, v[3:4], off offset:512
	s_waitcnt vmcnt(0)
	v_lshlrev_b32_e32 v13, 16, v9
.LBB151_10:
	s_or_b32 exec_lo, exec_lo, s4
	v_add_nc_u32_e32 v9, 0x140, v2
	s_delay_alu instid0(VALU_DEP_1) | instskip(NEXT) | instid1(VALU_DEP_1)
	v_cmp_gt_i32_e64 s4, s22, v9
	s_and_b32 s6, s15, s4
	s_delay_alu instid0(SALU_CYCLE_1)
	s_and_saveexec_b32 s5, s6
	s_cbranch_execz .LBB151_12
; %bb.11:
	global_load_u16 v9, v[3:4], off offset:640
	s_waitcnt vmcnt(0)
	v_lshlrev_b32_e32 v11, 16, v9
.LBB151_12:
	s_or_b32 exec_lo, exec_lo, s5
	v_add_nc_u32_e32 v9, 0x180, v2
	v_mov_b32_e32 v14, 0xff800000
	v_mov_b32_e32 v16, 0xff800000
	s_delay_alu instid0(VALU_DEP_3) | instskip(NEXT) | instid1(VALU_DEP_1)
	v_cmp_gt_i32_e64 s5, s22, v9
	s_and_b32 s7, s15, s5
	s_delay_alu instid0(SALU_CYCLE_1)
	s_and_saveexec_b32 s6, s7
	s_cbranch_execz .LBB151_14
; %bb.13:
	global_load_u16 v9, v[3:4], off offset:768
	s_waitcnt vmcnt(0)
	v_lshlrev_b32_e32 v16, 16, v9
.LBB151_14:
	s_or_b32 exec_lo, exec_lo, s6
	v_add_nc_u32_e32 v9, 0x1c0, v2
	s_delay_alu instid0(VALU_DEP_1) | instskip(NEXT) | instid1(VALU_DEP_1)
	v_cmp_gt_i32_e64 s6, s22, v9
	s_and_b32 s8, s15, s6
	s_delay_alu instid0(SALU_CYCLE_1)
	s_and_saveexec_b32 s7, s8
	s_cbranch_execz .LBB151_16
; %bb.15:
	global_load_u16 v9, v[3:4], off offset:896
	s_waitcnt vmcnt(0)
	v_lshlrev_b32_e32 v14, 16, v9
.LBB151_16:
	s_or_b32 exec_lo, exec_lo, s7
	v_add_nc_u32_e32 v9, 0x200, v2
	v_dual_mov_b32 v17, 0xff800000 :: v_dual_mov_b32 v18, 0xff800000
	s_delay_alu instid0(VALU_DEP_2) | instskip(NEXT) | instid1(VALU_DEP_1)
	v_cmp_gt_i32_e64 s7, s22, v9
	s_and_b32 s9, s15, s7
	s_delay_alu instid0(SALU_CYCLE_1)
	s_and_saveexec_b32 s8, s9
	s_cbranch_execz .LBB151_18
; %bb.17:
	global_load_u16 v9, v[3:4], off offset:1024
	s_waitcnt vmcnt(0)
	v_lshlrev_b32_e32 v18, 16, v9
.LBB151_18:
	s_or_b32 exec_lo, exec_lo, s8
	v_add_nc_u32_e32 v9, 0x240, v2
	s_delay_alu instid0(VALU_DEP_1) | instskip(NEXT) | instid1(VALU_DEP_1)
	v_cmp_gt_i32_e64 s8, s22, v9
	s_and_b32 s10, s15, s8
	s_delay_alu instid0(SALU_CYCLE_1)
	s_and_saveexec_b32 s9, s10
	s_cbranch_execz .LBB151_20
; %bb.19:
	global_load_u16 v9, v[3:4], off offset:1152
	s_waitcnt vmcnt(0)
	v_lshlrev_b32_e32 v17, 16, v9
.LBB151_20:
	s_or_b32 exec_lo, exec_lo, s9
	v_add_nc_u32_e32 v9, 0x280, v2
	v_dual_mov_b32 v20, 0xff800000 :: v_dual_mov_b32 v21, 0xff800000
	s_delay_alu instid0(VALU_DEP_2) | instskip(NEXT) | instid1(VALU_DEP_1)
	;; [unrolled: 27-line block ×4, first 2 shown]
	v_cmp_gt_i32_e64 s13, s22, v9
	s_and_b32 s18, s15, s13
	s_delay_alu instid0(SALU_CYCLE_1)
	s_and_saveexec_b32 s14, s18
	s_cbranch_execz .LBB151_30
; %bb.29:
	global_load_u16 v9, v[3:4], off offset:1792
	s_waitcnt vmcnt(0)
	v_lshlrev_b32_e32 v25, 16, v9
.LBB151_30:
	s_or_b32 exec_lo, exec_lo, s14
	v_add_nc_u32_e32 v2, 0x3c0, v2
	s_delay_alu instid0(VALU_DEP_1) | instskip(NEXT) | instid1(VALU_DEP_1)
	v_cmp_gt_i32_e64 s14, s22, v2
	s_and_b32 s18, s15, s14
	s_delay_alu instid0(SALU_CYCLE_1)
	s_and_saveexec_b32 s15, s18
	s_cbranch_execz .LBB151_32
; %bb.31:
	global_load_u16 v2, v[3:4], off offset:1920
	s_waitcnt vmcnt(0)
	v_lshlrev_b32_e32 v24, 16, v2
.LBB151_32:
	s_or_b32 exec_lo, exec_lo, s15
	v_cmp_gt_f32_e64 s15, v7, v6
	v_mbcnt_lo_u32_b32 v4, -1, 0
	s_mov_b32 s18, exec_lo
	s_delay_alu instid0(VALU_DEP_2) | instskip(NEXT) | instid1(VALU_DEP_2)
	v_cndmask_b32_e64 v2, v6, v7, s15
	v_or_b32_e32 v3, 32, v4
	s_delay_alu instid0(VALU_DEP_2) | instskip(NEXT) | instid1(VALU_DEP_1)
	v_cmp_gt_f32_e64 s15, v2, v10
	v_cndmask_b32_e64 v2, v10, v2, s15
	s_delay_alu instid0(VALU_DEP_1) | instskip(NEXT) | instid1(VALU_DEP_1)
	v_cmp_gt_f32_e64 s15, v2, v8
	v_cndmask_b32_e64 v2, v8, v2, s15
	s_delay_alu instid0(VALU_DEP_1) | instskip(NEXT) | instid1(VALU_DEP_1)
	;; [unrolled: 3-line block ×11, first 2 shown]
	v_cmp_gt_f32_e64 s15, v2, v22
	v_cndmask_b32_e64 v2, v22, v2, s15
	v_cmp_gt_i32_e64 s15, 64, v3
	s_delay_alu instid0(VALU_DEP_1) | instskip(NEXT) | instid1(VALU_DEP_3)
	v_cndmask_b32_e64 v3, v4, v3, s15
	v_cmp_gt_f32_e64 s15, v2, v25
	s_delay_alu instid0(VALU_DEP_1) | instskip(NEXT) | instid1(VALU_DEP_3)
	v_cndmask_b32_e64 v9, v25, v2, s15
	v_lshlrev_b32_e32 v2, 2, v3
	v_xor_b32_e32 v3, 16, v4
	s_delay_alu instid0(VALU_DEP_3) | instskip(NEXT) | instid1(VALU_DEP_1)
	v_cmp_gt_f32_e64 s15, v9, v24
	v_cndmask_b32_e64 v9, v24, v9, s15
	s_delay_alu instid0(VALU_DEP_3) | instskip(SKIP_2) | instid1(VALU_DEP_1)
	v_cmp_gt_i32_e64 s15, 64, v3
	ds_bpermute_b32 v12, v2, v9
	v_cndmask_b32_e64 v3, v4, v3, s15
	v_lshlrev_b32_e32 v3, 2, v3
	s_waitcnt lgkmcnt(0)
	v_cmp_lt_f32_e64 s15, v9, v12
	s_delay_alu instid0(VALU_DEP_1) | instskip(SKIP_3) | instid1(VALU_DEP_1)
	v_cndmask_b32_e64 v12, v9, v12, s15
	v_xor_b32_e32 v9, 8, v4
	ds_bpermute_b32 v15, v3, v12
	v_cmp_gt_i32_e64 s15, 64, v9
	v_cndmask_b32_e64 v9, v4, v9, s15
	s_delay_alu instid0(VALU_DEP_1) | instskip(SKIP_2) | instid1(VALU_DEP_1)
	v_lshlrev_b32_e32 v9, 2, v9
	s_waitcnt lgkmcnt(0)
	v_cmp_lt_f32_e64 s15, v12, v15
	v_cndmask_b32_e64 v15, v12, v15, s15
	v_xor_b32_e32 v12, 4, v4
	ds_bpermute_b32 v19, v9, v15
	v_cmp_gt_i32_e64 s15, 64, v12
	s_delay_alu instid0(VALU_DEP_1) | instskip(NEXT) | instid1(VALU_DEP_1)
	v_cndmask_b32_e64 v12, v4, v12, s15
	v_lshlrev_b32_e32 v12, 2, v12
	s_waitcnt lgkmcnt(0)
	v_cmp_lt_f32_e64 s15, v15, v19
	s_delay_alu instid0(VALU_DEP_1) | instskip(SKIP_3) | instid1(VALU_DEP_1)
	v_cndmask_b32_e64 v19, v15, v19, s15
	v_xor_b32_e32 v15, 2, v4
	ds_bpermute_b32 v26, v12, v19
	v_cmp_gt_i32_e64 s15, 64, v15
	v_cndmask_b32_e64 v15, v4, v15, s15
	s_delay_alu instid0(VALU_DEP_1) | instskip(SKIP_2) | instid1(VALU_DEP_1)
	v_lshlrev_b32_e32 v15, 2, v15
	s_waitcnt lgkmcnt(0)
	v_cmp_lt_f32_e64 s15, v19, v26
	v_cndmask_b32_e64 v26, v19, v26, s15
	v_xor_b32_e32 v19, 1, v4
	ds_bpermute_b32 v27, v15, v26
	v_cmp_gt_i32_e64 s15, 64, v19
	s_delay_alu instid0(VALU_DEP_1) | instskip(NEXT) | instid1(VALU_DEP_1)
	v_cndmask_b32_e64 v4, v4, v19, s15
	v_lshlrev_b32_e32 v19, 2, v4
	s_waitcnt lgkmcnt(0)
	v_cmp_lt_f32_e64 s15, v26, v27
	s_delay_alu instid0(VALU_DEP_1) | instskip(SKIP_3) | instid1(VALU_DEP_1)
	v_cndmask_b32_e64 v4, v26, v27, s15
	ds_bpermute_b32 v26, v19, v4
	s_waitcnt lgkmcnt(0)
	v_cmp_lt_f32_e64 s15, v4, v26
	v_cndmask_b32_e64 v26, v4, v26, s15
	s_delay_alu instid0(VALU_DEP_1)
	v_sub_f32_e32 v4, v7, v26
	v_sub_f32_e32 v7, v10, v26
	v_sub_f32_e32 v10, v13, v26
	v_sub_f32_e32 v8, v8, v26
	v_sub_f32_e32 v11, v11, v26
	v_sub_f32_e32 v13, v16, v26
	v_dual_sub_f32 v16, v18, v26 :: v_dual_mul_f32 v27, 0x3fb8aa3b, v7
	v_sub_f32_e32 v14, v14, v26
	s_delay_alu instid0(VALU_DEP_4) | instskip(NEXT) | instid1(VALU_DEP_3)
	v_dual_sub_f32 v17, v17, v26 :: v_dual_mul_f32 v30, 0x3fb8aa3b, v11
	v_dual_sub_f32 v20, v20, v26 :: v_dual_mul_f32 v33, 0x3fb8aa3b, v16
	v_mul_f32_e32 v28, 0x3fb8aa3b, v8
	v_dual_sub_f32 v18, v21, v26 :: v_dual_mul_f32 v31, 0x3fb8aa3b, v13
	s_delay_alu instid0(VALU_DEP_4) | instskip(NEXT) | instid1(VALU_DEP_4)
	v_dual_sub_f32 v21, v23, v26 :: v_dual_mul_f32 v34, 0x3fb8aa3b, v17
	v_dual_sub_f32 v23, v25, v26 :: v_dual_mul_f32 v36, 0x3fb8aa3b, v20
	v_dual_mul_f32 v25, 0x3fb8aa3b, v4 :: v_dual_sub_f32 v6, v6, v26
	v_rndne_f32_e32 v48, v28
	s_delay_alu instid0(VALU_DEP_4) | instskip(NEXT) | instid1(VALU_DEP_3)
	v_dual_sub_f32 v22, v22, v26 :: v_dual_mul_f32 v37, 0x3fb8aa3b, v21
	v_fma_f32 v41, 0x3fb8aa3b, v4, -v25
	v_rndne_f32_e32 v42, v25
	v_dual_sub_f32 v24, v24, v26 :: v_dual_mul_f32 v39, 0x3fb8aa3b, v23
	v_fma_f32 v47, 0x3fb8aa3b, v8, -v28
	s_delay_alu instid0(VALU_DEP_4) | instskip(NEXT) | instid1(VALU_DEP_4)
	v_fmac_f32_e32 v41, 0x32a5705f, v4
	v_dual_sub_f32 v25, v25, v42 :: v_dual_sub_f32 v28, v28, v48
	v_mul_f32_e32 v26, 0x3fb8aa3b, v6
	v_fma_f32 v45, 0x3fb8aa3b, v7, -v27
	v_rndne_f32_e32 v46, v27
	s_delay_alu instid0(VALU_DEP_4)
	v_add_f32_e32 v25, v25, v41
	v_rndne_f32_e32 v52, v30
	v_fma_f32 v43, 0x3fb8aa3b, v6, -v26
	v_rndne_f32_e32 v44, v26
	v_mul_f32_e32 v35, 0x3fb8aa3b, v18
	v_fma_f32 v51, 0x3fb8aa3b, v11, -v30
	v_rndne_f32_e32 v60, v34
	v_dual_fmac_f32 v43, 0x32a5705f, v6 :: v_dual_sub_f32 v30, v30, v52
	v_dual_sub_f32 v26, v26, v44 :: v_dual_fmac_f32 v45, 0x32a5705f, v7
	v_sub_f32_e32 v27, v27, v46
	v_exp_f32_e32 v25, v25
	v_dual_mul_f32 v29, 0x3fb8aa3b, v10 :: v_dual_mul_f32 v40, 0x3fb8aa3b, v24
	s_delay_alu instid0(VALU_DEP_3)
	v_add_f32_e32 v26, v26, v43
	v_fma_f32 v59, 0x3fb8aa3b, v17, -v34
	v_cvt_i32_f32_e32 v42, v42
	v_sub_f32_e32 v34, v34, v60
	v_dual_mul_f32 v32, 0x3fb8aa3b, v14 :: v_dual_add_f32 v27, v27, v45
	v_exp_f32_e32 v26, v26
	v_rndne_f32_e32 v72, v40
	v_cvt_i32_f32_e32 v44, v44
	v_ldexp_f32 v25, v25, v42
	v_exp_f32_e32 v27, v27
	v_cmp_ngt_f32_e64 s15, 0xc2ce8ed0, v4
	v_fma_f32 v53, 0x3fb8aa3b, v13, -v31
	v_fma_f32 v71, 0x3fb8aa3b, v24, -v40
	v_cvt_i32_f32_e32 v46, v46
	v_dual_fmac_f32 v51, 0x32a5705f, v11 :: v_dual_sub_f32 v40, v40, v72
	v_fmac_f32_e32 v47, 0x32a5705f, v8
	v_ldexp_f32 v26, v26, v44
	v_cndmask_b32_e64 v25, 0, v25, s15
	s_delay_alu instid0(VALU_DEP_4)
	v_add_f32_e32 v30, v30, v51
	v_cmp_ngt_f32_e64 s15, 0xc2ce8ed0, v6
	v_fma_f32 v49, 0x3fb8aa3b, v10, -v29
	v_rndne_f32_e32 v50, v29
	v_dual_fmac_f32 v53, 0x32a5705f, v13 :: v_dual_add_f32 v28, v28, v47
	v_ldexp_f32 v27, v27, v46
	v_cndmask_b32_e64 v26, 0, v26, s15
	v_cmp_ngt_f32_e64 s15, 0xc2ce8ed0, v7
	v_rndne_f32_e32 v64, v36
	v_fmac_f32_e32 v49, 0x32a5705f, v10
	v_sub_f32_e32 v29, v29, v50
	v_exp_f32_e32 v28, v28
	v_cndmask_b32_e64 v27, 0, v27, s15
	v_cmp_nlt_f32_e64 s15, 0x42b17218, v4
	v_fma_f32 v63, 0x3fb8aa3b, v20, -v36
	v_cvt_i32_f32_e32 v48, v48
	v_sub_f32_e32 v36, v36, v64
	v_dual_mul_f32 v38, 0x3fb8aa3b, v22 :: v_dual_add_f32 v29, v29, v49
	v_cndmask_b32_e64 v25, 0x7f800000, v25, s15
	v_cmp_nlt_f32_e64 s15, 0x42b17218, v6
	s_delay_alu instid0(TRANS32_DEP_1)
	v_ldexp_f32 v28, v28, v48
	v_rndne_f32_e32 v54, v31
	v_exp_f32_e32 v29, v29
	v_fma_f32 v55, 0x3fb8aa3b, v14, -v32
	v_cndmask_b32_e64 v26, 0x7f800000, v26, s15
	v_cmp_ngt_f32_e64 s15, 0xc2ce8ed0, v8
	v_rndne_f32_e32 v56, v32
	v_cvt_i32_f32_e32 v50, v50
	v_fmac_f32_e32 v71, 0x32a5705f, v24
	v_fmac_f32_e32 v59, 0x32a5705f, v17
	v_cndmask_b32_e64 v28, 0, v28, s15
	v_cmp_nlt_f32_e64 s15, 0x42b17218, v7
	v_sub_f32_e32 v32, v32, v56
	v_dual_add_f32 v40, v40, v71 :: v_dual_fmac_f32 v55, 0x32a5705f, v14
	v_dual_add_f32 v34, v34, v59 :: v_dual_sub_f32 v31, v31, v54
	v_exp_f32_e32 v30, v30
	v_ldexp_f32 v29, v29, v50
	s_delay_alu instid0(VALU_DEP_3)
	v_add_f32_e32 v32, v32, v55
	v_cndmask_b32_e64 v27, 0x7f800000, v27, s15
	v_cmp_ngt_f32_e64 s15, 0xc2ce8ed0, v10
	v_cvt_i32_f32_e32 v52, v52
	v_add_f32_e32 v31, v31, v53
	v_add_f32_e32 v25, v25, v26
	v_fma_f32 v57, 0x3fb8aa3b, v16, -v33
	v_cndmask_b32_e64 v26, 0, v29, s15
	v_cmp_nlt_f32_e64 s15, 0x42b17218, v8
	v_exp_f32_e32 v31, v31
	v_ldexp_f32 v30, v30, v52
	v_rndne_f32_e32 v58, v33
	v_fma_f32 v67, 0x3fb8aa3b, v22, -v38
	v_cndmask_b32_e64 v28, 0x7f800000, v28, s15
	v_cmp_ngt_f32_e64 s15, 0xc2ce8ed0, v11
	v_rndne_f32_e32 v68, v38
	v_cvt_i32_f32_e32 v54, v54
	v_add_f32_e32 v25, v25, v27
	v_fmac_f32_e32 v63, 0x32a5705f, v20
	v_cndmask_b32_e64 v27, 0, v30, s15
	v_cmp_nlt_f32_e64 s15, 0x42b17218, v10
	v_fmac_f32_e32 v57, 0x32a5705f, v16
	s_delay_alu instid0(VALU_DEP_4) | instskip(SKIP_4) | instid1(VALU_DEP_3)
	v_dual_fmac_f32 v67, 0x32a5705f, v22 :: v_dual_add_f32 v36, v36, v63
	v_dual_sub_f32 v38, v38, v68 :: v_dual_sub_f32 v33, v33, v58
	v_exp_f32_e32 v32, v32
	v_ldexp_f32 v31, v31, v54
	v_cndmask_b32_e64 v26, 0x7f800000, v26, s15
	v_add_f32_e32 v38, v38, v67
	v_cmp_ngt_f32_e64 s15, 0xc2ce8ed0, v13
	v_cvt_i32_f32_e32 v56, v56
	v_add_f32_e32 v33, v33, v57
	v_add_f32_e32 v25, v25, v28
	v_fma_f32 v61, 0x3fb8aa3b, v18, -v35
	v_cndmask_b32_e64 v28, 0, v31, s15
	v_cmp_nlt_f32_e64 s15, 0x42b17218, v11
	v_exp_f32_e32 v33, v33
	v_ldexp_f32 v32, v32, v56
	v_rndne_f32_e32 v62, v35
	v_cvt_i32_f32_e32 v58, v58
	v_cndmask_b32_e64 v27, 0x7f800000, v27, s15
	v_cmp_ngt_f32_e64 s15, 0xc2ce8ed0, v14
	v_add_f32_e32 v25, v25, v26
	v_fmac_f32_e32 v61, 0x32a5705f, v18
	v_sub_f32_e32 v35, v35, v62
	v_exp_f32_e32 v34, v34
	v_cndmask_b32_e64 v26, 0, v32, s15
	v_cmp_nlt_f32_e64 s15, 0x42b17218, v13
	v_ldexp_f32 v33, v33, v58
	v_cvt_i32_f32_e32 v60, v60
	v_add_f32_e32 v35, v35, v61
	v_add_f32_e32 v25, v25, v27
	v_cndmask_b32_e64 v28, 0x7f800000, v28, s15
	v_cmp_ngt_f32_e64 s15, 0xc2ce8ed0, v16
	v_fma_f32 v65, 0x3fb8aa3b, v21, -v37
	v_exp_f32_e32 v35, v35
	v_ldexp_f32 v34, v34, v60
	v_rndne_f32_e32 v66, v37
	v_cndmask_b32_e64 v27, 0, v33, s15
	v_cmp_nlt_f32_e64 s15, 0x42b17218, v14
	v_cvt_i32_f32_e32 v62, v62
	v_add_f32_e32 v25, v25, v28
	v_fmac_f32_e32 v65, 0x32a5705f, v21
	v_sub_f32_e32 v37, v37, v66
	v_cndmask_b32_e64 v26, 0x7f800000, v26, s15
	v_cmp_ngt_f32_e64 s15, 0xc2ce8ed0, v17
	v_exp_f32_e32 v36, v36
	v_ldexp_f32 v35, v35, v62
	v_cvt_i32_f32_e32 v64, v64
	v_add_f32_e32 v37, v37, v65
	v_cndmask_b32_e64 v28, 0, v34, s15
	v_cmp_nlt_f32_e64 s15, 0x42b17218, v16
	v_add_f32_e32 v25, v25, v26
	v_fma_f32 v69, 0x3fb8aa3b, v23, -v39
	v_exp_f32_e32 v37, v37
	v_rndne_f32_e32 v70, v39
	v_cndmask_b32_e64 v27, 0x7f800000, v27, s15
	v_cmp_ngt_f32_e64 s15, 0xc2ce8ed0, v18
	v_ldexp_f32 v36, v36, v64
	v_cvt_i32_f32_e32 v66, v66
	v_fmac_f32_e32 v69, 0x32a5705f, v23
	v_add_f32_e32 v25, v25, v27
	v_cndmask_b32_e64 v26, 0, v35, s15
	v_cmp_nlt_f32_e64 s15, 0x42b17218, v17
	v_sub_f32_e32 v39, v39, v70
	v_exp_f32_e32 v38, v38
	v_ldexp_f32 v37, v37, v66
	v_cvt_i32_f32_e32 v68, v68
	v_cndmask_b32_e64 v28, 0x7f800000, v28, s15
	v_cmp_ngt_f32_e64 s15, 0xc2ce8ed0, v20
	v_add_f32_e32 v39, v39, v69
	v_cvt_i32_f32_e32 v70, v70
	v_exp_f32_e32 v40, v40
	v_add_f32_e32 v25, v25, v28
	v_cndmask_b32_e64 v27, 0, v36, s15
	v_cmp_nlt_f32_e64 s15, 0x42b17218, v18
	v_exp_f32_e32 v39, v39
	v_ldexp_f32 v38, v38, v68
	v_cvt_i32_f32_e32 v72, v72
	s_delay_alu instid0(VALU_DEP_3) | instskip(SKIP_1) | instid1(VALU_DEP_2)
	v_cndmask_b32_e64 v26, 0x7f800000, v26, s15
	v_cmp_ngt_f32_e64 s15, 0xc2ce8ed0, v21
	v_add_f32_e32 v25, v25, v26
	s_delay_alu instid0(VALU_DEP_2) | instskip(SKIP_1) | instid1(TRANS32_DEP_1)
	v_cndmask_b32_e64 v28, 0, v37, s15
	v_cmp_nlt_f32_e64 s15, 0x42b17218, v20
	v_ldexp_f32 v39, v39, v70
	s_delay_alu instid0(VALU_DEP_2) | instskip(SKIP_1) | instid1(VALU_DEP_2)
	v_cndmask_b32_e64 v27, 0x7f800000, v27, s15
	v_cmp_ngt_f32_e64 s15, 0xc2ce8ed0, v22
	v_add_f32_e32 v25, v25, v27
	s_delay_alu instid0(VALU_DEP_2) | instskip(SKIP_1) | instid1(VALU_DEP_1)
	v_cndmask_b32_e64 v26, 0, v38, s15
	v_cmp_nlt_f32_e64 s15, 0x42b17218, v21
	v_cndmask_b32_e64 v28, 0x7f800000, v28, s15
	v_cmp_ngt_f32_e64 s15, 0xc2ce8ed0, v23
	s_delay_alu instid0(VALU_DEP_2) | instskip(NEXT) | instid1(VALU_DEP_2)
	v_add_f32_e32 v25, v25, v28
	v_cndmask_b32_e64 v27, 0, v39, s15
	v_cmp_nlt_f32_e64 s15, 0x42b17218, v22
	v_ldexp_f32 v28, v40, v72
	s_delay_alu instid0(VALU_DEP_2) | instskip(SKIP_1) | instid1(VALU_DEP_2)
	v_cndmask_b32_e64 v26, 0x7f800000, v26, s15
	v_cmp_nlt_f32_e64 s15, 0x42b17218, v23
	v_add_f32_e32 v25, v25, v26
	s_delay_alu instid0(VALU_DEP_2) | instskip(SKIP_1) | instid1(VALU_DEP_2)
	v_cndmask_b32_e64 v27, 0x7f800000, v27, s15
	v_cmp_ngt_f32_e64 s15, 0xc2ce8ed0, v24
	v_add_f32_e32 v25, v25, v27
	s_delay_alu instid0(VALU_DEP_2) | instskip(SKIP_1) | instid1(VALU_DEP_1)
	v_cndmask_b32_e64 v26, 0, v28, s15
	v_cmp_nlt_f32_e64 s15, 0x42b17218, v24
	v_cndmask_b32_e64 v26, 0x7f800000, v26, s15
	s_delay_alu instid0(VALU_DEP_1)
	v_add_f32_e32 v25, v25, v26
	ds_bpermute_b32 v2, v2, v25
	s_waitcnt lgkmcnt(0)
	v_add_f32_e32 v2, v25, v2
	ds_bpermute_b32 v3, v3, v2
	s_waitcnt lgkmcnt(0)
	;; [unrolled: 3-line block ×5, first 2 shown]
	v_add_f32_e32 v2, v2, v3
	ds_bpermute_b32 v3, v19, v2
	v_cmpx_lt_i32_e32 0, v5
	s_cbranch_execz .LBB151_50
; %bb.33:
	s_and_b32 exec_lo, exec_lo, s3
	s_cbranch_execz .LBB151_50
; %bb.34:
	s_waitcnt lgkmcnt(0)
	v_add_f32_e32 v2, v2, v3
	s_delay_alu instid0(VALU_DEP_1) | instskip(NEXT) | instid1(VALU_DEP_1)
	v_cmp_gt_f32_e64 s3, 0x800000, v2
	v_cndmask_b32_e64 v3, 1.0, 0x4f800000, s3
	s_delay_alu instid0(VALU_DEP_1) | instskip(NEXT) | instid1(VALU_DEP_1)
	v_mul_f32_e32 v2, v2, v3
	v_log_f32_e32 v2, v2
	s_waitcnt_depctr 0xfff
	v_mul_f32_e32 v3, 0x3f317217, v2
	s_delay_alu instid0(VALU_DEP_1) | instskip(NEXT) | instid1(VALU_DEP_1)
	v_fma_f32 v5, 0x3f317217, v2, -v3
	v_fmamk_f32 v5, v2, 0x3377d1cf, v5
	s_delay_alu instid0(VALU_DEP_1) | instskip(SKIP_2) | instid1(VALU_DEP_1)
	v_add_f32_e32 v3, v3, v5
	v_cndmask_b32_e64 v5, 0, 0x41b17218, s3
	v_cmp_gt_f32_e64 s3, 0x7f800000, |v2|
	v_cndmask_b32_e64 v2, v2, v3, s3
	v_add_co_u32 v0, s3, s16, v0
	s_delay_alu instid0(VALU_DEP_1) | instskip(NEXT) | instid1(VALU_DEP_3)
	v_add_co_ci_u32_e64 v1, s3, s17, v1, s3
	v_sub_f32_e32 v2, v2, v5
	s_delay_alu instid0(VALU_DEP_1) | instskip(NEXT) | instid1(VALU_DEP_1)
	v_sub_f32_e32 v3, v4, v2
	v_bfe_u32 v4, v3, 16, 1
	v_cmp_o_f32_e64 s3, v3, v3
	s_delay_alu instid0(VALU_DEP_2) | instskip(NEXT) | instid1(VALU_DEP_1)
	v_add3_u32 v4, v3, v4, 0x7fff
	v_lshrrev_b32_e32 v4, 16, v4
	s_delay_alu instid0(VALU_DEP_1)
	v_cndmask_b32_e64 v3, 0x7fc0, v4, s3
	global_store_b16 v[0:1], v3, off
	s_and_b32 exec_lo, exec_lo, vcc_lo
	s_cbranch_execz .LBB151_50
; %bb.35:
	v_sub_f32_e32 v3, v6, v2
	s_delay_alu instid0(VALU_DEP_1) | instskip(SKIP_1) | instid1(VALU_DEP_2)
	v_bfe_u32 v4, v3, 16, 1
	v_cmp_o_f32_e32 vcc_lo, v3, v3
	v_add3_u32 v4, v3, v4, 0x7fff
	s_delay_alu instid0(VALU_DEP_1) | instskip(NEXT) | instid1(VALU_DEP_1)
	v_lshrrev_b32_e32 v4, 16, v4
	v_cndmask_b32_e32 v3, 0x7fc0, v4, vcc_lo
	global_store_b16 v[0:1], v3, off offset:128
	s_and_b32 exec_lo, exec_lo, s0
	s_cbranch_execz .LBB151_50
; %bb.36:
	v_sub_f32_e32 v3, v7, v2
	s_delay_alu instid0(VALU_DEP_1) | instskip(SKIP_1) | instid1(VALU_DEP_2)
	v_bfe_u32 v4, v3, 16, 1
	v_cmp_o_f32_e32 vcc_lo, v3, v3
	v_add3_u32 v4, v3, v4, 0x7fff
	s_delay_alu instid0(VALU_DEP_1) | instskip(NEXT) | instid1(VALU_DEP_1)
	v_lshrrev_b32_e32 v4, 16, v4
	v_cndmask_b32_e32 v3, 0x7fc0, v4, vcc_lo
	global_store_b16 v[0:1], v3, off offset:256
	s_and_b32 exec_lo, exec_lo, s1
	;; [unrolled: 12-line block ×14, first 2 shown]
	s_cbranch_execz .LBB151_50
; %bb.49:
	v_sub_f32_e32 v2, v24, v2
	s_delay_alu instid0(VALU_DEP_1) | instskip(SKIP_1) | instid1(VALU_DEP_2)
	v_bfe_u32 v3, v2, 16, 1
	v_cmp_o_f32_e32 vcc_lo, v2, v2
	v_add3_u32 v3, v2, v3, 0x7fff
	s_delay_alu instid0(VALU_DEP_1) | instskip(NEXT) | instid1(VALU_DEP_1)
	v_lshrrev_b32_e32 v3, 16, v3
	v_cndmask_b32_e32 v2, 0x7fc0, v3, vcc_lo
	global_store_b16 v[0:1], v2, off offset:1920
.LBB151_50:
	s_nop 0
	s_sendmsg sendmsg(MSG_DEALLOC_VGPRS)
	s_endpgm
	.section	.rodata,"a",@progbits
	.p2align	6, 0x0
	.amdhsa_kernel _ZN12_GLOBAL__N_120softmax_warp_forwardIN3c108BFloat16ES2_fLi10ELb1ELb0ELi64EEEvPT0_PKT_iiiPKbib
		.amdhsa_group_segment_fixed_size 0
		.amdhsa_private_segment_fixed_size 0
		.amdhsa_kernarg_size 304
		.amdhsa_user_sgpr_count 15
		.amdhsa_user_sgpr_dispatch_ptr 0
		.amdhsa_user_sgpr_queue_ptr 0
		.amdhsa_user_sgpr_kernarg_segment_ptr 1
		.amdhsa_user_sgpr_dispatch_id 0
		.amdhsa_user_sgpr_private_segment_size 0
		.amdhsa_wavefront_size32 1
		.amdhsa_uses_dynamic_stack 0
		.amdhsa_enable_private_segment 0
		.amdhsa_system_sgpr_workgroup_id_x 1
		.amdhsa_system_sgpr_workgroup_id_y 0
		.amdhsa_system_sgpr_workgroup_id_z 0
		.amdhsa_system_sgpr_workgroup_info 0
		.amdhsa_system_vgpr_workitem_id 1
		.amdhsa_next_free_vgpr 73
		.amdhsa_next_free_sgpr 24
		.amdhsa_reserve_vcc 1
		.amdhsa_float_round_mode_32 0
		.amdhsa_float_round_mode_16_64 0
		.amdhsa_float_denorm_mode_32 3
		.amdhsa_float_denorm_mode_16_64 3
		.amdhsa_dx10_clamp 1
		.amdhsa_ieee_mode 1
		.amdhsa_fp16_overflow 0
		.amdhsa_workgroup_processor_mode 1
		.amdhsa_memory_ordered 1
		.amdhsa_forward_progress 0
		.amdhsa_shared_vgpr_count 0
		.amdhsa_exception_fp_ieee_invalid_op 0
		.amdhsa_exception_fp_denorm_src 0
		.amdhsa_exception_fp_ieee_div_zero 0
		.amdhsa_exception_fp_ieee_overflow 0
		.amdhsa_exception_fp_ieee_underflow 0
		.amdhsa_exception_fp_ieee_inexact 0
		.amdhsa_exception_int_div_zero 0
	.end_amdhsa_kernel
	.section	.text._ZN12_GLOBAL__N_120softmax_warp_forwardIN3c108BFloat16ES2_fLi10ELb1ELb0ELi64EEEvPT0_PKT_iiiPKbib,"axG",@progbits,_ZN12_GLOBAL__N_120softmax_warp_forwardIN3c108BFloat16ES2_fLi10ELb1ELb0ELi64EEEvPT0_PKT_iiiPKbib,comdat
.Lfunc_end151:
	.size	_ZN12_GLOBAL__N_120softmax_warp_forwardIN3c108BFloat16ES2_fLi10ELb1ELb0ELi64EEEvPT0_PKT_iiiPKbib, .Lfunc_end151-_ZN12_GLOBAL__N_120softmax_warp_forwardIN3c108BFloat16ES2_fLi10ELb1ELb0ELi64EEEvPT0_PKT_iiiPKbib
                                        ; -- End function
	.section	.AMDGPU.csdata,"",@progbits
; Kernel info:
; codeLenInByte = 4844
; NumSgprs: 26
; NumVgprs: 73
; ScratchSize: 0
; MemoryBound: 0
; FloatMode: 240
; IeeeMode: 1
; LDSByteSize: 0 bytes/workgroup (compile time only)
; SGPRBlocks: 3
; VGPRBlocks: 9
; NumSGPRsForWavesPerEU: 26
; NumVGPRsForWavesPerEU: 73
; Occupancy: 16
; WaveLimiterHint : 0
; COMPUTE_PGM_RSRC2:SCRATCH_EN: 0
; COMPUTE_PGM_RSRC2:USER_SGPR: 15
; COMPUTE_PGM_RSRC2:TRAP_HANDLER: 0
; COMPUTE_PGM_RSRC2:TGID_X_EN: 1
; COMPUTE_PGM_RSRC2:TGID_Y_EN: 0
; COMPUTE_PGM_RSRC2:TGID_Z_EN: 0
; COMPUTE_PGM_RSRC2:TIDIG_COMP_CNT: 1
	.section	.text._ZN12_GLOBAL__N_120softmax_warp_forwardIN3c108BFloat16ES2_fLi10ELb1ELb0ELi32EEEvPT0_PKT_iiiPKbib,"axG",@progbits,_ZN12_GLOBAL__N_120softmax_warp_forwardIN3c108BFloat16ES2_fLi10ELb1ELb0ELi32EEEvPT0_PKT_iiiPKbib,comdat
	.globl	_ZN12_GLOBAL__N_120softmax_warp_forwardIN3c108BFloat16ES2_fLi10ELb1ELb0ELi32EEEvPT0_PKT_iiiPKbib ; -- Begin function _ZN12_GLOBAL__N_120softmax_warp_forwardIN3c108BFloat16ES2_fLi10ELb1ELb0ELi32EEEvPT0_PKT_iiiPKbib
	.p2align	8
	.type	_ZN12_GLOBAL__N_120softmax_warp_forwardIN3c108BFloat16ES2_fLi10ELb1ELb0ELi32EEEvPT0_PKT_iiiPKbib,@function
_ZN12_GLOBAL__N_120softmax_warp_forwardIN3c108BFloat16ES2_fLi10ELb1ELb0ELi32EEEvPT0_PKT_iiiPKbib: ; @_ZN12_GLOBAL__N_120softmax_warp_forwardIN3c108BFloat16ES2_fLi10ELb1ELb0ELi32EEEvPT0_PKT_iiiPKbib
; %bb.0:
	s_clause 0x1
	s_load_b32 s2, s[0:1], 0x3c
	s_load_b256 s[36:43], s[0:1], 0x0
	v_bfe_u32 v1, v0, 10, 10
	v_dual_mov_b32 v12, 0xff800000 :: v_dual_mov_b32 v15, 0xff800000
	s_waitcnt lgkmcnt(0)
	s_lshr_b32 s0, s2, 16
	s_delay_alu instid0(VALU_DEP_2) | instid1(SALU_CYCLE_1)
	v_mad_u64_u32 v[3:4], null, s15, s0, v[1:2]
	v_and_b32_e32 v2, 0x3ff, v0
	s_delay_alu instid0(VALU_DEP_1) | instskip(NEXT) | instid1(VALU_DEP_3)
	v_cmp_gt_i32_e64 s3, s42, v2
	v_mad_u64_u32 v[0:1], null, v3, s41, v[2:3]
	v_sub_nc_u32_e32 v5, s40, v3
	s_delay_alu instid0(VALU_DEP_1) | instskip(NEXT) | instid1(VALU_DEP_3)
	v_cmp_lt_i32_e64 s31, 0, v5
	v_ashrrev_i32_e32 v1, 31, v0
	s_delay_alu instid0(VALU_DEP_2) | instskip(NEXT) | instid1(VALU_DEP_1)
	s_and_b32 s1, s31, s3
	v_lshlrev_b64 v[0:1], 1, v[0:1]
	s_delay_alu instid0(VALU_DEP_1) | instskip(NEXT) | instid1(VALU_DEP_2)
	v_add_co_u32 v3, vcc_lo, s38, v0
	v_add_co_ci_u32_e32 v4, vcc_lo, s39, v1, vcc_lo
	s_and_saveexec_b32 s0, s1
	s_cbranch_execz .LBB152_2
; %bb.1:
	global_load_u16 v6, v[3:4], off
	s_waitcnt vmcnt(0)
	v_lshlrev_b32_e32 v15, 16, v6
.LBB152_2:
	s_or_b32 exec_lo, exec_lo, s0
	v_add_nc_u32_e32 v6, 32, v2
	s_delay_alu instid0(VALU_DEP_1) | instskip(SKIP_1) | instid1(SALU_CYCLE_1)
	v_cmp_gt_i32_e32 vcc_lo, s42, v6
	s_and_b32 s1, s31, vcc_lo
	s_and_saveexec_b32 s0, s1
	s_cbranch_execz .LBB152_4
; %bb.3:
	global_load_u16 v6, v[3:4], off offset:64
	s_waitcnt vmcnt(0)
	v_lshlrev_b32_e32 v12, 16, v6
.LBB152_4:
	s_or_b32 exec_lo, exec_lo, s0
	v_dual_mov_b32 v13, 0xff800000 :: v_dual_add_nc_u32 v6, 64, v2
	v_mov_b32_e32 v19, 0xff800000
	s_delay_alu instid0(VALU_DEP_2) | instskip(NEXT) | instid1(VALU_DEP_1)
	v_cmp_gt_i32_e64 s0, s42, v6
	s_and_b32 s2, s31, s0
	s_delay_alu instid0(SALU_CYCLE_1)
	s_and_saveexec_b32 s1, s2
	s_cbranch_execz .LBB152_6
; %bb.5:
	global_load_u16 v6, v[3:4], off offset:128
	s_waitcnt vmcnt(0)
	v_lshlrev_b32_e32 v19, 16, v6
.LBB152_6:
	s_or_b32 exec_lo, exec_lo, s1
	v_add_nc_u32_e32 v6, 0x60, v2
	s_delay_alu instid0(VALU_DEP_1) | instskip(NEXT) | instid1(VALU_DEP_1)
	v_cmp_gt_i32_e64 s1, s42, v6
	s_and_b32 s4, s31, s1
	s_delay_alu instid0(SALU_CYCLE_1)
	s_and_saveexec_b32 s2, s4
	s_cbranch_execz .LBB152_8
; %bb.7:
	global_load_u16 v6, v[3:4], off offset:192
	s_waitcnt vmcnt(0)
	v_lshlrev_b32_e32 v13, 16, v6
.LBB152_8:
	s_or_b32 exec_lo, exec_lo, s2
	v_add_nc_u32_e32 v6, 0x80, v2
	v_dual_mov_b32 v17, 0xff800000 :: v_dual_mov_b32 v24, 0xff800000
	s_delay_alu instid0(VALU_DEP_2) | instskip(NEXT) | instid1(VALU_DEP_1)
	v_cmp_gt_i32_e64 s2, s42, v6
	s_and_b32 s5, s31, s2
	s_delay_alu instid0(SALU_CYCLE_1)
	s_and_saveexec_b32 s4, s5
	s_cbranch_execz .LBB152_10
; %bb.9:
	global_load_u16 v6, v[3:4], off offset:256
	s_waitcnt vmcnt(0)
	v_lshlrev_b32_e32 v24, 16, v6
.LBB152_10:
	s_or_b32 exec_lo, exec_lo, s4
	v_add_nc_u32_e32 v6, 0xa0, v2
	s_delay_alu instid0(VALU_DEP_1) | instskip(NEXT) | instid1(VALU_DEP_1)
	v_cmp_gt_i32_e64 s4, s42, v6
	s_and_b32 s6, s31, s4
	s_delay_alu instid0(SALU_CYCLE_1)
	s_and_saveexec_b32 s5, s6
	s_cbranch_execz .LBB152_12
; %bb.11:
	global_load_u16 v6, v[3:4], off offset:320
	s_waitcnt vmcnt(0)
	v_lshlrev_b32_e32 v17, 16, v6
.LBB152_12:
	s_or_b32 exec_lo, exec_lo, s5
	v_add_nc_u32_e32 v6, 0xc0, v2
	v_dual_mov_b32 v21, 0xff800000 :: v_dual_mov_b32 v26, 0xff800000
	s_delay_alu instid0(VALU_DEP_2) | instskip(NEXT) | instid1(VALU_DEP_1)
	v_cmp_gt_i32_e64 s5, s42, v6
	s_and_b32 s7, s31, s5
	s_delay_alu instid0(SALU_CYCLE_1)
	s_and_saveexec_b32 s6, s7
	s_cbranch_execz .LBB152_14
; %bb.13:
	global_load_u16 v6, v[3:4], off offset:384
	s_waitcnt vmcnt(0)
	v_lshlrev_b32_e32 v26, 16, v6
.LBB152_14:
	s_or_b32 exec_lo, exec_lo, s6
	v_add_nc_u32_e32 v6, 0xe0, v2
	s_delay_alu instid0(VALU_DEP_1) | instskip(NEXT) | instid1(VALU_DEP_1)
	v_cmp_gt_i32_e64 s6, s42, v6
	s_and_b32 s8, s31, s6
	s_delay_alu instid0(SALU_CYCLE_1)
	s_and_saveexec_b32 s7, s8
	s_cbranch_execz .LBB152_16
; %bb.15:
	global_load_u16 v6, v[3:4], off offset:448
	s_waitcnt vmcnt(0)
	v_lshlrev_b32_e32 v21, 16, v6
.LBB152_16:
	s_or_b32 exec_lo, exec_lo, s7
	v_add_nc_u32_e32 v6, 0x100, v2
	v_mov_b32_e32 v25, 0xff800000
	v_mov_b32_e32 v29, 0xff800000
	s_delay_alu instid0(VALU_DEP_3) | instskip(NEXT) | instid1(VALU_DEP_1)
	v_cmp_gt_i32_e64 s7, s42, v6
	s_and_b32 s9, s31, s7
	s_delay_alu instid0(SALU_CYCLE_1)
	s_and_saveexec_b32 s8, s9
	s_cbranch_execz .LBB152_18
; %bb.17:
	global_load_u16 v6, v[3:4], off offset:512
	s_waitcnt vmcnt(0)
	v_lshlrev_b32_e32 v29, 16, v6
.LBB152_18:
	s_or_b32 exec_lo, exec_lo, s8
	v_add_nc_u32_e32 v6, 0x120, v2
	s_delay_alu instid0(VALU_DEP_1) | instskip(NEXT) | instid1(VALU_DEP_1)
	v_cmp_gt_i32_e64 s8, s42, v6
	s_and_b32 s10, s31, s8
	s_delay_alu instid0(SALU_CYCLE_1)
	s_and_saveexec_b32 s9, s10
	s_cbranch_execz .LBB152_20
; %bb.19:
	global_load_u16 v6, v[3:4], off offset:576
	s_waitcnt vmcnt(0)
	v_lshlrev_b32_e32 v25, 16, v6
.LBB152_20:
	s_or_b32 exec_lo, exec_lo, s9
	v_add_nc_u32_e32 v6, 0x140, v2
	v_dual_mov_b32 v28, 0xff800000 :: v_dual_mov_b32 v31, 0xff800000
	s_delay_alu instid0(VALU_DEP_2) | instskip(NEXT) | instid1(VALU_DEP_1)
	v_cmp_gt_i32_e64 s9, s42, v6
	s_and_b32 s11, s31, s9
	s_delay_alu instid0(SALU_CYCLE_1)
	s_and_saveexec_b32 s10, s11
	s_cbranch_execz .LBB152_22
; %bb.21:
	global_load_u16 v6, v[3:4], off offset:640
	s_waitcnt vmcnt(0)
	v_lshlrev_b32_e32 v31, 16, v6
.LBB152_22:
	s_or_b32 exec_lo, exec_lo, s10
	v_add_nc_u32_e32 v6, 0x160, v2
	s_delay_alu instid0(VALU_DEP_1) | instskip(NEXT) | instid1(VALU_DEP_1)
	v_cmp_gt_i32_e64 s10, s42, v6
	s_and_b32 s12, s31, s10
	s_delay_alu instid0(SALU_CYCLE_1)
	s_and_saveexec_b32 s11, s12
	s_cbranch_execz .LBB152_24
; %bb.23:
	global_load_u16 v6, v[3:4], off offset:704
	s_waitcnt vmcnt(0)
	v_lshlrev_b32_e32 v28, 16, v6
.LBB152_24:
	s_or_b32 exec_lo, exec_lo, s11
	v_add_nc_u32_e32 v6, 0x180, v2
	v_dual_mov_b32 v30, 0xff800000 :: v_dual_mov_b32 v33, 0xff800000
	s_delay_alu instid0(VALU_DEP_2) | instskip(NEXT) | instid1(VALU_DEP_1)
	;; [unrolled: 27-line block ×6, first 2 shown]
	v_cmp_gt_i32_e64 s19, s42, v6
	s_and_b32 s21, s31, s19
	s_delay_alu instid0(SALU_CYCLE_1)
	s_and_saveexec_b32 s20, s21
	s_cbranch_execz .LBB152_42
; %bb.41:
	global_load_u16 v6, v[3:4], off offset:1280
	s_waitcnt vmcnt(0)
	v_lshlrev_b32_e32 v41, 16, v6
.LBB152_42:
	s_or_b32 exec_lo, exec_lo, s20
	v_add_nc_u32_e32 v6, 0x2a0, v2
	s_delay_alu instid0(VALU_DEP_1) | instskip(NEXT) | instid1(VALU_DEP_1)
	v_cmp_gt_i32_e64 s20, s42, v6
	s_and_b32 s22, s31, s20
	s_delay_alu instid0(SALU_CYCLE_1)
	s_and_saveexec_b32 s21, s22
	s_cbranch_execz .LBB152_44
; %bb.43:
	global_load_u16 v6, v[3:4], off offset:1344
	s_waitcnt vmcnt(0)
	v_lshlrev_b32_e32 v38, 16, v6
.LBB152_44:
	s_or_b32 exec_lo, exec_lo, s21
	v_add_nc_u32_e32 v6, 0x2c0, v2
	v_mov_b32_e32 v20, 0xff800000
	v_mov_b32_e32 v42, 0xff800000
	s_delay_alu instid0(VALU_DEP_3) | instskip(NEXT) | instid1(VALU_DEP_1)
	v_cmp_gt_i32_e64 s21, s42, v6
	s_and_b32 s23, s31, s21
	s_delay_alu instid0(SALU_CYCLE_1)
	s_and_saveexec_b32 s22, s23
	s_cbranch_execz .LBB152_46
; %bb.45:
	global_load_u16 v6, v[3:4], off offset:1408
	s_waitcnt vmcnt(0)
	v_lshlrev_b32_e32 v42, 16, v6
.LBB152_46:
	s_or_b32 exec_lo, exec_lo, s22
	v_add_nc_u32_e32 v6, 0x2e0, v2
	s_delay_alu instid0(VALU_DEP_1) | instskip(NEXT) | instid1(VALU_DEP_1)
	v_cmp_gt_i32_e64 s22, s42, v6
	s_and_b32 s24, s31, s22
	s_delay_alu instid0(SALU_CYCLE_1)
	s_and_saveexec_b32 s23, s24
	s_cbranch_execz .LBB152_48
; %bb.47:
	global_load_u16 v6, v[3:4], off offset:1472
	s_waitcnt vmcnt(0)
	v_lshlrev_b32_e32 v20, 16, v6
.LBB152_48:
	s_or_b32 exec_lo, exec_lo, s23
	v_add_nc_u32_e32 v6, 0x300, v2
	v_mov_b32_e32 v11, 0xff800000
	v_mov_b32_e32 v23, 0xff800000
	s_delay_alu instid0(VALU_DEP_3) | instskip(NEXT) | instid1(VALU_DEP_1)
	;; [unrolled: 28-line block ×4, first 2 shown]
	v_cmp_gt_i32_e64 s27, s42, v6
	s_and_b32 s29, s31, s27
	s_delay_alu instid0(SALU_CYCLE_1)
	s_and_saveexec_b32 s28, s29
	s_cbranch_execz .LBB152_58
; %bb.57:
	global_load_u16 v6, v[3:4], off offset:1792
	s_waitcnt vmcnt(0)
	v_lshlrev_b32_e32 v9, 16, v6
.LBB152_58:
	s_or_b32 exec_lo, exec_lo, s28
	v_add_nc_u32_e32 v6, 0x3a0, v2
	s_delay_alu instid0(VALU_DEP_1) | instskip(NEXT) | instid1(VALU_DEP_1)
	v_cmp_gt_i32_e64 s28, s42, v6
	s_and_b32 s30, s31, s28
	s_delay_alu instid0(SALU_CYCLE_1)
	s_and_saveexec_b32 s29, s30
	s_cbranch_execz .LBB152_60
; %bb.59:
	global_load_u16 v6, v[3:4], off offset:1856
	s_waitcnt vmcnt(0)
	v_lshlrev_b32_e32 v7, 16, v6
.LBB152_60:
	s_or_b32 exec_lo, exec_lo, s29
	v_add_nc_u32_e32 v6, 0x3c0, v2
	v_mov_b32_e32 v8, 0xff800000
	s_delay_alu instid0(VALU_DEP_2) | instskip(SKIP_1) | instid1(VALU_DEP_2)
	v_cmp_gt_i32_e64 s29, s42, v6
	v_mov_b32_e32 v6, 0xff800000
	s_and_b32 s33, s31, s29
	s_delay_alu instid0(SALU_CYCLE_1)
	s_and_saveexec_b32 s30, s33
	s_cbranch_execz .LBB152_62
; %bb.61:
	global_load_u16 v8, v[3:4], off offset:1920
	s_waitcnt vmcnt(0)
	v_lshlrev_b32_e32 v8, 16, v8
.LBB152_62:
	s_or_b32 exec_lo, exec_lo, s30
	v_add_nc_u32_e32 v2, 0x3e0, v2
	s_delay_alu instid0(VALU_DEP_1) | instskip(NEXT) | instid1(VALU_DEP_1)
	v_cmp_gt_i32_e64 s30, s42, v2
	s_and_b32 s33, s31, s30
	s_delay_alu instid0(SALU_CYCLE_1)
	s_and_saveexec_b32 s31, s33
	s_cbranch_execz .LBB152_64
; %bb.63:
	global_load_u16 v2, v[3:4], off offset:1984
	s_waitcnt vmcnt(0)
	v_lshlrev_b32_e32 v6, 16, v2
.LBB152_64:
	s_or_b32 exec_lo, exec_lo, s31
	v_cmp_gt_f32_e64 s31, v15, v12
	v_mbcnt_lo_u32_b32 v3, -1, 0
	s_mov_b32 s33, exec_lo
	s_delay_alu instid0(VALU_DEP_2) | instskip(NEXT) | instid1(VALU_DEP_2)
	v_cndmask_b32_e64 v2, v12, v15, s31
	v_xor_b32_e32 v4, 16, v3
	s_delay_alu instid0(VALU_DEP_2) | instskip(NEXT) | instid1(VALU_DEP_1)
	v_cmp_gt_f32_e64 s31, v2, v19
	v_cndmask_b32_e64 v2, v19, v2, s31
	s_delay_alu instid0(VALU_DEP_1) | instskip(NEXT) | instid1(VALU_DEP_1)
	v_cmp_gt_f32_e64 s31, v2, v13
	v_cndmask_b32_e64 v2, v13, v2, s31
	s_delay_alu instid0(VALU_DEP_1) | instskip(NEXT) | instid1(VALU_DEP_1)
	;; [unrolled: 3-line block ×27, first 2 shown]
	v_cmp_gt_f32_e64 s31, v2, v7
	v_cndmask_b32_e64 v2, v7, v2, s31
	v_cmp_gt_i32_e64 s31, 32, v4
	s_delay_alu instid0(VALU_DEP_1) | instskip(NEXT) | instid1(VALU_DEP_3)
	v_cndmask_b32_e64 v4, v3, v4, s31
	v_cmp_gt_f32_e64 s31, v2, v8
	s_delay_alu instid0(VALU_DEP_1) | instskip(NEXT) | instid1(VALU_DEP_3)
	v_cndmask_b32_e64 v14, v8, v2, s31
	v_lshlrev_b32_e32 v2, 2, v4
	s_delay_alu instid0(VALU_DEP_2) | instskip(NEXT) | instid1(VALU_DEP_1)
	v_cmp_gt_f32_e64 s31, v14, v6
	v_cndmask_b32_e64 v4, v6, v14, s31
	v_xor_b32_e32 v14, 8, v3
	ds_bpermute_b32 v18, v2, v4
	v_cmp_gt_i32_e64 s31, 32, v14
	s_delay_alu instid0(VALU_DEP_1) | instskip(NEXT) | instid1(VALU_DEP_1)
	v_cndmask_b32_e64 v14, v3, v14, s31
	v_lshlrev_b32_e32 v14, 2, v14
	s_waitcnt lgkmcnt(0)
	v_cmp_lt_f32_e64 s31, v4, v18
	s_delay_alu instid0(VALU_DEP_1) | instskip(SKIP_3) | instid1(VALU_DEP_1)
	v_cndmask_b32_e64 v4, v4, v18, s31
	v_xor_b32_e32 v18, 4, v3
	ds_bpermute_b32 v22, v14, v4
	v_cmp_gt_i32_e64 s31, 32, v18
	v_cndmask_b32_e64 v18, v3, v18, s31
	s_delay_alu instid0(VALU_DEP_1) | instskip(SKIP_2) | instid1(VALU_DEP_1)
	v_lshlrev_b32_e32 v18, 2, v18
	s_waitcnt lgkmcnt(0)
	v_cmp_lt_f32_e64 s31, v4, v22
	v_cndmask_b32_e64 v4, v4, v22, s31
	v_xor_b32_e32 v22, 2, v3
	ds_bpermute_b32 v27, v18, v4
	v_cmp_gt_i32_e64 s31, 32, v22
	s_delay_alu instid0(VALU_DEP_1) | instskip(NEXT) | instid1(VALU_DEP_1)
	v_cndmask_b32_e64 v22, v3, v22, s31
	v_lshlrev_b32_e32 v22, 2, v22
	s_waitcnt lgkmcnt(0)
	v_cmp_lt_f32_e64 s31, v4, v27
	s_delay_alu instid0(VALU_DEP_1) | instskip(SKIP_3) | instid1(VALU_DEP_1)
	v_cndmask_b32_e64 v4, v4, v27, s31
	v_xor_b32_e32 v27, 1, v3
	ds_bpermute_b32 v40, v22, v4
	v_cmp_gt_i32_e64 s31, 32, v27
	v_cndmask_b32_e64 v3, v3, v27, s31
	s_delay_alu instid0(VALU_DEP_1) | instskip(SKIP_2) | instid1(VALU_DEP_1)
	v_lshlrev_b32_e32 v27, 2, v3
	s_waitcnt lgkmcnt(0)
	v_cmp_lt_f32_e64 s31, v4, v40
	v_cndmask_b32_e64 v3, v4, v40, s31
	ds_bpermute_b32 v4, v27, v3
	s_waitcnt lgkmcnt(0)
	v_cmp_lt_f32_e64 s31, v3, v4
	s_delay_alu instid0(VALU_DEP_1) | instskip(NEXT) | instid1(VALU_DEP_1)
	v_cndmask_b32_e64 v40, v3, v4, s31
	v_sub_f32_e32 v4, v12, v40
	v_sub_f32_e32 v3, v15, v40
	;; [unrolled: 1-line block ×8, first 2 shown]
	v_dual_mul_f32 v44, 0x3fb8aa3b, v13 :: v_dual_sub_f32 v19, v26, v40
	v_mul_f32_e32 v46, 0x3fb8aa3b, v17
	v_sub_f32_e32 v24, v29, v40
	v_dual_sub_f32 v29, v33, v40 :: v_dual_mul_f32 v54, 0x3fb8aa3b, v30
	v_sub_f32_e32 v33, v37, v40
	v_sub_f32_e32 v37, v41, v40
	v_dual_mul_f32 v41, 0x3fb8aa3b, v3 :: v_dual_sub_f32 v26, v31, v40
	s_delay_alu instid0(VALU_DEP_4) | instskip(SKIP_2) | instid1(VALU_DEP_4)
	v_dual_mul_f32 v53, 0x3fb8aa3b, v29 :: v_dual_sub_f32 v34, v34, v40
	v_sub_f32_e32 v31, v35, v40
	v_mul_f32_e32 v47, 0x3fb8aa3b, v19
	v_fma_f32 v64, 0x3fb8aa3b, v3, -v41
	v_sub_f32_e32 v35, v39, v40
	v_rndne_f32_e32 v65, v41
	v_fma_f32 v70, 0x3fb8aa3b, v13, -v44
	v_sub_f32_e32 v39, v42, v40
	v_mul_f32_e32 v42, 0x3fb8aa3b, v4
	v_rndne_f32_e32 v71, v44
	v_sub_f32_e32 v41, v41, v65
	v_mul_f32_e32 v49, 0x3fb8aa3b, v24
	v_mul_f32_e32 v45, 0x3fb8aa3b, v15
	v_fma_f32 v66, 0x3fb8aa3b, v4, -v42
	v_sub_f32_e32 v44, v44, v71
	v_rndne_f32_e32 v67, v42
	v_rndne_f32_e32 v81, v49
	v_fma_f32 v80, 0x3fb8aa3b, v24, -v49
	v_fmac_f32_e32 v64, 0x32a5705f, v3
	v_fmac_f32_e32 v66, 0x32a5705f, v4
	s_delay_alu instid0(VALU_DEP_4) | instskip(SKIP_3) | instid1(VALU_DEP_4)
	v_dual_sub_f32 v42, v42, v67 :: v_dual_sub_f32 v49, v49, v81
	v_mul_f32_e32 v43, 0x3fb8aa3b, v12
	v_dual_sub_f32 v28, v28, v40 :: v_dual_mul_f32 v51, 0x3fb8aa3b, v26
	v_fma_f32 v72, 0x3fb8aa3b, v15, -v45
	v_dual_add_f32 v41, v41, v64 :: v_dual_add_f32 v42, v42, v66
	s_delay_alu instid0(VALU_DEP_4) | instskip(SKIP_1) | instid1(VALU_DEP_4)
	v_fma_f32 v68, 0x3fb8aa3b, v12, -v43
	v_rndne_f32_e32 v69, v43
	v_fmac_f32_e32 v72, 0x32a5705f, v15
	v_mul_f32_e32 v52, 0x3fb8aa3b, v28
	v_rndne_f32_e32 v85, v51
	s_delay_alu instid0(VALU_DEP_4)
	v_dual_fmac_f32 v68, 0x32a5705f, v12 :: v_dual_sub_f32 v43, v43, v69
	v_exp_f32_e32 v41, v41
	v_fma_f32 v74, 0x3fb8aa3b, v17, -v46
	v_fma_f32 v84, 0x3fb8aa3b, v26, -v51
	v_sub_f32_e32 v51, v51, v85
	v_dual_add_f32 v43, v43, v68 :: v_dual_fmac_f32 v70, 0x32a5705f, v13
	s_delay_alu instid0(VALU_DEP_4)
	v_fmac_f32_e32 v74, 0x32a5705f, v17
	v_dual_mul_f32 v63, 0x3fb8aa3b, v39 :: v_dual_mul_f32 v62, 0x3fb8aa3b, v38
	v_dual_sub_f32 v32, v32, v40 :: v_dual_mul_f32 v57, 0x3fb8aa3b, v33
	v_cvt_i32_f32_e32 v65, v65
	v_exp_f32_e32 v42, v42
	v_cvt_i32_f32_e32 v67, v67
	v_exp_f32_e32 v43, v43
	v_fma_f32 v68, 0x3fb8aa3b, v33, -v57
	v_ldexp_f32 v41, v41, v65
	v_cmp_ngt_f32_e64 s31, 0xc2ce8ed0, v3
	v_dual_sub_f32 v36, v36, v40 :: v_dual_mul_f32 v61, 0x3fb8aa3b, v37
	v_fma_f32 v76, 0x3fb8aa3b, v19, -v47
	v_rndne_f32_e32 v77, v47
	v_cvt_i32_f32_e32 v69, v69
	v_fmac_f32_e32 v68, 0x32a5705f, v33
	v_fmac_f32_e32 v84, 0x32a5705f, v26
	v_ldexp_f32 v42, v42, v67
	v_cndmask_b32_e64 v41, 0, v41, s31
	v_cmp_ngt_f32_e64 s31, 0xc2ce8ed0, v4
	v_dual_mul_f32 v60, 0x3fb8aa3b, v36 :: v_dual_sub_f32 v47, v47, v77
	v_rndne_f32_e32 v73, v45
	v_dual_fmac_f32 v76, 0x32a5705f, v19 :: v_dual_add_f32 v51, v51, v84
	v_add_f32_e32 v44, v44, v70
	v_ldexp_f32 v43, v43, v69
	v_cndmask_b32_e64 v42, 0, v42, s31
	s_delay_alu instid0(VALU_DEP_4) | instskip(SKIP_4) | instid1(VALU_DEP_3)
	v_add_f32_e32 v47, v47, v76
	v_cmp_ngt_f32_e64 s31, 0xc2ce8ed0, v12
	v_dual_mul_f32 v56, 0x3fb8aa3b, v32 :: v_dual_sub_f32 v45, v45, v73
	v_rndne_f32_e32 v75, v46
	v_exp_f32_e32 v44, v44
	v_cndmask_b32_e64 v43, 0, v43, s31
	v_cmp_nlt_f32_e64 s31, 0x42b17218, v3
	v_dual_mul_f32 v59, 0x3fb8aa3b, v35 :: v_dual_mul_f32 v58, 0x3fb8aa3b, v34
	v_mul_f32_e32 v55, 0x3fb8aa3b, v31
	v_dual_sub_f32 v46, v46, v75 :: v_dual_add_f32 v45, v45, v72
	v_cvt_i32_f32_e32 v71, v71
	v_cndmask_b32_e64 v41, 0x7f800000, v41, s31
	v_cmp_nlt_f32_e64 s31, 0x42b17218, v4
	v_rndne_f32_e32 v93, v55
	v_exp_f32_e32 v45, v45
	v_ldexp_f32 v44, v44, v71
	v_fma_f32 v92, 0x3fb8aa3b, v31, -v55
	v_cndmask_b32_e64 v42, 0x7f800000, v42, s31
	v_cmp_ngt_f32_e64 s31, 0xc2ce8ed0, v13
	v_dual_fmac_f32 v80, 0x32a5705f, v24 :: v_dual_sub_f32 v55, v55, v93
	v_add_f32_e32 v46, v46, v74
	v_cvt_i32_f32_e32 v73, v73
	s_delay_alu instid0(VALU_DEP_4) | instskip(NEXT) | instid1(VALU_DEP_4)
	v_cndmask_b32_e64 v44, 0, v44, s31
	v_add_f32_e32 v49, v49, v80
	v_cmp_nlt_f32_e64 s31, 0x42b17218, v12
	v_fma_f32 v86, 0x3fb8aa3b, v28, -v52
	v_exp_f32_e32 v46, v46
	v_ldexp_f32 v45, v45, v73
	v_cvt_i32_f32_e32 v75, v75
	v_cndmask_b32_e64 v43, 0x7f800000, v43, s31
	v_cmp_ngt_f32_e64 s31, 0xc2ce8ed0, v15
	v_dual_fmac_f32 v86, 0x32a5705f, v28 :: v_dual_add_f32 v41, v41, v42
	v_fma_f32 v88, 0x3fb8aa3b, v29, -v53
	v_exp_f32_e32 v47, v47
	s_delay_alu instid0(VALU_DEP_3)
	v_cndmask_b32_e64 v42, 0, v45, s31
	v_cmp_nlt_f32_e64 s31, 0x42b17218, v13
	v_ldexp_f32 v46, v46, v75
	v_sub_f32_e32 v25, v25, v40
	v_dual_sub_f32 v21, v21, v40 :: v_dual_fmac_f32 v88, 0x32a5705f, v29
	v_add_f32_e32 v41, v41, v43
	v_cndmask_b32_e64 v44, 0x7f800000, v44, s31
	v_cmp_ngt_f32_e64 s31, 0xc2ce8ed0, v17
	v_cvt_i32_f32_e32 v77, v77
	v_mul_f32_e32 v50, 0x3fb8aa3b, v25
	v_mul_f32_e32 v48, 0x3fb8aa3b, v21
	v_fma_f32 v90, 0x3fb8aa3b, v30, -v54
	v_cndmask_b32_e64 v43, 0, v46, s31
	v_cmp_nlt_f32_e64 s31, 0x42b17218, v15
	v_ldexp_f32 v47, v47, v77
	v_fma_f32 v78, 0x3fb8aa3b, v21, -v48
	v_rndne_f32_e32 v79, v48
	v_rndne_f32_e32 v89, v53
	v_cndmask_b32_e64 v42, 0x7f800000, v42, s31
	v_cmp_ngt_f32_e64 s31, 0xc2ce8ed0, v19
	v_rndne_f32_e32 v91, v54
	v_dual_fmac_f32 v90, 0x32a5705f, v30 :: v_dual_add_f32 v41, v41, v44
	v_dual_sub_f32 v48, v48, v79 :: v_dual_sub_f32 v53, v53, v89
	s_delay_alu instid0(VALU_DEP_4) | instskip(SKIP_4) | instid1(VALU_DEP_4)
	v_cndmask_b32_e64 v44, 0, v47, s31
	v_cmp_nlt_f32_e64 s31, 0x42b17218, v17
	v_fmac_f32_e32 v78, 0x32a5705f, v21
	v_dual_sub_f32 v54, v54, v91 :: v_dual_add_f32 v41, v41, v42
	v_add_f32_e32 v53, v53, v88
	v_cndmask_b32_e64 v43, 0x7f800000, v43, s31
	v_fma_f32 v82, 0x3fb8aa3b, v25, -v50
	s_delay_alu instid0(VALU_DEP_4)
	v_add_f32_e32 v54, v54, v90
	v_rndne_f32_e32 v83, v50
	v_cvt_i32_f32_e32 v79, v79
	v_add_f32_e32 v41, v41, v43
	v_fmac_f32_e32 v92, 0x32a5705f, v31
	v_add_f32_e32 v48, v48, v78
	v_rndne_f32_e32 v70, v57
	v_fma_f32 v76, 0x3fb8aa3b, v35, -v59
	v_rndne_f32_e32 v78, v59
	v_add_f32_e32 v55, v55, v92
	v_exp_f32_e32 v48, v48
	v_dual_fmac_f32 v82, 0x32a5705f, v25 :: v_dual_sub_f32 v57, v57, v70
	s_delay_alu instid0(VALU_DEP_3)
	v_dual_sub_f32 v50, v50, v83 :: v_dual_sub_f32 v59, v59, v78
	v_exp_f32_e32 v49, v49
	v_cmp_ngt_f32_e64 s31, 0xc2ce8ed0, v21
	v_cvt_i32_f32_e32 v81, v81
	v_fmac_f32_e32 v76, 0x32a5705f, v35
	v_add_f32_e32 v50, v50, v82
	s_delay_alu instid0(TRANS32_DEP_2)
	v_ldexp_f32 v48, v48, v79
	v_rndne_f32_e32 v87, v52
	v_fma_f32 v84, 0x3fb8aa3b, v37, -v61
	v_add_f32_e32 v59, v59, v76
	v_exp_f32_e32 v50, v50
	v_cndmask_b32_e64 v42, 0, v48, s31
	v_cmp_nlt_f32_e64 s31, 0x42b17218, v19
	v_ldexp_f32 v49, v49, v81
	v_sub_f32_e32 v52, v52, v87
	v_cvt_i32_f32_e32 v83, v83
	v_fmac_f32_e32 v84, 0x32a5705f, v37
	v_cndmask_b32_e64 v44, 0x7f800000, v44, s31
	v_cmp_ngt_f32_e64 s31, 0xc2ce8ed0, v24
	v_add_f32_e32 v52, v52, v86
	v_rndne_f32_e32 v86, v61
	v_exp_f32_e32 v51, v51
	v_ldexp_f32 v50, v50, v83
	v_cndmask_b32_e64 v43, 0, v49, s31
	v_cmp_nlt_f32_e64 s31, 0x42b17218, v21
	v_cvt_i32_f32_e32 v85, v85
	v_sub_f32_e32 v61, v61, v86
	v_add_f32_e32 v41, v41, v44
	v_fma_f32 v64, 0x3fb8aa3b, v32, -v56
	v_cndmask_b32_e64 v42, 0x7f800000, v42, s31
	v_cmp_ngt_f32_e64 s31, 0xc2ce8ed0, v25
	v_add_f32_e32 v61, v61, v84
	v_exp_f32_e32 v52, v52
	v_ldexp_f32 v51, v51, v85
	v_cvt_i32_f32_e32 v87, v87
	v_cndmask_b32_e64 v44, 0, v50, s31
	v_cmp_nlt_f32_e64 s31, 0x42b17218, v24
	v_dual_fmac_f32 v64, 0x32a5705f, v32 :: v_dual_add_f32 v41, v41, v42
	v_rndne_f32_e32 v66, v56
	v_exp_f32_e32 v53, v53
	s_delay_alu instid0(VALU_DEP_3) | instskip(SKIP_3) | instid1(VALU_DEP_4)
	v_cndmask_b32_e64 v43, 0x7f800000, v43, s31
	v_cmp_ngt_f32_e64 s31, 0xc2ce8ed0, v26
	v_ldexp_f32 v52, v52, v87
	v_cvt_i32_f32_e32 v89, v89
	v_dual_sub_f32 v56, v56, v66 :: v_dual_add_f32 v41, v41, v43
	s_delay_alu instid0(VALU_DEP_4) | instskip(SKIP_2) | instid1(TRANS32_DEP_2)
	v_cndmask_b32_e64 v42, 0, v51, s31
	v_cmp_nlt_f32_e64 s31, 0x42b17218, v25
	v_exp_f32_e32 v54, v54
	v_ldexp_f32 v53, v53, v89
	v_cvt_i32_f32_e32 v91, v91
	v_exp_f32_e32 v55, v55
	v_cndmask_b32_e64 v44, 0x7f800000, v44, s31
	v_cmp_ngt_f32_e64 s31, 0xc2ce8ed0, v28
	v_cvt_i32_f32_e32 v93, v93
	v_add_f32_e32 v56, v56, v64
	v_fma_f32 v72, 0x3fb8aa3b, v34, -v58
	v_add_f32_e32 v41, v41, v44
	v_cndmask_b32_e64 v43, 0, v52, s31
	v_cmp_nlt_f32_e64 s31, 0x42b17218, v26
	v_ldexp_f32 v54, v54, v91
	v_exp_f32_e32 v56, v56
	v_ldexp_f32 v55, v55, v93
	v_rndne_f32_e32 v74, v58
	v_cndmask_b32_e64 v42, 0x7f800000, v42, s31
	v_cmp_ngt_f32_e64 s31, 0xc2ce8ed0, v29
	v_cvt_i32_f32_e32 v66, v66
	v_add_f32_e32 v57, v57, v68
	v_cvt_i32_f32_e32 v70, v70
	v_add_f32_e32 v41, v41, v42
	v_cndmask_b32_e64 v44, 0, v53, s31
	v_cmp_nlt_f32_e64 s31, 0x42b17218, v28
	v_exp_f32_e32 v57, v57
	v_ldexp_f32 v56, v56, v66
	v_fma_f32 v80, 0x3fb8aa3b, v36, -v60
	v_rndne_f32_e32 v82, v60
	v_cndmask_b32_e64 v43, 0x7f800000, v43, s31
	v_cmp_ngt_f32_e64 s31, 0xc2ce8ed0, v30
	v_fmac_f32_e32 v72, 0x32a5705f, v34
	v_exp_f32_e32 v59, v59
	v_cvt_i32_f32_e32 v78, v78
	v_add_f32_e32 v41, v41, v43
	v_cndmask_b32_e64 v42, 0, v54, s31
	v_cmp_nlt_f32_e64 s31, 0x42b17218, v29
	v_ldexp_f32 v57, v57, v70
	v_fma_f32 v88, 0x3fb8aa3b, v38, -v62
	v_rndne_f32_e32 v90, v62
	v_exp_f32_e32 v61, v61
	v_cndmask_b32_e64 v44, 0x7f800000, v44, s31
	v_cmp_ngt_f32_e64 s31, 0xc2ce8ed0, v31
	v_sub_f32_e32 v58, v58, v74
	v_cvt_i32_f32_e32 v74, v74
	v_ldexp_f32 v59, v59, v78
	v_add_f32_e32 v41, v41, v44
	v_cndmask_b32_e64 v43, 0, v55, s31
	v_cmp_nlt_f32_e64 s31, 0x42b17218, v30
	v_add_f32_e32 v58, v58, v72
	v_fma_f32 v92, 0x3fb8aa3b, v39, -v63
	v_cvt_i32_f32_e32 v86, v86
	v_cvt_i32_f32_e32 v46, v90
	v_cndmask_b32_e64 v42, 0x7f800000, v42, s31
	v_cmp_ngt_f32_e64 s31, 0xc2ce8ed0, v32
	v_exp_f32_e32 v58, v58
	v_fmac_f32_e32 v80, 0x32a5705f, v36
	v_ldexp_f32 v45, v61, v86
	v_add_f32_e32 v41, v41, v42
	v_cndmask_b32_e64 v44, 0, v56, s31
	v_cmp_nlt_f32_e64 s31, 0x42b17218, v31
	v_fmac_f32_e32 v92, 0x32a5705f, v39
	v_sub_f32_e32 v20, v20, v40
	v_sub_f32_e32 v11, v11, v40
	;; [unrolled: 1-line block ×3, first 2 shown]
	v_cndmask_b32_e64 v43, 0x7f800000, v43, s31
	v_cmp_ngt_f32_e64 s31, 0xc2ce8ed0, v33
	v_sub_f32_e32 v60, v60, v82
	v_ldexp_f32 v58, v58, v74
	v_cvt_i32_f32_e32 v82, v82
	v_add_f32_e32 v41, v41, v43
	v_cndmask_b32_e64 v42, 0, v57, s31
	v_cmp_nlt_f32_e64 s31, 0x42b17218, v32
	v_add_f32_e32 v60, v60, v80
	v_dual_mul_f32 v48, 0x3fb8aa3b, v11 :: v_dual_mul_f32 v47, 0x3fb8aa3b, v20
	v_sub_f32_e32 v10, v10, v40
	s_delay_alu instid0(VALU_DEP_4) | instskip(SKIP_2) | instid1(VALU_DEP_3)
	v_cndmask_b32_e64 v44, 0x7f800000, v44, s31
	v_cmp_ngt_f32_e64 s31, 0xc2ce8ed0, v34
	v_exp_f32_e32 v60, v60
	v_dual_sub_f32 v9, v9, v40 :: v_dual_mul_f32 v50, 0x3fb8aa3b, v10
	s_delay_alu instid0(VALU_DEP_3) | instskip(NEXT) | instid1(VALU_DEP_3)
	v_add_f32_e32 v41, v41, v44
	v_cndmask_b32_e64 v43, 0, v58, s31
	v_cmp_nlt_f32_e64 s31, 0x42b17218, v33
	v_sub_f32_e32 v7, v7, v40
	s_delay_alu instid0(VALU_DEP_2) | instskip(SKIP_1) | instid1(TRANS32_DEP_1)
	v_cndmask_b32_e64 v42, 0x7f800000, v42, s31
	v_cmp_ngt_f32_e64 s31, 0xc2ce8ed0, v35
	v_ldexp_f32 v60, v60, v82
	s_delay_alu instid0(VALU_DEP_3) | instskip(NEXT) | instid1(VALU_DEP_3)
	v_add_f32_e32 v41, v41, v42
	v_cndmask_b32_e64 v44, 0, v59, s31
	v_cmp_nlt_f32_e64 s31, 0x42b17218, v34
	s_delay_alu instid0(VALU_DEP_1) | instskip(SKIP_1) | instid1(VALU_DEP_2)
	v_cndmask_b32_e64 v43, 0x7f800000, v43, s31
	v_cmp_ngt_f32_e64 s31, 0xc2ce8ed0, v36
	v_dual_fmac_f32 v88, 0x32a5705f, v38 :: v_dual_add_f32 v41, v41, v43
	s_delay_alu instid0(VALU_DEP_2) | instskip(SKIP_1) | instid1(VALU_DEP_1)
	v_cndmask_b32_e64 v42, 0, v60, s31
	v_cmp_nlt_f32_e64 s31, 0x42b17218, v35
	v_cndmask_b32_e64 v44, 0x7f800000, v44, s31
	v_sub_f32_e32 v62, v62, v90
	v_cmp_nlt_f32_e64 s31, 0x42b17218, v36
	s_delay_alu instid0(VALU_DEP_3) | instskip(NEXT) | instid1(VALU_DEP_3)
	v_add_f32_e32 v41, v41, v44
	v_add_f32_e32 v43, v62, v88
	s_delay_alu instid0(VALU_DEP_3) | instskip(SKIP_2) | instid1(VALU_DEP_4)
	v_cndmask_b32_e64 v42, 0x7f800000, v42, s31
	v_cmp_ngt_f32_e64 s31, 0xc2ce8ed0, v37
	v_rndne_f32_e32 v44, v63
	v_exp_f32_e32 v43, v43
	s_delay_alu instid0(VALU_DEP_3) | instskip(NEXT) | instid1(VALU_DEP_3)
	v_add_f32_e32 v41, v41, v42
	v_cndmask_b32_e64 v45, 0, v45, s31
	v_cmp_nlt_f32_e64 s31, 0x42b17218, v37
	s_delay_alu instid0(VALU_DEP_1)
	v_cndmask_b32_e64 v45, 0x7f800000, v45, s31
	v_cmp_ngt_f32_e64 s31, 0xc2ce8ed0, v38
	s_waitcnt_depctr 0xfff
	v_ldexp_f32 v43, v43, v46
	v_rndne_f32_e32 v46, v47
	v_add_f32_e32 v41, v41, v45
	v_fma_f32 v45, 0x3fb8aa3b, v20, -v47
	s_delay_alu instid0(VALU_DEP_4) | instskip(SKIP_2) | instid1(VALU_DEP_4)
	v_cndmask_b32_e64 v43, 0, v43, s31
	v_cmp_nlt_f32_e64 s31, 0x42b17218, v38
	v_sub_f32_e32 v47, v47, v46
	v_fmac_f32_e32 v45, 0x32a5705f, v20
	s_delay_alu instid0(VALU_DEP_3) | instskip(SKIP_3) | instid1(VALU_DEP_3)
	v_cndmask_b32_e64 v43, 0x7f800000, v43, s31
	v_sub_f32_e32 v42, v63, v44
	v_cvt_i32_f32_e32 v44, v44
	v_cmp_ngt_f32_e64 s31, 0xc2ce8ed0, v39
	v_dual_add_f32 v41, v41, v43 :: v_dual_add_f32 v42, v42, v92
	s_delay_alu instid0(VALU_DEP_1) | instskip(SKIP_2) | instid1(VALU_DEP_1)
	v_exp_f32_e32 v42, v42
	s_waitcnt_depctr 0xfff
	v_ldexp_f32 v42, v42, v44
	v_cndmask_b32_e64 v42, 0, v42, s31
	v_cmp_nlt_f32_e64 s31, 0x42b17218, v39
	s_delay_alu instid0(VALU_DEP_1) | instskip(SKIP_3) | instid1(VALU_DEP_4)
	v_cndmask_b32_e64 v42, 0x7f800000, v42, s31
	v_add_f32_e32 v44, v47, v45
	v_cvt_i32_f32_e32 v45, v46
	v_cmp_ngt_f32_e64 s31, 0xc2ce8ed0, v20
	v_add_f32_e32 v41, v41, v42
	s_delay_alu instid0(VALU_DEP_4) | instskip(SKIP_1) | instid1(VALU_DEP_1)
	v_exp_f32_e32 v43, v44
	v_mul_f32_e32 v44, 0x3fb8aa3b, v23
	v_fma_f32 v46, 0x3fb8aa3b, v23, -v44
	v_rndne_f32_e32 v47, v44
	s_waitcnt_depctr 0xfff
	v_ldexp_f32 v42, v43, v45
	v_fmac_f32_e32 v46, 0x32a5705f, v23
	v_sub_f32_e32 v43, v44, v47
	v_sub_f32_e32 v16, v16, v40
	v_rndne_f32_e32 v45, v48
	v_cndmask_b32_e64 v42, 0, v42, s31
	v_cmp_nlt_f32_e64 s31, 0x42b17218, v20
	v_add_f32_e32 v43, v43, v46
	v_cvt_i32_f32_e32 v47, v47
	v_sub_f32_e32 v46, v48, v45
	v_fma_f32 v44, 0x3fb8aa3b, v11, -v48
	v_cndmask_b32_e64 v42, 0x7f800000, v42, s31
	v_exp_f32_e32 v43, v43
	v_cmp_ngt_f32_e64 s31, 0xc2ce8ed0, v23
	s_delay_alu instid0(VALU_DEP_2) | instskip(NEXT) | instid1(VALU_DEP_1)
	v_dual_fmac_f32 v44, 0x32a5705f, v11 :: v_dual_add_f32 v41, v41, v42
	v_add_f32_e32 v44, v46, v44
	s_waitcnt_depctr 0xfff
	v_ldexp_f32 v42, v43, v47
	v_rndne_f32_e32 v47, v50
	v_mul_f32_e32 v48, 0x3fb8aa3b, v16
	v_cvt_i32_f32_e32 v43, v45
	s_delay_alu instid0(VALU_DEP_4) | instskip(SKIP_1) | instid1(VALU_DEP_4)
	v_cndmask_b32_e64 v42, 0, v42, s31
	v_cmp_nlt_f32_e64 s31, 0x42b17218, v23
	v_fma_f32 v46, 0x3fb8aa3b, v16, -v48
	v_rndne_f32_e32 v49, v48
	s_delay_alu instid0(VALU_DEP_3) | instskip(NEXT) | instid1(VALU_DEP_3)
	v_cndmask_b32_e64 v42, 0x7f800000, v42, s31
	v_fmac_f32_e32 v46, 0x32a5705f, v16
	s_delay_alu instid0(VALU_DEP_3) | instskip(SKIP_1) | instid1(VALU_DEP_4)
	v_sub_f32_e32 v48, v48, v49
	v_cmp_ngt_f32_e64 s31, 0xc2ce8ed0, v11
	v_add_f32_e32 v41, v41, v42
	s_delay_alu instid0(VALU_DEP_3)
	v_add_f32_e32 v45, v48, v46
	v_exp_f32_e32 v44, v44
	v_cvt_i32_f32_e32 v48, v49
	s_waitcnt_depctr 0xfff
	v_ldexp_f32 v43, v44, v43
	v_exp_f32_e32 v44, v45
	s_delay_alu instid0(VALU_DEP_1) | instskip(SKIP_1) | instid1(VALU_DEP_1)
	v_cndmask_b32_e64 v43, 0, v43, s31
	v_cmp_nlt_f32_e64 s31, 0x42b17218, v11
	v_cndmask_b32_e64 v43, 0x7f800000, v43, s31
	s_waitcnt_depctr 0xfff
	v_ldexp_f32 v42, v44, v48
	v_cmp_ngt_f32_e64 s31, 0xc2ce8ed0, v16
	v_add_f32_e32 v41, v41, v43
	v_fma_f32 v46, 0x3fb8aa3b, v10, -v50
	v_sub_f32_e32 v45, v50, v47
	s_delay_alu instid0(VALU_DEP_4) | instskip(SKIP_3) | instid1(VALU_DEP_2)
	v_cndmask_b32_e64 v42, 0, v42, s31
	v_cvt_i32_f32_e32 v43, v47
	v_cmp_nlt_f32_e64 s31, 0x42b17218, v16
	v_fmac_f32_e32 v46, 0x32a5705f, v10
	v_cndmask_b32_e64 v42, 0x7f800000, v42, s31
	s_delay_alu instid0(VALU_DEP_2) | instskip(SKIP_1) | instid1(VALU_DEP_3)
	v_add_f32_e32 v45, v45, v46
	v_cmp_ngt_f32_e64 s31, 0xc2ce8ed0, v10
	v_dual_mul_f32 v46, 0x3fb8aa3b, v7 :: v_dual_add_f32 v41, v41, v42
	s_delay_alu instid0(VALU_DEP_3) | instskip(SKIP_1) | instid1(VALU_DEP_1)
	v_exp_f32_e32 v44, v45
	v_mul_f32_e32 v45, 0x3fb8aa3b, v9
	v_fma_f32 v42, 0x3fb8aa3b, v9, -v45
	s_waitcnt_depctr 0xfff
	v_ldexp_f32 v43, v44, v43
	v_rndne_f32_e32 v44, v45
	v_fmac_f32_e32 v42, 0x32a5705f, v9
	s_delay_alu instid0(VALU_DEP_3) | instskip(SKIP_1) | instid1(VALU_DEP_1)
	v_cndmask_b32_e64 v43, 0, v43, s31
	v_cmp_nlt_f32_e64 s31, 0x42b17218, v10
	v_cndmask_b32_e64 v43, 0x7f800000, v43, s31
	v_sub_f32_e32 v8, v8, v40
	v_cmp_ngt_f32_e64 s31, 0xc2ce8ed0, v9
	s_delay_alu instid0(VALU_DEP_3) | instskip(SKIP_3) | instid1(VALU_DEP_3)
	v_add_f32_e32 v41, v41, v43
	v_fma_f32 v43, 0x3fb8aa3b, v7, -v46
	v_sub_f32_e32 v6, v6, v40
	v_mul_f32_e32 v47, 0x3fb8aa3b, v8
	v_fmac_f32_e32 v43, 0x32a5705f, v7
	v_sub_f32_e32 v45, v45, v44
	s_delay_alu instid0(VALU_DEP_3) | instskip(SKIP_2) | instid1(VALU_DEP_4)
	v_rndne_f32_e32 v48, v47
	v_mul_f32_e32 v49, 0x3fb8aa3b, v6
	v_cvt_i32_f32_e32 v44, v44
	v_add_f32_e32 v42, v45, v42
	v_rndne_f32_e32 v45, v46
	s_delay_alu instid0(VALU_DEP_4) | instskip(NEXT) | instid1(VALU_DEP_3)
	v_rndne_f32_e32 v50, v49
	v_exp_f32_e32 v42, v42
	s_delay_alu instid0(VALU_DEP_2) | instskip(SKIP_2) | instid1(VALU_DEP_3)
	v_sub_f32_e32 v40, v46, v45
	v_fma_f32 v46, 0x3fb8aa3b, v8, -v47
	v_cvt_i32_f32_e32 v45, v45
	v_dual_add_f32 v40, v40, v43 :: v_dual_sub_f32 v43, v47, v48
	v_fma_f32 v47, 0x3fb8aa3b, v6, -v49
	s_delay_alu instid0(VALU_DEP_4) | instskip(NEXT) | instid1(TRANS32_DEP_1)
	v_fmac_f32_e32 v46, 0x32a5705f, v8
	v_ldexp_f32 v42, v42, v44
	s_delay_alu instid0(VALU_DEP_4)
	v_exp_f32_e32 v40, v40
	v_sub_f32_e32 v44, v49, v50
	v_fmac_f32_e32 v47, 0x32a5705f, v6
	v_add_f32_e32 v43, v43, v46
	v_cndmask_b32_e64 v42, 0, v42, s31
	v_cmp_nlt_f32_e64 s31, 0x42b17218, v9
	s_delay_alu instid0(VALU_DEP_4) | instskip(NEXT) | instid1(VALU_DEP_4)
	v_add_f32_e32 v44, v44, v47
	v_exp_f32_e32 v43, v43
	s_delay_alu instid0(TRANS32_DEP_2) | instskip(NEXT) | instid1(VALU_DEP_3)
	v_ldexp_f32 v40, v40, v45
	v_cndmask_b32_e64 v42, 0x7f800000, v42, s31
	v_cmp_ngt_f32_e64 s31, 0xc2ce8ed0, v7
	v_cvt_i32_f32_e32 v45, v48
	v_exp_f32_e32 v44, v44
	s_delay_alu instid0(VALU_DEP_3) | instskip(NEXT) | instid1(VALU_DEP_3)
	v_add_f32_e32 v41, v41, v42
	v_cndmask_b32_e64 v40, 0, v40, s31
	v_cmp_nlt_f32_e64 s31, 0x42b17218, v7
	s_delay_alu instid0(TRANS32_DEP_2) | instskip(SKIP_1) | instid1(VALU_DEP_3)
	v_ldexp_f32 v42, v43, v45
	v_cvt_i32_f32_e32 v43, v50
	v_cndmask_b32_e64 v40, 0x7f800000, v40, s31
	v_cmp_ngt_f32_e64 s31, 0xc2ce8ed0, v8
	s_delay_alu instid0(TRANS32_DEP_1) | instid1(VALU_DEP_3)
	v_ldexp_f32 v43, v44, v43
	s_delay_alu instid0(VALU_DEP_3) | instskip(NEXT) | instid1(VALU_DEP_3)
	v_add_f32_e32 v40, v41, v40
	v_cndmask_b32_e64 v42, 0, v42, s31
	v_cmp_nlt_f32_e64 s31, 0x42b17218, v8
	s_delay_alu instid0(VALU_DEP_1) | instskip(SKIP_1) | instid1(VALU_DEP_2)
	v_cndmask_b32_e64 v41, 0x7f800000, v42, s31
	v_cmp_ngt_f32_e64 s31, 0xc2ce8ed0, v6
	v_add_f32_e32 v40, v40, v41
	s_delay_alu instid0(VALU_DEP_2) | instskip(SKIP_1) | instid1(VALU_DEP_1)
	v_cndmask_b32_e64 v42, 0, v43, s31
	v_cmp_nlt_f32_e64 s31, 0x42b17218, v6
	v_cndmask_b32_e64 v41, 0x7f800000, v42, s31
	s_delay_alu instid0(VALU_DEP_1)
	v_add_f32_e32 v40, v40, v41
	ds_bpermute_b32 v2, v2, v40
	s_waitcnt lgkmcnt(0)
	v_add_f32_e32 v2, v40, v2
	ds_bpermute_b32 v14, v14, v2
	s_waitcnt lgkmcnt(0)
	;; [unrolled: 3-line block ×4, first 2 shown]
	v_add_f32_e32 v2, v2, v14
	ds_bpermute_b32 v14, v27, v2
	v_cmpx_lt_i32_e32 0, v5
	s_cbranch_execz .LBB152_98
; %bb.65:
	s_and_b32 exec_lo, exec_lo, s3
	s_cbranch_execz .LBB152_98
; %bb.66:
	s_waitcnt lgkmcnt(0)
	v_add_f32_e32 v2, v2, v14
	s_delay_alu instid0(VALU_DEP_1) | instskip(NEXT) | instid1(VALU_DEP_1)
	v_cmp_gt_f32_e64 s3, 0x800000, v2
	v_cndmask_b32_e64 v5, 1.0, 0x4f800000, s3
	s_delay_alu instid0(VALU_DEP_1) | instskip(NEXT) | instid1(VALU_DEP_1)
	v_mul_f32_e32 v2, v2, v5
	v_log_f32_e32 v2, v2
	s_waitcnt_depctr 0xfff
	v_mul_f32_e32 v5, 0x3f317217, v2
	s_delay_alu instid0(VALU_DEP_1) | instskip(NEXT) | instid1(VALU_DEP_1)
	v_fma_f32 v14, 0x3f317217, v2, -v5
	v_fmamk_f32 v14, v2, 0x3377d1cf, v14
	s_delay_alu instid0(VALU_DEP_1) | instskip(SKIP_2) | instid1(VALU_DEP_1)
	v_add_f32_e32 v5, v5, v14
	v_cndmask_b32_e64 v14, 0, 0x41b17218, s3
	v_cmp_gt_f32_e64 s3, 0x7f800000, |v2|
	v_cndmask_b32_e64 v2, v2, v5, s3
	v_add_co_u32 v0, s3, s36, v0
	s_delay_alu instid0(VALU_DEP_1) | instskip(NEXT) | instid1(VALU_DEP_3)
	v_add_co_ci_u32_e64 v1, s3, s37, v1, s3
	v_sub_f32_e32 v2, v2, v14
	s_delay_alu instid0(VALU_DEP_1) | instskip(NEXT) | instid1(VALU_DEP_1)
	v_sub_f32_e32 v3, v3, v2
	v_bfe_u32 v5, v3, 16, 1
	v_cmp_o_f32_e64 s3, v3, v3
	s_delay_alu instid0(VALU_DEP_2) | instskip(NEXT) | instid1(VALU_DEP_1)
	v_add3_u32 v5, v3, v5, 0x7fff
	v_lshrrev_b32_e32 v5, 16, v5
	s_delay_alu instid0(VALU_DEP_1)
	v_cndmask_b32_e64 v3, 0x7fc0, v5, s3
	global_store_b16 v[0:1], v3, off
	s_and_b32 exec_lo, exec_lo, vcc_lo
	s_cbranch_execz .LBB152_98
; %bb.67:
	v_sub_f32_e32 v3, v4, v2
	s_delay_alu instid0(VALU_DEP_1) | instskip(SKIP_1) | instid1(VALU_DEP_2)
	v_bfe_u32 v4, v3, 16, 1
	v_cmp_o_f32_e32 vcc_lo, v3, v3
	v_add3_u32 v4, v3, v4, 0x7fff
	s_delay_alu instid0(VALU_DEP_1) | instskip(NEXT) | instid1(VALU_DEP_1)
	v_lshrrev_b32_e32 v4, 16, v4
	v_cndmask_b32_e32 v3, 0x7fc0, v4, vcc_lo
	global_store_b16 v[0:1], v3, off offset:64
	s_and_b32 exec_lo, exec_lo, s0
	s_cbranch_execz .LBB152_98
; %bb.68:
	v_sub_f32_e32 v3, v12, v2
	s_delay_alu instid0(VALU_DEP_1) | instskip(SKIP_1) | instid1(VALU_DEP_2)
	v_bfe_u32 v4, v3, 16, 1
	v_cmp_o_f32_e32 vcc_lo, v3, v3
	v_add3_u32 v4, v3, v4, 0x7fff
	s_delay_alu instid0(VALU_DEP_1) | instskip(NEXT) | instid1(VALU_DEP_1)
	v_lshrrev_b32_e32 v4, 16, v4
	v_cndmask_b32_e32 v3, 0x7fc0, v4, vcc_lo
	global_store_b16 v[0:1], v3, off offset:128
	s_and_b32 exec_lo, exec_lo, s1
	s_cbranch_execz .LBB152_98
; %bb.69:
	v_sub_f32_e32 v3, v13, v2
	s_delay_alu instid0(VALU_DEP_1) | instskip(SKIP_1) | instid1(VALU_DEP_2)
	v_bfe_u32 v4, v3, 16, 1
	v_cmp_o_f32_e32 vcc_lo, v3, v3
	v_add3_u32 v4, v3, v4, 0x7fff
	s_delay_alu instid0(VALU_DEP_1) | instskip(NEXT) | instid1(VALU_DEP_1)
	v_lshrrev_b32_e32 v4, 16, v4
	v_cndmask_b32_e32 v3, 0x7fc0, v4, vcc_lo
	global_store_b16 v[0:1], v3, off offset:192
	s_and_b32 exec_lo, exec_lo, s2
	s_cbranch_execz .LBB152_98
; %bb.70:
	v_sub_f32_e32 v3, v15, v2
	s_delay_alu instid0(VALU_DEP_1) | instskip(SKIP_1) | instid1(VALU_DEP_2)
	v_bfe_u32 v4, v3, 16, 1
	v_cmp_o_f32_e32 vcc_lo, v3, v3
	v_add3_u32 v4, v3, v4, 0x7fff
	s_delay_alu instid0(VALU_DEP_1) | instskip(NEXT) | instid1(VALU_DEP_1)
	v_lshrrev_b32_e32 v4, 16, v4
	v_cndmask_b32_e32 v3, 0x7fc0, v4, vcc_lo
	global_store_b16 v[0:1], v3, off offset:256
	s_and_b32 exec_lo, exec_lo, s4
	s_cbranch_execz .LBB152_98
; %bb.71:
	v_sub_f32_e32 v3, v17, v2
	s_delay_alu instid0(VALU_DEP_1) | instskip(SKIP_1) | instid1(VALU_DEP_2)
	v_bfe_u32 v4, v3, 16, 1
	v_cmp_o_f32_e32 vcc_lo, v3, v3
	v_add3_u32 v4, v3, v4, 0x7fff
	s_delay_alu instid0(VALU_DEP_1) | instskip(NEXT) | instid1(VALU_DEP_1)
	v_lshrrev_b32_e32 v4, 16, v4
	v_cndmask_b32_e32 v3, 0x7fc0, v4, vcc_lo
	global_store_b16 v[0:1], v3, off offset:320
	s_and_b32 exec_lo, exec_lo, s5
	s_cbranch_execz .LBB152_98
; %bb.72:
	v_sub_f32_e32 v3, v19, v2
	s_delay_alu instid0(VALU_DEP_1) | instskip(SKIP_1) | instid1(VALU_DEP_2)
	v_bfe_u32 v4, v3, 16, 1
	v_cmp_o_f32_e32 vcc_lo, v3, v3
	v_add3_u32 v4, v3, v4, 0x7fff
	s_delay_alu instid0(VALU_DEP_1) | instskip(NEXT) | instid1(VALU_DEP_1)
	v_lshrrev_b32_e32 v4, 16, v4
	v_cndmask_b32_e32 v3, 0x7fc0, v4, vcc_lo
	global_store_b16 v[0:1], v3, off offset:384
	s_and_b32 exec_lo, exec_lo, s6
	s_cbranch_execz .LBB152_98
; %bb.73:
	v_sub_f32_e32 v3, v21, v2
	s_delay_alu instid0(VALU_DEP_1) | instskip(SKIP_1) | instid1(VALU_DEP_2)
	v_bfe_u32 v4, v3, 16, 1
	v_cmp_o_f32_e32 vcc_lo, v3, v3
	v_add3_u32 v4, v3, v4, 0x7fff
	s_delay_alu instid0(VALU_DEP_1) | instskip(NEXT) | instid1(VALU_DEP_1)
	v_lshrrev_b32_e32 v4, 16, v4
	v_cndmask_b32_e32 v3, 0x7fc0, v4, vcc_lo
	global_store_b16 v[0:1], v3, off offset:448
	s_and_b32 exec_lo, exec_lo, s7
	s_cbranch_execz .LBB152_98
; %bb.74:
	v_sub_f32_e32 v3, v24, v2
	s_delay_alu instid0(VALU_DEP_1) | instskip(SKIP_1) | instid1(VALU_DEP_2)
	v_bfe_u32 v4, v3, 16, 1
	v_cmp_o_f32_e32 vcc_lo, v3, v3
	v_add3_u32 v4, v3, v4, 0x7fff
	s_delay_alu instid0(VALU_DEP_1) | instskip(NEXT) | instid1(VALU_DEP_1)
	v_lshrrev_b32_e32 v4, 16, v4
	v_cndmask_b32_e32 v3, 0x7fc0, v4, vcc_lo
	global_store_b16 v[0:1], v3, off offset:512
	s_and_b32 exec_lo, exec_lo, s8
	s_cbranch_execz .LBB152_98
; %bb.75:
	v_sub_f32_e32 v3, v25, v2
	s_delay_alu instid0(VALU_DEP_1) | instskip(SKIP_1) | instid1(VALU_DEP_2)
	v_bfe_u32 v4, v3, 16, 1
	v_cmp_o_f32_e32 vcc_lo, v3, v3
	v_add3_u32 v4, v3, v4, 0x7fff
	s_delay_alu instid0(VALU_DEP_1) | instskip(NEXT) | instid1(VALU_DEP_1)
	v_lshrrev_b32_e32 v4, 16, v4
	v_cndmask_b32_e32 v3, 0x7fc0, v4, vcc_lo
	global_store_b16 v[0:1], v3, off offset:576
	s_and_b32 exec_lo, exec_lo, s9
	s_cbranch_execz .LBB152_98
; %bb.76:
	v_sub_f32_e32 v3, v26, v2
	s_delay_alu instid0(VALU_DEP_1) | instskip(SKIP_1) | instid1(VALU_DEP_2)
	v_bfe_u32 v4, v3, 16, 1
	v_cmp_o_f32_e32 vcc_lo, v3, v3
	v_add3_u32 v4, v3, v4, 0x7fff
	s_delay_alu instid0(VALU_DEP_1) | instskip(NEXT) | instid1(VALU_DEP_1)
	v_lshrrev_b32_e32 v4, 16, v4
	v_cndmask_b32_e32 v3, 0x7fc0, v4, vcc_lo
	global_store_b16 v[0:1], v3, off offset:640
	s_and_b32 exec_lo, exec_lo, s10
	s_cbranch_execz .LBB152_98
; %bb.77:
	v_sub_f32_e32 v3, v28, v2
	s_delay_alu instid0(VALU_DEP_1) | instskip(SKIP_1) | instid1(VALU_DEP_2)
	v_bfe_u32 v4, v3, 16, 1
	v_cmp_o_f32_e32 vcc_lo, v3, v3
	v_add3_u32 v4, v3, v4, 0x7fff
	s_delay_alu instid0(VALU_DEP_1) | instskip(NEXT) | instid1(VALU_DEP_1)
	v_lshrrev_b32_e32 v4, 16, v4
	v_cndmask_b32_e32 v3, 0x7fc0, v4, vcc_lo
	global_store_b16 v[0:1], v3, off offset:704
	s_and_b32 exec_lo, exec_lo, s11
	s_cbranch_execz .LBB152_98
; %bb.78:
	v_sub_f32_e32 v3, v29, v2
	s_delay_alu instid0(VALU_DEP_1) | instskip(SKIP_1) | instid1(VALU_DEP_2)
	v_bfe_u32 v4, v3, 16, 1
	v_cmp_o_f32_e32 vcc_lo, v3, v3
	v_add3_u32 v4, v3, v4, 0x7fff
	s_delay_alu instid0(VALU_DEP_1) | instskip(NEXT) | instid1(VALU_DEP_1)
	v_lshrrev_b32_e32 v4, 16, v4
	v_cndmask_b32_e32 v3, 0x7fc0, v4, vcc_lo
	global_store_b16 v[0:1], v3, off offset:768
	s_and_b32 exec_lo, exec_lo, s12
	s_cbranch_execz .LBB152_98
; %bb.79:
	v_sub_f32_e32 v3, v30, v2
	s_delay_alu instid0(VALU_DEP_1) | instskip(SKIP_1) | instid1(VALU_DEP_2)
	v_bfe_u32 v4, v3, 16, 1
	v_cmp_o_f32_e32 vcc_lo, v3, v3
	v_add3_u32 v4, v3, v4, 0x7fff
	s_delay_alu instid0(VALU_DEP_1) | instskip(NEXT) | instid1(VALU_DEP_1)
	v_lshrrev_b32_e32 v4, 16, v4
	v_cndmask_b32_e32 v3, 0x7fc0, v4, vcc_lo
	global_store_b16 v[0:1], v3, off offset:832
	s_and_b32 exec_lo, exec_lo, s13
	s_cbranch_execz .LBB152_98
; %bb.80:
	v_sub_f32_e32 v3, v31, v2
	s_delay_alu instid0(VALU_DEP_1) | instskip(SKIP_1) | instid1(VALU_DEP_2)
	v_bfe_u32 v4, v3, 16, 1
	v_cmp_o_f32_e32 vcc_lo, v3, v3
	v_add3_u32 v4, v3, v4, 0x7fff
	s_delay_alu instid0(VALU_DEP_1) | instskip(NEXT) | instid1(VALU_DEP_1)
	v_lshrrev_b32_e32 v4, 16, v4
	v_cndmask_b32_e32 v3, 0x7fc0, v4, vcc_lo
	global_store_b16 v[0:1], v3, off offset:896
	s_and_b32 exec_lo, exec_lo, s14
	s_cbranch_execz .LBB152_98
; %bb.81:
	v_sub_f32_e32 v3, v32, v2
	s_delay_alu instid0(VALU_DEP_1) | instskip(SKIP_1) | instid1(VALU_DEP_2)
	v_bfe_u32 v4, v3, 16, 1
	v_cmp_o_f32_e32 vcc_lo, v3, v3
	v_add3_u32 v4, v3, v4, 0x7fff
	s_delay_alu instid0(VALU_DEP_1) | instskip(NEXT) | instid1(VALU_DEP_1)
	v_lshrrev_b32_e32 v4, 16, v4
	v_cndmask_b32_e32 v3, 0x7fc0, v4, vcc_lo
	global_store_b16 v[0:1], v3, off offset:960
	s_and_b32 exec_lo, exec_lo, s15
	s_cbranch_execz .LBB152_98
; %bb.82:
	v_sub_f32_e32 v3, v33, v2
	s_delay_alu instid0(VALU_DEP_1) | instskip(SKIP_1) | instid1(VALU_DEP_2)
	v_bfe_u32 v4, v3, 16, 1
	v_cmp_o_f32_e32 vcc_lo, v3, v3
	v_add3_u32 v4, v3, v4, 0x7fff
	s_delay_alu instid0(VALU_DEP_1) | instskip(NEXT) | instid1(VALU_DEP_1)
	v_lshrrev_b32_e32 v4, 16, v4
	v_cndmask_b32_e32 v3, 0x7fc0, v4, vcc_lo
	global_store_b16 v[0:1], v3, off offset:1024
	s_and_b32 exec_lo, exec_lo, s16
	s_cbranch_execz .LBB152_98
; %bb.83:
	v_sub_f32_e32 v3, v34, v2
	s_delay_alu instid0(VALU_DEP_1) | instskip(SKIP_1) | instid1(VALU_DEP_2)
	v_bfe_u32 v4, v3, 16, 1
	v_cmp_o_f32_e32 vcc_lo, v3, v3
	v_add3_u32 v4, v3, v4, 0x7fff
	s_delay_alu instid0(VALU_DEP_1) | instskip(NEXT) | instid1(VALU_DEP_1)
	v_lshrrev_b32_e32 v4, 16, v4
	v_cndmask_b32_e32 v3, 0x7fc0, v4, vcc_lo
	global_store_b16 v[0:1], v3, off offset:1088
	s_and_b32 exec_lo, exec_lo, s17
	s_cbranch_execz .LBB152_98
; %bb.84:
	v_sub_f32_e32 v3, v35, v2
	s_delay_alu instid0(VALU_DEP_1) | instskip(SKIP_1) | instid1(VALU_DEP_2)
	v_bfe_u32 v4, v3, 16, 1
	v_cmp_o_f32_e32 vcc_lo, v3, v3
	v_add3_u32 v4, v3, v4, 0x7fff
	s_delay_alu instid0(VALU_DEP_1) | instskip(NEXT) | instid1(VALU_DEP_1)
	v_lshrrev_b32_e32 v4, 16, v4
	v_cndmask_b32_e32 v3, 0x7fc0, v4, vcc_lo
	global_store_b16 v[0:1], v3, off offset:1152
	s_and_b32 exec_lo, exec_lo, s18
	s_cbranch_execz .LBB152_98
; %bb.85:
	v_sub_f32_e32 v3, v36, v2
	s_delay_alu instid0(VALU_DEP_1) | instskip(SKIP_1) | instid1(VALU_DEP_2)
	v_bfe_u32 v4, v3, 16, 1
	v_cmp_o_f32_e32 vcc_lo, v3, v3
	v_add3_u32 v4, v3, v4, 0x7fff
	s_delay_alu instid0(VALU_DEP_1) | instskip(NEXT) | instid1(VALU_DEP_1)
	v_lshrrev_b32_e32 v4, 16, v4
	v_cndmask_b32_e32 v3, 0x7fc0, v4, vcc_lo
	global_store_b16 v[0:1], v3, off offset:1216
	s_and_b32 exec_lo, exec_lo, s19
	s_cbranch_execz .LBB152_98
; %bb.86:
	v_sub_f32_e32 v3, v37, v2
	s_delay_alu instid0(VALU_DEP_1) | instskip(SKIP_1) | instid1(VALU_DEP_2)
	v_bfe_u32 v4, v3, 16, 1
	v_cmp_o_f32_e32 vcc_lo, v3, v3
	v_add3_u32 v4, v3, v4, 0x7fff
	s_delay_alu instid0(VALU_DEP_1) | instskip(NEXT) | instid1(VALU_DEP_1)
	v_lshrrev_b32_e32 v4, 16, v4
	v_cndmask_b32_e32 v3, 0x7fc0, v4, vcc_lo
	global_store_b16 v[0:1], v3, off offset:1280
	s_and_b32 exec_lo, exec_lo, s20
	s_cbranch_execz .LBB152_98
; %bb.87:
	v_sub_f32_e32 v3, v38, v2
	s_delay_alu instid0(VALU_DEP_1) | instskip(SKIP_1) | instid1(VALU_DEP_2)
	v_bfe_u32 v4, v3, 16, 1
	v_cmp_o_f32_e32 vcc_lo, v3, v3
	v_add3_u32 v4, v3, v4, 0x7fff
	s_delay_alu instid0(VALU_DEP_1) | instskip(NEXT) | instid1(VALU_DEP_1)
	v_lshrrev_b32_e32 v4, 16, v4
	v_cndmask_b32_e32 v3, 0x7fc0, v4, vcc_lo
	global_store_b16 v[0:1], v3, off offset:1344
	s_and_b32 exec_lo, exec_lo, s21
	s_cbranch_execz .LBB152_98
; %bb.88:
	v_sub_f32_e32 v3, v39, v2
	s_delay_alu instid0(VALU_DEP_1) | instskip(SKIP_1) | instid1(VALU_DEP_2)
	v_bfe_u32 v4, v3, 16, 1
	v_cmp_o_f32_e32 vcc_lo, v3, v3
	v_add3_u32 v4, v3, v4, 0x7fff
	s_delay_alu instid0(VALU_DEP_1) | instskip(NEXT) | instid1(VALU_DEP_1)
	v_lshrrev_b32_e32 v4, 16, v4
	v_cndmask_b32_e32 v3, 0x7fc0, v4, vcc_lo
	global_store_b16 v[0:1], v3, off offset:1408
	s_and_b32 exec_lo, exec_lo, s22
	s_cbranch_execz .LBB152_98
; %bb.89:
	v_sub_f32_e32 v3, v20, v2
	s_delay_alu instid0(VALU_DEP_1) | instskip(SKIP_1) | instid1(VALU_DEP_2)
	v_bfe_u32 v4, v3, 16, 1
	v_cmp_o_f32_e32 vcc_lo, v3, v3
	v_add3_u32 v4, v3, v4, 0x7fff
	s_delay_alu instid0(VALU_DEP_1) | instskip(NEXT) | instid1(VALU_DEP_1)
	v_lshrrev_b32_e32 v4, 16, v4
	v_cndmask_b32_e32 v3, 0x7fc0, v4, vcc_lo
	global_store_b16 v[0:1], v3, off offset:1472
	s_and_b32 exec_lo, exec_lo, s23
	s_cbranch_execz .LBB152_98
; %bb.90:
	v_sub_f32_e32 v3, v23, v2
	s_delay_alu instid0(VALU_DEP_1) | instskip(SKIP_1) | instid1(VALU_DEP_2)
	v_bfe_u32 v4, v3, 16, 1
	v_cmp_o_f32_e32 vcc_lo, v3, v3
	v_add3_u32 v4, v3, v4, 0x7fff
	s_delay_alu instid0(VALU_DEP_1) | instskip(NEXT) | instid1(VALU_DEP_1)
	v_lshrrev_b32_e32 v4, 16, v4
	v_cndmask_b32_e32 v3, 0x7fc0, v4, vcc_lo
	global_store_b16 v[0:1], v3, off offset:1536
	s_and_b32 exec_lo, exec_lo, s24
	s_cbranch_execz .LBB152_98
; %bb.91:
	v_sub_f32_e32 v3, v11, v2
	s_delay_alu instid0(VALU_DEP_1) | instskip(SKIP_1) | instid1(VALU_DEP_2)
	v_bfe_u32 v4, v3, 16, 1
	v_cmp_o_f32_e32 vcc_lo, v3, v3
	v_add3_u32 v4, v3, v4, 0x7fff
	s_delay_alu instid0(VALU_DEP_1) | instskip(NEXT) | instid1(VALU_DEP_1)
	v_lshrrev_b32_e32 v4, 16, v4
	v_cndmask_b32_e32 v3, 0x7fc0, v4, vcc_lo
	global_store_b16 v[0:1], v3, off offset:1600
	s_and_b32 exec_lo, exec_lo, s25
	s_cbranch_execz .LBB152_98
; %bb.92:
	v_sub_f32_e32 v3, v16, v2
	s_delay_alu instid0(VALU_DEP_1) | instskip(SKIP_1) | instid1(VALU_DEP_2)
	v_bfe_u32 v4, v3, 16, 1
	v_cmp_o_f32_e32 vcc_lo, v3, v3
	v_add3_u32 v4, v3, v4, 0x7fff
	s_delay_alu instid0(VALU_DEP_1) | instskip(NEXT) | instid1(VALU_DEP_1)
	v_lshrrev_b32_e32 v4, 16, v4
	v_cndmask_b32_e32 v3, 0x7fc0, v4, vcc_lo
	global_store_b16 v[0:1], v3, off offset:1664
	s_and_b32 exec_lo, exec_lo, s26
	s_cbranch_execz .LBB152_98
; %bb.93:
	v_sub_f32_e32 v3, v10, v2
	s_delay_alu instid0(VALU_DEP_1) | instskip(SKIP_1) | instid1(VALU_DEP_2)
	v_bfe_u32 v4, v3, 16, 1
	v_cmp_o_f32_e32 vcc_lo, v3, v3
	v_add3_u32 v4, v3, v4, 0x7fff
	s_delay_alu instid0(VALU_DEP_1) | instskip(NEXT) | instid1(VALU_DEP_1)
	v_lshrrev_b32_e32 v4, 16, v4
	v_cndmask_b32_e32 v3, 0x7fc0, v4, vcc_lo
	global_store_b16 v[0:1], v3, off offset:1728
	s_and_b32 exec_lo, exec_lo, s27
	s_cbranch_execz .LBB152_98
; %bb.94:
	v_sub_f32_e32 v3, v9, v2
	s_delay_alu instid0(VALU_DEP_1) | instskip(SKIP_1) | instid1(VALU_DEP_2)
	v_bfe_u32 v4, v3, 16, 1
	v_cmp_o_f32_e32 vcc_lo, v3, v3
	v_add3_u32 v4, v3, v4, 0x7fff
	s_delay_alu instid0(VALU_DEP_1) | instskip(NEXT) | instid1(VALU_DEP_1)
	v_lshrrev_b32_e32 v4, 16, v4
	v_cndmask_b32_e32 v3, 0x7fc0, v4, vcc_lo
	global_store_b16 v[0:1], v3, off offset:1792
	s_and_b32 exec_lo, exec_lo, s28
	s_cbranch_execz .LBB152_98
; %bb.95:
	v_sub_f32_e32 v3, v7, v2
	s_delay_alu instid0(VALU_DEP_1) | instskip(SKIP_1) | instid1(VALU_DEP_2)
	v_bfe_u32 v4, v3, 16, 1
	v_cmp_o_f32_e32 vcc_lo, v3, v3
	v_add3_u32 v4, v3, v4, 0x7fff
	s_delay_alu instid0(VALU_DEP_1) | instskip(NEXT) | instid1(VALU_DEP_1)
	v_lshrrev_b32_e32 v4, 16, v4
	v_cndmask_b32_e32 v3, 0x7fc0, v4, vcc_lo
	global_store_b16 v[0:1], v3, off offset:1856
	s_and_b32 exec_lo, exec_lo, s29
	s_cbranch_execz .LBB152_98
; %bb.96:
	v_sub_f32_e32 v3, v8, v2
	s_delay_alu instid0(VALU_DEP_1) | instskip(SKIP_1) | instid1(VALU_DEP_2)
	v_bfe_u32 v4, v3, 16, 1
	v_cmp_o_f32_e32 vcc_lo, v3, v3
	v_add3_u32 v4, v3, v4, 0x7fff
	s_delay_alu instid0(VALU_DEP_1) | instskip(NEXT) | instid1(VALU_DEP_1)
	v_lshrrev_b32_e32 v4, 16, v4
	v_cndmask_b32_e32 v3, 0x7fc0, v4, vcc_lo
	global_store_b16 v[0:1], v3, off offset:1920
	s_and_b32 exec_lo, exec_lo, s30
	s_cbranch_execz .LBB152_98
; %bb.97:
	v_sub_f32_e32 v2, v6, v2
	s_delay_alu instid0(VALU_DEP_1) | instskip(SKIP_1) | instid1(VALU_DEP_2)
	v_bfe_u32 v3, v2, 16, 1
	v_cmp_o_f32_e32 vcc_lo, v2, v2
	v_add3_u32 v3, v2, v3, 0x7fff
	s_delay_alu instid0(VALU_DEP_1) | instskip(NEXT) | instid1(VALU_DEP_1)
	v_lshrrev_b32_e32 v3, 16, v3
	v_cndmask_b32_e32 v2, 0x7fc0, v3, vcc_lo
	global_store_b16 v[0:1], v2, off offset:1984
.LBB152_98:
	s_nop 0
	s_sendmsg sendmsg(MSG_DEALLOC_VGPRS)
	s_endpgm
	.section	.rodata,"a",@progbits
	.p2align	6, 0x0
	.amdhsa_kernel _ZN12_GLOBAL__N_120softmax_warp_forwardIN3c108BFloat16ES2_fLi10ELb1ELb0ELi32EEEvPT0_PKT_iiiPKbib
		.amdhsa_group_segment_fixed_size 0
		.amdhsa_private_segment_fixed_size 0
		.amdhsa_kernarg_size 304
		.amdhsa_user_sgpr_count 15
		.amdhsa_user_sgpr_dispatch_ptr 0
		.amdhsa_user_sgpr_queue_ptr 0
		.amdhsa_user_sgpr_kernarg_segment_ptr 1
		.amdhsa_user_sgpr_dispatch_id 0
		.amdhsa_user_sgpr_private_segment_size 0
		.amdhsa_wavefront_size32 1
		.amdhsa_uses_dynamic_stack 0
		.amdhsa_enable_private_segment 0
		.amdhsa_system_sgpr_workgroup_id_x 1
		.amdhsa_system_sgpr_workgroup_id_y 0
		.amdhsa_system_sgpr_workgroup_id_z 0
		.amdhsa_system_sgpr_workgroup_info 0
		.amdhsa_system_vgpr_workitem_id 1
		.amdhsa_next_free_vgpr 94
		.amdhsa_next_free_sgpr 44
		.amdhsa_reserve_vcc 1
		.amdhsa_float_round_mode_32 0
		.amdhsa_float_round_mode_16_64 0
		.amdhsa_float_denorm_mode_32 3
		.amdhsa_float_denorm_mode_16_64 3
		.amdhsa_dx10_clamp 1
		.amdhsa_ieee_mode 1
		.amdhsa_fp16_overflow 0
		.amdhsa_workgroup_processor_mode 1
		.amdhsa_memory_ordered 1
		.amdhsa_forward_progress 0
		.amdhsa_shared_vgpr_count 0
		.amdhsa_exception_fp_ieee_invalid_op 0
		.amdhsa_exception_fp_denorm_src 0
		.amdhsa_exception_fp_ieee_div_zero 0
		.amdhsa_exception_fp_ieee_overflow 0
		.amdhsa_exception_fp_ieee_underflow 0
		.amdhsa_exception_fp_ieee_inexact 0
		.amdhsa_exception_int_div_zero 0
	.end_amdhsa_kernel
	.section	.text._ZN12_GLOBAL__N_120softmax_warp_forwardIN3c108BFloat16ES2_fLi10ELb1ELb0ELi32EEEvPT0_PKT_iiiPKbib,"axG",@progbits,_ZN12_GLOBAL__N_120softmax_warp_forwardIN3c108BFloat16ES2_fLi10ELb1ELb0ELi32EEEvPT0_PKT_iiiPKbib,comdat
.Lfunc_end152:
	.size	_ZN12_GLOBAL__N_120softmax_warp_forwardIN3c108BFloat16ES2_fLi10ELb1ELb0ELi32EEEvPT0_PKT_iiiPKbib, .Lfunc_end152-_ZN12_GLOBAL__N_120softmax_warp_forwardIN3c108BFloat16ES2_fLi10ELb1ELb0ELi32EEEvPT0_PKT_iiiPKbib
                                        ; -- End function
	.section	.AMDGPU.csdata,"",@progbits
; Kernel info:
; codeLenInByte = 9004
; NumSgprs: 46
; NumVgprs: 94
; ScratchSize: 0
; MemoryBound: 0
; FloatMode: 240
; IeeeMode: 1
; LDSByteSize: 0 bytes/workgroup (compile time only)
; SGPRBlocks: 5
; VGPRBlocks: 11
; NumSGPRsForWavesPerEU: 46
; NumVGPRsForWavesPerEU: 94
; Occupancy: 16
; WaveLimiterHint : 0
; COMPUTE_PGM_RSRC2:SCRATCH_EN: 0
; COMPUTE_PGM_RSRC2:USER_SGPR: 15
; COMPUTE_PGM_RSRC2:TRAP_HANDLER: 0
; COMPUTE_PGM_RSRC2:TGID_X_EN: 1
; COMPUTE_PGM_RSRC2:TGID_Y_EN: 0
; COMPUTE_PGM_RSRC2:TGID_Z_EN: 0
; COMPUTE_PGM_RSRC2:TIDIG_COMP_CNT: 1
	.section	.text._ZN12_GLOBAL__N_120softmax_warp_forwardIN3c108BFloat16ES2_fLi11ELb1ELb0ELi64EEEvPT0_PKT_iiiPKbib,"axG",@progbits,_ZN12_GLOBAL__N_120softmax_warp_forwardIN3c108BFloat16ES2_fLi11ELb1ELb0ELi64EEEvPT0_PKT_iiiPKbib,comdat
	.globl	_ZN12_GLOBAL__N_120softmax_warp_forwardIN3c108BFloat16ES2_fLi11ELb1ELb0ELi64EEEvPT0_PKT_iiiPKbib ; -- Begin function _ZN12_GLOBAL__N_120softmax_warp_forwardIN3c108BFloat16ES2_fLi11ELb1ELb0ELi64EEEvPT0_PKT_iiiPKbib
	.p2align	8
	.type	_ZN12_GLOBAL__N_120softmax_warp_forwardIN3c108BFloat16ES2_fLi11ELb1ELb0ELi64EEEvPT0_PKT_iiiPKbib,@function
_ZN12_GLOBAL__N_120softmax_warp_forwardIN3c108BFloat16ES2_fLi11ELb1ELb0ELi64EEEvPT0_PKT_iiiPKbib: ; @_ZN12_GLOBAL__N_120softmax_warp_forwardIN3c108BFloat16ES2_fLi11ELb1ELb0ELi64EEEvPT0_PKT_iiiPKbib
; %bb.0:
	s_clause 0x1
	s_load_b32 s2, s[0:1], 0x3c
	s_load_b256 s[36:43], s[0:1], 0x0
	v_bfe_u32 v1, v0, 10, 10
	v_mov_b32_e32 v12, 0xff800000
	v_mov_b32_e32 v14, 0xff800000
	s_waitcnt lgkmcnt(0)
	s_lshr_b32 s0, s2, 16
	s_delay_alu instid0(SALU_CYCLE_1) | instskip(SKIP_1) | instid1(VALU_DEP_1)
	v_mad_u64_u32 v[3:4], null, s15, s0, v[1:2]
	v_and_b32_e32 v2, 0x3ff, v0
	v_cmp_gt_i32_e64 s3, s42, v2
	s_delay_alu instid0(VALU_DEP_3) | instskip(SKIP_1) | instid1(VALU_DEP_1)
	v_mad_u64_u32 v[0:1], null, v3, s41, v[2:3]
	v_sub_nc_u32_e32 v5, s40, v3
	v_cmp_lt_i32_e64 s31, 0, v5
	s_delay_alu instid0(VALU_DEP_3) | instskip(NEXT) | instid1(VALU_DEP_2)
	v_ashrrev_i32_e32 v1, 31, v0
	s_and_b32 s1, s31, s3
	s_delay_alu instid0(VALU_DEP_1) | instskip(NEXT) | instid1(VALU_DEP_1)
	v_lshlrev_b64 v[0:1], 1, v[0:1]
	v_add_co_u32 v3, vcc_lo, s38, v0
	s_delay_alu instid0(VALU_DEP_2)
	v_add_co_ci_u32_e32 v4, vcc_lo, s39, v1, vcc_lo
	s_and_saveexec_b32 s0, s1
	s_cbranch_execz .LBB153_2
; %bb.1:
	global_load_u16 v6, v[3:4], off
	s_waitcnt vmcnt(0)
	v_lshlrev_b32_e32 v14, 16, v6
.LBB153_2:
	s_or_b32 exec_lo, exec_lo, s0
	v_add_nc_u32_e32 v6, 64, v2
	s_delay_alu instid0(VALU_DEP_1) | instskip(SKIP_1) | instid1(SALU_CYCLE_1)
	v_cmp_gt_i32_e32 vcc_lo, s42, v6
	s_and_b32 s1, s31, vcc_lo
	s_and_saveexec_b32 s0, s1
	s_cbranch_execz .LBB153_4
; %bb.3:
	global_load_u16 v6, v[3:4], off offset:128
	s_waitcnt vmcnt(0)
	v_lshlrev_b32_e32 v12, 16, v6
.LBB153_4:
	s_or_b32 exec_lo, exec_lo, s0
	v_add_nc_u32_e32 v6, 0x80, v2
	v_mov_b32_e32 v15, 0xff800000
	v_mov_b32_e32 v17, 0xff800000
	s_delay_alu instid0(VALU_DEP_3) | instskip(NEXT) | instid1(VALU_DEP_1)
	v_cmp_gt_i32_e64 s0, s42, v6
	s_and_b32 s2, s31, s0
	s_delay_alu instid0(SALU_CYCLE_1)
	s_and_saveexec_b32 s1, s2
	s_cbranch_execz .LBB153_6
; %bb.5:
	global_load_u16 v6, v[3:4], off offset:256
	s_waitcnt vmcnt(0)
	v_lshlrev_b32_e32 v17, 16, v6
.LBB153_6:
	s_or_b32 exec_lo, exec_lo, s1
	v_add_nc_u32_e32 v6, 0xc0, v2
	s_delay_alu instid0(VALU_DEP_1) | instskip(NEXT) | instid1(VALU_DEP_1)
	v_cmp_gt_i32_e64 s1, s42, v6
	s_and_b32 s4, s31, s1
	s_delay_alu instid0(SALU_CYCLE_1)
	s_and_saveexec_b32 s2, s4
	s_cbranch_execz .LBB153_8
; %bb.7:
	global_load_u16 v6, v[3:4], off offset:384
	s_waitcnt vmcnt(0)
	v_lshlrev_b32_e32 v15, 16, v6
.LBB153_8:
	s_or_b32 exec_lo, exec_lo, s2
	v_add_nc_u32_e32 v6, 0x100, v2
	v_mov_b32_e32 v18, 0xff800000
	v_mov_b32_e32 v20, 0xff800000
	s_delay_alu instid0(VALU_DEP_3) | instskip(NEXT) | instid1(VALU_DEP_1)
	v_cmp_gt_i32_e64 s2, s42, v6
	s_and_b32 s5, s31, s2
	s_delay_alu instid0(SALU_CYCLE_1)
	s_and_saveexec_b32 s4, s5
	s_cbranch_execz .LBB153_10
; %bb.9:
	global_load_u16 v6, v[3:4], off offset:512
	s_waitcnt vmcnt(0)
	v_lshlrev_b32_e32 v20, 16, v6
.LBB153_10:
	s_or_b32 exec_lo, exec_lo, s4
	v_add_nc_u32_e32 v6, 0x140, v2
	s_delay_alu instid0(VALU_DEP_1) | instskip(NEXT) | instid1(VALU_DEP_1)
	v_cmp_gt_i32_e64 s4, s42, v6
	s_and_b32 s6, s31, s4
	s_delay_alu instid0(SALU_CYCLE_1)
	;; [unrolled: 28-line block ×3, first 2 shown]
	s_and_saveexec_b32 s7, s8
	s_cbranch_execz .LBB153_16
; %bb.15:
	global_load_u16 v6, v[3:4], off offset:896
	s_waitcnt vmcnt(0)
	v_lshlrev_b32_e32 v21, 16, v6
.LBB153_16:
	s_or_b32 exec_lo, exec_lo, s7
	v_add_nc_u32_e32 v6, 0x200, v2
	v_dual_mov_b32 v24, 0xff800000 :: v_dual_mov_b32 v25, 0xff800000
	s_delay_alu instid0(VALU_DEP_2) | instskip(NEXT) | instid1(VALU_DEP_1)
	v_cmp_gt_i32_e64 s7, s42, v6
	s_and_b32 s9, s31, s7
	s_delay_alu instid0(SALU_CYCLE_1)
	s_and_saveexec_b32 s8, s9
	s_cbranch_execz .LBB153_18
; %bb.17:
	global_load_u16 v6, v[3:4], off offset:1024
	s_waitcnt vmcnt(0)
	v_lshlrev_b32_e32 v25, 16, v6
.LBB153_18:
	s_or_b32 exec_lo, exec_lo, s8
	v_add_nc_u32_e32 v6, 0x240, v2
	s_delay_alu instid0(VALU_DEP_1) | instskip(NEXT) | instid1(VALU_DEP_1)
	v_cmp_gt_i32_e64 s8, s42, v6
	s_and_b32 s10, s31, s8
	s_delay_alu instid0(SALU_CYCLE_1)
	s_and_saveexec_b32 s9, s10
	s_cbranch_execz .LBB153_20
; %bb.19:
	global_load_u16 v6, v[3:4], off offset:1152
	s_waitcnt vmcnt(0)
	v_lshlrev_b32_e32 v24, 16, v6
.LBB153_20:
	s_or_b32 exec_lo, exec_lo, s9
	v_add_nc_u32_e32 v6, 0x280, v2
	v_dual_mov_b32 v27, 0xff800000 :: v_dual_mov_b32 v28, 0xff800000
	s_delay_alu instid0(VALU_DEP_2) | instskip(NEXT) | instid1(VALU_DEP_1)
	v_cmp_gt_i32_e64 s9, s42, v6
	s_and_b32 s11, s31, s9
	s_delay_alu instid0(SALU_CYCLE_1)
	s_and_saveexec_b32 s10, s11
	s_cbranch_execz .LBB153_22
; %bb.21:
	global_load_u16 v6, v[3:4], off offset:1280
	s_waitcnt vmcnt(0)
	v_lshlrev_b32_e32 v28, 16, v6
.LBB153_22:
	s_or_b32 exec_lo, exec_lo, s10
	v_add_nc_u32_e32 v6, 0x2c0, v2
	s_delay_alu instid0(VALU_DEP_1) | instskip(NEXT) | instid1(VALU_DEP_1)
	v_cmp_gt_i32_e64 s10, s42, v6
	s_and_b32 s12, s31, s10
	s_delay_alu instid0(SALU_CYCLE_1)
	;; [unrolled: 27-line block ×4, first 2 shown]
	s_and_saveexec_b32 s15, s16
	s_cbranch_execz .LBB153_32
; %bb.31:
	global_load_u16 v6, v[3:4], off offset:1920
	s_waitcnt vmcnt(0)
	v_lshlrev_b32_e32 v31, 16, v6
.LBB153_32:
	s_or_b32 exec_lo, exec_lo, s15
	v_or_b32_e32 v6, 0x400, v2
	v_dual_mov_b32 v33, 0xff800000 :: v_dual_mov_b32 v34, 0xff800000
	s_delay_alu instid0(VALU_DEP_2) | instskip(NEXT) | instid1(VALU_DEP_1)
	v_cmp_gt_i32_e64 s15, s42, v6
	s_and_b32 s17, s31, s15
	s_delay_alu instid0(SALU_CYCLE_1)
	s_and_saveexec_b32 s16, s17
	s_cbranch_execz .LBB153_34
; %bb.33:
	global_load_u16 v6, v[3:4], off offset:2048
	s_waitcnt vmcnt(0)
	v_lshlrev_b32_e32 v34, 16, v6
.LBB153_34:
	s_or_b32 exec_lo, exec_lo, s16
	v_add_nc_u32_e32 v6, 0x440, v2
	s_delay_alu instid0(VALU_DEP_1) | instskip(NEXT) | instid1(VALU_DEP_1)
	v_cmp_gt_i32_e64 s16, s42, v6
	s_and_b32 s18, s31, s16
	s_delay_alu instid0(SALU_CYCLE_1)
	s_and_saveexec_b32 s17, s18
	s_cbranch_execz .LBB153_36
; %bb.35:
	global_load_u16 v6, v[3:4], off offset:2176
	s_waitcnt vmcnt(0)
	v_lshlrev_b32_e32 v33, 16, v6
.LBB153_36:
	s_or_b32 exec_lo, exec_lo, s17
	v_add_nc_u32_e32 v6, 0x480, v2
	v_dual_mov_b32 v35, 0xff800000 :: v_dual_mov_b32 v36, 0xff800000
	s_delay_alu instid0(VALU_DEP_2) | instskip(NEXT) | instid1(VALU_DEP_1)
	v_cmp_gt_i32_e64 s17, s42, v6
	s_and_b32 s19, s31, s17
	s_delay_alu instid0(SALU_CYCLE_1)
	s_and_saveexec_b32 s18, s19
	s_cbranch_execz .LBB153_38
; %bb.37:
	global_load_u16 v6, v[3:4], off offset:2304
	s_waitcnt vmcnt(0)
	v_lshlrev_b32_e32 v36, 16, v6
.LBB153_38:
	s_or_b32 exec_lo, exec_lo, s18
	v_add_nc_u32_e32 v6, 0x4c0, v2
	s_delay_alu instid0(VALU_DEP_1) | instskip(NEXT) | instid1(VALU_DEP_1)
	v_cmp_gt_i32_e64 s18, s42, v6
	s_and_b32 s20, s31, s18
	s_delay_alu instid0(SALU_CYCLE_1)
	s_and_saveexec_b32 s19, s20
	s_cbranch_execz .LBB153_40
; %bb.39:
	global_load_u16 v6, v[3:4], off offset:2432
	s_waitcnt vmcnt(0)
	v_lshlrev_b32_e32 v35, 16, v6
.LBB153_40:
	s_or_b32 exec_lo, exec_lo, s19
	v_add_nc_u32_e32 v6, 0x500, v2
	;; [unrolled: 27-line block ×6, first 2 shown]
	v_mov_b32_e32 v7, 0xff800000
	v_mov_b32_e32 v9, 0xff800000
	s_delay_alu instid0(VALU_DEP_3) | instskip(NEXT) | instid1(VALU_DEP_1)
	v_cmp_gt_i32_e64 s27, s42, v6
	s_and_b32 s29, s31, s27
	s_delay_alu instid0(SALU_CYCLE_1)
	s_and_saveexec_b32 s28, s29
	s_cbranch_execz .LBB153_58
; %bb.57:
	global_load_u16 v6, v[3:4], off offset:3584
	s_waitcnt vmcnt(0)
	v_lshlrev_b32_e32 v9, 16, v6
.LBB153_58:
	s_or_b32 exec_lo, exec_lo, s28
	v_add_nc_u32_e32 v6, 0x740, v2
	s_delay_alu instid0(VALU_DEP_1) | instskip(NEXT) | instid1(VALU_DEP_1)
	v_cmp_gt_i32_e64 s28, s42, v6
	s_and_b32 s30, s31, s28
	s_delay_alu instid0(SALU_CYCLE_1)
	s_and_saveexec_b32 s29, s30
	s_cbranch_execz .LBB153_60
; %bb.59:
	global_load_u16 v6, v[3:4], off offset:3712
	s_waitcnt vmcnt(0)
	v_lshlrev_b32_e32 v7, 16, v6
.LBB153_60:
	s_or_b32 exec_lo, exec_lo, s29
	v_add_nc_u32_e32 v6, 0x780, v2
	v_mov_b32_e32 v8, 0xff800000
	s_delay_alu instid0(VALU_DEP_2) | instskip(SKIP_1) | instid1(VALU_DEP_2)
	v_cmp_gt_i32_e64 s29, s42, v6
	v_mov_b32_e32 v6, 0xff800000
	s_and_b32 s33, s31, s29
	s_delay_alu instid0(SALU_CYCLE_1)
	s_and_saveexec_b32 s30, s33
	s_cbranch_execz .LBB153_62
; %bb.61:
	global_load_u16 v8, v[3:4], off offset:3840
	s_waitcnt vmcnt(0)
	v_lshlrev_b32_e32 v8, 16, v8
.LBB153_62:
	s_or_b32 exec_lo, exec_lo, s30
	v_add_nc_u32_e32 v2, 0x7c0, v2
	s_delay_alu instid0(VALU_DEP_1) | instskip(NEXT) | instid1(VALU_DEP_1)
	v_cmp_gt_i32_e64 s30, s42, v2
	s_and_b32 s33, s31, s30
	s_delay_alu instid0(SALU_CYCLE_1)
	s_and_saveexec_b32 s31, s33
	s_cbranch_execz .LBB153_64
; %bb.63:
	global_load_u16 v2, v[3:4], off offset:3968
	s_waitcnt vmcnt(0)
	v_lshlrev_b32_e32 v6, 16, v2
.LBB153_64:
	s_or_b32 exec_lo, exec_lo, s31
	v_cmp_gt_f32_e64 s31, v14, v12
	v_mbcnt_lo_u32_b32 v4, -1, 0
	s_mov_b32 s33, exec_lo
	s_delay_alu instid0(VALU_DEP_2) | instskip(NEXT) | instid1(VALU_DEP_2)
	v_cndmask_b32_e64 v2, v12, v14, s31
	v_or_b32_e32 v3, 32, v4
	s_delay_alu instid0(VALU_DEP_2) | instskip(NEXT) | instid1(VALU_DEP_1)
	v_cmp_gt_f32_e64 s31, v2, v17
	v_cndmask_b32_e64 v2, v17, v2, s31
	s_delay_alu instid0(VALU_DEP_1) | instskip(NEXT) | instid1(VALU_DEP_1)
	v_cmp_gt_f32_e64 s31, v2, v15
	v_cndmask_b32_e64 v2, v15, v2, s31
	s_delay_alu instid0(VALU_DEP_1) | instskip(NEXT) | instid1(VALU_DEP_1)
	;; [unrolled: 3-line block ×27, first 2 shown]
	v_cmp_gt_f32_e64 s31, v2, v7
	v_cndmask_b32_e64 v2, v7, v2, s31
	v_cmp_gt_i32_e64 s31, 64, v3
	s_delay_alu instid0(VALU_DEP_1) | instskip(NEXT) | instid1(VALU_DEP_3)
	v_cndmask_b32_e64 v3, v4, v3, s31
	v_cmp_gt_f32_e64 s31, v2, v8
	s_delay_alu instid0(VALU_DEP_1) | instskip(NEXT) | instid1(VALU_DEP_3)
	v_cndmask_b32_e64 v16, v8, v2, s31
	v_lshlrev_b32_e32 v2, 2, v3
	v_xor_b32_e32 v3, 16, v4
	s_delay_alu instid0(VALU_DEP_3) | instskip(NEXT) | instid1(VALU_DEP_1)
	v_cmp_gt_f32_e64 s31, v16, v6
	v_cndmask_b32_e64 v16, v6, v16, s31
	s_delay_alu instid0(VALU_DEP_3) | instskip(SKIP_2) | instid1(VALU_DEP_1)
	v_cmp_gt_i32_e64 s31, 64, v3
	ds_bpermute_b32 v19, v2, v16
	v_cndmask_b32_e64 v3, v4, v3, s31
	v_lshlrev_b32_e32 v3, 2, v3
	s_waitcnt lgkmcnt(0)
	v_cmp_lt_f32_e64 s31, v16, v19
	s_delay_alu instid0(VALU_DEP_1) | instskip(SKIP_3) | instid1(VALU_DEP_1)
	v_cndmask_b32_e64 v19, v16, v19, s31
	v_xor_b32_e32 v16, 8, v4
	ds_bpermute_b32 v22, v3, v19
	v_cmp_gt_i32_e64 s31, 64, v16
	v_cndmask_b32_e64 v16, v4, v16, s31
	s_delay_alu instid0(VALU_DEP_1) | instskip(SKIP_2) | instid1(VALU_DEP_1)
	v_lshlrev_b32_e32 v16, 2, v16
	s_waitcnt lgkmcnt(0)
	v_cmp_lt_f32_e64 s31, v19, v22
	v_cndmask_b32_e64 v22, v19, v22, s31
	v_xor_b32_e32 v19, 4, v4
	ds_bpermute_b32 v26, v16, v22
	v_cmp_gt_i32_e64 s31, 64, v19
	s_delay_alu instid0(VALU_DEP_1) | instskip(NEXT) | instid1(VALU_DEP_1)
	v_cndmask_b32_e64 v19, v4, v19, s31
	v_lshlrev_b32_e32 v19, 2, v19
	s_waitcnt lgkmcnt(0)
	v_cmp_lt_f32_e64 s31, v22, v26
	s_delay_alu instid0(VALU_DEP_1) | instskip(SKIP_3) | instid1(VALU_DEP_1)
	v_cndmask_b32_e64 v26, v22, v26, s31
	v_xor_b32_e32 v22, 2, v4
	ds_bpermute_b32 v41, v19, v26
	v_cmp_gt_i32_e64 s31, 64, v22
	v_cndmask_b32_e64 v22, v4, v22, s31
	s_delay_alu instid0(VALU_DEP_1) | instskip(SKIP_2) | instid1(VALU_DEP_1)
	v_lshlrev_b32_e32 v22, 2, v22
	s_waitcnt lgkmcnt(0)
	v_cmp_lt_f32_e64 s31, v26, v41
	v_cndmask_b32_e64 v41, v26, v41, s31
	v_xor_b32_e32 v26, 1, v4
	ds_bpermute_b32 v43, v22, v41
	v_cmp_gt_i32_e64 s31, 64, v26
	s_delay_alu instid0(VALU_DEP_1) | instskip(NEXT) | instid1(VALU_DEP_1)
	v_cndmask_b32_e64 v4, v4, v26, s31
	v_lshlrev_b32_e32 v26, 2, v4
	s_waitcnt lgkmcnt(0)
	v_cmp_lt_f32_e64 s31, v41, v43
	s_delay_alu instid0(VALU_DEP_1) | instskip(SKIP_3) | instid1(VALU_DEP_1)
	v_cndmask_b32_e64 v4, v41, v43, s31
	ds_bpermute_b32 v41, v26, v4
	s_waitcnt lgkmcnt(0)
	v_cmp_lt_f32_e64 s31, v4, v41
	v_cndmask_b32_e64 v41, v4, v41, s31
	s_delay_alu instid0(VALU_DEP_1)
	v_sub_f32_e32 v4, v14, v41
	v_sub_f32_e32 v12, v12, v41
	;; [unrolled: 1-line block ×6, first 2 shown]
	v_mul_f32_e32 v43, 0x3fb8aa3b, v12
	v_dual_sub_f32 v27, v27, v41 :: v_dual_mul_f32 v44, 0x3fb8aa3b, v14
	v_dual_sub_f32 v24, v24, v41 :: v_dual_mul_f32 v45, 0x3fb8aa3b, v15
	;; [unrolled: 1-line block ×3, first 2 shown]
	v_sub_f32_e32 v23, v25, v41
	v_sub_f32_e32 v25, v28, v41
	;; [unrolled: 1-line block ×3, first 2 shown]
	v_dual_mul_f32 v53, 0x3fb8aa3b, v27 :: v_dual_sub_f32 v28, v30, v41
	v_mul_f32_e32 v51, 0x3fb8aa3b, v24
	v_fma_f32 v70, 0x3fb8aa3b, v14, -v44
	v_fma_f32 v72, 0x3fb8aa3b, v15, -v45
	v_rndne_f32_e32 v73, v45
	v_dual_sub_f32 v29, v29, v41 :: v_dual_mul_f32 v48, 0x3fb8aa3b, v20
	v_mul_f32_e32 v50, 0x3fb8aa3b, v23
	v_dual_sub_f32 v30, v32, v41 :: v_dual_mul_f32 v57, 0x3fb8aa3b, v31
	v_fma_f32 v68, 0x3fb8aa3b, v12, -v43
	v_rndne_f32_e32 v69, v43
	v_rndne_f32_e32 v71, v44
	;; [unrolled: 1-line block ×3, first 2 shown]
	v_dual_fmac_f32 v70, 0x32a5705f, v14 :: v_dual_sub_f32 v45, v45, v73
	v_dual_fmac_f32 v72, 0x32a5705f, v15 :: v_dual_sub_f32 v35, v35, v41
	v_mul_f32_e32 v56, 0x3fb8aa3b, v30
	v_sub_f32_e32 v32, v34, v41
	v_sub_f32_e32 v39, v39, v41
	;; [unrolled: 1-line block ×3, first 2 shown]
	v_fma_f32 v76, 0x3fb8aa3b, v18, -v47
	v_rndne_f32_e32 v77, v47
	v_fma_f32 v84, 0x3fb8aa3b, v24, -v51
	v_mul_f32_e32 v65, 0x3fb8aa3b, v39
	v_dual_fmac_f32 v68, 0x32a5705f, v12 :: v_dual_sub_f32 v43, v43, v69
	v_sub_f32_e32 v36, v38, v41
	v_dual_sub_f32 v44, v44, v71 :: v_dual_sub_f32 v47, v47, v77
	v_sub_f32_e32 v51, v51, v85
	v_dual_sub_f32 v38, v40, v41 :: v_dual_add_f32 v45, v45, v72
	v_mul_f32_e32 v55, 0x3fb8aa3b, v29
	v_rndne_f32_e32 v72, v57
	s_delay_alu instid0(VALU_DEP_3) | instskip(SKIP_1) | instid1(VALU_DEP_4)
	v_dual_sub_f32 v21, v21, v41 :: v_dual_mul_f32 v64, 0x3fb8aa3b, v38
	v_fmac_f32_e32 v76, 0x32a5705f, v18
	v_rndne_f32_e32 v93, v55
	v_add_f32_e32 v44, v44, v70
	v_fma_f32 v70, 0x3fb8aa3b, v31, -v57
	v_dual_sub_f32 v57, v57, v72 :: v_dual_sub_f32 v40, v42, v41
	v_add_f32_e32 v47, v47, v76
	v_dual_mul_f32 v42, 0x3fb8aa3b, v4 :: v_dual_sub_f32 v33, v33, v41
	v_mul_f32_e32 v54, 0x3fb8aa3b, v28
	v_add_f32_e32 v43, v43, v68
	v_dual_mul_f32 v49, 0x3fb8aa3b, v21 :: v_dual_mul_f32 v62, 0x3fb8aa3b, v36
	s_delay_alu instid0(VALU_DEP_4)
	v_fma_f32 v66, 0x3fb8aa3b, v4, -v42
	v_rndne_f32_e32 v67, v42
	v_mul_f32_e32 v59, 0x3fb8aa3b, v33
	v_mul_f32_e32 v61, 0x3fb8aa3b, v35
	v_dual_sub_f32 v37, v37, v41 :: v_dual_mul_f32 v58, 0x3fb8aa3b, v32
	v_rndne_f32_e32 v81, v49
	v_fmac_f32_e32 v66, 0x32a5705f, v4
	v_sub_f32_e32 v42, v42, v67
	v_fma_f32 v80, 0x3fb8aa3b, v21, -v49
	v_cvt_i32_f32_e32 v67, v67
	v_sub_f32_e32 v49, v49, v81
	s_delay_alu instid0(VALU_DEP_4)
	v_dual_mul_f32 v63, 0x3fb8aa3b, v37 :: v_dual_add_f32 v42, v42, v66
	v_exp_f32_e32 v43, v43
	v_fma_f32 v92, 0x3fb8aa3b, v29, -v55
	v_sub_f32_e32 v55, v55, v93
	v_cvt_i32_f32_e32 v69, v69
	v_exp_f32_e32 v42, v42
	v_exp_f32_e32 v44, v44
	v_cmp_ngt_f32_e64 s31, 0xc2ce8ed0, v4
	v_fmac_f32_e32 v80, 0x32a5705f, v21
	v_mul_f32_e32 v46, 0x3fb8aa3b, v17
	v_cvt_i32_f32_e32 v71, v71
	v_ldexp_f32 v43, v43, v69
	v_fma_f32 v78, 0x3fb8aa3b, v20, -v48
	v_add_f32_e32 v49, v49, v80
	v_fma_f32 v74, 0x3fb8aa3b, v17, -v46
	v_ldexp_f32 v42, v42, v67
	v_rndne_f32_e32 v75, v46
	v_rndne_f32_e32 v79, v48
	v_fma_f32 v88, 0x3fb8aa3b, v27, -v53
	v_rndne_f32_e32 v89, v53
	v_cndmask_b32_e64 v42, 0, v42, s31
	v_cmp_ngt_f32_e64 s31, 0xc2ce8ed0, v12
	v_ldexp_f32 v44, v44, v71
	s_delay_alu instid0(VALU_DEP_4) | instskip(SKIP_1) | instid1(VALU_DEP_4)
	v_dual_sub_f32 v46, v46, v75 :: v_dual_sub_f32 v53, v53, v89
	v_rndne_f32_e32 v80, v59
	v_cndmask_b32_e64 v43, 0, v43, s31
	v_cmp_ngt_f32_e64 s31, 0xc2ce8ed0, v14
	v_sub_f32_e32 v48, v48, v79
	v_fmac_f32_e32 v88, 0x32a5705f, v27
	v_fmac_f32_e32 v74, 0x32a5705f, v17
	;; [unrolled: 1-line block ×4, first 2 shown]
	v_exp_f32_e32 v45, v45
	v_cndmask_b32_e64 v44, 0, v44, s31
	v_cmp_nlt_f32_e64 s31, 0x42b17218, v4
	v_add_f32_e32 v57, v57, v70
	v_dual_add_f32 v48, v48, v78 :: v_dual_sub_f32 v11, v11, v41
	v_dual_fmac_f32 v92, 0x32a5705f, v29 :: v_dual_add_f32 v53, v53, v88
	v_add_f32_e32 v46, v46, v74
	v_cvt_i32_f32_e32 v73, v73
	v_cndmask_b32_e64 v42, 0x7f800000, v42, s31
	s_delay_alu instid0(VALU_DEP_4)
	v_add_f32_e32 v55, v55, v92
	v_cmp_nlt_f32_e64 s31, 0x42b17218, v12
	v_exp_f32_e32 v46, v46
	v_ldexp_f32 v45, v45, v73
	v_fma_f32 v90, 0x3fb8aa3b, v28, -v54
	v_fma_f32 v66, 0x3fb8aa3b, v30, -v56
	v_cndmask_b32_e64 v43, 0x7f800000, v43, s31
	v_cmp_ngt_f32_e64 s31, 0xc2ce8ed0, v15
	v_rndne_f32_e32 v68, v56
	v_cvt_i32_f32_e32 v75, v75
	v_dual_fmac_f32 v90, 0x32a5705f, v28 :: v_dual_sub_f32 v13, v13, v41
	s_delay_alu instid0(VALU_DEP_4)
	v_cndmask_b32_e64 v45, 0, v45, s31
	v_cmp_nlt_f32_e64 s31, 0x42b17218, v14
	v_fmac_f32_e32 v66, 0x32a5705f, v30
	v_sub_f32_e32 v56, v56, v68
	v_rndne_f32_e32 v70, v63
	v_exp_f32_e32 v47, v47
	v_ldexp_f32 v46, v46, v75
	v_cndmask_b32_e64 v44, 0x7f800000, v44, s31
	v_cmp_ngt_f32_e64 s31, 0xc2ce8ed0, v17
	v_fmac_f32_e32 v84, 0x32a5705f, v24
	v_dual_add_f32 v56, v56, v66 :: v_dual_sub_f32 v9, v9, v41
	v_fma_f32 v66, 0x3fb8aa3b, v37, -v63
	v_cvt_i32_f32_e32 v77, v77
	v_dual_sub_f32 v63, v63, v70 :: v_dual_mul_f32 v52, 0x3fb8aa3b, v25
	v_dual_add_f32 v51, v51, v84 :: v_dual_add_f32 v42, v42, v43
	v_cndmask_b32_e64 v43, 0, v46, s31
	v_cmp_nlt_f32_e64 s31, 0x42b17218, v15
	s_delay_alu instid0(VALU_DEP_4)
	v_fma_f32 v86, 0x3fb8aa3b, v25, -v52
	v_rndne_f32_e32 v87, v52
	v_exp_f32_e32 v48, v48
	v_ldexp_f32 v47, v47, v77
	v_cndmask_b32_e64 v45, 0x7f800000, v45, s31
	v_cmp_ngt_f32_e64 s31, 0xc2ce8ed0, v18
	v_sub_f32_e32 v52, v52, v87
	v_cvt_i32_f32_e32 v79, v79
	v_add_f32_e32 v42, v42, v44
	v_sub_f32_e32 v8, v8, v41
	v_fmac_f32_e32 v66, 0x32a5705f, v37
	v_fmac_f32_e32 v86, 0x32a5705f, v25
	v_cndmask_b32_e64 v44, 0, v47, s31
	v_cmp_nlt_f32_e64 s31, 0x42b17218, v17
	v_fma_f32 v82, 0x3fb8aa3b, v23, -v50
	v_add_f32_e32 v63, v63, v66
	v_rndne_f32_e32 v83, v50
	v_fma_f32 v78, 0x3fb8aa3b, v33, -v59
	v_add_f32_e32 v52, v52, v86
	v_fma_f32 v86, 0x3fb8aa3b, v35, -v61
	v_rndne_f32_e32 v88, v61
	v_exp_f32_e32 v49, v49
	v_ldexp_f32 v48, v48, v79
	v_cndmask_b32_e64 v43, 0x7f800000, v43, s31
	v_cmp_ngt_f32_e64 s31, 0xc2ce8ed0, v20
	v_dual_fmac_f32 v78, 0x32a5705f, v33 :: v_dual_sub_f32 v59, v59, v80
	v_fmac_f32_e32 v82, 0x32a5705f, v23
	v_dual_fmac_f32 v86, 0x32a5705f, v35 :: v_dual_sub_f32 v61, v61, v88
	v_sub_f32_e32 v50, v50, v83
	v_cvt_i32_f32_e32 v81, v81
	v_add_f32_e32 v42, v42, v45
	v_cndmask_b32_e64 v45, 0, v48, s31
	v_add_f32_e32 v61, v61, v86
	v_cmp_nlt_f32_e64 s31, 0x42b17218, v18
	v_add_f32_e32 v59, v59, v78
	v_add_f32_e32 v50, v50, v82
	v_ldexp_f32 v49, v49, v81
	v_add_f32_e32 v42, v42, v43
	v_cndmask_b32_e64 v44, 0x7f800000, v44, s31
	v_cmp_ngt_f32_e64 s31, 0xc2ce8ed0, v21
	v_cvt_i32_f32_e32 v83, v83
	v_exp_f32_e32 v51, v51
	v_cvt_i32_f32_e32 v85, v85
	v_add_f32_e32 v42, v42, v44
	v_cndmask_b32_e64 v43, 0, v49, s31
	v_mul_f32_e32 v49, 0x3fb8aa3b, v11
	v_exp_f32_e32 v50, v50
	v_cmp_nlt_f32_e64 s31, 0x42b17218, v20
	v_exp_f32_e32 v52, v52
	v_rndne_f32_e32 v91, v54
	v_cvt_i32_f32_e32 v87, v87
	v_ldexp_f32 v51, v51, v85
	v_cndmask_b32_e64 v45, 0x7f800000, v45, s31
	v_cmp_ngt_f32_e64 s31, 0xc2ce8ed0, v23
	v_sub_f32_e32 v54, v54, v91
	v_exp_f32_e32 v53, v53
	v_ldexp_f32 v50, v50, v83
	v_add_f32_e32 v42, v42, v45
	v_ldexp_f32 v52, v52, v87
	v_add_f32_e32 v54, v54, v90
	v_cvt_i32_f32_e32 v89, v89
	v_cndmask_b32_e64 v44, 0, v50, s31
	v_cmp_nlt_f32_e64 s31, 0x42b17218, v21
	v_cvt_i32_f32_e32 v91, v91
	v_exp_f32_e32 v54, v54
	v_ldexp_f32 v53, v53, v89
	v_exp_f32_e32 v55, v55
	v_cndmask_b32_e64 v43, 0x7f800000, v43, s31
	v_cmp_ngt_f32_e64 s31, 0xc2ce8ed0, v24
	v_cvt_i32_f32_e32 v93, v93
	v_exp_f32_e32 v56, v56
	v_fma_f32 v74, 0x3fb8aa3b, v32, -v58
	v_add_f32_e32 v42, v42, v43
	v_cndmask_b32_e64 v45, 0, v51, s31
	v_cmp_nlt_f32_e64 s31, 0x42b17218, v23
	v_ldexp_f32 v54, v54, v91
	v_ldexp_f32 v55, v55, v93
	v_rndne_f32_e32 v76, v58
	v_cvt_i32_f32_e32 v68, v68
	v_cndmask_b32_e64 v44, 0x7f800000, v44, s31
	v_cmp_ngt_f32_e64 s31, 0xc2ce8ed0, v25
	v_exp_f32_e32 v57, v57
	v_sub_f32_e32 v10, v10, v41
	v_fmac_f32_e32 v74, 0x32a5705f, v32
	v_add_f32_e32 v42, v42, v44
	v_cndmask_b32_e64 v43, 0, v52, s31
	v_cmp_nlt_f32_e64 s31, 0x42b17218, v24
	v_dual_sub_f32 v58, v58, v76 :: v_dual_mul_f32 v51, 0x3fb8aa3b, v10
	v_ldexp_f32 v56, v56, v68
	v_cvt_i32_f32_e32 v72, v72
	s_delay_alu instid0(VALU_DEP_4) | instskip(SKIP_3) | instid1(VALU_DEP_4)
	v_cndmask_b32_e64 v45, 0x7f800000, v45, s31
	v_cmp_ngt_f32_e64 s31, 0xc2ce8ed0, v27
	v_dual_add_f32 v58, v58, v74 :: v_dual_sub_f32 v7, v7, v41
	v_mul_f32_e32 v60, 0x3fb8aa3b, v34
	v_add_f32_e32 v42, v42, v45
	s_delay_alu instid0(VALU_DEP_4)
	v_cndmask_b32_e64 v44, 0, v53, s31
	v_cmp_nlt_f32_e64 s31, 0x42b17218, v25
	v_exp_f32_e32 v58, v58
	v_ldexp_f32 v57, v57, v72
	v_fma_f32 v82, 0x3fb8aa3b, v34, -v60
	v_rndne_f32_e32 v84, v60
	v_cndmask_b32_e64 v43, 0x7f800000, v43, s31
	v_cmp_ngt_f32_e64 s31, 0xc2ce8ed0, v28
	v_cvt_i32_f32_e32 v76, v76
	v_fmac_f32_e32 v82, 0x32a5705f, v34
	v_sub_f32_e32 v60, v60, v84
	v_add_f32_e32 v42, v42, v43
	v_cndmask_b32_e64 v45, 0, v54, s31
	v_cmp_nlt_f32_e64 s31, 0x42b17218, v27
	v_exp_f32_e32 v59, v59
	v_ldexp_f32 v58, v58, v76
	v_add_f32_e32 v60, v60, v82
	v_cvt_i32_f32_e32 v80, v80
	v_cndmask_b32_e64 v44, 0x7f800000, v44, s31
	v_cmp_ngt_f32_e64 s31, 0xc2ce8ed0, v29
	v_fma_f32 v90, 0x3fb8aa3b, v36, -v62
	v_exp_f32_e32 v60, v60
	v_rndne_f32_e32 v92, v62
	v_add_f32_e32 v42, v42, v44
	v_cndmask_b32_e64 v43, 0, v55, s31
	v_cmp_nlt_f32_e64 s31, 0x42b17218, v28
	v_ldexp_f32 v59, v59, v80
	v_cvt_i32_f32_e32 v84, v84
	v_fmac_f32_e32 v90, 0x32a5705f, v36
	v_sub_f32_e32 v62, v62, v92
	v_cndmask_b32_e64 v45, 0x7f800000, v45, s31
	v_cmp_ngt_f32_e64 s31, 0xc2ce8ed0, v30
	v_exp_f32_e32 v61, v61
	v_ldexp_f32 v60, v60, v84
	v_cvt_i32_f32_e32 v88, v88
	v_add_f32_e32 v42, v42, v45
	v_cndmask_b32_e64 v44, 0, v56, s31
	v_cmp_nlt_f32_e64 s31, 0x42b17218, v29
	v_add_f32_e32 v62, v62, v90
	v_cvt_i32_f32_e32 v92, v92
	v_fma_f32 v74, 0x3fb8aa3b, v38, -v64
	v_rndne_f32_e32 v78, v64
	v_cndmask_b32_e64 v43, 0x7f800000, v43, s31
	v_cmp_ngt_f32_e64 s31, 0xc2ce8ed0, v31
	v_exp_f32_e32 v62, v62
	v_ldexp_f32 v61, v61, v88
	v_exp_f32_e32 v63, v63
	v_add_f32_e32 v42, v42, v43
	v_cndmask_b32_e64 v45, 0, v57, s31
	v_cmp_nlt_f32_e64 s31, 0x42b17218, v30
	v_cvt_i32_f32_e32 v70, v70
	v_fmac_f32_e32 v74, 0x32a5705f, v38
	v_sub_f32_e32 v64, v64, v78
	v_fma_f32 v82, 0x3fb8aa3b, v39, -v65
	v_cndmask_b32_e64 v44, 0x7f800000, v44, s31
	v_cmp_ngt_f32_e64 s31, 0xc2ce8ed0, v32
	v_ldexp_f32 v62, v62, v92
	v_add_f32_e32 v64, v64, v74
	v_ldexp_f32 v63, v63, v70
	v_add_f32_e32 v42, v42, v44
	v_cndmask_b32_e64 v43, 0, v58, s31
	v_cmp_nlt_f32_e64 s31, 0x42b17218, v31
	v_rndne_f32_e32 v86, v65
	v_exp_f32_e32 v64, v64
	v_cvt_i32_f32_e32 v78, v78
	v_fmac_f32_e32 v82, 0x32a5705f, v39
	v_cndmask_b32_e64 v45, 0x7f800000, v45, s31
	v_cmp_ngt_f32_e64 s31, 0xc2ce8ed0, v33
	v_dual_sub_f32 v65, v65, v86 :: v_dual_sub_f32 v6, v6, v41
	s_delay_alu instid0(VALU_DEP_3) | instskip(NEXT) | instid1(VALU_DEP_3)
	v_add_f32_e32 v42, v42, v45
	v_cndmask_b32_e64 v44, 0, v59, s31
	v_cmp_nlt_f32_e64 s31, 0x42b17218, v32
	s_delay_alu instid0(TRANS32_DEP_1) | instskip(NEXT) | instid1(VALU_DEP_2)
	v_ldexp_f32 v46, v64, v78
	v_cndmask_b32_e64 v43, 0x7f800000, v43, s31
	v_cmp_ngt_f32_e64 s31, 0xc2ce8ed0, v34
	s_delay_alu instid0(VALU_DEP_2) | instskip(NEXT) | instid1(VALU_DEP_2)
	v_add_f32_e32 v42, v42, v43
	v_cndmask_b32_e64 v45, 0, v60, s31
	v_cmp_nlt_f32_e64 s31, 0x42b17218, v33
	s_delay_alu instid0(VALU_DEP_1) | instskip(SKIP_1) | instid1(VALU_DEP_2)
	v_cndmask_b32_e64 v44, 0x7f800000, v44, s31
	v_cmp_ngt_f32_e64 s31, 0xc2ce8ed0, v35
	v_add_f32_e32 v42, v42, v44
	s_delay_alu instid0(VALU_DEP_2) | instskip(SKIP_1) | instid1(VALU_DEP_1)
	v_cndmask_b32_e64 v43, 0, v61, s31
	v_cmp_nlt_f32_e64 s31, 0x42b17218, v34
	v_cndmask_b32_e64 v45, 0x7f800000, v45, s31
	v_cmp_ngt_f32_e64 s31, 0xc2ce8ed0, v36
	s_delay_alu instid0(VALU_DEP_2) | instskip(NEXT) | instid1(VALU_DEP_2)
	v_add_f32_e32 v42, v42, v45
	v_cndmask_b32_e64 v44, 0, v62, s31
	v_cmp_nlt_f32_e64 s31, 0x42b17218, v35
	s_delay_alu instid0(VALU_DEP_1) | instskip(SKIP_1) | instid1(VALU_DEP_2)
	v_cndmask_b32_e64 v43, 0x7f800000, v43, s31
	v_cmp_ngt_f32_e64 s31, 0xc2ce8ed0, v37
	v_add_f32_e32 v42, v42, v43
	s_delay_alu instid0(VALU_DEP_2) | instskip(SKIP_2) | instid1(VALU_DEP_2)
	v_cndmask_b32_e64 v45, 0, v63, s31
	v_cmp_nlt_f32_e64 s31, 0x42b17218, v36
	v_add_f32_e32 v43, v65, v82
	v_cndmask_b32_e64 v44, 0x7f800000, v44, s31
	v_cmp_nlt_f32_e64 s31, 0x42b17218, v37
	s_delay_alu instid0(VALU_DEP_3) | instskip(NEXT) | instid1(VALU_DEP_2)
	v_exp_f32_e32 v43, v43
	v_add_f32_e32 v42, v42, v44
	s_delay_alu instid0(VALU_DEP_2) | instskip(SKIP_2) | instid1(VALU_DEP_3)
	v_cndmask_b32_e64 v45, 0x7f800000, v45, s31
	v_mul_f32_e32 v44, 0x3fb8aa3b, v40
	v_cmp_ngt_f32_e64 s31, 0xc2ce8ed0, v38
	v_add_f32_e32 v42, v42, v45
	s_delay_alu instid0(VALU_DEP_3) | instskip(NEXT) | instid1(VALU_DEP_3)
	v_fma_f32 v47, 0x3fb8aa3b, v40, -v44
	v_cndmask_b32_e64 v46, 0, v46, s31
	v_cmp_nlt_f32_e64 s31, 0x42b17218, v38
	v_rndne_f32_e32 v48, v44
	s_delay_alu instid0(VALU_DEP_4) | instskip(NEXT) | instid1(VALU_DEP_3)
	v_fmac_f32_e32 v47, 0x32a5705f, v40
	v_cndmask_b32_e64 v45, 0x7f800000, v46, s31
	v_cvt_i32_f32_e32 v46, v86
	s_delay_alu instid0(VALU_DEP_4)
	v_sub_f32_e32 v44, v44, v48
	v_cmp_ngt_f32_e64 s31, 0xc2ce8ed0, v39
	v_cvt_i32_f32_e32 v48, v48
	v_add_f32_e32 v42, v42, v45
	v_ldexp_f32 v43, v43, v46
	v_fma_f32 v45, 0x3fb8aa3b, v11, -v49
	v_rndne_f32_e32 v46, v49
	v_add_f32_e32 v44, v44, v47
	s_delay_alu instid0(VALU_DEP_4) | instskip(NEXT) | instid1(VALU_DEP_4)
	v_cndmask_b32_e64 v43, 0, v43, s31
	v_fmac_f32_e32 v45, 0x32a5705f, v11
	s_delay_alu instid0(VALU_DEP_4) | instskip(SKIP_3) | instid1(VALU_DEP_3)
	v_sub_f32_e32 v47, v49, v46
	v_mul_f32_e32 v49, 0x3fb8aa3b, v13
	v_cmp_nlt_f32_e64 s31, 0x42b17218, v39
	v_exp_f32_e32 v44, v44
	v_add_f32_e32 v45, v47, v45
	s_delay_alu instid0(VALU_DEP_3) | instskip(NEXT) | instid1(VALU_DEP_3)
	v_fma_f32 v47, 0x3fb8aa3b, v13, -v49
	v_cndmask_b32_e64 v43, 0x7f800000, v43, s31
	v_rndne_f32_e32 v50, v49
	v_cmp_ngt_f32_e64 s31, 0xc2ce8ed0, v40
	v_exp_f32_e32 v45, v45
	s_delay_alu instid0(VALU_DEP_3) | instskip(NEXT) | instid1(VALU_DEP_3)
	v_dual_fmac_f32 v47, 0x32a5705f, v13 :: v_dual_add_f32 v42, v42, v43
	v_sub_f32_e32 v49, v49, v50
	s_delay_alu instid0(TRANS32_DEP_2) | instskip(SKIP_2) | instid1(VALU_DEP_4)
	v_ldexp_f32 v43, v44, v48
	v_cvt_i32_f32_e32 v44, v46
	v_rndne_f32_e32 v48, v51
	v_add_f32_e32 v46, v49, v47
	v_fma_f32 v47, 0x3fb8aa3b, v10, -v51
	v_cndmask_b32_e64 v43, 0, v43, s31
	v_cmp_nlt_f32_e64 s31, 0x42b17218, v40
	v_ldexp_f32 v44, v45, v44
	v_exp_f32_e32 v45, v46
	v_dual_fmac_f32 v47, 0x32a5705f, v10 :: v_dual_sub_f32 v46, v51, v48
	s_delay_alu instid0(VALU_DEP_3)
	v_cndmask_b32_e64 v43, 0x7f800000, v43, s31
	v_cmp_ngt_f32_e64 s31, 0xc2ce8ed0, v11
	v_cvt_i32_f32_e32 v49, v50
	v_mul_f32_e32 v50, 0x3fb8aa3b, v6
	v_add_f32_e32 v46, v46, v47
	v_add_f32_e32 v42, v42, v43
	v_cndmask_b32_e64 v44, 0, v44, s31
	v_cmp_nlt_f32_e64 s31, 0x42b17218, v11
	v_ldexp_f32 v43, v45, v49
	v_exp_f32_e32 v45, v46
	v_dual_mul_f32 v46, 0x3fb8aa3b, v9 :: v_dual_mul_f32 v47, 0x3fb8aa3b, v7
	s_delay_alu instid0(VALU_DEP_3) | instskip(SKIP_2) | instid1(VALU_DEP_3)
	v_cndmask_b32_e64 v44, 0x7f800000, v44, s31
	v_cmp_ngt_f32_e64 s31, 0xc2ce8ed0, v13
	v_rndne_f32_e32 v51, v50
	v_add_f32_e32 v42, v42, v44
	s_delay_alu instid0(VALU_DEP_3) | instskip(SKIP_3) | instid1(VALU_DEP_3)
	v_cndmask_b32_e64 v43, 0, v43, s31
	v_cvt_i32_f32_e32 v44, v48
	v_cmp_nlt_f32_e64 s31, 0x42b17218, v13
	v_mul_f32_e32 v48, 0x3fb8aa3b, v8
	v_ldexp_f32 v44, v45, v44
	s_delay_alu instid0(VALU_DEP_3) | instskip(SKIP_3) | instid1(VALU_DEP_4)
	v_cndmask_b32_e64 v43, 0x7f800000, v43, s31
	v_cmp_ngt_f32_e64 s31, 0xc2ce8ed0, v10
	v_rndne_f32_e32 v45, v46
	v_rndne_f32_e32 v49, v48
	v_add_f32_e32 v42, v42, v43
	v_fma_f32 v43, 0x3fb8aa3b, v9, -v46
	v_cndmask_b32_e64 v44, 0, v44, s31
	v_cmp_nlt_f32_e64 s31, 0x42b17218, v10
	v_sub_f32_e32 v46, v46, v45
	v_cvt_i32_f32_e32 v45, v45
	v_fmac_f32_e32 v43, 0x32a5705f, v9
	s_delay_alu instid0(VALU_DEP_4) | instskip(SKIP_1) | instid1(VALU_DEP_3)
	v_cndmask_b32_e64 v44, 0x7f800000, v44, s31
	v_cmp_ngt_f32_e64 s31, 0xc2ce8ed0, v9
	v_add_f32_e32 v43, v46, v43
	v_rndne_f32_e32 v46, v47
	s_delay_alu instid0(VALU_DEP_4) | instskip(SKIP_1) | instid1(VALU_DEP_4)
	v_add_f32_e32 v42, v42, v44
	v_fma_f32 v44, 0x3fb8aa3b, v7, -v47
	v_exp_f32_e32 v43, v43
	s_delay_alu instid0(VALU_DEP_3) | instskip(SKIP_1) | instid1(VALU_DEP_3)
	v_sub_f32_e32 v41, v47, v46
	v_fma_f32 v47, 0x3fb8aa3b, v8, -v48
	v_fmac_f32_e32 v44, 0x32a5705f, v7
	v_cvt_i32_f32_e32 v46, v46
	s_delay_alu instid0(VALU_DEP_3) | instskip(NEXT) | instid1(VALU_DEP_3)
	v_fmac_f32_e32 v47, 0x32a5705f, v8
	v_dual_add_f32 v41, v41, v44 :: v_dual_sub_f32 v44, v48, v49
	s_delay_alu instid0(TRANS32_DEP_1) | instskip(SKIP_2) | instid1(VALU_DEP_4)
	v_ldexp_f32 v43, v43, v45
	v_fma_f32 v48, 0x3fb8aa3b, v6, -v50
	v_sub_f32_e32 v45, v50, v51
	v_exp_f32_e32 v41, v41
	v_add_f32_e32 v44, v44, v47
	v_cndmask_b32_e64 v43, 0, v43, s31
	v_cmp_nlt_f32_e64 s31, 0x42b17218, v9
	v_fmac_f32_e32 v48, 0x32a5705f, v6
	s_delay_alu instid0(VALU_DEP_4) | instskip(NEXT) | instid1(VALU_DEP_2)
	v_exp_f32_e32 v44, v44
	v_cndmask_b32_e64 v43, 0x7f800000, v43, s31
	v_cmp_ngt_f32_e64 s31, 0xc2ce8ed0, v7
	s_delay_alu instid0(TRANS32_DEP_2) | instskip(SKIP_3) | instid1(VALU_DEP_4)
	v_ldexp_f32 v41, v41, v46
	v_add_f32_e32 v45, v45, v48
	v_cvt_i32_f32_e32 v46, v49
	v_add_f32_e32 v42, v42, v43
	v_cndmask_b32_e64 v41, 0, v41, s31
	v_cmp_nlt_f32_e64 s31, 0x42b17218, v7
	v_exp_f32_e32 v45, v45
	v_ldexp_f32 v43, v44, v46
	v_cvt_i32_f32_e32 v44, v51
	s_delay_alu instid0(VALU_DEP_3) | instskip(SKIP_1) | instid1(VALU_DEP_2)
	v_cndmask_b32_e64 v41, 0x7f800000, v41, s31
	v_cmp_ngt_f32_e64 s31, 0xc2ce8ed0, v8
	v_add_f32_e32 v41, v42, v41
	s_delay_alu instid0(VALU_DEP_2) | instskip(SKIP_1) | instid1(TRANS32_DEP_1)
	v_cndmask_b32_e64 v43, 0, v43, s31
	v_cmp_nlt_f32_e64 s31, 0x42b17218, v8
	v_ldexp_f32 v44, v45, v44
	s_delay_alu instid0(VALU_DEP_2) | instskip(SKIP_1) | instid1(VALU_DEP_2)
	v_cndmask_b32_e64 v42, 0x7f800000, v43, s31
	v_cmp_ngt_f32_e64 s31, 0xc2ce8ed0, v6
	v_add_f32_e32 v41, v41, v42
	s_delay_alu instid0(VALU_DEP_2) | instskip(SKIP_1) | instid1(VALU_DEP_1)
	v_cndmask_b32_e64 v43, 0, v44, s31
	v_cmp_nlt_f32_e64 s31, 0x42b17218, v6
	v_cndmask_b32_e64 v42, 0x7f800000, v43, s31
	s_delay_alu instid0(VALU_DEP_1)
	v_add_f32_e32 v41, v41, v42
	ds_bpermute_b32 v2, v2, v41
	s_waitcnt lgkmcnt(0)
	v_add_f32_e32 v2, v41, v2
	ds_bpermute_b32 v3, v3, v2
	s_waitcnt lgkmcnt(0)
	;; [unrolled: 3-line block ×5, first 2 shown]
	v_add_f32_e32 v2, v2, v3
	ds_bpermute_b32 v3, v26, v2
	v_cmpx_lt_i32_e32 0, v5
	s_cbranch_execz .LBB153_98
; %bb.65:
	s_and_b32 exec_lo, exec_lo, s3
	s_cbranch_execz .LBB153_98
; %bb.66:
	s_waitcnt lgkmcnt(0)
	v_add_f32_e32 v2, v2, v3
	s_delay_alu instid0(VALU_DEP_1) | instskip(NEXT) | instid1(VALU_DEP_1)
	v_cmp_gt_f32_e64 s3, 0x800000, v2
	v_cndmask_b32_e64 v3, 1.0, 0x4f800000, s3
	s_delay_alu instid0(VALU_DEP_1) | instskip(NEXT) | instid1(VALU_DEP_1)
	v_mul_f32_e32 v2, v2, v3
	v_log_f32_e32 v2, v2
	s_waitcnt_depctr 0xfff
	v_mul_f32_e32 v3, 0x3f317217, v2
	s_delay_alu instid0(VALU_DEP_1) | instskip(NEXT) | instid1(VALU_DEP_1)
	v_fma_f32 v5, 0x3f317217, v2, -v3
	v_fmamk_f32 v5, v2, 0x3377d1cf, v5
	s_delay_alu instid0(VALU_DEP_1) | instskip(SKIP_2) | instid1(VALU_DEP_1)
	v_add_f32_e32 v3, v3, v5
	v_cndmask_b32_e64 v5, 0, 0x41b17218, s3
	v_cmp_gt_f32_e64 s3, 0x7f800000, |v2|
	v_cndmask_b32_e64 v2, v2, v3, s3
	v_add_co_u32 v0, s3, s36, v0
	s_delay_alu instid0(VALU_DEP_1) | instskip(NEXT) | instid1(VALU_DEP_3)
	v_add_co_ci_u32_e64 v1, s3, s37, v1, s3
	v_sub_f32_e32 v2, v2, v5
	s_delay_alu instid0(VALU_DEP_1) | instskip(NEXT) | instid1(VALU_DEP_1)
	v_sub_f32_e32 v3, v4, v2
	v_bfe_u32 v4, v3, 16, 1
	v_cmp_o_f32_e64 s3, v3, v3
	s_delay_alu instid0(VALU_DEP_2) | instskip(NEXT) | instid1(VALU_DEP_1)
	v_add3_u32 v4, v3, v4, 0x7fff
	v_lshrrev_b32_e32 v4, 16, v4
	s_delay_alu instid0(VALU_DEP_1)
	v_cndmask_b32_e64 v3, 0x7fc0, v4, s3
	global_store_b16 v[0:1], v3, off
	s_and_b32 exec_lo, exec_lo, vcc_lo
	s_cbranch_execz .LBB153_98
; %bb.67:
	v_sub_f32_e32 v3, v12, v2
	s_delay_alu instid0(VALU_DEP_1) | instskip(SKIP_1) | instid1(VALU_DEP_2)
	v_bfe_u32 v4, v3, 16, 1
	v_cmp_o_f32_e32 vcc_lo, v3, v3
	v_add3_u32 v4, v3, v4, 0x7fff
	s_delay_alu instid0(VALU_DEP_1) | instskip(NEXT) | instid1(VALU_DEP_1)
	v_lshrrev_b32_e32 v4, 16, v4
	v_cndmask_b32_e32 v3, 0x7fc0, v4, vcc_lo
	global_store_b16 v[0:1], v3, off offset:128
	s_and_b32 exec_lo, exec_lo, s0
	s_cbranch_execz .LBB153_98
; %bb.68:
	v_sub_f32_e32 v3, v14, v2
	s_delay_alu instid0(VALU_DEP_1) | instskip(SKIP_1) | instid1(VALU_DEP_2)
	v_bfe_u32 v4, v3, 16, 1
	v_cmp_o_f32_e32 vcc_lo, v3, v3
	v_add3_u32 v4, v3, v4, 0x7fff
	s_delay_alu instid0(VALU_DEP_1) | instskip(NEXT) | instid1(VALU_DEP_1)
	v_lshrrev_b32_e32 v4, 16, v4
	v_cndmask_b32_e32 v3, 0x7fc0, v4, vcc_lo
	global_store_b16 v[0:1], v3, off offset:256
	s_and_b32 exec_lo, exec_lo, s1
	;; [unrolled: 12-line block ×30, first 2 shown]
	s_cbranch_execz .LBB153_98
; %bb.97:
	v_sub_f32_e32 v2, v6, v2
	s_delay_alu instid0(VALU_DEP_1) | instskip(SKIP_1) | instid1(VALU_DEP_2)
	v_bfe_u32 v3, v2, 16, 1
	v_cmp_o_f32_e32 vcc_lo, v2, v2
	v_add3_u32 v3, v2, v3, 0x7fff
	s_delay_alu instid0(VALU_DEP_1) | instskip(NEXT) | instid1(VALU_DEP_1)
	v_lshrrev_b32_e32 v3, 16, v3
	v_cndmask_b32_e32 v2, 0x7fc0, v3, vcc_lo
	global_store_b16 v[0:1], v2, off offset:3968
.LBB153_98:
	s_nop 0
	s_sendmsg sendmsg(MSG_DEALLOC_VGPRS)
	s_endpgm
	.section	.rodata,"a",@progbits
	.p2align	6, 0x0
	.amdhsa_kernel _ZN12_GLOBAL__N_120softmax_warp_forwardIN3c108BFloat16ES2_fLi11ELb1ELb0ELi64EEEvPT0_PKT_iiiPKbib
		.amdhsa_group_segment_fixed_size 0
		.amdhsa_private_segment_fixed_size 0
		.amdhsa_kernarg_size 304
		.amdhsa_user_sgpr_count 15
		.amdhsa_user_sgpr_dispatch_ptr 0
		.amdhsa_user_sgpr_queue_ptr 0
		.amdhsa_user_sgpr_kernarg_segment_ptr 1
		.amdhsa_user_sgpr_dispatch_id 0
		.amdhsa_user_sgpr_private_segment_size 0
		.amdhsa_wavefront_size32 1
		.amdhsa_uses_dynamic_stack 0
		.amdhsa_enable_private_segment 0
		.amdhsa_system_sgpr_workgroup_id_x 1
		.amdhsa_system_sgpr_workgroup_id_y 0
		.amdhsa_system_sgpr_workgroup_id_z 0
		.amdhsa_system_sgpr_workgroup_info 0
		.amdhsa_system_vgpr_workitem_id 1
		.amdhsa_next_free_vgpr 94
		.amdhsa_next_free_sgpr 44
		.amdhsa_reserve_vcc 1
		.amdhsa_float_round_mode_32 0
		.amdhsa_float_round_mode_16_64 0
		.amdhsa_float_denorm_mode_32 3
		.amdhsa_float_denorm_mode_16_64 3
		.amdhsa_dx10_clamp 1
		.amdhsa_ieee_mode 1
		.amdhsa_fp16_overflow 0
		.amdhsa_workgroup_processor_mode 1
		.amdhsa_memory_ordered 1
		.amdhsa_forward_progress 0
		.amdhsa_shared_vgpr_count 0
		.amdhsa_exception_fp_ieee_invalid_op 0
		.amdhsa_exception_fp_denorm_src 0
		.amdhsa_exception_fp_ieee_div_zero 0
		.amdhsa_exception_fp_ieee_overflow 0
		.amdhsa_exception_fp_ieee_underflow 0
		.amdhsa_exception_fp_ieee_inexact 0
		.amdhsa_exception_int_div_zero 0
	.end_amdhsa_kernel
	.section	.text._ZN12_GLOBAL__N_120softmax_warp_forwardIN3c108BFloat16ES2_fLi11ELb1ELb0ELi64EEEvPT0_PKT_iiiPKbib,"axG",@progbits,_ZN12_GLOBAL__N_120softmax_warp_forwardIN3c108BFloat16ES2_fLi11ELb1ELb0ELi64EEEvPT0_PKT_iiiPKbib,comdat
.Lfunc_end153:
	.size	_ZN12_GLOBAL__N_120softmax_warp_forwardIN3c108BFloat16ES2_fLi11ELb1ELb0ELi64EEEvPT0_PKT_iiiPKbib, .Lfunc_end153-_ZN12_GLOBAL__N_120softmax_warp_forwardIN3c108BFloat16ES2_fLi11ELb1ELb0ELi64EEEvPT0_PKT_iiiPKbib
                                        ; -- End function
	.section	.AMDGPU.csdata,"",@progbits
; Kernel info:
; codeLenInByte = 9012
; NumSgprs: 46
; NumVgprs: 94
; ScratchSize: 0
; MemoryBound: 0
; FloatMode: 240
; IeeeMode: 1
; LDSByteSize: 0 bytes/workgroup (compile time only)
; SGPRBlocks: 5
; VGPRBlocks: 11
; NumSGPRsForWavesPerEU: 46
; NumVGPRsForWavesPerEU: 94
; Occupancy: 16
; WaveLimiterHint : 0
; COMPUTE_PGM_RSRC2:SCRATCH_EN: 0
; COMPUTE_PGM_RSRC2:USER_SGPR: 15
; COMPUTE_PGM_RSRC2:TRAP_HANDLER: 0
; COMPUTE_PGM_RSRC2:TGID_X_EN: 1
; COMPUTE_PGM_RSRC2:TGID_Y_EN: 0
; COMPUTE_PGM_RSRC2:TGID_Z_EN: 0
; COMPUTE_PGM_RSRC2:TIDIG_COMP_CNT: 1
	.section	.text._ZN12_GLOBAL__N_120softmax_warp_forwardIN3c108BFloat16ES2_fLi11ELb1ELb0ELi32EEEvPT0_PKT_iiiPKbib,"axG",@progbits,_ZN12_GLOBAL__N_120softmax_warp_forwardIN3c108BFloat16ES2_fLi11ELb1ELb0ELi32EEEvPT0_PKT_iiiPKbib,comdat
	.globl	_ZN12_GLOBAL__N_120softmax_warp_forwardIN3c108BFloat16ES2_fLi11ELb1ELb0ELi32EEEvPT0_PKT_iiiPKbib ; -- Begin function _ZN12_GLOBAL__N_120softmax_warp_forwardIN3c108BFloat16ES2_fLi11ELb1ELb0ELi32EEEvPT0_PKT_iiiPKbib
	.p2align	8
	.type	_ZN12_GLOBAL__N_120softmax_warp_forwardIN3c108BFloat16ES2_fLi11ELb1ELb0ELi32EEEvPT0_PKT_iiiPKbib,@function
_ZN12_GLOBAL__N_120softmax_warp_forwardIN3c108BFloat16ES2_fLi11ELb1ELb0ELi32EEEvPT0_PKT_iiiPKbib: ; @_ZN12_GLOBAL__N_120softmax_warp_forwardIN3c108BFloat16ES2_fLi11ELb1ELb0ELi32EEEvPT0_PKT_iiiPKbib
; %bb.0:
	s_clause 0x1
	s_load_b32 s2, s[0:1], 0x3c
	s_load_b256 s[68:75], s[0:1], 0x0
	v_bfe_u32 v1, v0, 10, 10
	v_dual_mov_b32 v14, 0xff800000 :: v_dual_mov_b32 v73, 0xff800000
	s_waitcnt lgkmcnt(0)
	s_lshr_b32 s0, s2, 16
	s_delay_alu instid0(VALU_DEP_2) | instid1(SALU_CYCLE_1)
	v_mad_u64_u32 v[3:4], null, s15, s0, v[1:2]
	v_and_b32_e32 v2, 0x3ff, v0
	s_delay_alu instid0(VALU_DEP_1) | instskip(NEXT) | instid1(VALU_DEP_3)
	v_cmp_gt_i32_e64 s3, s74, v2
	v_mad_u64_u32 v[0:1], null, v3, s73, v[2:3]
	v_sub_nc_u32_e32 v5, s72, v3
	s_delay_alu instid0(VALU_DEP_1) | instskip(NEXT) | instid1(VALU_DEP_3)
	v_cmp_lt_i32_e64 s64, 0, v5
	v_ashrrev_i32_e32 v1, 31, v0
	s_delay_alu instid0(VALU_DEP_2) | instskip(NEXT) | instid1(VALU_DEP_1)
	s_and_b32 s1, s64, s3
	v_lshlrev_b64 v[0:1], 1, v[0:1]
	s_delay_alu instid0(VALU_DEP_1) | instskip(NEXT) | instid1(VALU_DEP_2)
	v_add_co_u32 v3, vcc_lo, s70, v0
	v_add_co_ci_u32_e32 v4, vcc_lo, s71, v1, vcc_lo
	s_and_saveexec_b32 s0, s1
	s_cbranch_execz .LBB154_2
; %bb.1:
	global_load_u16 v6, v[3:4], off
	s_waitcnt vmcnt(0)
	v_lshlrev_b32_e32 v73, 16, v6
.LBB154_2:
	s_or_b32 exec_lo, exec_lo, s0
	v_add_nc_u32_e32 v6, 32, v2
	s_delay_alu instid0(VALU_DEP_1) | instskip(SKIP_1) | instid1(SALU_CYCLE_1)
	v_cmp_gt_i32_e32 vcc_lo, s74, v6
	s_and_b32 s1, s64, vcc_lo
	s_and_saveexec_b32 s0, s1
	s_cbranch_execz .LBB154_4
; %bb.3:
	global_load_u16 v6, v[3:4], off offset:64
	s_waitcnt vmcnt(0)
	v_lshlrev_b32_e32 v14, 16, v6
.LBB154_4:
	s_or_b32 exec_lo, exec_lo, s0
	v_dual_mov_b32 v19, 0xff800000 :: v_dual_add_nc_u32 v6, 64, v2
	v_mov_b32_e32 v20, 0xff800000
	s_delay_alu instid0(VALU_DEP_2) | instskip(NEXT) | instid1(VALU_DEP_1)
	v_cmp_gt_i32_e64 s0, s74, v6
	s_and_b32 s2, s64, s0
	s_delay_alu instid0(SALU_CYCLE_1)
	s_and_saveexec_b32 s1, s2
	s_cbranch_execz .LBB154_6
; %bb.5:
	global_load_u16 v6, v[3:4], off offset:128
	s_waitcnt vmcnt(0)
	v_lshlrev_b32_e32 v19, 16, v6
.LBB154_6:
	s_or_b32 exec_lo, exec_lo, s1
	v_add_nc_u32_e32 v6, 0x60, v2
	s_delay_alu instid0(VALU_DEP_1) | instskip(NEXT) | instid1(VALU_DEP_1)
	v_cmp_gt_i32_e64 s1, s74, v6
	s_and_b32 s4, s64, s1
	s_delay_alu instid0(SALU_CYCLE_1)
	s_and_saveexec_b32 s2, s4
	s_cbranch_execz .LBB154_8
; %bb.7:
	global_load_u16 v6, v[3:4], off offset:192
	s_waitcnt vmcnt(0)
	v_lshlrev_b32_e32 v20, 16, v6
.LBB154_8:
	s_or_b32 exec_lo, exec_lo, s2
	v_add_nc_u32_e32 v6, 0x80, v2
	v_dual_mov_b32 v24, 0xff800000 :: v_dual_mov_b32 v21, 0xff800000
	s_delay_alu instid0(VALU_DEP_2) | instskip(NEXT) | instid1(VALU_DEP_1)
	v_cmp_gt_i32_e64 s2, s74, v6
	s_and_b32 s5, s64, s2
	s_delay_alu instid0(SALU_CYCLE_1)
	s_and_saveexec_b32 s4, s5
	s_cbranch_execz .LBB154_10
; %bb.9:
	global_load_u16 v6, v[3:4], off offset:256
	s_waitcnt vmcnt(0)
	v_lshlrev_b32_e32 v21, 16, v6
.LBB154_10:
	s_or_b32 exec_lo, exec_lo, s4
	v_add_nc_u32_e32 v6, 0xa0, v2
	s_delay_alu instid0(VALU_DEP_1) | instskip(NEXT) | instid1(VALU_DEP_1)
	v_cmp_gt_i32_e64 s4, s74, v6
	s_and_b32 s6, s64, s4
	s_delay_alu instid0(SALU_CYCLE_1)
	s_and_saveexec_b32 s5, s6
	s_cbranch_execz .LBB154_12
; %bb.11:
	global_load_u16 v6, v[3:4], off offset:320
	s_waitcnt vmcnt(0)
	v_lshlrev_b32_e32 v24, 16, v6
.LBB154_12:
	s_or_b32 exec_lo, exec_lo, s5
	v_add_nc_u32_e32 v6, 0xc0, v2
	v_dual_mov_b32 v29, 0xff800000 :: v_dual_mov_b32 v26, 0xff800000
	;; [unrolled: 27-line block ×8, first 2 shown]
	s_delay_alu instid0(VALU_DEP_2) | instskip(NEXT) | instid1(VALU_DEP_1)
	v_cmp_gt_i32_e64 s17, s74, v6
	s_and_b32 s19, s64, s17
	s_delay_alu instid0(SALU_CYCLE_1)
	s_and_saveexec_b32 s18, s19
	s_cbranch_execz .LBB154_38
; %bb.37:
	global_load_u16 v6, v[3:4], off offset:1152
	s_waitcnt vmcnt(0)
	v_lshlrev_b32_e32 v50, 16, v6
.LBB154_38:
	s_or_b32 exec_lo, exec_lo, s18
	v_add_nc_u32_e32 v6, 0x260, v2
	s_delay_alu instid0(VALU_DEP_1) | instskip(NEXT) | instid1(VALU_DEP_1)
	v_cmp_gt_i32_e64 s18, s74, v6
	s_and_b32 s20, s64, s18
	s_delay_alu instid0(SALU_CYCLE_1)
	s_and_saveexec_b32 s19, s20
	s_cbranch_execz .LBB154_40
; %bb.39:
	global_load_u16 v6, v[3:4], off offset:1216
	s_waitcnt vmcnt(0)
	v_lshlrev_b32_e32 v51, 16, v6
.LBB154_40:
	s_or_b32 exec_lo, exec_lo, s19
	v_add_nc_u32_e32 v6, 0x280, v2
	v_mov_b32_e32 v54, 0xff800000
	v_mov_b32_e32 v52, 0xff800000
	s_delay_alu instid0(VALU_DEP_3) | instskip(NEXT) | instid1(VALU_DEP_1)
	v_cmp_gt_i32_e64 s19, s74, v6
	s_and_b32 s21, s64, s19
	s_delay_alu instid0(SALU_CYCLE_1)
	s_and_saveexec_b32 s20, s21
	s_cbranch_execz .LBB154_42
; %bb.41:
	global_load_u16 v6, v[3:4], off offset:1280
	s_waitcnt vmcnt(0)
	v_lshlrev_b32_e32 v52, 16, v6
.LBB154_42:
	s_or_b32 exec_lo, exec_lo, s20
	v_add_nc_u32_e32 v6, 0x2a0, v2
	s_delay_alu instid0(VALU_DEP_1) | instskip(NEXT) | instid1(VALU_DEP_1)
	v_cmp_gt_i32_e64 s20, s74, v6
	s_and_b32 s22, s64, s20
	s_delay_alu instid0(SALU_CYCLE_1)
	s_and_saveexec_b32 s21, s22
	s_cbranch_execz .LBB154_44
; %bb.43:
	global_load_u16 v6, v[3:4], off offset:1344
	s_waitcnt vmcnt(0)
	v_lshlrev_b32_e32 v54, 16, v6
.LBB154_44:
	s_or_b32 exec_lo, exec_lo, s21
	v_add_nc_u32_e32 v6, 0x2c0, v2
	v_dual_mov_b32 v57, 0xff800000 :: v_dual_mov_b32 v56, 0xff800000
	s_delay_alu instid0(VALU_DEP_2) | instskip(NEXT) | instid1(VALU_DEP_1)
	v_cmp_gt_i32_e64 s21, s74, v6
	s_and_b32 s23, s64, s21
	s_delay_alu instid0(SALU_CYCLE_1)
	s_and_saveexec_b32 s22, s23
	s_cbranch_execz .LBB154_46
; %bb.45:
	global_load_u16 v6, v[3:4], off offset:1408
	s_waitcnt vmcnt(0)
	v_lshlrev_b32_e32 v56, 16, v6
.LBB154_46:
	s_or_b32 exec_lo, exec_lo, s22
	v_add_nc_u32_e32 v6, 0x2e0, v2
	s_delay_alu instid0(VALU_DEP_1) | instskip(NEXT) | instid1(VALU_DEP_1)
	v_cmp_gt_i32_e64 s22, s74, v6
	s_and_b32 s24, s64, s22
	s_delay_alu instid0(SALU_CYCLE_1)
	s_and_saveexec_b32 s23, s24
	s_cbranch_execz .LBB154_48
; %bb.47:
	global_load_u16 v6, v[3:4], off offset:1472
	s_waitcnt vmcnt(0)
	v_lshlrev_b32_e32 v57, 16, v6
.LBB154_48:
	s_or_b32 exec_lo, exec_lo, s23
	v_add_nc_u32_e32 v6, 0x300, v2
	v_dual_mov_b32 v61, 0xff800000 :: v_dual_mov_b32 v58, 0xff800000
	s_delay_alu instid0(VALU_DEP_2) | instskip(NEXT) | instid1(VALU_DEP_1)
	;; [unrolled: 27-line block ×4, first 2 shown]
	v_cmp_gt_i32_e64 s27, s74, v6
	s_and_b32 s29, s64, s27
	s_delay_alu instid0(SALU_CYCLE_1)
	s_and_saveexec_b32 s28, s29
	s_cbranch_execz .LBB154_58
; %bb.57:
	global_load_u16 v6, v[3:4], off offset:1792
	s_waitcnt vmcnt(0)
	v_lshlrev_b32_e32 v64, 16, v6
.LBB154_58:
	s_or_b32 exec_lo, exec_lo, s28
	v_add_nc_u32_e32 v6, 0x3a0, v2
	s_delay_alu instid0(VALU_DEP_1) | instskip(NEXT) | instid1(VALU_DEP_1)
	v_cmp_gt_i32_e64 s28, s74, v6
	s_and_b32 s30, s64, s28
	s_delay_alu instid0(SALU_CYCLE_1)
	s_and_saveexec_b32 s29, s30
	s_cbranch_execz .LBB154_60
; %bb.59:
	global_load_u16 v6, v[3:4], off offset:1856
	s_waitcnt vmcnt(0)
	v_lshlrev_b32_e32 v67, 16, v6
.LBB154_60:
	s_or_b32 exec_lo, exec_lo, s29
	v_add_nc_u32_e32 v6, 0x3c0, v2
	v_mov_b32_e32 v72, 0xff800000
	v_mov_b32_e32 v68, 0xff800000
	s_delay_alu instid0(VALU_DEP_3) | instskip(NEXT) | instid1(VALU_DEP_1)
	v_cmp_gt_i32_e64 s29, s74, v6
	s_and_b32 s31, s64, s29
	s_delay_alu instid0(SALU_CYCLE_1)
	s_and_saveexec_b32 s30, s31
	s_cbranch_execz .LBB154_62
; %bb.61:
	global_load_u16 v6, v[3:4], off offset:1920
	s_waitcnt vmcnt(0)
	v_lshlrev_b32_e32 v68, 16, v6
.LBB154_62:
	s_or_b32 exec_lo, exec_lo, s30
	v_add_nc_u32_e32 v6, 0x3e0, v2
	s_delay_alu instid0(VALU_DEP_1) | instskip(NEXT) | instid1(VALU_DEP_1)
	v_cmp_gt_i32_e64 s30, s74, v6
	s_and_b32 s33, s64, s30
	s_delay_alu instid0(SALU_CYCLE_1)
	s_and_saveexec_b32 s31, s33
	s_cbranch_execz .LBB154_64
; %bb.63:
	global_load_u16 v6, v[3:4], off offset:1984
	s_waitcnt vmcnt(0)
	v_lshlrev_b32_e32 v72, 16, v6
.LBB154_64:
	s_or_b32 exec_lo, exec_lo, s31
	v_or_b32_e32 v6, 0x400, v2
	v_dual_mov_b32 v70, 0xff800000 :: v_dual_mov_b32 v71, 0xff800000
	s_delay_alu instid0(VALU_DEP_2) | instskip(NEXT) | instid1(VALU_DEP_1)
	v_cmp_gt_i32_e64 s31, s74, v6
	s_and_b32 s34, s64, s31
	s_delay_alu instid0(SALU_CYCLE_1)
	s_and_saveexec_b32 s33, s34
	s_cbranch_execz .LBB154_66
; %bb.65:
	global_load_u16 v6, v[3:4], off offset:2048
	s_waitcnt vmcnt(0)
	v_lshlrev_b32_e32 v71, 16, v6
.LBB154_66:
	s_or_b32 exec_lo, exec_lo, s33
	v_add_nc_u32_e32 v6, 0x420, v2
	s_delay_alu instid0(VALU_DEP_1) | instskip(NEXT) | instid1(VALU_DEP_1)
	v_cmp_gt_i32_e64 s33, s74, v6
	s_and_b32 s35, s64, s33
	s_delay_alu instid0(SALU_CYCLE_1)
	s_and_saveexec_b32 s34, s35
	s_cbranch_execz .LBB154_68
; %bb.67:
	global_load_u16 v6, v[3:4], off offset:2112
	s_waitcnt vmcnt(0)
	v_lshlrev_b32_e32 v70, 16, v6
.LBB154_68:
	s_or_b32 exec_lo, exec_lo, s34
	v_add_nc_u32_e32 v6, 0x440, v2
	v_mov_b32_e32 v65, 0xff800000
	v_mov_b32_e32 v69, 0xff800000
	s_delay_alu instid0(VALU_DEP_3) | instskip(NEXT) | instid1(VALU_DEP_1)
	v_cmp_gt_i32_e64 s34, s74, v6
	s_and_b32 s36, s64, s34
	s_delay_alu instid0(SALU_CYCLE_1)
	s_and_saveexec_b32 s35, s36
	s_cbranch_execz .LBB154_70
; %bb.69:
	global_load_u16 v6, v[3:4], off offset:2176
	s_waitcnt vmcnt(0)
	v_lshlrev_b32_e32 v69, 16, v6
.LBB154_70:
	s_or_b32 exec_lo, exec_lo, s35
	v_add_nc_u32_e32 v6, 0x460, v2
	s_delay_alu instid0(VALU_DEP_1) | instskip(NEXT) | instid1(VALU_DEP_1)
	v_cmp_gt_i32_e64 s35, s74, v6
	s_and_b32 s37, s64, s35
	s_delay_alu instid0(SALU_CYCLE_1)
	s_and_saveexec_b32 s36, s37
	s_cbranch_execz .LBB154_72
; %bb.71:
	global_load_u16 v6, v[3:4], off offset:2240
	s_waitcnt vmcnt(0)
	v_lshlrev_b32_e32 v65, 16, v6
.LBB154_72:
	s_or_b32 exec_lo, exec_lo, s36
	v_add_nc_u32_e32 v6, 0x480, v2
	v_mov_b32_e32 v60, 0xff800000
	v_mov_b32_e32 v66, 0xff800000
	s_delay_alu instid0(VALU_DEP_3) | instskip(NEXT) | instid1(VALU_DEP_1)
	;; [unrolled: 28-line block ×3, first 2 shown]
	v_cmp_gt_i32_e64 s38, s74, v6
	s_and_b32 s40, s64, s38
	s_delay_alu instid0(SALU_CYCLE_1)
	s_and_saveexec_b32 s39, s40
	s_cbranch_execz .LBB154_78
; %bb.77:
	global_load_u16 v6, v[3:4], off offset:2432
	s_waitcnt vmcnt(0)
	v_lshlrev_b32_e32 v59, 16, v6
.LBB154_78:
	s_or_b32 exec_lo, exec_lo, s39
	v_add_nc_u32_e32 v6, 0x4e0, v2
	s_delay_alu instid0(VALU_DEP_1) | instskip(NEXT) | instid1(VALU_DEP_1)
	v_cmp_gt_i32_e64 s39, s74, v6
	s_and_b32 s41, s64, s39
	s_delay_alu instid0(SALU_CYCLE_1)
	s_and_saveexec_b32 s40, s41
	s_cbranch_execz .LBB154_80
; %bb.79:
	global_load_u16 v6, v[3:4], off offset:2496
	s_waitcnt vmcnt(0)
	v_lshlrev_b32_e32 v55, 16, v6
.LBB154_80:
	s_or_b32 exec_lo, exec_lo, s40
	v_add_nc_u32_e32 v6, 0x500, v2
	v_dual_mov_b32 v48, 0xff800000 :: v_dual_mov_b32 v53, 0xff800000
	s_delay_alu instid0(VALU_DEP_2) | instskip(NEXT) | instid1(VALU_DEP_1)
	v_cmp_gt_i32_e64 s40, s74, v6
	s_and_b32 s42, s64, s40
	s_delay_alu instid0(SALU_CYCLE_1)
	s_and_saveexec_b32 s41, s42
	s_cbranch_execz .LBB154_82
; %bb.81:
	global_load_u16 v6, v[3:4], off offset:2560
	s_waitcnt vmcnt(0)
	v_lshlrev_b32_e32 v53, 16, v6
.LBB154_82:
	s_or_b32 exec_lo, exec_lo, s41
	v_add_nc_u32_e32 v6, 0x520, v2
	s_delay_alu instid0(VALU_DEP_1) | instskip(NEXT) | instid1(VALU_DEP_1)
	v_cmp_gt_i32_e64 s41, s74, v6
	s_and_b32 s43, s64, s41
	s_delay_alu instid0(SALU_CYCLE_1)
	s_and_saveexec_b32 s42, s43
	s_cbranch_execz .LBB154_84
; %bb.83:
	global_load_u16 v6, v[3:4], off offset:2624
	s_waitcnt vmcnt(0)
	v_lshlrev_b32_e32 v48, 16, v6
.LBB154_84:
	s_or_b32 exec_lo, exec_lo, s42
	v_add_nc_u32_e32 v6, 0x540, v2
	v_mov_b32_e32 v43, 0xff800000
	v_mov_b32_e32 v49, 0xff800000
	s_delay_alu instid0(VALU_DEP_3) | instskip(NEXT) | instid1(VALU_DEP_1)
	v_cmp_gt_i32_e64 s42, s74, v6
	s_and_b32 s44, s64, s42
	s_delay_alu instid0(SALU_CYCLE_1)
	s_and_saveexec_b32 s43, s44
	s_cbranch_execz .LBB154_86
; %bb.85:
	global_load_u16 v6, v[3:4], off offset:2688
	s_waitcnt vmcnt(0)
	v_lshlrev_b32_e32 v49, 16, v6
.LBB154_86:
	s_or_b32 exec_lo, exec_lo, s43
	v_add_nc_u32_e32 v6, 0x560, v2
	s_delay_alu instid0(VALU_DEP_1) | instskip(NEXT) | instid1(VALU_DEP_1)
	v_cmp_gt_i32_e64 s43, s74, v6
	s_and_b32 s45, s64, s43
	s_delay_alu instid0(SALU_CYCLE_1)
	s_and_saveexec_b32 s44, s45
	s_cbranch_execz .LBB154_88
; %bb.87:
	global_load_u16 v6, v[3:4], off offset:2752
	s_waitcnt vmcnt(0)
	v_lshlrev_b32_e32 v43, 16, v6
.LBB154_88:
	s_or_b32 exec_lo, exec_lo, s44
	v_add_nc_u32_e32 v6, 0x580, v2
	v_mov_b32_e32 v38, 0xff800000
	v_mov_b32_e32 v42, 0xff800000
	s_delay_alu instid0(VALU_DEP_3) | instskip(NEXT) | instid1(VALU_DEP_1)
	v_cmp_gt_i32_e64 s44, s74, v6
	s_and_b32 s46, s64, s44
	s_delay_alu instid0(SALU_CYCLE_1)
	s_and_saveexec_b32 s45, s46
	s_cbranch_execz .LBB154_90
; %bb.89:
	global_load_u16 v6, v[3:4], off offset:2816
	s_waitcnt vmcnt(0)
	v_lshlrev_b32_e32 v42, 16, v6
.LBB154_90:
	s_or_b32 exec_lo, exec_lo, s45
	v_add_nc_u32_e32 v6, 0x5a0, v2
	s_delay_alu instid0(VALU_DEP_1) | instskip(NEXT) | instid1(VALU_DEP_1)
	v_cmp_gt_i32_e64 s45, s74, v6
	s_and_b32 s47, s64, s45
	s_delay_alu instid0(SALU_CYCLE_1)
	s_and_saveexec_b32 s46, s47
	s_cbranch_execz .LBB154_92
; %bb.91:
	global_load_u16 v6, v[3:4], off offset:2880
	s_waitcnt vmcnt(0)
	v_lshlrev_b32_e32 v38, 16, v6
.LBB154_92:
	s_or_b32 exec_lo, exec_lo, s46
	v_add_nc_u32_e32 v6, 0x5c0, v2
	v_dual_mov_b32 v34, 0xff800000 :: v_dual_mov_b32 v37, 0xff800000
	s_delay_alu instid0(VALU_DEP_2) | instskip(NEXT) | instid1(VALU_DEP_1)
	v_cmp_gt_i32_e64 s46, s74, v6
	s_and_b32 s48, s64, s46
	s_delay_alu instid0(SALU_CYCLE_1)
	s_and_saveexec_b32 s47, s48
	s_cbranch_execz .LBB154_94
; %bb.93:
	global_load_u16 v6, v[3:4], off offset:2944
	s_waitcnt vmcnt(0)
	v_lshlrev_b32_e32 v37, 16, v6
.LBB154_94:
	s_or_b32 exec_lo, exec_lo, s47
	v_add_nc_u32_e32 v6, 0x5e0, v2
	s_delay_alu instid0(VALU_DEP_1) | instskip(NEXT) | instid1(VALU_DEP_1)
	v_cmp_gt_i32_e64 s47, s74, v6
	s_and_b32 s49, s64, s47
	s_delay_alu instid0(SALU_CYCLE_1)
	s_and_saveexec_b32 s48, s49
	s_cbranch_execz .LBB154_96
; %bb.95:
	global_load_u16 v6, v[3:4], off offset:3008
	s_waitcnt vmcnt(0)
	v_lshlrev_b32_e32 v34, 16, v6
.LBB154_96:
	s_or_b32 exec_lo, exec_lo, s48
	v_add_nc_u32_e32 v6, 0x600, v2
	v_dual_mov_b32 v32, 0xff800000 :: v_dual_mov_b32 v35, 0xff800000
	s_delay_alu instid0(VALU_DEP_2) | instskip(NEXT) | instid1(VALU_DEP_1)
	;; [unrolled: 27-line block ×4, first 2 shown]
	v_cmp_gt_i32_e64 s52, s74, v6
	s_and_b32 s54, s64, s52
	s_delay_alu instid0(SALU_CYCLE_1)
	s_and_saveexec_b32 s53, s54
	s_cbranch_execz .LBB154_106
; %bb.105:
	global_load_u16 v6, v[3:4], off offset:3328
	s_waitcnt vmcnt(0)
	v_lshlrev_b32_e32 v27, 16, v6
.LBB154_106:
	s_or_b32 exec_lo, exec_lo, s53
	v_add_nc_u32_e32 v6, 0x6a0, v2
	s_delay_alu instid0(VALU_DEP_1) | instskip(NEXT) | instid1(VALU_DEP_1)
	v_cmp_gt_i32_e64 s53, s74, v6
	s_and_b32 s55, s64, s53
	s_delay_alu instid0(SALU_CYCLE_1)
	s_and_saveexec_b32 s54, s55
	s_cbranch_execz .LBB154_108
; %bb.107:
	global_load_u16 v6, v[3:4], off offset:3392
	s_waitcnt vmcnt(0)
	v_lshlrev_b32_e32 v22, 16, v6
.LBB154_108:
	s_or_b32 exec_lo, exec_lo, s54
	v_add_nc_u32_e32 v6, 0x6c0, v2
	v_mov_b32_e32 v17, 0xff800000
	v_mov_b32_e32 v23, 0xff800000
	s_delay_alu instid0(VALU_DEP_3) | instskip(NEXT) | instid1(VALU_DEP_1)
	v_cmp_gt_i32_e64 s54, s74, v6
	s_and_b32 s56, s64, s54
	s_delay_alu instid0(SALU_CYCLE_1)
	s_and_saveexec_b32 s55, s56
	s_cbranch_execz .LBB154_110
; %bb.109:
	global_load_u16 v6, v[3:4], off offset:3456
	s_waitcnt vmcnt(0)
	v_lshlrev_b32_e32 v23, 16, v6
.LBB154_110:
	s_or_b32 exec_lo, exec_lo, s55
	v_add_nc_u32_e32 v6, 0x6e0, v2
	s_delay_alu instid0(VALU_DEP_1) | instskip(NEXT) | instid1(VALU_DEP_1)
	v_cmp_gt_i32_e64 s55, s74, v6
	s_and_b32 s57, s64, s55
	s_delay_alu instid0(SALU_CYCLE_1)
	s_and_saveexec_b32 s56, s57
	s_cbranch_execz .LBB154_112
; %bb.111:
	global_load_u16 v6, v[3:4], off offset:3520
	s_waitcnt vmcnt(0)
	v_lshlrev_b32_e32 v17, 16, v6
.LBB154_112:
	s_or_b32 exec_lo, exec_lo, s56
	v_add_nc_u32_e32 v6, 0x700, v2
	v_mov_b32_e32 v12, 0xff800000
	v_mov_b32_e32 v16, 0xff800000
	s_delay_alu instid0(VALU_DEP_3) | instskip(NEXT) | instid1(VALU_DEP_1)
	v_cmp_gt_i32_e64 s56, s74, v6
	s_and_b32 s58, s64, s56
	s_delay_alu instid0(SALU_CYCLE_1)
	s_and_saveexec_b32 s57, s58
	s_cbranch_execz .LBB154_114
; %bb.113:
	global_load_u16 v6, v[3:4], off offset:3584
	s_waitcnt vmcnt(0)
	v_lshlrev_b32_e32 v16, 16, v6
.LBB154_114:
	s_or_b32 exec_lo, exec_lo, s57
	v_add_nc_u32_e32 v6, 0x720, v2
	s_delay_alu instid0(VALU_DEP_1) | instskip(NEXT) | instid1(VALU_DEP_1)
	v_cmp_gt_i32_e64 s57, s74, v6
	s_and_b32 s59, s64, s57
	s_delay_alu instid0(SALU_CYCLE_1)
	s_and_saveexec_b32 s58, s59
	s_cbranch_execz .LBB154_116
; %bb.115:
	global_load_u16 v6, v[3:4], off offset:3648
	s_waitcnt vmcnt(0)
	v_lshlrev_b32_e32 v12, 16, v6
.LBB154_116:
	s_or_b32 exec_lo, exec_lo, s58
	v_add_nc_u32_e32 v6, 0x740, v2
	v_dual_mov_b32 v10, 0xff800000 :: v_dual_mov_b32 v11, 0xff800000
	s_delay_alu instid0(VALU_DEP_2) | instskip(NEXT) | instid1(VALU_DEP_1)
	v_cmp_gt_i32_e64 s58, s74, v6
	s_and_b32 s60, s64, s58
	s_delay_alu instid0(SALU_CYCLE_1)
	s_and_saveexec_b32 s59, s60
	s_cbranch_execz .LBB154_118
; %bb.117:
	global_load_u16 v6, v[3:4], off offset:3712
	s_waitcnt vmcnt(0)
	v_lshlrev_b32_e32 v11, 16, v6
.LBB154_118:
	s_or_b32 exec_lo, exec_lo, s59
	v_add_nc_u32_e32 v6, 0x760, v2
	s_delay_alu instid0(VALU_DEP_1) | instskip(NEXT) | instid1(VALU_DEP_1)
	v_cmp_gt_i32_e64 s59, s74, v6
	s_and_b32 s61, s64, s59
	s_delay_alu instid0(SALU_CYCLE_1)
	s_and_saveexec_b32 s60, s61
	s_cbranch_execz .LBB154_120
; %bb.119:
	global_load_u16 v6, v[3:4], off offset:3776
	s_waitcnt vmcnt(0)
	v_lshlrev_b32_e32 v10, 16, v6
.LBB154_120:
	s_or_b32 exec_lo, exec_lo, s60
	v_add_nc_u32_e32 v6, 0x780, v2
	v_mov_b32_e32 v7, 0xff800000
	v_mov_b32_e32 v9, 0xff800000
	s_delay_alu instid0(VALU_DEP_3) | instskip(NEXT) | instid1(VALU_DEP_1)
	v_cmp_gt_i32_e64 s60, s74, v6
	s_and_b32 s62, s64, s60
	s_delay_alu instid0(SALU_CYCLE_1)
	s_and_saveexec_b32 s61, s62
	s_cbranch_execz .LBB154_122
; %bb.121:
	global_load_u16 v6, v[3:4], off offset:3840
	s_waitcnt vmcnt(0)
	v_lshlrev_b32_e32 v9, 16, v6
.LBB154_122:
	s_or_b32 exec_lo, exec_lo, s61
	v_add_nc_u32_e32 v6, 0x7a0, v2
	s_delay_alu instid0(VALU_DEP_1) | instskip(NEXT) | instid1(VALU_DEP_1)
	v_cmp_gt_i32_e64 s61, s74, v6
	s_and_b32 s63, s64, s61
	s_delay_alu instid0(SALU_CYCLE_1)
	s_and_saveexec_b32 s62, s63
	s_cbranch_execz .LBB154_124
; %bb.123:
	global_load_u16 v6, v[3:4], off offset:3904
	s_waitcnt vmcnt(0)
	v_lshlrev_b32_e32 v7, 16, v6
.LBB154_124:
	s_or_b32 exec_lo, exec_lo, s62
	v_add_nc_u32_e32 v6, 0x7c0, v2
	v_mov_b32_e32 v8, 0xff800000
	s_delay_alu instid0(VALU_DEP_2) | instskip(SKIP_1) | instid1(VALU_DEP_2)
	v_cmp_gt_i32_e64 s62, s74, v6
	v_mov_b32_e32 v6, 0xff800000
	s_and_b32 s65, s64, s62
	s_delay_alu instid0(SALU_CYCLE_1)
	s_and_saveexec_b32 s63, s65
	s_cbranch_execz .LBB154_126
; %bb.125:
	global_load_u16 v8, v[3:4], off offset:3968
	s_waitcnt vmcnt(0)
	v_lshlrev_b32_e32 v8, 16, v8
.LBB154_126:
	s_or_b32 exec_lo, exec_lo, s63
	v_add_nc_u32_e32 v2, 0x7e0, v2
	s_delay_alu instid0(VALU_DEP_1) | instskip(NEXT) | instid1(VALU_DEP_1)
	v_cmp_gt_i32_e64 s63, s74, v2
	s_and_b32 s65, s64, s63
	s_delay_alu instid0(SALU_CYCLE_1)
	s_and_saveexec_b32 s64, s65
	s_cbranch_execz .LBB154_128
; %bb.127:
	global_load_u16 v2, v[3:4], off offset:4032
	s_waitcnt vmcnt(0)
	v_lshlrev_b32_e32 v6, 16, v2
.LBB154_128:
	s_or_b32 exec_lo, exec_lo, s64
	v_cmp_gt_f32_e64 s64, v73, v14
	v_mbcnt_lo_u32_b32 v18, -1, 0
	s_mov_b32 s65, exec_lo
	s_delay_alu instid0(VALU_DEP_2) | instskip(NEXT) | instid1(VALU_DEP_1)
	v_cndmask_b32_e64 v2, v14, v73, s64
	v_cmp_gt_f32_e64 s64, v2, v19
	s_delay_alu instid0(VALU_DEP_1) | instskip(NEXT) | instid1(VALU_DEP_1)
	v_cndmask_b32_e64 v2, v19, v2, s64
	v_cmp_gt_f32_e64 s64, v2, v20
	s_delay_alu instid0(VALU_DEP_1) | instskip(NEXT) | instid1(VALU_DEP_1)
	;; [unrolled: 3-line block ×61, first 2 shown]
	v_cndmask_b32_e64 v2, v8, v2, s64
	v_cmp_gt_f32_e64 s64, v2, v6
	s_delay_alu instid0(VALU_DEP_1) | instskip(SKIP_1) | instid1(VALU_DEP_1)
	v_cndmask_b32_e64 v3, v6, v2, s64
	v_xor_b32_e32 v2, 16, v18
	v_cmp_gt_i32_e64 s64, 32, v2
	s_delay_alu instid0(VALU_DEP_1) | instskip(NEXT) | instid1(VALU_DEP_1)
	v_cndmask_b32_e64 v2, v18, v2, s64
	v_lshlrev_b32_e32 v2, 2, v2
	ds_bpermute_b32 v4, v2, v3
	s_waitcnt lgkmcnt(0)
	v_cmp_lt_f32_e64 s64, v3, v4
	s_delay_alu instid0(VALU_DEP_1) | instskip(SKIP_1) | instid1(VALU_DEP_1)
	v_cndmask_b32_e64 v3, v3, v4, s64
	v_xor_b32_e32 v4, 8, v18
	v_cmp_gt_i32_e64 s64, 32, v4
	s_delay_alu instid0(VALU_DEP_1) | instskip(NEXT) | instid1(VALU_DEP_1)
	v_cndmask_b32_e64 v4, v18, v4, s64
	v_lshlrev_b32_e32 v4, 2, v4
	ds_bpermute_b32 v13, v4, v3
	s_waitcnt lgkmcnt(0)
	v_cmp_lt_f32_e64 s64, v3, v13
	;; [unrolled: 10-line block ×5, first 2 shown]
	s_delay_alu instid0(VALU_DEP_1) | instskip(NEXT) | instid1(VALU_DEP_1)
	v_cndmask_b32_e64 v25, v3, v25, s64
	v_sub_f32_e32 v3, v73, v25
	v_sub_f32_e32 v14, v14, v25
	;; [unrolled: 1-line block ×4, first 2 shown]
	s_delay_alu instid0(VALU_DEP_4)
	v_dual_sub_f32 v24, v24, v25 :: v_dual_mul_f32 v73, 0x3fb8aa3b, v3
	v_cmp_ngt_f32_e64 s64, 0xc2ce8ed0, v3
	v_sub_f32_e32 v26, v26, v25
	v_sub_f32_e32 v29, v29, v25
	;; [unrolled: 1-line block ×3, first 2 shown]
	v_fma_f32 v74, 0x3fb8aa3b, v3, -v73
	v_rndne_f32_e32 v75, v73
	v_sub_f32_e32 v33, v33, v25
	v_sub_f32_e32 v36, v36, v25
	s_delay_alu instid0(VALU_DEP_4) | instskip(NEXT) | instid1(VALU_DEP_4)
	v_dual_sub_f32 v39, v39, v25 :: v_dual_fmac_f32 v74, 0x32a5705f, v3
	v_dual_sub_f32 v73, v73, v75 :: v_dual_sub_f32 v40, v40, v25
	v_sub_f32_e32 v41, v41, v25
	v_sub_f32_e32 v44, v44, v25
	;; [unrolled: 1-line block ×3, first 2 shown]
	s_delay_alu instid0(VALU_DEP_4)
	v_add_f32_e32 v73, v73, v74
	v_cvt_i32_f32_e32 v74, v75
	v_sub_f32_e32 v46, v46, v25
	v_sub_f32_e32 v47, v47, v25
	;; [unrolled: 1-line block ×3, first 2 shown]
	v_exp_f32_e32 v73, v73
	v_sub_f32_e32 v51, v51, v25
	v_sub_f32_e32 v52, v52, v25
	;; [unrolled: 1-line block ×9, first 2 shown]
	v_ldexp_f32 v73, v73, v74
	v_dual_mul_f32 v74, 0x3fb8aa3b, v14 :: v_dual_sub_f32 v63, v63, v25
	v_sub_f32_e32 v64, v64, v25
	v_sub_f32_e32 v67, v67, v25
	s_delay_alu instid0(VALU_DEP_4) | instskip(NEXT) | instid1(VALU_DEP_4)
	v_cndmask_b32_e64 v73, 0, v73, s64
	v_fma_f32 v75, 0x3fb8aa3b, v14, -v74
	v_rndne_f32_e32 v76, v74
	v_cmp_nlt_f32_e64 s64, 0x42b17218, v3
	v_sub_f32_e32 v68, v68, v25
	s_delay_alu instid0(VALU_DEP_4) | instskip(NEXT) | instid1(VALU_DEP_4)
	v_dual_sub_f32 v72, v72, v25 :: v_dual_fmac_f32 v75, 0x32a5705f, v14
	v_sub_f32_e32 v74, v74, v76
	s_delay_alu instid0(VALU_DEP_4)
	v_cndmask_b32_e64 v73, 0x7f800000, v73, s64
	v_cmp_ngt_f32_e64 s64, 0xc2ce8ed0, v14
	v_sub_f32_e32 v71, v71, v25
	v_sub_f32_e32 v70, v70, v25
	v_add_f32_e32 v74, v74, v75
	v_cvt_i32_f32_e32 v75, v76
	v_sub_f32_e32 v69, v69, v25
	v_sub_f32_e32 v65, v65, v25
	v_sub_f32_e32 v66, v66, v25
	v_exp_f32_e32 v74, v74
	v_sub_f32_e32 v60, v60, v25
	v_sub_f32_e32 v59, v59, v25
	v_sub_f32_e32 v55, v55, v25
	v_sub_f32_e32 v53, v53, v25
	v_sub_f32_e32 v48, v48, v25
	v_sub_f32_e32 v49, v49, v25
	v_sub_f32_e32 v43, v43, v25
	v_sub_f32_e32 v42, v42, v25
	v_sub_f32_e32 v38, v38, v25
	v_ldexp_f32 v74, v74, v75
	v_sub_f32_e32 v37, v37, v25
	v_sub_f32_e32 v34, v34, v25
	;; [unrolled: 1-line block ×4, first 2 shown]
	v_cndmask_b32_e64 v74, 0, v74, s64
	v_cmp_nlt_f32_e64 s64, 0x42b17218, v14
	v_sub_f32_e32 v31, v31, v25
	v_sub_f32_e32 v28, v28, v25
	;; [unrolled: 1-line block ×4, first 2 shown]
	v_cndmask_b32_e64 v74, 0x7f800000, v74, s64
	v_cmp_ngt_f32_e64 s64, 0xc2ce8ed0, v19
	v_sub_f32_e32 v23, v23, v25
	v_sub_f32_e32 v17, v17, v25
	s_delay_alu instid0(VALU_DEP_4)
	v_dual_sub_f32 v16, v16, v25 :: v_dual_add_f32 v73, v73, v74
	v_mul_f32_e32 v74, 0x3fb8aa3b, v19
	v_sub_f32_e32 v12, v12, v25
	v_sub_f32_e32 v11, v11, v25
	;; [unrolled: 1-line block ×4, first 2 shown]
	v_fma_f32 v75, 0x3fb8aa3b, v19, -v74
	v_rndne_f32_e32 v76, v74
	v_sub_f32_e32 v21, v21, v25
	v_sub_f32_e32 v7, v7, v25
	s_delay_alu instid0(VALU_DEP_4) | instskip(NEXT) | instid1(VALU_DEP_4)
	v_dual_sub_f32 v8, v8, v25 :: v_dual_fmac_f32 v75, 0x32a5705f, v19
	v_dual_sub_f32 v74, v74, v76 :: v_dual_mul_f32 v25, 0x3fb8aa3b, v6
	s_delay_alu instid0(VALU_DEP_1) | instskip(SKIP_1) | instid1(VALU_DEP_2)
	v_add_f32_e32 v74, v74, v75
	v_cvt_i32_f32_e32 v75, v76
	v_exp_f32_e32 v74, v74
	s_waitcnt_depctr 0xfff
	v_ldexp_f32 v74, v74, v75
	s_delay_alu instid0(VALU_DEP_1) | instskip(SKIP_1) | instid1(VALU_DEP_1)
	v_cndmask_b32_e64 v74, 0, v74, s64
	v_cmp_nlt_f32_e64 s64, 0x42b17218, v19
	v_cndmask_b32_e64 v74, 0x7f800000, v74, s64
	v_cmp_ngt_f32_e64 s64, 0xc2ce8ed0, v20
	s_delay_alu instid0(VALU_DEP_2) | instskip(NEXT) | instid1(VALU_DEP_1)
	v_dual_add_f32 v73, v73, v74 :: v_dual_mul_f32 v74, 0x3fb8aa3b, v20
	v_fma_f32 v75, 0x3fb8aa3b, v20, -v74
	v_rndne_f32_e32 v76, v74
	s_delay_alu instid0(VALU_DEP_2) | instskip(NEXT) | instid1(VALU_DEP_2)
	v_fmac_f32_e32 v75, 0x32a5705f, v20
	v_sub_f32_e32 v74, v74, v76
	s_delay_alu instid0(VALU_DEP_1) | instskip(SKIP_1) | instid1(VALU_DEP_2)
	v_add_f32_e32 v74, v74, v75
	v_cvt_i32_f32_e32 v75, v76
	v_exp_f32_e32 v74, v74
	s_waitcnt_depctr 0xfff
	v_ldexp_f32 v74, v74, v75
	s_delay_alu instid0(VALU_DEP_1) | instskip(SKIP_1) | instid1(VALU_DEP_1)
	v_cndmask_b32_e64 v74, 0, v74, s64
	v_cmp_nlt_f32_e64 s64, 0x42b17218, v20
	v_cndmask_b32_e64 v74, 0x7f800000, v74, s64
	v_cmp_ngt_f32_e64 s64, 0xc2ce8ed0, v21
	s_delay_alu instid0(VALU_DEP_2) | instskip(NEXT) | instid1(VALU_DEP_1)
	v_dual_add_f32 v73, v73, v74 :: v_dual_mul_f32 v74, 0x3fb8aa3b, v21
	v_fma_f32 v75, 0x3fb8aa3b, v21, -v74
	v_rndne_f32_e32 v76, v74
	s_delay_alu instid0(VALU_DEP_1) | instskip(NEXT) | instid1(VALU_DEP_1)
	v_dual_fmac_f32 v75, 0x32a5705f, v21 :: v_dual_sub_f32 v74, v74, v76
	v_add_f32_e32 v74, v74, v75
	v_cvt_i32_f32_e32 v75, v76
	s_delay_alu instid0(VALU_DEP_2) | instskip(SKIP_2) | instid1(VALU_DEP_1)
	v_exp_f32_e32 v74, v74
	s_waitcnt_depctr 0xfff
	v_ldexp_f32 v74, v74, v75
	v_cndmask_b32_e64 v74, 0, v74, s64
	v_cmp_nlt_f32_e64 s64, 0x42b17218, v21
	s_delay_alu instid0(VALU_DEP_1) | instskip(SKIP_1) | instid1(VALU_DEP_2)
	v_cndmask_b32_e64 v74, 0x7f800000, v74, s64
	v_cmp_ngt_f32_e64 s64, 0xc2ce8ed0, v24
	v_dual_add_f32 v73, v73, v74 :: v_dual_mul_f32 v74, 0x3fb8aa3b, v24
	s_delay_alu instid0(VALU_DEP_1) | instskip(SKIP_1) | instid1(VALU_DEP_2)
	v_fma_f32 v75, 0x3fb8aa3b, v24, -v74
	v_rndne_f32_e32 v76, v74
	v_fmac_f32_e32 v75, 0x32a5705f, v24
	s_delay_alu instid0(VALU_DEP_2) | instskip(NEXT) | instid1(VALU_DEP_1)
	v_sub_f32_e32 v74, v74, v76
	v_add_f32_e32 v74, v74, v75
	v_cvt_i32_f32_e32 v75, v76
	s_delay_alu instid0(VALU_DEP_2) | instskip(SKIP_2) | instid1(VALU_DEP_1)
	v_exp_f32_e32 v74, v74
	s_waitcnt_depctr 0xfff
	v_ldexp_f32 v74, v74, v75
	v_cndmask_b32_e64 v74, 0, v74, s64
	v_cmp_nlt_f32_e64 s64, 0x42b17218, v24
	s_delay_alu instid0(VALU_DEP_1) | instskip(SKIP_1) | instid1(VALU_DEP_2)
	v_cndmask_b32_e64 v74, 0x7f800000, v74, s64
	v_cmp_ngt_f32_e64 s64, 0xc2ce8ed0, v26
	v_add_f32_e32 v73, v73, v74
	v_mul_f32_e32 v74, 0x3fb8aa3b, v26
	s_delay_alu instid0(VALU_DEP_1) | instskip(SKIP_1) | instid1(VALU_DEP_1)
	v_fma_f32 v75, 0x3fb8aa3b, v26, -v74
	v_rndne_f32_e32 v76, v74
	v_dual_fmac_f32 v75, 0x32a5705f, v26 :: v_dual_sub_f32 v74, v74, v76
	s_delay_alu instid0(VALU_DEP_1) | instskip(SKIP_1) | instid1(VALU_DEP_2)
	v_add_f32_e32 v74, v74, v75
	v_cvt_i32_f32_e32 v75, v76
	v_exp_f32_e32 v74, v74
	s_waitcnt_depctr 0xfff
	v_ldexp_f32 v74, v74, v75
	s_delay_alu instid0(VALU_DEP_1) | instskip(SKIP_1) | instid1(VALU_DEP_1)
	v_cndmask_b32_e64 v74, 0, v74, s64
	v_cmp_nlt_f32_e64 s64, 0x42b17218, v26
	v_cndmask_b32_e64 v74, 0x7f800000, v74, s64
	s_delay_alu instid0(VALU_DEP_1) | instskip(NEXT) | instid1(VALU_DEP_1)
	v_dual_add_f32 v73, v73, v74 :: v_dual_mul_f32 v74, 0x3fb8aa3b, v29
	v_fma_f32 v75, 0x3fb8aa3b, v29, -v74
	v_rndne_f32_e32 v76, v74
	s_delay_alu instid0(VALU_DEP_1) | instskip(SKIP_1) | instid1(VALU_DEP_2)
	v_dual_sub_f32 v74, v74, v76 :: v_dual_fmac_f32 v75, 0x32a5705f, v29
	v_cmp_ngt_f32_e64 s64, 0xc2ce8ed0, v29
	v_add_f32_e32 v74, v74, v75
	v_cvt_i32_f32_e32 v75, v76
	s_delay_alu instid0(VALU_DEP_2) | instskip(SKIP_2) | instid1(VALU_DEP_1)
	v_exp_f32_e32 v74, v74
	s_waitcnt_depctr 0xfff
	v_ldexp_f32 v74, v74, v75
	v_cndmask_b32_e64 v74, 0, v74, s64
	v_cmp_nlt_f32_e64 s64, 0x42b17218, v29
	s_delay_alu instid0(VALU_DEP_1) | instskip(SKIP_1) | instid1(VALU_DEP_2)
	v_cndmask_b32_e64 v74, 0x7f800000, v74, s64
	v_cmp_ngt_f32_e64 s64, 0xc2ce8ed0, v30
	v_add_f32_e32 v73, v73, v74
	v_mul_f32_e32 v74, 0x3fb8aa3b, v30
	s_delay_alu instid0(VALU_DEP_1) | instskip(SKIP_1) | instid1(VALU_DEP_1)
	v_fma_f32 v75, 0x3fb8aa3b, v30, -v74
	v_rndne_f32_e32 v76, v74
	v_dual_fmac_f32 v75, 0x32a5705f, v30 :: v_dual_sub_f32 v74, v74, v76
	s_delay_alu instid0(VALU_DEP_1) | instskip(SKIP_1) | instid1(VALU_DEP_2)
	v_add_f32_e32 v74, v74, v75
	v_cvt_i32_f32_e32 v75, v76
	v_exp_f32_e32 v74, v74
	s_waitcnt_depctr 0xfff
	v_ldexp_f32 v74, v74, v75
	s_delay_alu instid0(VALU_DEP_1) | instskip(SKIP_1) | instid1(VALU_DEP_1)
	v_cndmask_b32_e64 v74, 0, v74, s64
	v_cmp_nlt_f32_e64 s64, 0x42b17218, v30
	v_cndmask_b32_e64 v74, 0x7f800000, v74, s64
	s_delay_alu instid0(VALU_DEP_1) | instskip(NEXT) | instid1(VALU_DEP_1)
	v_dual_add_f32 v73, v73, v74 :: v_dual_mul_f32 v74, 0x3fb8aa3b, v33
	v_fma_f32 v75, 0x3fb8aa3b, v33, -v74
	v_rndne_f32_e32 v76, v74
	s_delay_alu instid0(VALU_DEP_1) | instskip(SKIP_1) | instid1(VALU_DEP_2)
	v_dual_sub_f32 v74, v74, v76 :: v_dual_fmac_f32 v75, 0x32a5705f, v33
	v_cmp_ngt_f32_e64 s64, 0xc2ce8ed0, v33
	v_add_f32_e32 v74, v74, v75
	v_cvt_i32_f32_e32 v75, v76
	s_delay_alu instid0(VALU_DEP_2) | instskip(SKIP_2) | instid1(VALU_DEP_1)
	v_exp_f32_e32 v74, v74
	s_waitcnt_depctr 0xfff
	v_ldexp_f32 v74, v74, v75
	v_cndmask_b32_e64 v74, 0, v74, s64
	v_cmp_nlt_f32_e64 s64, 0x42b17218, v33
	s_delay_alu instid0(VALU_DEP_1) | instskip(SKIP_1) | instid1(VALU_DEP_2)
	v_cndmask_b32_e64 v74, 0x7f800000, v74, s64
	v_cmp_ngt_f32_e64 s64, 0xc2ce8ed0, v36
	v_dual_add_f32 v73, v73, v74 :: v_dual_mul_f32 v74, 0x3fb8aa3b, v36
	s_delay_alu instid0(VALU_DEP_1) | instskip(SKIP_1) | instid1(VALU_DEP_2)
	v_fma_f32 v75, 0x3fb8aa3b, v36, -v74
	v_rndne_f32_e32 v76, v74
	v_fmac_f32_e32 v75, 0x32a5705f, v36
	s_delay_alu instid0(VALU_DEP_2) | instskip(NEXT) | instid1(VALU_DEP_1)
	v_sub_f32_e32 v74, v74, v76
	v_add_f32_e32 v74, v74, v75
	v_cvt_i32_f32_e32 v75, v76
	s_delay_alu instid0(VALU_DEP_2) | instskip(SKIP_2) | instid1(VALU_DEP_1)
	v_exp_f32_e32 v74, v74
	s_waitcnt_depctr 0xfff
	v_ldexp_f32 v74, v74, v75
	v_cndmask_b32_e64 v74, 0, v74, s64
	v_cmp_nlt_f32_e64 s64, 0x42b17218, v36
	s_delay_alu instid0(VALU_DEP_1) | instskip(NEXT) | instid1(VALU_DEP_1)
	v_cndmask_b32_e64 v74, 0x7f800000, v74, s64
	v_dual_add_f32 v73, v73, v74 :: v_dual_mul_f32 v74, 0x3fb8aa3b, v39
	s_delay_alu instid0(VALU_DEP_1) | instskip(SKIP_1) | instid1(VALU_DEP_1)
	v_fma_f32 v75, 0x3fb8aa3b, v39, -v74
	v_rndne_f32_e32 v76, v74
	v_dual_sub_f32 v74, v74, v76 :: v_dual_fmac_f32 v75, 0x32a5705f, v39
	v_cmp_ngt_f32_e64 s64, 0xc2ce8ed0, v39
	s_delay_alu instid0(VALU_DEP_2) | instskip(SKIP_1) | instid1(VALU_DEP_2)
	v_add_f32_e32 v74, v74, v75
	v_cvt_i32_f32_e32 v75, v76
	v_exp_f32_e32 v74, v74
	s_waitcnt_depctr 0xfff
	v_ldexp_f32 v74, v74, v75
	s_delay_alu instid0(VALU_DEP_1) | instskip(SKIP_1) | instid1(VALU_DEP_1)
	v_cndmask_b32_e64 v74, 0, v74, s64
	v_cmp_nlt_f32_e64 s64, 0x42b17218, v39
	v_cndmask_b32_e64 v74, 0x7f800000, v74, s64
	v_cmp_ngt_f32_e64 s64, 0xc2ce8ed0, v40
	s_delay_alu instid0(VALU_DEP_2) | instskip(NEXT) | instid1(VALU_DEP_1)
	v_dual_add_f32 v73, v73, v74 :: v_dual_mul_f32 v74, 0x3fb8aa3b, v40
	v_fma_f32 v75, 0x3fb8aa3b, v40, -v74
	v_rndne_f32_e32 v76, v74
	s_delay_alu instid0(VALU_DEP_2) | instskip(NEXT) | instid1(VALU_DEP_2)
	v_fmac_f32_e32 v75, 0x32a5705f, v40
	v_sub_f32_e32 v74, v74, v76
	s_delay_alu instid0(VALU_DEP_1) | instskip(SKIP_1) | instid1(VALU_DEP_2)
	v_add_f32_e32 v74, v74, v75
	v_cvt_i32_f32_e32 v75, v76
	v_exp_f32_e32 v74, v74
	s_waitcnt_depctr 0xfff
	v_ldexp_f32 v74, v74, v75
	s_delay_alu instid0(VALU_DEP_1) | instskip(SKIP_1) | instid1(VALU_DEP_1)
	v_cndmask_b32_e64 v74, 0, v74, s64
	v_cmp_nlt_f32_e64 s64, 0x42b17218, v40
	v_cndmask_b32_e64 v74, 0x7f800000, v74, s64
	s_delay_alu instid0(VALU_DEP_1) | instskip(NEXT) | instid1(VALU_DEP_1)
	v_dual_add_f32 v73, v73, v74 :: v_dual_mul_f32 v74, 0x3fb8aa3b, v41
	v_fma_f32 v75, 0x3fb8aa3b, v41, -v74
	v_rndne_f32_e32 v76, v74
	s_delay_alu instid0(VALU_DEP_1) | instskip(SKIP_1) | instid1(VALU_DEP_2)
	v_dual_sub_f32 v74, v74, v76 :: v_dual_fmac_f32 v75, 0x32a5705f, v41
	v_cmp_ngt_f32_e64 s64, 0xc2ce8ed0, v41
	v_add_f32_e32 v74, v74, v75
	v_cvt_i32_f32_e32 v75, v76
	s_delay_alu instid0(VALU_DEP_2) | instskip(SKIP_2) | instid1(VALU_DEP_1)
	v_exp_f32_e32 v74, v74
	s_waitcnt_depctr 0xfff
	v_ldexp_f32 v74, v74, v75
	v_cndmask_b32_e64 v74, 0, v74, s64
	v_cmp_nlt_f32_e64 s64, 0x42b17218, v41
	s_delay_alu instid0(VALU_DEP_1) | instskip(SKIP_1) | instid1(VALU_DEP_2)
	v_cndmask_b32_e64 v74, 0x7f800000, v74, s64
	v_cmp_ngt_f32_e64 s64, 0xc2ce8ed0, v44
	v_dual_add_f32 v73, v73, v74 :: v_dual_mul_f32 v74, 0x3fb8aa3b, v44
	s_delay_alu instid0(VALU_DEP_1) | instskip(SKIP_1) | instid1(VALU_DEP_2)
	v_fma_f32 v75, 0x3fb8aa3b, v44, -v74
	v_rndne_f32_e32 v76, v74
	v_fmac_f32_e32 v75, 0x32a5705f, v44
	s_delay_alu instid0(VALU_DEP_2) | instskip(NEXT) | instid1(VALU_DEP_1)
	v_sub_f32_e32 v74, v74, v76
	v_add_f32_e32 v74, v74, v75
	v_cvt_i32_f32_e32 v75, v76
	s_delay_alu instid0(VALU_DEP_2) | instskip(SKIP_2) | instid1(VALU_DEP_1)
	v_exp_f32_e32 v74, v74
	s_waitcnt_depctr 0xfff
	v_ldexp_f32 v74, v74, v75
	v_cndmask_b32_e64 v74, 0, v74, s64
	v_cmp_nlt_f32_e64 s64, 0x42b17218, v44
	s_delay_alu instid0(VALU_DEP_1) | instskip(NEXT) | instid1(VALU_DEP_1)
	v_cndmask_b32_e64 v74, 0x7f800000, v74, s64
	v_dual_add_f32 v73, v73, v74 :: v_dual_mul_f32 v74, 0x3fb8aa3b, v45
	s_delay_alu instid0(VALU_DEP_1) | instskip(SKIP_1) | instid1(VALU_DEP_1)
	v_fma_f32 v75, 0x3fb8aa3b, v45, -v74
	v_rndne_f32_e32 v76, v74
	v_dual_sub_f32 v74, v74, v76 :: v_dual_fmac_f32 v75, 0x32a5705f, v45
	v_cmp_ngt_f32_e64 s64, 0xc2ce8ed0, v45
	s_delay_alu instid0(VALU_DEP_2) | instskip(SKIP_1) | instid1(VALU_DEP_2)
	v_add_f32_e32 v74, v74, v75
	v_cvt_i32_f32_e32 v75, v76
	v_exp_f32_e32 v74, v74
	s_waitcnt_depctr 0xfff
	v_ldexp_f32 v74, v74, v75
	s_delay_alu instid0(VALU_DEP_1) | instskip(SKIP_1) | instid1(VALU_DEP_1)
	v_cndmask_b32_e64 v74, 0, v74, s64
	v_cmp_nlt_f32_e64 s64, 0x42b17218, v45
	v_cndmask_b32_e64 v74, 0x7f800000, v74, s64
	v_cmp_ngt_f32_e64 s64, 0xc2ce8ed0, v46
	s_delay_alu instid0(VALU_DEP_2) | instskip(SKIP_1) | instid1(VALU_DEP_1)
	v_add_f32_e32 v73, v73, v74
	v_mul_f32_e32 v74, 0x3fb8aa3b, v46
	v_fma_f32 v75, 0x3fb8aa3b, v46, -v74
	v_rndne_f32_e32 v76, v74
	s_delay_alu instid0(VALU_DEP_1) | instskip(NEXT) | instid1(VALU_DEP_1)
	v_dual_fmac_f32 v75, 0x32a5705f, v46 :: v_dual_sub_f32 v74, v74, v76
	v_add_f32_e32 v74, v74, v75
	v_cvt_i32_f32_e32 v75, v76
	s_delay_alu instid0(VALU_DEP_2) | instskip(SKIP_2) | instid1(VALU_DEP_1)
	v_exp_f32_e32 v74, v74
	s_waitcnt_depctr 0xfff
	v_ldexp_f32 v74, v74, v75
	v_cndmask_b32_e64 v74, 0, v74, s64
	v_cmp_nlt_f32_e64 s64, 0x42b17218, v46
	s_delay_alu instid0(VALU_DEP_1) | instskip(NEXT) | instid1(VALU_DEP_1)
	v_cndmask_b32_e64 v74, 0x7f800000, v74, s64
	v_dual_add_f32 v73, v73, v74 :: v_dual_mul_f32 v74, 0x3fb8aa3b, v47
	s_delay_alu instid0(VALU_DEP_1) | instskip(SKIP_1) | instid1(VALU_DEP_1)
	v_fma_f32 v75, 0x3fb8aa3b, v47, -v74
	v_rndne_f32_e32 v76, v74
	v_dual_sub_f32 v74, v74, v76 :: v_dual_fmac_f32 v75, 0x32a5705f, v47
	v_cmp_ngt_f32_e64 s64, 0xc2ce8ed0, v47
	s_delay_alu instid0(VALU_DEP_2) | instskip(SKIP_1) | instid1(VALU_DEP_2)
	v_add_f32_e32 v74, v74, v75
	v_cvt_i32_f32_e32 v75, v76
	v_exp_f32_e32 v74, v74
	s_waitcnt_depctr 0xfff
	v_ldexp_f32 v74, v74, v75
	s_delay_alu instid0(VALU_DEP_1) | instskip(SKIP_1) | instid1(VALU_DEP_1)
	v_cndmask_b32_e64 v74, 0, v74, s64
	v_cmp_nlt_f32_e64 s64, 0x42b17218, v47
	v_cndmask_b32_e64 v74, 0x7f800000, v74, s64
	v_cmp_ngt_f32_e64 s64, 0xc2ce8ed0, v50
	s_delay_alu instid0(VALU_DEP_2) | instskip(SKIP_1) | instid1(VALU_DEP_1)
	v_add_f32_e32 v73, v73, v74
	v_mul_f32_e32 v74, 0x3fb8aa3b, v50
	v_fma_f32 v75, 0x3fb8aa3b, v50, -v74
	v_rndne_f32_e32 v76, v74
	s_delay_alu instid0(VALU_DEP_1) | instskip(NEXT) | instid1(VALU_DEP_1)
	v_dual_fmac_f32 v75, 0x32a5705f, v50 :: v_dual_sub_f32 v74, v74, v76
	v_add_f32_e32 v74, v74, v75
	v_cvt_i32_f32_e32 v75, v76
	s_delay_alu instid0(VALU_DEP_2) | instskip(SKIP_2) | instid1(VALU_DEP_1)
	v_exp_f32_e32 v74, v74
	s_waitcnt_depctr 0xfff
	v_ldexp_f32 v74, v74, v75
	v_cndmask_b32_e64 v74, 0, v74, s64
	v_cmp_nlt_f32_e64 s64, 0x42b17218, v50
	s_delay_alu instid0(VALU_DEP_1) | instskip(NEXT) | instid1(VALU_DEP_1)
	v_cndmask_b32_e64 v74, 0x7f800000, v74, s64
	v_dual_add_f32 v73, v73, v74 :: v_dual_mul_f32 v74, 0x3fb8aa3b, v51
	s_delay_alu instid0(VALU_DEP_1) | instskip(SKIP_1) | instid1(VALU_DEP_1)
	v_fma_f32 v75, 0x3fb8aa3b, v51, -v74
	v_rndne_f32_e32 v76, v74
	v_dual_sub_f32 v74, v74, v76 :: v_dual_fmac_f32 v75, 0x32a5705f, v51
	v_cmp_ngt_f32_e64 s64, 0xc2ce8ed0, v51
	s_delay_alu instid0(VALU_DEP_2) | instskip(SKIP_1) | instid1(VALU_DEP_2)
	v_add_f32_e32 v74, v74, v75
	v_cvt_i32_f32_e32 v75, v76
	v_exp_f32_e32 v74, v74
	s_waitcnt_depctr 0xfff
	v_ldexp_f32 v74, v74, v75
	s_delay_alu instid0(VALU_DEP_1) | instskip(SKIP_1) | instid1(VALU_DEP_1)
	v_cndmask_b32_e64 v74, 0, v74, s64
	v_cmp_nlt_f32_e64 s64, 0x42b17218, v51
	v_cndmask_b32_e64 v74, 0x7f800000, v74, s64
	v_cmp_ngt_f32_e64 s64, 0xc2ce8ed0, v52
	s_delay_alu instid0(VALU_DEP_2) | instskip(NEXT) | instid1(VALU_DEP_1)
	v_dual_add_f32 v73, v73, v74 :: v_dual_mul_f32 v74, 0x3fb8aa3b, v52
	v_fma_f32 v75, 0x3fb8aa3b, v52, -v74
	v_rndne_f32_e32 v76, v74
	s_delay_alu instid0(VALU_DEP_2) | instskip(NEXT) | instid1(VALU_DEP_2)
	v_fmac_f32_e32 v75, 0x32a5705f, v52
	v_sub_f32_e32 v74, v74, v76
	s_delay_alu instid0(VALU_DEP_1) | instskip(SKIP_1) | instid1(VALU_DEP_2)
	v_add_f32_e32 v74, v74, v75
	v_cvt_i32_f32_e32 v75, v76
	v_exp_f32_e32 v74, v74
	s_waitcnt_depctr 0xfff
	v_ldexp_f32 v74, v74, v75
	s_delay_alu instid0(VALU_DEP_1) | instskip(SKIP_1) | instid1(VALU_DEP_1)
	v_cndmask_b32_e64 v74, 0, v74, s64
	v_cmp_nlt_f32_e64 s64, 0x42b17218, v52
	v_cndmask_b32_e64 v74, 0x7f800000, v74, s64
	v_cmp_ngt_f32_e64 s64, 0xc2ce8ed0, v54
	s_delay_alu instid0(VALU_DEP_2) | instskip(SKIP_1) | instid1(VALU_DEP_1)
	v_add_f32_e32 v73, v73, v74
	v_mul_f32_e32 v74, 0x3fb8aa3b, v54
	v_fma_f32 v75, 0x3fb8aa3b, v54, -v74
	v_rndne_f32_e32 v76, v74
	s_delay_alu instid0(VALU_DEP_1) | instskip(NEXT) | instid1(VALU_DEP_1)
	v_dual_fmac_f32 v75, 0x32a5705f, v54 :: v_dual_sub_f32 v74, v74, v76
	v_add_f32_e32 v74, v74, v75
	v_cvt_i32_f32_e32 v75, v76
	s_delay_alu instid0(VALU_DEP_2) | instskip(SKIP_2) | instid1(VALU_DEP_1)
	v_exp_f32_e32 v74, v74
	s_waitcnt_depctr 0xfff
	v_ldexp_f32 v74, v74, v75
	v_cndmask_b32_e64 v74, 0, v74, s64
	v_cmp_nlt_f32_e64 s64, 0x42b17218, v54
	s_delay_alu instid0(VALU_DEP_1) | instskip(SKIP_1) | instid1(VALU_DEP_2)
	v_cndmask_b32_e64 v74, 0x7f800000, v74, s64
	v_cmp_ngt_f32_e64 s64, 0xc2ce8ed0, v56
	v_dual_add_f32 v73, v73, v74 :: v_dual_mul_f32 v74, 0x3fb8aa3b, v56
	s_delay_alu instid0(VALU_DEP_1) | instskip(SKIP_1) | instid1(VALU_DEP_2)
	v_fma_f32 v75, 0x3fb8aa3b, v56, -v74
	v_rndne_f32_e32 v76, v74
	v_fmac_f32_e32 v75, 0x32a5705f, v56
	s_delay_alu instid0(VALU_DEP_2) | instskip(NEXT) | instid1(VALU_DEP_1)
	v_sub_f32_e32 v74, v74, v76
	v_add_f32_e32 v74, v74, v75
	v_cvt_i32_f32_e32 v75, v76
	s_delay_alu instid0(VALU_DEP_2) | instskip(SKIP_2) | instid1(VALU_DEP_1)
	v_exp_f32_e32 v74, v74
	s_waitcnt_depctr 0xfff
	v_ldexp_f32 v74, v74, v75
	v_cndmask_b32_e64 v74, 0, v74, s64
	v_cmp_nlt_f32_e64 s64, 0x42b17218, v56
	s_delay_alu instid0(VALU_DEP_1) | instskip(NEXT) | instid1(VALU_DEP_1)
	v_cndmask_b32_e64 v74, 0x7f800000, v74, s64
	v_dual_add_f32 v73, v73, v74 :: v_dual_mul_f32 v74, 0x3fb8aa3b, v57
	s_delay_alu instid0(VALU_DEP_1) | instskip(SKIP_1) | instid1(VALU_DEP_1)
	v_fma_f32 v75, 0x3fb8aa3b, v57, -v74
	v_rndne_f32_e32 v76, v74
	v_dual_sub_f32 v74, v74, v76 :: v_dual_fmac_f32 v75, 0x32a5705f, v57
	v_cmp_ngt_f32_e64 s64, 0xc2ce8ed0, v57
	s_delay_alu instid0(VALU_DEP_2) | instskip(SKIP_1) | instid1(VALU_DEP_2)
	v_add_f32_e32 v74, v74, v75
	v_cvt_i32_f32_e32 v75, v76
	v_exp_f32_e32 v74, v74
	s_waitcnt_depctr 0xfff
	v_ldexp_f32 v74, v74, v75
	s_delay_alu instid0(VALU_DEP_1) | instskip(SKIP_1) | instid1(VALU_DEP_1)
	v_cndmask_b32_e64 v74, 0, v74, s64
	v_cmp_nlt_f32_e64 s64, 0x42b17218, v57
	v_cndmask_b32_e64 v74, 0x7f800000, v74, s64
	v_cmp_ngt_f32_e64 s64, 0xc2ce8ed0, v58
	s_delay_alu instid0(VALU_DEP_2) | instskip(SKIP_1) | instid1(VALU_DEP_1)
	v_add_f32_e32 v73, v73, v74
	v_mul_f32_e32 v74, 0x3fb8aa3b, v58
	v_fma_f32 v75, 0x3fb8aa3b, v58, -v74
	v_rndne_f32_e32 v76, v74
	s_delay_alu instid0(VALU_DEP_1) | instskip(NEXT) | instid1(VALU_DEP_1)
	v_dual_fmac_f32 v75, 0x32a5705f, v58 :: v_dual_sub_f32 v74, v74, v76
	v_add_f32_e32 v74, v74, v75
	v_cvt_i32_f32_e32 v75, v76
	s_delay_alu instid0(VALU_DEP_2) | instskip(SKIP_2) | instid1(VALU_DEP_1)
	v_exp_f32_e32 v74, v74
	s_waitcnt_depctr 0xfff
	v_ldexp_f32 v74, v74, v75
	v_cndmask_b32_e64 v74, 0, v74, s64
	v_cmp_nlt_f32_e64 s64, 0x42b17218, v58
	s_delay_alu instid0(VALU_DEP_1) | instskip(NEXT) | instid1(VALU_DEP_1)
	v_cndmask_b32_e64 v74, 0x7f800000, v74, s64
	v_dual_add_f32 v73, v73, v74 :: v_dual_mul_f32 v74, 0x3fb8aa3b, v61
	s_delay_alu instid0(VALU_DEP_1) | instskip(SKIP_1) | instid1(VALU_DEP_1)
	v_fma_f32 v75, 0x3fb8aa3b, v61, -v74
	v_rndne_f32_e32 v76, v74
	v_dual_sub_f32 v74, v74, v76 :: v_dual_fmac_f32 v75, 0x32a5705f, v61
	v_cmp_ngt_f32_e64 s64, 0xc2ce8ed0, v61
	s_delay_alu instid0(VALU_DEP_2) | instskip(SKIP_1) | instid1(VALU_DEP_2)
	v_add_f32_e32 v74, v74, v75
	v_cvt_i32_f32_e32 v75, v76
	v_exp_f32_e32 v74, v74
	s_waitcnt_depctr 0xfff
	v_ldexp_f32 v74, v74, v75
	s_delay_alu instid0(VALU_DEP_1) | instskip(SKIP_1) | instid1(VALU_DEP_1)
	v_cndmask_b32_e64 v74, 0, v74, s64
	v_cmp_nlt_f32_e64 s64, 0x42b17218, v61
	v_cndmask_b32_e64 v74, 0x7f800000, v74, s64
	v_cmp_ngt_f32_e64 s64, 0xc2ce8ed0, v62
	s_delay_alu instid0(VALU_DEP_2) | instskip(SKIP_1) | instid1(VALU_DEP_1)
	v_add_f32_e32 v73, v73, v74
	v_mul_f32_e32 v74, 0x3fb8aa3b, v62
	v_fma_f32 v75, 0x3fb8aa3b, v62, -v74
	v_rndne_f32_e32 v76, v74
	s_delay_alu instid0(VALU_DEP_1) | instskip(NEXT) | instid1(VALU_DEP_1)
	v_dual_fmac_f32 v75, 0x32a5705f, v62 :: v_dual_sub_f32 v74, v74, v76
	v_add_f32_e32 v74, v74, v75
	v_cvt_i32_f32_e32 v75, v76
	s_delay_alu instid0(VALU_DEP_2) | instskip(SKIP_2) | instid1(VALU_DEP_1)
	v_exp_f32_e32 v74, v74
	s_waitcnt_depctr 0xfff
	v_ldexp_f32 v74, v74, v75
	v_cndmask_b32_e64 v74, 0, v74, s64
	v_cmp_nlt_f32_e64 s64, 0x42b17218, v62
	s_delay_alu instid0(VALU_DEP_1) | instskip(NEXT) | instid1(VALU_DEP_1)
	v_cndmask_b32_e64 v74, 0x7f800000, v74, s64
	v_dual_add_f32 v73, v73, v74 :: v_dual_mul_f32 v74, 0x3fb8aa3b, v63
	s_delay_alu instid0(VALU_DEP_1) | instskip(SKIP_1) | instid1(VALU_DEP_1)
	v_fma_f32 v75, 0x3fb8aa3b, v63, -v74
	v_rndne_f32_e32 v76, v74
	v_dual_sub_f32 v74, v74, v76 :: v_dual_fmac_f32 v75, 0x32a5705f, v63
	v_cmp_ngt_f32_e64 s64, 0xc2ce8ed0, v63
	s_delay_alu instid0(VALU_DEP_2) | instskip(SKIP_1) | instid1(VALU_DEP_2)
	v_add_f32_e32 v74, v74, v75
	v_cvt_i32_f32_e32 v75, v76
	v_exp_f32_e32 v74, v74
	s_waitcnt_depctr 0xfff
	v_ldexp_f32 v74, v74, v75
	s_delay_alu instid0(VALU_DEP_1) | instskip(SKIP_1) | instid1(VALU_DEP_1)
	v_cndmask_b32_e64 v74, 0, v74, s64
	v_cmp_nlt_f32_e64 s64, 0x42b17218, v63
	v_cndmask_b32_e64 v74, 0x7f800000, v74, s64
	v_cmp_ngt_f32_e64 s64, 0xc2ce8ed0, v64
	s_delay_alu instid0(VALU_DEP_2) | instskip(NEXT) | instid1(VALU_DEP_1)
	v_dual_add_f32 v73, v73, v74 :: v_dual_mul_f32 v74, 0x3fb8aa3b, v64
	v_fma_f32 v75, 0x3fb8aa3b, v64, -v74
	v_rndne_f32_e32 v76, v74
	s_delay_alu instid0(VALU_DEP_2) | instskip(NEXT) | instid1(VALU_DEP_2)
	v_fmac_f32_e32 v75, 0x32a5705f, v64
	v_sub_f32_e32 v74, v74, v76
	s_delay_alu instid0(VALU_DEP_1) | instskip(SKIP_1) | instid1(VALU_DEP_2)
	v_add_f32_e32 v74, v74, v75
	v_cvt_i32_f32_e32 v75, v76
	v_exp_f32_e32 v74, v74
	s_waitcnt_depctr 0xfff
	v_ldexp_f32 v74, v74, v75
	s_delay_alu instid0(VALU_DEP_1) | instskip(SKIP_1) | instid1(VALU_DEP_1)
	v_cndmask_b32_e64 v74, 0, v74, s64
	v_cmp_nlt_f32_e64 s64, 0x42b17218, v64
	v_cndmask_b32_e64 v74, 0x7f800000, v74, s64
	s_delay_alu instid0(VALU_DEP_1) | instskip(NEXT) | instid1(VALU_DEP_1)
	v_dual_add_f32 v73, v73, v74 :: v_dual_mul_f32 v74, 0x3fb8aa3b, v67
	v_fma_f32 v75, 0x3fb8aa3b, v67, -v74
	v_rndne_f32_e32 v76, v74
	s_delay_alu instid0(VALU_DEP_1) | instskip(SKIP_1) | instid1(VALU_DEP_2)
	v_dual_sub_f32 v74, v74, v76 :: v_dual_fmac_f32 v75, 0x32a5705f, v67
	v_cmp_ngt_f32_e64 s64, 0xc2ce8ed0, v67
	v_add_f32_e32 v74, v74, v75
	v_cvt_i32_f32_e32 v75, v76
	s_delay_alu instid0(VALU_DEP_2) | instskip(SKIP_2) | instid1(VALU_DEP_1)
	v_exp_f32_e32 v74, v74
	s_waitcnt_depctr 0xfff
	v_ldexp_f32 v74, v74, v75
	v_cndmask_b32_e64 v74, 0, v74, s64
	v_cmp_nlt_f32_e64 s64, 0x42b17218, v67
	s_delay_alu instid0(VALU_DEP_1) | instskip(SKIP_1) | instid1(VALU_DEP_2)
	v_cndmask_b32_e64 v74, 0x7f800000, v74, s64
	v_cmp_ngt_f32_e64 s64, 0xc2ce8ed0, v68
	v_dual_add_f32 v73, v73, v74 :: v_dual_mul_f32 v74, 0x3fb8aa3b, v68
	s_delay_alu instid0(VALU_DEP_1) | instskip(SKIP_1) | instid1(VALU_DEP_2)
	v_fma_f32 v75, 0x3fb8aa3b, v68, -v74
	v_rndne_f32_e32 v76, v74
	v_fmac_f32_e32 v75, 0x32a5705f, v68
	s_delay_alu instid0(VALU_DEP_2) | instskip(NEXT) | instid1(VALU_DEP_1)
	v_sub_f32_e32 v74, v74, v76
	v_add_f32_e32 v74, v74, v75
	v_cvt_i32_f32_e32 v75, v76
	s_delay_alu instid0(VALU_DEP_2) | instskip(SKIP_2) | instid1(VALU_DEP_1)
	v_exp_f32_e32 v74, v74
	s_waitcnt_depctr 0xfff
	v_ldexp_f32 v74, v74, v75
	v_cndmask_b32_e64 v74, 0, v74, s64
	v_cmp_nlt_f32_e64 s64, 0x42b17218, v68
	s_delay_alu instid0(VALU_DEP_1) | instskip(SKIP_1) | instid1(VALU_DEP_2)
	v_cndmask_b32_e64 v74, 0x7f800000, v74, s64
	v_cmp_ngt_f32_e64 s64, 0xc2ce8ed0, v72
	v_dual_add_f32 v73, v73, v74 :: v_dual_mul_f32 v74, 0x3fb8aa3b, v72
	s_delay_alu instid0(VALU_DEP_1) | instskip(SKIP_1) | instid1(VALU_DEP_2)
	v_fma_f32 v75, 0x3fb8aa3b, v72, -v74
	v_rndne_f32_e32 v76, v74
	v_fmac_f32_e32 v75, 0x32a5705f, v72
	s_delay_alu instid0(VALU_DEP_2) | instskip(NEXT) | instid1(VALU_DEP_1)
	v_sub_f32_e32 v74, v74, v76
	v_add_f32_e32 v74, v74, v75
	v_cvt_i32_f32_e32 v75, v76
	s_delay_alu instid0(VALU_DEP_2) | instskip(SKIP_2) | instid1(VALU_DEP_1)
	v_exp_f32_e32 v74, v74
	s_waitcnt_depctr 0xfff
	v_ldexp_f32 v74, v74, v75
	v_cndmask_b32_e64 v74, 0, v74, s64
	v_cmp_nlt_f32_e64 s64, 0x42b17218, v72
	s_delay_alu instid0(VALU_DEP_1) | instskip(NEXT) | instid1(VALU_DEP_1)
	v_cndmask_b32_e64 v74, 0x7f800000, v74, s64
	v_dual_add_f32 v73, v73, v74 :: v_dual_mul_f32 v74, 0x3fb8aa3b, v71
	s_delay_alu instid0(VALU_DEP_1) | instskip(SKIP_1) | instid1(VALU_DEP_1)
	v_fma_f32 v75, 0x3fb8aa3b, v71, -v74
	v_rndne_f32_e32 v76, v74
	v_dual_sub_f32 v74, v74, v76 :: v_dual_fmac_f32 v75, 0x32a5705f, v71
	v_cmp_ngt_f32_e64 s64, 0xc2ce8ed0, v71
	s_delay_alu instid0(VALU_DEP_2) | instskip(SKIP_1) | instid1(VALU_DEP_2)
	v_add_f32_e32 v74, v74, v75
	v_cvt_i32_f32_e32 v75, v76
	v_exp_f32_e32 v74, v74
	s_waitcnt_depctr 0xfff
	v_ldexp_f32 v74, v74, v75
	s_delay_alu instid0(VALU_DEP_1) | instskip(SKIP_1) | instid1(VALU_DEP_1)
	v_cndmask_b32_e64 v74, 0, v74, s64
	v_cmp_nlt_f32_e64 s64, 0x42b17218, v71
	v_cndmask_b32_e64 v74, 0x7f800000, v74, s64
	v_cmp_ngt_f32_e64 s64, 0xc2ce8ed0, v70
	s_delay_alu instid0(VALU_DEP_2) | instskip(SKIP_1) | instid1(VALU_DEP_1)
	v_add_f32_e32 v73, v73, v74
	v_mul_f32_e32 v74, 0x3fb8aa3b, v70
	v_fma_f32 v75, 0x3fb8aa3b, v70, -v74
	v_rndne_f32_e32 v76, v74
	s_delay_alu instid0(VALU_DEP_1) | instskip(NEXT) | instid1(VALU_DEP_1)
	v_dual_fmac_f32 v75, 0x32a5705f, v70 :: v_dual_sub_f32 v74, v74, v76
	v_add_f32_e32 v74, v74, v75
	v_cvt_i32_f32_e32 v75, v76
	s_delay_alu instid0(VALU_DEP_2) | instskip(SKIP_2) | instid1(VALU_DEP_1)
	v_exp_f32_e32 v74, v74
	s_waitcnt_depctr 0xfff
	v_ldexp_f32 v74, v74, v75
	v_cndmask_b32_e64 v74, 0, v74, s64
	v_cmp_nlt_f32_e64 s64, 0x42b17218, v70
	s_delay_alu instid0(VALU_DEP_1) | instskip(NEXT) | instid1(VALU_DEP_1)
	v_cndmask_b32_e64 v74, 0x7f800000, v74, s64
	v_dual_add_f32 v73, v73, v74 :: v_dual_mul_f32 v74, 0x3fb8aa3b, v69
	s_delay_alu instid0(VALU_DEP_1) | instskip(SKIP_1) | instid1(VALU_DEP_1)
	v_fma_f32 v75, 0x3fb8aa3b, v69, -v74
	v_rndne_f32_e32 v76, v74
	v_dual_sub_f32 v74, v74, v76 :: v_dual_fmac_f32 v75, 0x32a5705f, v69
	v_cmp_ngt_f32_e64 s64, 0xc2ce8ed0, v69
	s_delay_alu instid0(VALU_DEP_2) | instskip(SKIP_1) | instid1(VALU_DEP_2)
	v_add_f32_e32 v74, v74, v75
	v_cvt_i32_f32_e32 v75, v76
	v_exp_f32_e32 v74, v74
	s_waitcnt_depctr 0xfff
	v_ldexp_f32 v74, v74, v75
	s_delay_alu instid0(VALU_DEP_1) | instskip(SKIP_1) | instid1(VALU_DEP_1)
	v_cndmask_b32_e64 v74, 0, v74, s64
	v_cmp_nlt_f32_e64 s64, 0x42b17218, v69
	v_cndmask_b32_e64 v74, 0x7f800000, v74, s64
	s_delay_alu instid0(VALU_DEP_1) | instskip(NEXT) | instid1(VALU_DEP_1)
	v_dual_add_f32 v73, v73, v74 :: v_dual_mul_f32 v74, 0x3fb8aa3b, v65
	v_fma_f32 v75, 0x3fb8aa3b, v65, -v74
	v_rndne_f32_e32 v76, v74
	s_delay_alu instid0(VALU_DEP_1) | instskip(SKIP_1) | instid1(VALU_DEP_2)
	v_dual_sub_f32 v74, v74, v76 :: v_dual_fmac_f32 v75, 0x32a5705f, v65
	v_cmp_ngt_f32_e64 s64, 0xc2ce8ed0, v65
	v_add_f32_e32 v74, v74, v75
	v_cvt_i32_f32_e32 v75, v76
	s_delay_alu instid0(VALU_DEP_2) | instskip(SKIP_2) | instid1(VALU_DEP_1)
	v_exp_f32_e32 v74, v74
	s_waitcnt_depctr 0xfff
	v_ldexp_f32 v74, v74, v75
	v_cndmask_b32_e64 v74, 0, v74, s64
	v_cmp_nlt_f32_e64 s64, 0x42b17218, v65
	s_delay_alu instid0(VALU_DEP_1) | instskip(SKIP_1) | instid1(VALU_DEP_2)
	v_cndmask_b32_e64 v74, 0x7f800000, v74, s64
	v_cmp_ngt_f32_e64 s64, 0xc2ce8ed0, v66
	v_add_f32_e32 v73, v73, v74
	v_mul_f32_e32 v74, 0x3fb8aa3b, v66
	s_delay_alu instid0(VALU_DEP_1) | instskip(SKIP_1) | instid1(VALU_DEP_1)
	v_fma_f32 v75, 0x3fb8aa3b, v66, -v74
	v_rndne_f32_e32 v76, v74
	v_dual_fmac_f32 v75, 0x32a5705f, v66 :: v_dual_sub_f32 v74, v74, v76
	s_delay_alu instid0(VALU_DEP_1) | instskip(SKIP_1) | instid1(VALU_DEP_2)
	v_add_f32_e32 v74, v74, v75
	v_cvt_i32_f32_e32 v75, v76
	v_exp_f32_e32 v74, v74
	s_waitcnt_depctr 0xfff
	v_ldexp_f32 v74, v74, v75
	s_delay_alu instid0(VALU_DEP_1) | instskip(SKIP_1) | instid1(VALU_DEP_1)
	v_cndmask_b32_e64 v74, 0, v74, s64
	v_cmp_nlt_f32_e64 s64, 0x42b17218, v66
	v_cndmask_b32_e64 v74, 0x7f800000, v74, s64
	v_cmp_ngt_f32_e64 s64, 0xc2ce8ed0, v60
	s_delay_alu instid0(VALU_DEP_2) | instskip(NEXT) | instid1(VALU_DEP_1)
	v_dual_add_f32 v73, v73, v74 :: v_dual_mul_f32 v74, 0x3fb8aa3b, v60
	v_fma_f32 v75, 0x3fb8aa3b, v60, -v74
	v_rndne_f32_e32 v76, v74
	s_delay_alu instid0(VALU_DEP_2) | instskip(NEXT) | instid1(VALU_DEP_2)
	v_fmac_f32_e32 v75, 0x32a5705f, v60
	v_sub_f32_e32 v74, v74, v76
	s_delay_alu instid0(VALU_DEP_1) | instskip(SKIP_1) | instid1(VALU_DEP_2)
	v_add_f32_e32 v74, v74, v75
	v_cvt_i32_f32_e32 v75, v76
	v_exp_f32_e32 v74, v74
	s_waitcnt_depctr 0xfff
	v_ldexp_f32 v74, v74, v75
	s_delay_alu instid0(VALU_DEP_1) | instskip(SKIP_1) | instid1(VALU_DEP_1)
	v_cndmask_b32_e64 v74, 0, v74, s64
	v_cmp_nlt_f32_e64 s64, 0x42b17218, v60
	v_cndmask_b32_e64 v74, 0x7f800000, v74, s64
	s_delay_alu instid0(VALU_DEP_1) | instskip(NEXT) | instid1(VALU_DEP_1)
	v_dual_add_f32 v73, v73, v74 :: v_dual_mul_f32 v74, 0x3fb8aa3b, v59
	v_fma_f32 v75, 0x3fb8aa3b, v59, -v74
	v_rndne_f32_e32 v76, v74
	s_delay_alu instid0(VALU_DEP_1) | instskip(SKIP_1) | instid1(VALU_DEP_2)
	v_dual_sub_f32 v74, v74, v76 :: v_dual_fmac_f32 v75, 0x32a5705f, v59
	v_cmp_ngt_f32_e64 s64, 0xc2ce8ed0, v59
	v_add_f32_e32 v74, v74, v75
	v_cvt_i32_f32_e32 v75, v76
	s_delay_alu instid0(VALU_DEP_2) | instskip(SKIP_2) | instid1(VALU_DEP_1)
	v_exp_f32_e32 v74, v74
	s_waitcnt_depctr 0xfff
	v_ldexp_f32 v74, v74, v75
	v_cndmask_b32_e64 v74, 0, v74, s64
	v_cmp_nlt_f32_e64 s64, 0x42b17218, v59
	s_delay_alu instid0(VALU_DEP_1) | instskip(NEXT) | instid1(VALU_DEP_1)
	v_cndmask_b32_e64 v74, 0x7f800000, v74, s64
	v_dual_add_f32 v73, v73, v74 :: v_dual_mul_f32 v74, 0x3fb8aa3b, v55
	s_delay_alu instid0(VALU_DEP_1) | instskip(SKIP_1) | instid1(VALU_DEP_1)
	v_fma_f32 v75, 0x3fb8aa3b, v55, -v74
	v_rndne_f32_e32 v76, v74
	v_dual_sub_f32 v74, v74, v76 :: v_dual_fmac_f32 v75, 0x32a5705f, v55
	v_cmp_ngt_f32_e64 s64, 0xc2ce8ed0, v55
	s_delay_alu instid0(VALU_DEP_2) | instskip(SKIP_1) | instid1(VALU_DEP_2)
	v_add_f32_e32 v74, v74, v75
	v_cvt_i32_f32_e32 v75, v76
	v_exp_f32_e32 v74, v74
	s_waitcnt_depctr 0xfff
	v_ldexp_f32 v74, v74, v75
	s_delay_alu instid0(VALU_DEP_1) | instskip(SKIP_1) | instid1(VALU_DEP_1)
	v_cndmask_b32_e64 v74, 0, v74, s64
	v_cmp_nlt_f32_e64 s64, 0x42b17218, v55
	v_cndmask_b32_e64 v74, 0x7f800000, v74, s64
	s_delay_alu instid0(VALU_DEP_1) | instskip(NEXT) | instid1(VALU_DEP_1)
	v_dual_add_f32 v73, v73, v74 :: v_dual_mul_f32 v74, 0x3fb8aa3b, v53
	v_fma_f32 v75, 0x3fb8aa3b, v53, -v74
	v_rndne_f32_e32 v76, v74
	s_delay_alu instid0(VALU_DEP_1) | instskip(SKIP_1) | instid1(VALU_DEP_2)
	v_dual_sub_f32 v74, v74, v76 :: v_dual_fmac_f32 v75, 0x32a5705f, v53
	v_cmp_ngt_f32_e64 s64, 0xc2ce8ed0, v53
	v_add_f32_e32 v74, v74, v75
	v_cvt_i32_f32_e32 v75, v76
	s_delay_alu instid0(VALU_DEP_2) | instskip(SKIP_2) | instid1(VALU_DEP_1)
	v_exp_f32_e32 v74, v74
	s_waitcnt_depctr 0xfff
	v_ldexp_f32 v74, v74, v75
	v_cndmask_b32_e64 v74, 0, v74, s64
	v_cmp_nlt_f32_e64 s64, 0x42b17218, v53
	s_delay_alu instid0(VALU_DEP_1) | instskip(SKIP_1) | instid1(VALU_DEP_2)
	v_cndmask_b32_e64 v74, 0x7f800000, v74, s64
	v_cmp_ngt_f32_e64 s64, 0xc2ce8ed0, v48
	v_dual_add_f32 v73, v73, v74 :: v_dual_mul_f32 v74, 0x3fb8aa3b, v48
	s_delay_alu instid0(VALU_DEP_1) | instskip(SKIP_1) | instid1(VALU_DEP_2)
	v_fma_f32 v75, 0x3fb8aa3b, v48, -v74
	v_rndne_f32_e32 v76, v74
	v_fmac_f32_e32 v75, 0x32a5705f, v48
	s_delay_alu instid0(VALU_DEP_2) | instskip(NEXT) | instid1(VALU_DEP_1)
	v_sub_f32_e32 v74, v74, v76
	v_add_f32_e32 v74, v74, v75
	v_cvt_i32_f32_e32 v75, v76
	s_delay_alu instid0(VALU_DEP_2) | instskip(SKIP_2) | instid1(VALU_DEP_1)
	v_exp_f32_e32 v74, v74
	s_waitcnt_depctr 0xfff
	v_ldexp_f32 v74, v74, v75
	v_cndmask_b32_e64 v74, 0, v74, s64
	v_cmp_nlt_f32_e64 s64, 0x42b17218, v48
	s_delay_alu instid0(VALU_DEP_1) | instskip(NEXT) | instid1(VALU_DEP_1)
	v_cndmask_b32_e64 v74, 0x7f800000, v74, s64
	v_dual_add_f32 v73, v73, v74 :: v_dual_mul_f32 v74, 0x3fb8aa3b, v49
	s_delay_alu instid0(VALU_DEP_1) | instskip(SKIP_1) | instid1(VALU_DEP_1)
	v_fma_f32 v75, 0x3fb8aa3b, v49, -v74
	v_rndne_f32_e32 v76, v74
	v_dual_sub_f32 v74, v74, v76 :: v_dual_fmac_f32 v75, 0x32a5705f, v49
	v_cmp_ngt_f32_e64 s64, 0xc2ce8ed0, v49
	s_delay_alu instid0(VALU_DEP_2) | instskip(SKIP_1) | instid1(VALU_DEP_2)
	v_add_f32_e32 v74, v74, v75
	v_cvt_i32_f32_e32 v75, v76
	v_exp_f32_e32 v74, v74
	s_waitcnt_depctr 0xfff
	v_ldexp_f32 v74, v74, v75
	s_delay_alu instid0(VALU_DEP_1) | instskip(SKIP_1) | instid1(VALU_DEP_1)
	v_cndmask_b32_e64 v74, 0, v74, s64
	v_cmp_nlt_f32_e64 s64, 0x42b17218, v49
	v_cndmask_b32_e64 v74, 0x7f800000, v74, s64
	s_delay_alu instid0(VALU_DEP_1) | instskip(NEXT) | instid1(VALU_DEP_1)
	v_dual_add_f32 v73, v73, v74 :: v_dual_mul_f32 v74, 0x3fb8aa3b, v43
	v_fma_f32 v75, 0x3fb8aa3b, v43, -v74
	v_rndne_f32_e32 v76, v74
	s_delay_alu instid0(VALU_DEP_1) | instskip(SKIP_1) | instid1(VALU_DEP_2)
	v_dual_sub_f32 v74, v74, v76 :: v_dual_fmac_f32 v75, 0x32a5705f, v43
	v_cmp_ngt_f32_e64 s64, 0xc2ce8ed0, v43
	v_add_f32_e32 v74, v74, v75
	v_cvt_i32_f32_e32 v75, v76
	s_delay_alu instid0(VALU_DEP_2) | instskip(SKIP_2) | instid1(VALU_DEP_1)
	v_exp_f32_e32 v74, v74
	s_waitcnt_depctr 0xfff
	v_ldexp_f32 v74, v74, v75
	v_cndmask_b32_e64 v74, 0, v74, s64
	v_cmp_nlt_f32_e64 s64, 0x42b17218, v43
	s_delay_alu instid0(VALU_DEP_1) | instskip(SKIP_1) | instid1(VALU_DEP_2)
	v_cndmask_b32_e64 v74, 0x7f800000, v74, s64
	v_cmp_ngt_f32_e64 s64, 0xc2ce8ed0, v42
	v_add_f32_e32 v73, v73, v74
	v_mul_f32_e32 v74, 0x3fb8aa3b, v42
	s_delay_alu instid0(VALU_DEP_1) | instskip(SKIP_1) | instid1(VALU_DEP_1)
	v_fma_f32 v75, 0x3fb8aa3b, v42, -v74
	v_rndne_f32_e32 v76, v74
	v_dual_fmac_f32 v75, 0x32a5705f, v42 :: v_dual_sub_f32 v74, v74, v76
	s_delay_alu instid0(VALU_DEP_1) | instskip(SKIP_1) | instid1(VALU_DEP_2)
	v_add_f32_e32 v74, v74, v75
	v_cvt_i32_f32_e32 v75, v76
	v_exp_f32_e32 v74, v74
	s_waitcnt_depctr 0xfff
	v_ldexp_f32 v74, v74, v75
	s_delay_alu instid0(VALU_DEP_1) | instskip(SKIP_1) | instid1(VALU_DEP_1)
	v_cndmask_b32_e64 v74, 0, v74, s64
	v_cmp_nlt_f32_e64 s64, 0x42b17218, v42
	v_cndmask_b32_e64 v74, 0x7f800000, v74, s64
	v_cmp_ngt_f32_e64 s64, 0xc2ce8ed0, v38
	s_delay_alu instid0(VALU_DEP_2) | instskip(SKIP_1) | instid1(VALU_DEP_1)
	v_add_f32_e32 v73, v73, v74
	v_mul_f32_e32 v74, 0x3fb8aa3b, v38
	v_fma_f32 v75, 0x3fb8aa3b, v38, -v74
	v_rndne_f32_e32 v76, v74
	s_delay_alu instid0(VALU_DEP_1) | instskip(NEXT) | instid1(VALU_DEP_1)
	v_dual_fmac_f32 v75, 0x32a5705f, v38 :: v_dual_sub_f32 v74, v74, v76
	v_add_f32_e32 v74, v74, v75
	v_cvt_i32_f32_e32 v75, v76
	s_delay_alu instid0(VALU_DEP_2) | instskip(SKIP_2) | instid1(VALU_DEP_1)
	v_exp_f32_e32 v74, v74
	s_waitcnt_depctr 0xfff
	v_ldexp_f32 v74, v74, v75
	v_cndmask_b32_e64 v74, 0, v74, s64
	v_cmp_nlt_f32_e64 s64, 0x42b17218, v38
	s_delay_alu instid0(VALU_DEP_1) | instskip(NEXT) | instid1(VALU_DEP_1)
	v_cndmask_b32_e64 v74, 0x7f800000, v74, s64
	v_dual_add_f32 v73, v73, v74 :: v_dual_mul_f32 v74, 0x3fb8aa3b, v37
	s_delay_alu instid0(VALU_DEP_1) | instskip(SKIP_1) | instid1(VALU_DEP_1)
	v_fma_f32 v75, 0x3fb8aa3b, v37, -v74
	v_rndne_f32_e32 v76, v74
	v_dual_sub_f32 v74, v74, v76 :: v_dual_fmac_f32 v75, 0x32a5705f, v37
	v_cmp_ngt_f32_e64 s64, 0xc2ce8ed0, v37
	s_delay_alu instid0(VALU_DEP_2) | instskip(SKIP_1) | instid1(VALU_DEP_2)
	v_add_f32_e32 v74, v74, v75
	v_cvt_i32_f32_e32 v75, v76
	v_exp_f32_e32 v74, v74
	s_waitcnt_depctr 0xfff
	v_ldexp_f32 v74, v74, v75
	s_delay_alu instid0(VALU_DEP_1) | instskip(SKIP_1) | instid1(VALU_DEP_1)
	v_cndmask_b32_e64 v74, 0, v74, s64
	v_cmp_nlt_f32_e64 s64, 0x42b17218, v37
	v_cndmask_b32_e64 v74, 0x7f800000, v74, s64
	v_cmp_ngt_f32_e64 s64, 0xc2ce8ed0, v34
	s_delay_alu instid0(VALU_DEP_2) | instskip(SKIP_1) | instid1(VALU_DEP_1)
	v_add_f32_e32 v73, v73, v74
	v_mul_f32_e32 v74, 0x3fb8aa3b, v34
	v_fma_f32 v75, 0x3fb8aa3b, v34, -v74
	v_rndne_f32_e32 v76, v74
	s_delay_alu instid0(VALU_DEP_1) | instskip(NEXT) | instid1(VALU_DEP_1)
	v_dual_fmac_f32 v75, 0x32a5705f, v34 :: v_dual_sub_f32 v74, v74, v76
	v_add_f32_e32 v74, v74, v75
	v_cvt_i32_f32_e32 v75, v76
	s_delay_alu instid0(VALU_DEP_2) | instskip(SKIP_2) | instid1(VALU_DEP_1)
	v_exp_f32_e32 v74, v74
	s_waitcnt_depctr 0xfff
	v_ldexp_f32 v74, v74, v75
	v_cndmask_b32_e64 v74, 0, v74, s64
	v_cmp_nlt_f32_e64 s64, 0x42b17218, v34
	s_delay_alu instid0(VALU_DEP_1) | instskip(NEXT) | instid1(VALU_DEP_1)
	v_cndmask_b32_e64 v74, 0x7f800000, v74, s64
	v_dual_add_f32 v73, v73, v74 :: v_dual_mul_f32 v74, 0x3fb8aa3b, v35
	s_delay_alu instid0(VALU_DEP_1) | instskip(SKIP_1) | instid1(VALU_DEP_1)
	v_fma_f32 v75, 0x3fb8aa3b, v35, -v74
	v_rndne_f32_e32 v76, v74
	v_dual_sub_f32 v74, v74, v76 :: v_dual_fmac_f32 v75, 0x32a5705f, v35
	v_cmp_ngt_f32_e64 s64, 0xc2ce8ed0, v35
	s_delay_alu instid0(VALU_DEP_2) | instskip(SKIP_1) | instid1(VALU_DEP_2)
	v_add_f32_e32 v74, v74, v75
	v_cvt_i32_f32_e32 v75, v76
	v_exp_f32_e32 v74, v74
	s_waitcnt_depctr 0xfff
	v_ldexp_f32 v74, v74, v75
	s_delay_alu instid0(VALU_DEP_1) | instskip(SKIP_1) | instid1(VALU_DEP_1)
	v_cndmask_b32_e64 v74, 0, v74, s64
	v_cmp_nlt_f32_e64 s64, 0x42b17218, v35
	v_cndmask_b32_e64 v74, 0x7f800000, v74, s64
	v_cmp_ngt_f32_e64 s64, 0xc2ce8ed0, v32
	s_delay_alu instid0(VALU_DEP_2) | instskip(NEXT) | instid1(VALU_DEP_1)
	v_dual_add_f32 v73, v73, v74 :: v_dual_mul_f32 v74, 0x3fb8aa3b, v32
	v_fma_f32 v75, 0x3fb8aa3b, v32, -v74
	v_rndne_f32_e32 v76, v74
	s_delay_alu instid0(VALU_DEP_2) | instskip(NEXT) | instid1(VALU_DEP_2)
	v_fmac_f32_e32 v75, 0x32a5705f, v32
	v_sub_f32_e32 v74, v74, v76
	s_delay_alu instid0(VALU_DEP_1) | instskip(SKIP_1) | instid1(VALU_DEP_2)
	v_add_f32_e32 v74, v74, v75
	v_cvt_i32_f32_e32 v75, v76
	v_exp_f32_e32 v74, v74
	s_waitcnt_depctr 0xfff
	v_ldexp_f32 v74, v74, v75
	s_delay_alu instid0(VALU_DEP_1) | instskip(SKIP_1) | instid1(VALU_DEP_1)
	v_cndmask_b32_e64 v74, 0, v74, s64
	v_cmp_nlt_f32_e64 s64, 0x42b17218, v32
	v_cndmask_b32_e64 v74, 0x7f800000, v74, s64
	s_delay_alu instid0(VALU_DEP_1) | instskip(NEXT) | instid1(VALU_DEP_1)
	v_dual_add_f32 v73, v73, v74 :: v_dual_mul_f32 v74, 0x3fb8aa3b, v31
	v_fma_f32 v75, 0x3fb8aa3b, v31, -v74
	v_rndne_f32_e32 v76, v74
	s_delay_alu instid0(VALU_DEP_1) | instskip(SKIP_1) | instid1(VALU_DEP_2)
	v_dual_sub_f32 v74, v74, v76 :: v_dual_fmac_f32 v75, 0x32a5705f, v31
	v_cmp_ngt_f32_e64 s64, 0xc2ce8ed0, v31
	v_add_f32_e32 v74, v74, v75
	v_cvt_i32_f32_e32 v75, v76
	s_delay_alu instid0(VALU_DEP_2) | instskip(SKIP_2) | instid1(VALU_DEP_1)
	v_exp_f32_e32 v74, v74
	s_waitcnt_depctr 0xfff
	v_ldexp_f32 v74, v74, v75
	v_cndmask_b32_e64 v74, 0, v74, s64
	v_cmp_nlt_f32_e64 s64, 0x42b17218, v31
	s_delay_alu instid0(VALU_DEP_1) | instskip(SKIP_1) | instid1(VALU_DEP_2)
	v_cndmask_b32_e64 v74, 0x7f800000, v74, s64
	v_cmp_ngt_f32_e64 s64, 0xc2ce8ed0, v28
	v_dual_add_f32 v73, v73, v74 :: v_dual_mul_f32 v74, 0x3fb8aa3b, v28
	s_delay_alu instid0(VALU_DEP_1) | instskip(SKIP_1) | instid1(VALU_DEP_2)
	v_fma_f32 v75, 0x3fb8aa3b, v28, -v74
	v_rndne_f32_e32 v76, v74
	v_fmac_f32_e32 v75, 0x32a5705f, v28
	s_delay_alu instid0(VALU_DEP_2) | instskip(NEXT) | instid1(VALU_DEP_1)
	v_sub_f32_e32 v74, v74, v76
	v_add_f32_e32 v74, v74, v75
	v_cvt_i32_f32_e32 v75, v76
	s_delay_alu instid0(VALU_DEP_2) | instskip(SKIP_2) | instid1(VALU_DEP_1)
	v_exp_f32_e32 v74, v74
	s_waitcnt_depctr 0xfff
	v_ldexp_f32 v74, v74, v75
	v_cndmask_b32_e64 v74, 0, v74, s64
	v_cmp_nlt_f32_e64 s64, 0x42b17218, v28
	s_delay_alu instid0(VALU_DEP_1) | instskip(NEXT) | instid1(VALU_DEP_1)
	v_cndmask_b32_e64 v74, 0x7f800000, v74, s64
	v_dual_add_f32 v73, v73, v74 :: v_dual_mul_f32 v74, 0x3fb8aa3b, v27
	s_delay_alu instid0(VALU_DEP_1) | instskip(SKIP_1) | instid1(VALU_DEP_1)
	v_fma_f32 v75, 0x3fb8aa3b, v27, -v74
	v_rndne_f32_e32 v76, v74
	v_dual_sub_f32 v74, v74, v76 :: v_dual_fmac_f32 v75, 0x32a5705f, v27
	v_cmp_ngt_f32_e64 s64, 0xc2ce8ed0, v27
	s_delay_alu instid0(VALU_DEP_2) | instskip(SKIP_1) | instid1(VALU_DEP_2)
	v_add_f32_e32 v74, v74, v75
	v_cvt_i32_f32_e32 v75, v76
	v_exp_f32_e32 v74, v74
	s_waitcnt_depctr 0xfff
	v_ldexp_f32 v74, v74, v75
	s_delay_alu instid0(VALU_DEP_1) | instskip(SKIP_1) | instid1(VALU_DEP_1)
	v_cndmask_b32_e64 v74, 0, v74, s64
	v_cmp_nlt_f32_e64 s64, 0x42b17218, v27
	v_cndmask_b32_e64 v74, 0x7f800000, v74, s64
	v_cmp_ngt_f32_e64 s64, 0xc2ce8ed0, v22
	s_delay_alu instid0(VALU_DEP_2) | instskip(SKIP_1) | instid1(VALU_DEP_1)
	v_add_f32_e32 v73, v73, v74
	v_mul_f32_e32 v74, 0x3fb8aa3b, v22
	v_fma_f32 v75, 0x3fb8aa3b, v22, -v74
	v_rndne_f32_e32 v76, v74
	s_delay_alu instid0(VALU_DEP_1) | instskip(NEXT) | instid1(VALU_DEP_1)
	v_dual_fmac_f32 v75, 0x32a5705f, v22 :: v_dual_sub_f32 v74, v74, v76
	v_add_f32_e32 v74, v74, v75
	v_cvt_i32_f32_e32 v75, v76
	s_delay_alu instid0(VALU_DEP_2) | instskip(SKIP_2) | instid1(VALU_DEP_1)
	v_exp_f32_e32 v74, v74
	s_waitcnt_depctr 0xfff
	v_ldexp_f32 v74, v74, v75
	v_cndmask_b32_e64 v74, 0, v74, s64
	v_cmp_nlt_f32_e64 s64, 0x42b17218, v22
	s_delay_alu instid0(VALU_DEP_1) | instskip(NEXT) | instid1(VALU_DEP_1)
	v_cndmask_b32_e64 v74, 0x7f800000, v74, s64
	v_dual_add_f32 v73, v73, v74 :: v_dual_mul_f32 v74, 0x3fb8aa3b, v23
	s_delay_alu instid0(VALU_DEP_1) | instskip(SKIP_1) | instid1(VALU_DEP_1)
	v_fma_f32 v75, 0x3fb8aa3b, v23, -v74
	v_rndne_f32_e32 v76, v74
	v_dual_sub_f32 v74, v74, v76 :: v_dual_fmac_f32 v75, 0x32a5705f, v23
	v_cmp_ngt_f32_e64 s64, 0xc2ce8ed0, v23
	s_delay_alu instid0(VALU_DEP_2) | instskip(SKIP_1) | instid1(VALU_DEP_2)
	v_add_f32_e32 v74, v74, v75
	v_cvt_i32_f32_e32 v75, v76
	v_exp_f32_e32 v74, v74
	s_waitcnt_depctr 0xfff
	v_ldexp_f32 v74, v74, v75
	s_delay_alu instid0(VALU_DEP_1) | instskip(SKIP_1) | instid1(VALU_DEP_1)
	v_cndmask_b32_e64 v74, 0, v74, s64
	v_cmp_nlt_f32_e64 s64, 0x42b17218, v23
	v_cndmask_b32_e64 v74, 0x7f800000, v74, s64
	s_delay_alu instid0(VALU_DEP_1) | instskip(NEXT) | instid1(VALU_DEP_1)
	v_dual_add_f32 v73, v73, v74 :: v_dual_mul_f32 v74, 0x3fb8aa3b, v17
	v_fma_f32 v75, 0x3fb8aa3b, v17, -v74
	v_rndne_f32_e32 v76, v74
	s_delay_alu instid0(VALU_DEP_1) | instskip(SKIP_1) | instid1(VALU_DEP_2)
	v_dual_sub_f32 v74, v74, v76 :: v_dual_fmac_f32 v75, 0x32a5705f, v17
	v_cmp_ngt_f32_e64 s64, 0xc2ce8ed0, v17
	v_add_f32_e32 v74, v74, v75
	v_cvt_i32_f32_e32 v75, v76
	s_delay_alu instid0(VALU_DEP_2) | instskip(SKIP_2) | instid1(VALU_DEP_1)
	v_exp_f32_e32 v74, v74
	s_waitcnt_depctr 0xfff
	v_ldexp_f32 v74, v74, v75
	v_cndmask_b32_e64 v74, 0, v74, s64
	v_cmp_nlt_f32_e64 s64, 0x42b17218, v17
	s_delay_alu instid0(VALU_DEP_1) | instskip(SKIP_1) | instid1(VALU_DEP_2)
	v_cndmask_b32_e64 v74, 0x7f800000, v74, s64
	v_cmp_ngt_f32_e64 s64, 0xc2ce8ed0, v16
	v_dual_add_f32 v73, v73, v74 :: v_dual_mul_f32 v74, 0x3fb8aa3b, v16
	s_delay_alu instid0(VALU_DEP_1) | instskip(SKIP_1) | instid1(VALU_DEP_2)
	v_fma_f32 v75, 0x3fb8aa3b, v16, -v74
	v_rndne_f32_e32 v76, v74
	v_fmac_f32_e32 v75, 0x32a5705f, v16
	s_delay_alu instid0(VALU_DEP_2) | instskip(NEXT) | instid1(VALU_DEP_1)
	v_sub_f32_e32 v74, v74, v76
	v_add_f32_e32 v74, v74, v75
	v_cvt_i32_f32_e32 v75, v76
	s_delay_alu instid0(VALU_DEP_2) | instskip(SKIP_2) | instid1(VALU_DEP_1)
	v_exp_f32_e32 v74, v74
	s_waitcnt_depctr 0xfff
	v_ldexp_f32 v74, v74, v75
	v_cndmask_b32_e64 v74, 0, v74, s64
	v_cmp_nlt_f32_e64 s64, 0x42b17218, v16
	s_delay_alu instid0(VALU_DEP_1) | instskip(SKIP_1) | instid1(VALU_DEP_2)
	v_cndmask_b32_e64 v74, 0x7f800000, v74, s64
	v_cmp_ngt_f32_e64 s64, 0xc2ce8ed0, v12
	v_dual_add_f32 v73, v73, v74 :: v_dual_mul_f32 v74, 0x3fb8aa3b, v12
	s_delay_alu instid0(VALU_DEP_1) | instskip(SKIP_1) | instid1(VALU_DEP_2)
	v_fma_f32 v75, 0x3fb8aa3b, v12, -v74
	v_rndne_f32_e32 v76, v74
	v_fmac_f32_e32 v75, 0x32a5705f, v12
	s_delay_alu instid0(VALU_DEP_2) | instskip(NEXT) | instid1(VALU_DEP_1)
	v_sub_f32_e32 v74, v74, v76
	v_add_f32_e32 v74, v74, v75
	v_cvt_i32_f32_e32 v75, v76
	s_delay_alu instid0(VALU_DEP_2) | instskip(SKIP_2) | instid1(VALU_DEP_1)
	v_exp_f32_e32 v74, v74
	s_waitcnt_depctr 0xfff
	v_ldexp_f32 v74, v74, v75
	v_cndmask_b32_e64 v74, 0, v74, s64
	v_cmp_nlt_f32_e64 s64, 0x42b17218, v12
	s_delay_alu instid0(VALU_DEP_1) | instskip(NEXT) | instid1(VALU_DEP_1)
	v_cndmask_b32_e64 v74, 0x7f800000, v74, s64
	v_dual_add_f32 v73, v73, v74 :: v_dual_mul_f32 v74, 0x3fb8aa3b, v11
	s_delay_alu instid0(VALU_DEP_1) | instskip(SKIP_1) | instid1(VALU_DEP_1)
	v_fma_f32 v75, 0x3fb8aa3b, v11, -v74
	v_rndne_f32_e32 v76, v74
	v_dual_sub_f32 v74, v74, v76 :: v_dual_fmac_f32 v75, 0x32a5705f, v11
	v_cmp_ngt_f32_e64 s64, 0xc2ce8ed0, v11
	s_delay_alu instid0(VALU_DEP_2) | instskip(SKIP_1) | instid1(VALU_DEP_2)
	v_add_f32_e32 v74, v74, v75
	v_cvt_i32_f32_e32 v75, v76
	v_exp_f32_e32 v74, v74
	s_waitcnt_depctr 0xfff
	v_ldexp_f32 v74, v74, v75
	s_delay_alu instid0(VALU_DEP_1) | instskip(SKIP_1) | instid1(VALU_DEP_1)
	v_cndmask_b32_e64 v74, 0, v74, s64
	v_cmp_nlt_f32_e64 s64, 0x42b17218, v11
	v_cndmask_b32_e64 v74, 0x7f800000, v74, s64
	v_cmp_ngt_f32_e64 s64, 0xc2ce8ed0, v10
	s_delay_alu instid0(VALU_DEP_2) | instskip(SKIP_1) | instid1(VALU_DEP_1)
	v_add_f32_e32 v73, v73, v74
	v_mul_f32_e32 v74, 0x3fb8aa3b, v10
	v_fma_f32 v75, 0x3fb8aa3b, v10, -v74
	v_rndne_f32_e32 v76, v74
	s_delay_alu instid0(VALU_DEP_1) | instskip(NEXT) | instid1(VALU_DEP_1)
	v_dual_fmac_f32 v75, 0x32a5705f, v10 :: v_dual_sub_f32 v74, v74, v76
	v_add_f32_e32 v74, v74, v75
	v_cvt_i32_f32_e32 v75, v76
	s_delay_alu instid0(VALU_DEP_2) | instskip(SKIP_2) | instid1(VALU_DEP_1)
	v_exp_f32_e32 v74, v74
	s_waitcnt_depctr 0xfff
	v_ldexp_f32 v74, v74, v75
	v_cndmask_b32_e64 v74, 0, v74, s64
	v_cmp_nlt_f32_e64 s64, 0x42b17218, v10
	s_delay_alu instid0(VALU_DEP_1) | instskip(NEXT) | instid1(VALU_DEP_1)
	v_cndmask_b32_e64 v74, 0x7f800000, v74, s64
	v_dual_add_f32 v73, v73, v74 :: v_dual_mul_f32 v74, 0x3fb8aa3b, v9
	s_delay_alu instid0(VALU_DEP_1) | instskip(SKIP_1) | instid1(VALU_DEP_1)
	v_fma_f32 v75, 0x3fb8aa3b, v9, -v74
	v_rndne_f32_e32 v76, v74
	v_dual_sub_f32 v74, v74, v76 :: v_dual_fmac_f32 v75, 0x32a5705f, v9
	v_cmp_ngt_f32_e64 s64, 0xc2ce8ed0, v9
	s_delay_alu instid0(VALU_DEP_2) | instskip(SKIP_1) | instid1(VALU_DEP_2)
	v_add_f32_e32 v74, v74, v75
	v_cvt_i32_f32_e32 v75, v76
	v_exp_f32_e32 v74, v74
	s_waitcnt_depctr 0xfff
	v_ldexp_f32 v74, v74, v75
	s_delay_alu instid0(VALU_DEP_1) | instskip(SKIP_1) | instid1(VALU_DEP_1)
	v_cndmask_b32_e64 v74, 0, v74, s64
	v_cmp_nlt_f32_e64 s64, 0x42b17218, v9
	v_cndmask_b32_e64 v74, 0x7f800000, v74, s64
	s_delay_alu instid0(VALU_DEP_1) | instskip(NEXT) | instid1(VALU_DEP_1)
	v_dual_add_f32 v73, v73, v74 :: v_dual_mul_f32 v74, 0x3fb8aa3b, v7
	v_fma_f32 v75, 0x3fb8aa3b, v7, -v74
	v_rndne_f32_e32 v76, v74
	s_delay_alu instid0(VALU_DEP_1) | instskip(SKIP_1) | instid1(VALU_DEP_2)
	v_dual_sub_f32 v74, v74, v76 :: v_dual_fmac_f32 v75, 0x32a5705f, v7
	v_cmp_ngt_f32_e64 s64, 0xc2ce8ed0, v7
	v_add_f32_e32 v74, v74, v75
	v_cvt_i32_f32_e32 v75, v76
	s_delay_alu instid0(VALU_DEP_2) | instskip(SKIP_2) | instid1(VALU_DEP_1)
	v_exp_f32_e32 v74, v74
	s_waitcnt_depctr 0xfff
	v_ldexp_f32 v74, v74, v75
	v_cndmask_b32_e64 v74, 0, v74, s64
	v_cmp_nlt_f32_e64 s64, 0x42b17218, v7
	s_delay_alu instid0(VALU_DEP_1) | instskip(SKIP_1) | instid1(VALU_DEP_2)
	v_cndmask_b32_e64 v74, 0x7f800000, v74, s64
	v_cmp_ngt_f32_e64 s64, 0xc2ce8ed0, v8
	v_dual_add_f32 v73, v73, v74 :: v_dual_mul_f32 v74, 0x3fb8aa3b, v8
	s_delay_alu instid0(VALU_DEP_1) | instskip(SKIP_1) | instid1(VALU_DEP_2)
	v_fma_f32 v75, 0x3fb8aa3b, v8, -v74
	v_rndne_f32_e32 v76, v74
	v_fmac_f32_e32 v75, 0x32a5705f, v8
	s_delay_alu instid0(VALU_DEP_2) | instskip(NEXT) | instid1(VALU_DEP_1)
	v_sub_f32_e32 v74, v74, v76
	v_add_f32_e32 v74, v74, v75
	v_cvt_i32_f32_e32 v75, v76
	s_delay_alu instid0(VALU_DEP_2) | instskip(SKIP_3) | instid1(VALU_DEP_2)
	v_exp_f32_e32 v74, v74
	s_waitcnt_depctr 0xfff
	v_ldexp_f32 v74, v74, v75
	v_rndne_f32_e32 v75, v25
	v_cndmask_b32_e64 v74, 0, v74, s64
	v_cmp_nlt_f32_e64 s64, 0x42b17218, v8
	s_delay_alu instid0(VALU_DEP_1) | instskip(NEXT) | instid1(VALU_DEP_1)
	v_cndmask_b32_e64 v74, 0x7f800000, v74, s64
	v_add_f32_e32 v73, v73, v74
	v_fma_f32 v74, 0x3fb8aa3b, v6, -v25
	s_delay_alu instid0(VALU_DEP_1) | instskip(NEXT) | instid1(VALU_DEP_1)
	v_dual_sub_f32 v25, v25, v75 :: v_dual_fmac_f32 v74, 0x32a5705f, v6
	v_add_f32_e32 v25, v25, v74
	v_cvt_i32_f32_e32 v74, v75
	v_cmp_ngt_f32_e64 s64, 0xc2ce8ed0, v6
	s_delay_alu instid0(VALU_DEP_3) | instskip(SKIP_2) | instid1(VALU_DEP_1)
	v_exp_f32_e32 v25, v25
	s_waitcnt_depctr 0xfff
	v_ldexp_f32 v25, v25, v74
	v_cndmask_b32_e64 v25, 0, v25, s64
	v_cmp_nlt_f32_e64 s64, 0x42b17218, v6
	s_delay_alu instid0(VALU_DEP_1) | instskip(NEXT) | instid1(VALU_DEP_1)
	v_cndmask_b32_e64 v25, 0x7f800000, v25, s64
	v_add_f32_e32 v25, v73, v25
	ds_bpermute_b32 v2, v2, v25
	s_waitcnt lgkmcnt(0)
	v_add_f32_e32 v2, v25, v2
	ds_bpermute_b32 v4, v4, v2
	s_waitcnt lgkmcnt(0)
	;; [unrolled: 3-line block ×4, first 2 shown]
	v_add_f32_e32 v2, v2, v4
	ds_bpermute_b32 v4, v18, v2
	v_cmpx_lt_i32_e32 0, v5
	s_cbranch_execz .LBB154_194
; %bb.129:
	s_and_b32 exec_lo, exec_lo, s3
	s_cbranch_execz .LBB154_194
; %bb.130:
	s_waitcnt lgkmcnt(0)
	v_add_f32_e32 v2, v2, v4
	s_delay_alu instid0(VALU_DEP_1) | instskip(NEXT) | instid1(VALU_DEP_1)
	v_cmp_gt_f32_e64 s3, 0x800000, v2
	v_cndmask_b32_e64 v4, 1.0, 0x4f800000, s3
	s_delay_alu instid0(VALU_DEP_1) | instskip(NEXT) | instid1(VALU_DEP_1)
	v_mul_f32_e32 v2, v2, v4
	v_log_f32_e32 v2, v2
	s_waitcnt_depctr 0xfff
	v_mul_f32_e32 v4, 0x3f317217, v2
	s_delay_alu instid0(VALU_DEP_1) | instskip(NEXT) | instid1(VALU_DEP_1)
	v_fma_f32 v5, 0x3f317217, v2, -v4
	v_fmamk_f32 v5, v2, 0x3377d1cf, v5
	s_delay_alu instid0(VALU_DEP_1) | instskip(SKIP_2) | instid1(VALU_DEP_1)
	v_add_f32_e32 v4, v4, v5
	v_cndmask_b32_e64 v5, 0, 0x41b17218, s3
	v_cmp_gt_f32_e64 s3, 0x7f800000, |v2|
	v_cndmask_b32_e64 v2, v2, v4, s3
	v_add_co_u32 v0, s3, s68, v0
	s_delay_alu instid0(VALU_DEP_1) | instskip(NEXT) | instid1(VALU_DEP_3)
	v_add_co_ci_u32_e64 v1, s3, s69, v1, s3
	v_sub_f32_e32 v2, v2, v5
	s_delay_alu instid0(VALU_DEP_1) | instskip(NEXT) | instid1(VALU_DEP_1)
	v_sub_f32_e32 v3, v3, v2
	v_bfe_u32 v4, v3, 16, 1
	v_cmp_o_f32_e64 s3, v3, v3
	s_delay_alu instid0(VALU_DEP_2) | instskip(NEXT) | instid1(VALU_DEP_1)
	v_add3_u32 v4, v3, v4, 0x7fff
	v_lshrrev_b32_e32 v4, 16, v4
	s_delay_alu instid0(VALU_DEP_1)
	v_cndmask_b32_e64 v3, 0x7fc0, v4, s3
	global_store_b16 v[0:1], v3, off
	s_and_b32 exec_lo, exec_lo, vcc_lo
	s_cbranch_execz .LBB154_194
; %bb.131:
	v_sub_f32_e32 v3, v14, v2
	s_delay_alu instid0(VALU_DEP_1) | instskip(SKIP_1) | instid1(VALU_DEP_2)
	v_bfe_u32 v4, v3, 16, 1
	v_cmp_o_f32_e32 vcc_lo, v3, v3
	v_add3_u32 v4, v3, v4, 0x7fff
	s_delay_alu instid0(VALU_DEP_1) | instskip(NEXT) | instid1(VALU_DEP_1)
	v_lshrrev_b32_e32 v4, 16, v4
	v_cndmask_b32_e32 v3, 0x7fc0, v4, vcc_lo
	global_store_b16 v[0:1], v3, off offset:64
	s_and_b32 exec_lo, exec_lo, s0
	s_cbranch_execz .LBB154_194
; %bb.132:
	v_sub_f32_e32 v3, v19, v2
	s_delay_alu instid0(VALU_DEP_1) | instskip(SKIP_1) | instid1(VALU_DEP_2)
	v_bfe_u32 v4, v3, 16, 1
	v_cmp_o_f32_e32 vcc_lo, v3, v3
	v_add3_u32 v4, v3, v4, 0x7fff
	s_delay_alu instid0(VALU_DEP_1) | instskip(NEXT) | instid1(VALU_DEP_1)
	v_lshrrev_b32_e32 v4, 16, v4
	v_cndmask_b32_e32 v3, 0x7fc0, v4, vcc_lo
	global_store_b16 v[0:1], v3, off offset:128
	s_and_b32 exec_lo, exec_lo, s1
	;; [unrolled: 12-line block ×62, first 2 shown]
	s_cbranch_execz .LBB154_194
; %bb.193:
	v_sub_f32_e32 v2, v6, v2
	s_delay_alu instid0(VALU_DEP_1) | instskip(SKIP_1) | instid1(VALU_DEP_2)
	v_bfe_u32 v3, v2, 16, 1
	v_cmp_o_f32_e32 vcc_lo, v2, v2
	v_add3_u32 v3, v2, v3, 0x7fff
	s_delay_alu instid0(VALU_DEP_1) | instskip(NEXT) | instid1(VALU_DEP_1)
	v_lshrrev_b32_e32 v3, 16, v3
	v_cndmask_b32_e32 v2, 0x7fc0, v3, vcc_lo
	global_store_b16 v[0:1], v2, off offset:4032
.LBB154_194:
	s_nop 0
	s_sendmsg sendmsg(MSG_DEALLOC_VGPRS)
	s_endpgm
	.section	.rodata,"a",@progbits
	.p2align	6, 0x0
	.amdhsa_kernel _ZN12_GLOBAL__N_120softmax_warp_forwardIN3c108BFloat16ES2_fLi11ELb1ELb0ELi32EEEvPT0_PKT_iiiPKbib
		.amdhsa_group_segment_fixed_size 0
		.amdhsa_private_segment_fixed_size 0
		.amdhsa_kernarg_size 304
		.amdhsa_user_sgpr_count 15
		.amdhsa_user_sgpr_dispatch_ptr 0
		.amdhsa_user_sgpr_queue_ptr 0
		.amdhsa_user_sgpr_kernarg_segment_ptr 1
		.amdhsa_user_sgpr_dispatch_id 0
		.amdhsa_user_sgpr_private_segment_size 0
		.amdhsa_wavefront_size32 1
		.amdhsa_uses_dynamic_stack 0
		.amdhsa_enable_private_segment 0
		.amdhsa_system_sgpr_workgroup_id_x 1
		.amdhsa_system_sgpr_workgroup_id_y 0
		.amdhsa_system_sgpr_workgroup_id_z 0
		.amdhsa_system_sgpr_workgroup_info 0
		.amdhsa_system_vgpr_workitem_id 1
		.amdhsa_next_free_vgpr 77
		.amdhsa_next_free_sgpr 76
		.amdhsa_reserve_vcc 1
		.amdhsa_float_round_mode_32 0
		.amdhsa_float_round_mode_16_64 0
		.amdhsa_float_denorm_mode_32 3
		.amdhsa_float_denorm_mode_16_64 3
		.amdhsa_dx10_clamp 1
		.amdhsa_ieee_mode 1
		.amdhsa_fp16_overflow 0
		.amdhsa_workgroup_processor_mode 1
		.amdhsa_memory_ordered 1
		.amdhsa_forward_progress 0
		.amdhsa_shared_vgpr_count 0
		.amdhsa_exception_fp_ieee_invalid_op 0
		.amdhsa_exception_fp_denorm_src 0
		.amdhsa_exception_fp_ieee_div_zero 0
		.amdhsa_exception_fp_ieee_overflow 0
		.amdhsa_exception_fp_ieee_underflow 0
		.amdhsa_exception_fp_ieee_inexact 0
		.amdhsa_exception_int_div_zero 0
	.end_amdhsa_kernel
	.section	.text._ZN12_GLOBAL__N_120softmax_warp_forwardIN3c108BFloat16ES2_fLi11ELb1ELb0ELi32EEEvPT0_PKT_iiiPKbib,"axG",@progbits,_ZN12_GLOBAL__N_120softmax_warp_forwardIN3c108BFloat16ES2_fLi11ELb1ELb0ELi32EEEvPT0_PKT_iiiPKbib,comdat
.Lfunc_end154:
	.size	_ZN12_GLOBAL__N_120softmax_warp_forwardIN3c108BFloat16ES2_fLi11ELb1ELb0ELi32EEEvPT0_PKT_iiiPKbib, .Lfunc_end154-_ZN12_GLOBAL__N_120softmax_warp_forwardIN3c108BFloat16ES2_fLi11ELb1ELb0ELi32EEEvPT0_PKT_iiiPKbib
                                        ; -- End function
	.section	.AMDGPU.csdata,"",@progbits
; Kernel info:
; codeLenInByte = 18104
; NumSgprs: 78
; NumVgprs: 77
; ScratchSize: 0
; MemoryBound: 0
; FloatMode: 240
; IeeeMode: 1
; LDSByteSize: 0 bytes/workgroup (compile time only)
; SGPRBlocks: 9
; VGPRBlocks: 9
; NumSGPRsForWavesPerEU: 78
; NumVGPRsForWavesPerEU: 77
; Occupancy: 16
; WaveLimiterHint : 0
; COMPUTE_PGM_RSRC2:SCRATCH_EN: 0
; COMPUTE_PGM_RSRC2:USER_SGPR: 15
; COMPUTE_PGM_RSRC2:TRAP_HANDLER: 0
; COMPUTE_PGM_RSRC2:TGID_X_EN: 1
; COMPUTE_PGM_RSRC2:TGID_Y_EN: 0
; COMPUTE_PGM_RSRC2:TGID_Z_EN: 0
; COMPUTE_PGM_RSRC2:TIDIG_COMP_CNT: 1
	.section	.text._ZN2at6native12_GLOBAL__N_122cunn_SoftMaxForwardRegIN3c108BFloat16EfS4_NS1_25LogSoftMaxForwardEpilogueElLi1EEEvPT1_PKT_T3_,"axG",@progbits,_ZN2at6native12_GLOBAL__N_122cunn_SoftMaxForwardRegIN3c108BFloat16EfS4_NS1_25LogSoftMaxForwardEpilogueElLi1EEEvPT1_PKT_T3_,comdat
	.globl	_ZN2at6native12_GLOBAL__N_122cunn_SoftMaxForwardRegIN3c108BFloat16EfS4_NS1_25LogSoftMaxForwardEpilogueElLi1EEEvPT1_PKT_T3_ ; -- Begin function _ZN2at6native12_GLOBAL__N_122cunn_SoftMaxForwardRegIN3c108BFloat16EfS4_NS1_25LogSoftMaxForwardEpilogueElLi1EEEvPT1_PKT_T3_
	.p2align	8
	.type	_ZN2at6native12_GLOBAL__N_122cunn_SoftMaxForwardRegIN3c108BFloat16EfS4_NS1_25LogSoftMaxForwardEpilogueElLi1EEEvPT1_PKT_T3_,@function
_ZN2at6native12_GLOBAL__N_122cunn_SoftMaxForwardRegIN3c108BFloat16EfS4_NS1_25LogSoftMaxForwardEpilogueElLi1EEEvPT1_PKT_T3_: ; @_ZN2at6native12_GLOBAL__N_122cunn_SoftMaxForwardRegIN3c108BFloat16EfS4_NS1_25LogSoftMaxForwardEpilogueElLi1EEEvPT1_PKT_T3_
; %bb.0:
	s_clause 0x1
	s_load_b64 s[2:3], s[0:1], 0x10
	s_load_b128 s[8:11], s[0:1], 0x0
	v_dual_mov_b32 v1, 0 :: v_dual_lshlrev_b32 v2, 1, v0
	v_mov_b32_e32 v5, 0xff7fffff
	s_waitcnt lgkmcnt(0)
	s_delay_alu instid0(VALU_DEP_2)
	v_cmp_gt_i64_e32 vcc_lo, s[2:3], v[0:1]
	s_mul_i32 s4, s15, s3
	s_mul_hi_u32 s5, s15, s2
	s_mul_i32 s6, s15, s2
	s_add_i32 s7, s5, s4
	s_and_saveexec_b32 s2, vcc_lo
	s_cbranch_execz .LBB155_2
; %bb.1:
	s_lshl_b64 s[4:5], s[6:7], 1
	s_delay_alu instid0(SALU_CYCLE_1) | instskip(SKIP_4) | instid1(VALU_DEP_1)
	s_add_u32 s4, s10, s4
	s_addc_u32 s5, s11, s5
	global_load_u16 v1, v2, s[4:5]
	s_waitcnt vmcnt(0)
	v_lshlrev_b32_e32 v1, 16, v1
	v_max_f32_e32 v3, v1, v1
	s_delay_alu instid0(VALU_DEP_1)
	v_max_f32_e32 v5, 0xff7fffff, v3
.LBB155_2:
	s_or_b32 exec_lo, exec_lo, s2
	v_mbcnt_lo_u32_b32 v7, -1, 0
	s_barrier
	buffer_gl0_inv
	v_cmp_gt_u32_e64 s2, 16, v7
	s_delay_alu instid0(VALU_DEP_1) | instskip(SKIP_1) | instid1(VALU_DEP_2)
	v_cndmask_b32_e64 v3, 0, 1, s2
	v_cmp_gt_u32_e64 s2, 24, v7
	v_lshlrev_b32_e32 v3, 4, v3
	s_delay_alu instid0(VALU_DEP_2) | instskip(NEXT) | instid1(VALU_DEP_2)
	v_cndmask_b32_e64 v4, 0, 1, s2
	v_add_lshl_u32 v3, v3, v7, 2
	s_delay_alu instid0(VALU_DEP_2) | instskip(SKIP_4) | instid1(VALU_DEP_1)
	v_lshlrev_b32_e32 v4, 3, v4
	ds_bpermute_b32 v6, v3, v5
	v_add_lshl_u32 v4, v4, v7, 2
	s_waitcnt lgkmcnt(0)
	v_cmp_lt_f32_e64 s2, v5, v6
	v_cndmask_b32_e64 v6, v5, v6, s2
	v_cmp_gt_u32_e64 s2, 28, v7
	ds_bpermute_b32 v8, v4, v6
	v_cndmask_b32_e64 v5, 0, 1, s2
	s_delay_alu instid0(VALU_DEP_1) | instskip(NEXT) | instid1(VALU_DEP_1)
	v_lshlrev_b32_e32 v5, 2, v5
	v_add_lshl_u32 v5, v5, v7, 2
	s_waitcnt lgkmcnt(0)
	v_cmp_lt_f32_e64 s2, v6, v8
	s_delay_alu instid0(VALU_DEP_1) | instskip(SKIP_3) | instid1(VALU_DEP_1)
	v_cndmask_b32_e64 v8, v6, v8, s2
	v_cmp_gt_u32_e64 s2, 30, v7
	ds_bpermute_b32 v9, v5, v8
	v_cndmask_b32_e64 v6, 0, 1, s2
	v_lshlrev_b32_e32 v6, 1, v6
	s_delay_alu instid0(VALU_DEP_1) | instskip(SKIP_2) | instid1(VALU_DEP_1)
	v_add_lshl_u32 v6, v6, v7, 2
	s_waitcnt lgkmcnt(0)
	v_cmp_lt_f32_e64 s2, v8, v9
	v_cndmask_b32_e64 v8, v8, v9, s2
	v_cmp_ne_u32_e64 s2, 31, v7
	ds_bpermute_b32 v9, v6, v8
	v_add_co_ci_u32_e64 v7, s2, 0, v7, s2
	s_delay_alu instid0(VALU_DEP_1) | instskip(SKIP_2) | instid1(VALU_DEP_1)
	v_lshlrev_b32_e32 v7, 2, v7
	s_waitcnt lgkmcnt(0)
	v_cmp_lt_f32_e64 s2, v8, v9
	v_cndmask_b32_e64 v10, v8, v9, s2
	v_and_b32_e32 v9, 31, v0
	v_lshrrev_b32_e32 v8, 3, v0
	ds_bpermute_b32 v11, v7, v10
	v_cmp_eq_u32_e64 s2, 0, v9
	s_delay_alu instid0(VALU_DEP_1) | instskip(NEXT) | instid1(SALU_CYCLE_1)
	s_and_saveexec_b32 s3, s2
	s_xor_b32 s4, exec_lo, s3
	s_cbranch_execz .LBB155_4
; %bb.3:
	s_waitcnt lgkmcnt(0)
	v_cmp_lt_f32_e64 s3, v10, v11
	v_add_nc_u32_e32 v12, 0, v8
	s_delay_alu instid0(VALU_DEP_2)
	v_cndmask_b32_e64 v10, v10, v11, s3
	ds_store_b32 v12, v10
.LBB155_4:
	s_or_b32 exec_lo, exec_lo, s4
	s_waitcnt lgkmcnt(0)
	s_barrier
	buffer_gl0_inv
	s_load_b32 s0, s[0:1], 0x24
	v_mov_b32_e32 v10, 0xff7fffff
	v_lshl_add_u32 v9, v9, 2, 0
	s_waitcnt lgkmcnt(0)
	s_bfe_u32 s0, s0, 0xb0005
	s_delay_alu instid0(SALU_CYCLE_1) | instskip(NEXT) | instid1(VALU_DEP_1)
	v_cmp_gt_u32_e64 s0, s0, v0
	s_and_saveexec_b32 s1, s0
	s_cbranch_execnz .LBB155_17
; %bb.5:
	s_or_b32 exec_lo, exec_lo, s1
	v_cmp_gt_u32_e64 s1, 32, v0
	s_delay_alu instid0(VALU_DEP_1)
	s_and_saveexec_b32 s4, s1
	s_cbranch_execnz .LBB155_18
.LBB155_6:
	s_or_b32 exec_lo, exec_lo, s4
	v_cmp_eq_u32_e64 s3, 0, v0
	s_delay_alu instid0(VALU_DEP_1)
	s_and_saveexec_b32 s4, s3
	s_cbranch_execz .LBB155_8
.LBB155_7:
	v_mov_b32_e32 v0, 0
	s_waitcnt lgkmcnt(0)
	ds_store_b32 v0, v10
.LBB155_8:
	s_or_b32 exec_lo, exec_lo, s4
	s_waitcnt lgkmcnt(0)
	v_mov_b32_e32 v10, 0
	s_barrier
	buffer_gl0_inv
	ds_load_b32 v0, v10
	s_waitcnt lgkmcnt(0)
	s_barrier
	buffer_gl0_inv
	v_sub_f32_e32 v0, v1, v0
	s_delay_alu instid0(VALU_DEP_1) | instskip(SKIP_1) | instid1(VALU_DEP_2)
	v_mul_f32_e32 v1, 0x3fb8aa3b, v0
	v_cmp_ngt_f32_e64 s4, 0xc2ce8ed0, v0
	v_fma_f32 v11, 0x3fb8aa3b, v0, -v1
	v_rndne_f32_e32 v12, v1
	s_delay_alu instid0(VALU_DEP_2) | instskip(NEXT) | instid1(VALU_DEP_2)
	v_fmamk_f32 v11, v0, 0x32a5705f, v11
	v_sub_f32_e32 v1, v1, v12
	s_delay_alu instid0(VALU_DEP_1) | instskip(SKIP_1) | instid1(VALU_DEP_2)
	v_add_f32_e32 v1, v1, v11
	v_cvt_i32_f32_e32 v11, v12
	v_exp_f32_e32 v1, v1
	s_waitcnt_depctr 0xfff
	v_ldexp_f32 v1, v1, v11
	s_delay_alu instid0(VALU_DEP_1) | instskip(SKIP_1) | instid1(VALU_DEP_1)
	v_cndmask_b32_e64 v1, 0, v1, s4
	v_cmp_nlt_f32_e64 s4, 0x42b17218, v0
	v_cndmask_b32_e64 v1, 0x7f800000, v1, s4
	s_delay_alu instid0(VALU_DEP_1)
	v_cndmask_b32_e32 v1, 0, v1, vcc_lo
	ds_bpermute_b32 v11, v3, v1
	s_waitcnt lgkmcnt(0)
	v_add_f32_e32 v1, v1, v11
	ds_bpermute_b32 v11, v4, v1
	s_waitcnt lgkmcnt(0)
	v_add_f32_e32 v1, v1, v11
	;; [unrolled: 3-line block ×4, first 2 shown]
	ds_bpermute_b32 v11, v7, v1
	s_and_saveexec_b32 s4, s2
	s_cbranch_execz .LBB155_10
; %bb.9:
	s_waitcnt lgkmcnt(0)
	v_dual_add_f32 v1, v1, v11 :: v_dual_add_nc_u32 v8, 0, v8
	ds_store_b32 v8, v1
.LBB155_10:
	s_or_b32 exec_lo, exec_lo, s4
	s_waitcnt lgkmcnt(0)
	s_barrier
	buffer_gl0_inv
	s_and_saveexec_b32 s2, s0
	s_cbranch_execnz .LBB155_19
; %bb.11:
	s_or_b32 exec_lo, exec_lo, s2
	s_and_saveexec_b32 s0, s1
	s_cbranch_execnz .LBB155_20
.LBB155_12:
	s_or_b32 exec_lo, exec_lo, s0
	s_and_saveexec_b32 s0, s3
	s_cbranch_execz .LBB155_14
.LBB155_13:
	v_mov_b32_e32 v1, 0
	s_waitcnt lgkmcnt(0)
	ds_store_b32 v1, v10
.LBB155_14:
	s_or_b32 exec_lo, exec_lo, s0
	s_waitcnt lgkmcnt(0)
	s_barrier
	buffer_gl0_inv
	s_and_saveexec_b32 s0, vcc_lo
	s_cbranch_execz .LBB155_16
; %bb.15:
	v_mov_b32_e32 v1, 0
	ds_load_b32 v1, v1
	s_waitcnt lgkmcnt(0)
	v_cmp_gt_f32_e32 vcc_lo, 0x800000, v1
	v_cndmask_b32_e64 v3, 1.0, 0x4f800000, vcc_lo
	s_delay_alu instid0(VALU_DEP_1) | instskip(NEXT) | instid1(VALU_DEP_1)
	v_mul_f32_e32 v1, v1, v3
	v_log_f32_e32 v1, v1
	s_waitcnt_depctr 0xfff
	v_mul_f32_e32 v3, 0x3f317217, v1
	v_cmp_gt_f32_e64 s0, 0x7f800000, |v1|
	s_delay_alu instid0(VALU_DEP_2) | instskip(NEXT) | instid1(VALU_DEP_1)
	v_fma_f32 v4, 0x3f317217, v1, -v3
	v_fmamk_f32 v4, v1, 0x3377d1cf, v4
	s_delay_alu instid0(VALU_DEP_1) | instskip(NEXT) | instid1(VALU_DEP_1)
	v_add_f32_e32 v3, v3, v4
	v_cndmask_b32_e64 v1, v1, v3, s0
	v_cndmask_b32_e64 v3, 0, 0x41b17218, vcc_lo
	s_lshl_b64 s[0:1], s[6:7], 1
	s_delay_alu instid0(SALU_CYCLE_1) | instskip(SKIP_1) | instid1(VALU_DEP_1)
	s_add_u32 s0, s8, s0
	s_addc_u32 s1, s9, s1
	v_sub_f32_e32 v1, v1, v3
	s_delay_alu instid0(VALU_DEP_1) | instskip(NEXT) | instid1(VALU_DEP_1)
	v_sub_f32_e32 v0, v0, v1
	v_bfe_u32 v1, v0, 16, 1
	v_cmp_o_f32_e32 vcc_lo, v0, v0
	s_delay_alu instid0(VALU_DEP_2) | instskip(NEXT) | instid1(VALU_DEP_1)
	v_add3_u32 v1, v0, v1, 0x7fff
	v_lshrrev_b32_e32 v1, 16, v1
	s_delay_alu instid0(VALU_DEP_1)
	v_cndmask_b32_e32 v0, 0x7fc0, v1, vcc_lo
	global_store_b16 v2, v0, s[0:1]
.LBB155_16:
	s_nop 0
	s_sendmsg sendmsg(MSG_DEALLOC_VGPRS)
	s_endpgm
.LBB155_17:
	ds_load_b32 v10, v9
	s_or_b32 exec_lo, exec_lo, s1
	v_cmp_gt_u32_e64 s1, 32, v0
	s_delay_alu instid0(VALU_DEP_1)
	s_and_saveexec_b32 s4, s1
	s_cbranch_execz .LBB155_6
.LBB155_18:
	s_waitcnt lgkmcnt(0)
	ds_bpermute_b32 v11, v3, v10
	s_waitcnt lgkmcnt(0)
	v_cmp_lt_f32_e64 s3, v10, v11
	s_delay_alu instid0(VALU_DEP_1) | instskip(SKIP_3) | instid1(VALU_DEP_1)
	v_cndmask_b32_e64 v10, v10, v11, s3
	ds_bpermute_b32 v11, v4, v10
	s_waitcnt lgkmcnt(0)
	v_cmp_lt_f32_e64 s3, v10, v11
	v_cndmask_b32_e64 v10, v10, v11, s3
	ds_bpermute_b32 v11, v5, v10
	s_waitcnt lgkmcnt(0)
	v_cmp_lt_f32_e64 s3, v10, v11
	s_delay_alu instid0(VALU_DEP_1) | instskip(SKIP_3) | instid1(VALU_DEP_1)
	v_cndmask_b32_e64 v10, v10, v11, s3
	ds_bpermute_b32 v11, v6, v10
	s_waitcnt lgkmcnt(0)
	v_cmp_lt_f32_e64 s3, v10, v11
	v_cndmask_b32_e64 v10, v10, v11, s3
	ds_bpermute_b32 v11, v7, v10
	s_waitcnt lgkmcnt(0)
	v_cmp_lt_f32_e64 s3, v10, v11
	s_delay_alu instid0(VALU_DEP_1) | instskip(SKIP_2) | instid1(VALU_DEP_1)
	v_cndmask_b32_e64 v10, v10, v11, s3
	s_or_b32 exec_lo, exec_lo, s4
	v_cmp_eq_u32_e64 s3, 0, v0
	s_and_saveexec_b32 s4, s3
	s_cbranch_execnz .LBB155_7
	s_branch .LBB155_8
.LBB155_19:
	ds_load_b32 v10, v9
	s_or_b32 exec_lo, exec_lo, s2
	s_and_saveexec_b32 s0, s1
	s_cbranch_execz .LBB155_12
.LBB155_20:
	s_waitcnt lgkmcnt(0)
	ds_bpermute_b32 v1, v3, v10
	s_waitcnt lgkmcnt(0)
	v_add_f32_e32 v1, v10, v1
	ds_bpermute_b32 v3, v4, v1
	s_waitcnt lgkmcnt(0)
	v_add_f32_e32 v1, v1, v3
	;; [unrolled: 3-line block ×5, first 2 shown]
	s_or_b32 exec_lo, exec_lo, s0
	s_and_saveexec_b32 s0, s3
	s_cbranch_execnz .LBB155_13
	s_branch .LBB155_14
	.section	.rodata,"a",@progbits
	.p2align	6, 0x0
	.amdhsa_kernel _ZN2at6native12_GLOBAL__N_122cunn_SoftMaxForwardRegIN3c108BFloat16EfS4_NS1_25LogSoftMaxForwardEpilogueElLi1EEEvPT1_PKT_T3_
		.amdhsa_group_segment_fixed_size 0
		.amdhsa_private_segment_fixed_size 0
		.amdhsa_kernarg_size 280
		.amdhsa_user_sgpr_count 15
		.amdhsa_user_sgpr_dispatch_ptr 0
		.amdhsa_user_sgpr_queue_ptr 0
		.amdhsa_user_sgpr_kernarg_segment_ptr 1
		.amdhsa_user_sgpr_dispatch_id 0
		.amdhsa_user_sgpr_private_segment_size 0
		.amdhsa_wavefront_size32 1
		.amdhsa_uses_dynamic_stack 0
		.amdhsa_enable_private_segment 0
		.amdhsa_system_sgpr_workgroup_id_x 1
		.amdhsa_system_sgpr_workgroup_id_y 0
		.amdhsa_system_sgpr_workgroup_id_z 0
		.amdhsa_system_sgpr_workgroup_info 0
		.amdhsa_system_vgpr_workitem_id 0
		.amdhsa_next_free_vgpr 13
		.amdhsa_next_free_sgpr 16
		.amdhsa_reserve_vcc 1
		.amdhsa_float_round_mode_32 0
		.amdhsa_float_round_mode_16_64 0
		.amdhsa_float_denorm_mode_32 3
		.amdhsa_float_denorm_mode_16_64 3
		.amdhsa_dx10_clamp 1
		.amdhsa_ieee_mode 1
		.amdhsa_fp16_overflow 0
		.amdhsa_workgroup_processor_mode 1
		.amdhsa_memory_ordered 1
		.amdhsa_forward_progress 0
		.amdhsa_shared_vgpr_count 0
		.amdhsa_exception_fp_ieee_invalid_op 0
		.amdhsa_exception_fp_denorm_src 0
		.amdhsa_exception_fp_ieee_div_zero 0
		.amdhsa_exception_fp_ieee_overflow 0
		.amdhsa_exception_fp_ieee_underflow 0
		.amdhsa_exception_fp_ieee_inexact 0
		.amdhsa_exception_int_div_zero 0
	.end_amdhsa_kernel
	.section	.text._ZN2at6native12_GLOBAL__N_122cunn_SoftMaxForwardRegIN3c108BFloat16EfS4_NS1_25LogSoftMaxForwardEpilogueElLi1EEEvPT1_PKT_T3_,"axG",@progbits,_ZN2at6native12_GLOBAL__N_122cunn_SoftMaxForwardRegIN3c108BFloat16EfS4_NS1_25LogSoftMaxForwardEpilogueElLi1EEEvPT1_PKT_T3_,comdat
.Lfunc_end155:
	.size	_ZN2at6native12_GLOBAL__N_122cunn_SoftMaxForwardRegIN3c108BFloat16EfS4_NS1_25LogSoftMaxForwardEpilogueElLi1EEEvPT1_PKT_T3_, .Lfunc_end155-_ZN2at6native12_GLOBAL__N_122cunn_SoftMaxForwardRegIN3c108BFloat16EfS4_NS1_25LogSoftMaxForwardEpilogueElLi1EEEvPT1_PKT_T3_
                                        ; -- End function
	.section	.AMDGPU.csdata,"",@progbits
; Kernel info:
; codeLenInByte = 1556
; NumSgprs: 18
; NumVgprs: 13
; ScratchSize: 0
; MemoryBound: 0
; FloatMode: 240
; IeeeMode: 1
; LDSByteSize: 0 bytes/workgroup (compile time only)
; SGPRBlocks: 2
; VGPRBlocks: 1
; NumSGPRsForWavesPerEU: 18
; NumVGPRsForWavesPerEU: 13
; Occupancy: 16
; WaveLimiterHint : 0
; COMPUTE_PGM_RSRC2:SCRATCH_EN: 0
; COMPUTE_PGM_RSRC2:USER_SGPR: 15
; COMPUTE_PGM_RSRC2:TRAP_HANDLER: 0
; COMPUTE_PGM_RSRC2:TGID_X_EN: 1
; COMPUTE_PGM_RSRC2:TGID_Y_EN: 0
; COMPUTE_PGM_RSRC2:TGID_Z_EN: 0
; COMPUTE_PGM_RSRC2:TIDIG_COMP_CNT: 0
	.section	.text._ZN2at6native12_GLOBAL__N_122cunn_SoftMaxForwardRegIN3c108BFloat16EfS4_NS1_25LogSoftMaxForwardEpilogueElLi2EEEvPT1_PKT_T3_,"axG",@progbits,_ZN2at6native12_GLOBAL__N_122cunn_SoftMaxForwardRegIN3c108BFloat16EfS4_NS1_25LogSoftMaxForwardEpilogueElLi2EEEvPT1_PKT_T3_,comdat
	.globl	_ZN2at6native12_GLOBAL__N_122cunn_SoftMaxForwardRegIN3c108BFloat16EfS4_NS1_25LogSoftMaxForwardEpilogueElLi2EEEvPT1_PKT_T3_ ; -- Begin function _ZN2at6native12_GLOBAL__N_122cunn_SoftMaxForwardRegIN3c108BFloat16EfS4_NS1_25LogSoftMaxForwardEpilogueElLi2EEEvPT1_PKT_T3_
	.p2align	8
	.type	_ZN2at6native12_GLOBAL__N_122cunn_SoftMaxForwardRegIN3c108BFloat16EfS4_NS1_25LogSoftMaxForwardEpilogueElLi2EEEvPT1_PKT_T3_,@function
_ZN2at6native12_GLOBAL__N_122cunn_SoftMaxForwardRegIN3c108BFloat16EfS4_NS1_25LogSoftMaxForwardEpilogueElLi2EEEvPT1_PKT_T3_: ; @_ZN2at6native12_GLOBAL__N_122cunn_SoftMaxForwardRegIN3c108BFloat16EfS4_NS1_25LogSoftMaxForwardEpilogueElLi2EEEvPT1_PKT_T3_
; %bb.0:
	s_clause 0x2
	s_load_b64 s[2:3], s[0:1], 0x10
	s_load_b128 s[8:11], s[0:1], 0x0
	s_load_b32 s0, s[0:1], 0x24
	v_dual_mov_b32 v1, 0 :: v_dual_mov_b32 v6, 0xff7fffff
	s_delay_alu instid0(VALU_DEP_1)
	v_dual_mov_b32 v9, v1 :: v_dual_lshlrev_b32 v2, 1, v0
	s_waitcnt lgkmcnt(0)
	s_mul_i32 s1, s15, s3
	s_mul_hi_u32 s5, s15, s2
	s_mul_i32 s4, s15, s2
	s_add_i32 s5, s5, s1
	v_cmp_gt_i64_e32 vcc_lo, s[2:3], v[0:1]
	s_lshl_b64 s[6:7], s[4:5], 1
	s_delay_alu instid0(SALU_CYCLE_1)
	s_add_u32 s4, s10, s6
	s_addc_u32 s5, s11, s7
	s_and_saveexec_b32 s1, vcc_lo
	s_cbranch_execz .LBB156_2
; %bb.1:
	global_load_u16 v3, v2, s[4:5]
	s_waitcnt vmcnt(0)
	v_lshlrev_b32_e32 v9, 16, v3
	s_delay_alu instid0(VALU_DEP_1) | instskip(NEXT) | instid1(VALU_DEP_1)
	v_max_f32_e32 v3, v9, v9
	v_max_f32_e32 v6, 0xff7fffff, v3
.LBB156_2:
	s_or_b32 exec_lo, exec_lo, s1
	s_and_b32 s10, 0xffff, s0
	s_delay_alu instid0(SALU_CYCLE_1) | instskip(NEXT) | instid1(VALU_DEP_1)
	v_dual_mov_b32 v4, v1 :: v_dual_add_nc_u32 v3, s10, v0
	v_cmp_gt_i64_e64 s0, s[2:3], v[3:4]
	v_lshlrev_b32_e32 v3, 1, v3
	s_delay_alu instid0(VALU_DEP_2)
	s_and_saveexec_b32 s1, s0
	s_cbranch_execz .LBB156_4
; %bb.3:
	global_load_u16 v1, v3, s[4:5]
	v_max_f32_e32 v5, v6, v6
	s_waitcnt vmcnt(0)
	v_lshlrev_b32_e32 v1, 16, v1
	s_delay_alu instid0(VALU_DEP_1) | instskip(NEXT) | instid1(VALU_DEP_1)
	v_max_f32_e32 v4, v1, v1
	v_max_f32_e32 v6, v5, v4
.LBB156_4:
	s_or_b32 exec_lo, exec_lo, s1
	v_mbcnt_lo_u32_b32 v8, -1, 0
	s_barrier
	buffer_gl0_inv
	v_cmp_gt_u32_e64 s1, 16, v8
	s_delay_alu instid0(VALU_DEP_1) | instskip(SKIP_1) | instid1(VALU_DEP_2)
	v_cndmask_b32_e64 v4, 0, 1, s1
	v_cmp_gt_u32_e64 s1, 24, v8
	v_lshlrev_b32_e32 v4, 4, v4
	s_delay_alu instid0(VALU_DEP_2) | instskip(NEXT) | instid1(VALU_DEP_2)
	v_cndmask_b32_e64 v5, 0, 1, s1
	v_add_lshl_u32 v4, v4, v8, 2
	s_delay_alu instid0(VALU_DEP_2) | instskip(SKIP_4) | instid1(VALU_DEP_1)
	v_lshlrev_b32_e32 v5, 3, v5
	ds_bpermute_b32 v7, v4, v6
	v_add_lshl_u32 v5, v5, v8, 2
	s_waitcnt lgkmcnt(0)
	v_cmp_lt_f32_e64 s1, v6, v7
	v_cndmask_b32_e64 v7, v6, v7, s1
	v_cmp_gt_u32_e64 s1, 28, v8
	ds_bpermute_b32 v10, v5, v7
	v_cndmask_b32_e64 v6, 0, 1, s1
	s_delay_alu instid0(VALU_DEP_1) | instskip(NEXT) | instid1(VALU_DEP_1)
	v_lshlrev_b32_e32 v6, 2, v6
	v_add_lshl_u32 v6, v6, v8, 2
	s_waitcnt lgkmcnt(0)
	v_cmp_lt_f32_e64 s1, v7, v10
	s_delay_alu instid0(VALU_DEP_1) | instskip(SKIP_3) | instid1(VALU_DEP_1)
	v_cndmask_b32_e64 v10, v7, v10, s1
	v_cmp_gt_u32_e64 s1, 30, v8
	ds_bpermute_b32 v11, v6, v10
	v_cndmask_b32_e64 v7, 0, 1, s1
	v_lshlrev_b32_e32 v7, 1, v7
	s_delay_alu instid0(VALU_DEP_1) | instskip(SKIP_2) | instid1(VALU_DEP_1)
	v_add_lshl_u32 v7, v7, v8, 2
	s_waitcnt lgkmcnt(0)
	v_cmp_lt_f32_e64 s1, v10, v11
	v_cndmask_b32_e64 v10, v10, v11, s1
	v_cmp_ne_u32_e64 s1, 31, v8
	ds_bpermute_b32 v11, v7, v10
	v_add_co_ci_u32_e64 v8, s1, 0, v8, s1
	s_delay_alu instid0(VALU_DEP_1) | instskip(SKIP_2) | instid1(VALU_DEP_1)
	v_lshlrev_b32_e32 v8, 2, v8
	s_waitcnt lgkmcnt(0)
	v_cmp_lt_f32_e64 s1, v10, v11
	v_cndmask_b32_e64 v12, v10, v11, s1
	v_and_b32_e32 v11, 31, v0
	v_lshrrev_b32_e32 v10, 3, v0
	ds_bpermute_b32 v13, v8, v12
	v_cmp_eq_u32_e64 s1, 0, v11
	s_delay_alu instid0(VALU_DEP_1) | instskip(NEXT) | instid1(SALU_CYCLE_1)
	s_and_saveexec_b32 s2, s1
	s_xor_b32 s3, exec_lo, s2
	s_cbranch_execz .LBB156_6
; %bb.5:
	s_waitcnt lgkmcnt(0)
	v_cmp_lt_f32_e64 s2, v12, v13
	v_add_nc_u32_e32 v14, 0, v10
	s_delay_alu instid0(VALU_DEP_2)
	v_cndmask_b32_e64 v12, v12, v13, s2
	ds_store_b32 v14, v12
.LBB156_6:
	s_or_b32 exec_lo, exec_lo, s3
	s_lshr_b32 s2, s10, 5
	v_mov_b32_e32 v12, 0xff7fffff
	v_cmp_gt_u32_e64 s2, s2, v0
	v_lshl_add_u32 v11, v11, 2, 0
	s_waitcnt lgkmcnt(0)
	s_barrier
	buffer_gl0_inv
	s_and_saveexec_b32 s3, s2
	s_cbranch_execnz .LBB156_19
; %bb.7:
	s_or_b32 exec_lo, exec_lo, s3
	v_cmp_gt_u32_e64 s3, 32, v0
	s_delay_alu instid0(VALU_DEP_1)
	s_and_saveexec_b32 s5, s3
	s_cbranch_execnz .LBB156_20
.LBB156_8:
	s_or_b32 exec_lo, exec_lo, s5
	v_cmp_eq_u32_e64 s4, 0, v0
	s_delay_alu instid0(VALU_DEP_1)
	s_and_saveexec_b32 s5, s4
	s_cbranch_execz .LBB156_10
.LBB156_9:
	v_mov_b32_e32 v0, 0
	s_waitcnt lgkmcnt(0)
	ds_store_b32 v0, v12
.LBB156_10:
	s_or_b32 exec_lo, exec_lo, s5
	s_waitcnt lgkmcnt(0)
	v_mov_b32_e32 v12, 0
	s_barrier
	buffer_gl0_inv
	ds_load_b32 v13, v12
	s_waitcnt lgkmcnt(0)
	s_barrier
	buffer_gl0_inv
	v_sub_f32_e32 v0, v9, v13
	v_sub_f32_e32 v1, v1, v13
	s_delay_alu instid0(VALU_DEP_2) | instskip(NEXT) | instid1(VALU_DEP_2)
	v_mul_f32_e32 v9, 0x3fb8aa3b, v0
	v_mul_f32_e32 v15, 0x3fb8aa3b, v1
	v_cmp_ngt_f32_e64 s5, 0xc2ce8ed0, v0
	s_delay_alu instid0(VALU_DEP_3) | instskip(SKIP_1) | instid1(VALU_DEP_4)
	v_fma_f32 v13, 0x3fb8aa3b, v0, -v9
	v_rndne_f32_e32 v14, v9
	v_fma_f32 v16, 0x3fb8aa3b, v1, -v15
	v_rndne_f32_e32 v17, v15
	s_delay_alu instid0(VALU_DEP_4) | instskip(NEXT) | instid1(VALU_DEP_3)
	v_fmac_f32_e32 v13, 0x32a5705f, v0
	v_dual_sub_f32 v9, v9, v14 :: v_dual_fmac_f32 v16, 0x32a5705f, v1
	v_cvt_i32_f32_e32 v14, v14
	s_delay_alu instid0(VALU_DEP_2) | instskip(SKIP_1) | instid1(VALU_DEP_2)
	v_add_f32_e32 v9, v9, v13
	v_sub_f32_e32 v13, v15, v17
	v_exp_f32_e32 v9, v9
	s_delay_alu instid0(VALU_DEP_1) | instskip(NEXT) | instid1(VALU_DEP_1)
	v_add_f32_e32 v13, v13, v16
	v_exp_f32_e32 v13, v13
	s_waitcnt_depctr 0xfff
	v_ldexp_f32 v9, v9, v14
	v_cvt_i32_f32_e32 v14, v17
	s_delay_alu instid0(VALU_DEP_2) | instskip(SKIP_1) | instid1(VALU_DEP_3)
	v_cndmask_b32_e64 v9, 0, v9, s5
	v_cmp_nlt_f32_e64 s5, 0x42b17218, v0
	v_ldexp_f32 v13, v13, v14
	s_delay_alu instid0(VALU_DEP_2) | instskip(SKIP_1) | instid1(VALU_DEP_2)
	v_cndmask_b32_e64 v9, 0x7f800000, v9, s5
	v_cmp_ngt_f32_e64 s5, 0xc2ce8ed0, v1
	v_cndmask_b32_e32 v9, 0, v9, vcc_lo
	s_delay_alu instid0(VALU_DEP_2) | instskip(SKIP_1) | instid1(VALU_DEP_1)
	v_cndmask_b32_e64 v13, 0, v13, s5
	v_cmp_nlt_f32_e64 s5, 0x42b17218, v1
	v_cndmask_b32_e64 v13, 0x7f800000, v13, s5
	s_delay_alu instid0(VALU_DEP_1) | instskip(NEXT) | instid1(VALU_DEP_1)
	v_add_f32_e32 v13, v9, v13
	v_cndmask_b32_e64 v9, v9, v13, s0
	ds_bpermute_b32 v13, v4, v9
	s_waitcnt lgkmcnt(0)
	v_add_f32_e32 v9, v9, v13
	ds_bpermute_b32 v13, v5, v9
	s_waitcnt lgkmcnt(0)
	v_add_f32_e32 v9, v9, v13
	;; [unrolled: 3-line block ×4, first 2 shown]
	ds_bpermute_b32 v13, v8, v9
	s_and_saveexec_b32 s5, s1
	s_cbranch_execz .LBB156_12
; %bb.11:
	s_waitcnt lgkmcnt(0)
	v_dual_add_f32 v9, v9, v13 :: v_dual_add_nc_u32 v10, 0, v10
	ds_store_b32 v10, v9
.LBB156_12:
	s_or_b32 exec_lo, exec_lo, s5
	s_waitcnt lgkmcnt(0)
	s_barrier
	buffer_gl0_inv
	s_and_saveexec_b32 s1, s2
	s_cbranch_execnz .LBB156_21
; %bb.13:
	s_or_b32 exec_lo, exec_lo, s1
	s_and_saveexec_b32 s1, s3
	s_cbranch_execnz .LBB156_22
.LBB156_14:
	s_or_b32 exec_lo, exec_lo, s1
	s_and_saveexec_b32 s1, s4
	s_cbranch_execz .LBB156_16
.LBB156_15:
	v_mov_b32_e32 v4, 0
	s_waitcnt lgkmcnt(0)
	ds_store_b32 v4, v12
.LBB156_16:
	s_or_b32 exec_lo, exec_lo, s1
	v_mov_b32_e32 v4, 0
	s_waitcnt lgkmcnt(0)
	s_barrier
	buffer_gl0_inv
	ds_load_b32 v4, v4
	s_waitcnt lgkmcnt(0)
	v_cmp_gt_f32_e64 s1, 0x800000, v4
	s_delay_alu instid0(VALU_DEP_1) | instskip(NEXT) | instid1(VALU_DEP_1)
	v_cndmask_b32_e64 v5, 1.0, 0x4f800000, s1
	v_mul_f32_e32 v4, v4, v5
	s_delay_alu instid0(VALU_DEP_1) | instskip(SKIP_3) | instid1(VALU_DEP_2)
	v_log_f32_e32 v4, v4
	s_waitcnt_depctr 0xfff
	v_mul_f32_e32 v5, 0x3f317217, v4
	v_cmp_gt_f32_e64 s2, 0x7f800000, |v4|
	v_fma_f32 v6, 0x3f317217, v4, -v5
	s_delay_alu instid0(VALU_DEP_1) | instskip(NEXT) | instid1(VALU_DEP_1)
	v_fmamk_f32 v6, v4, 0x3377d1cf, v6
	v_add_f32_e32 v5, v5, v6
	s_delay_alu instid0(VALU_DEP_1) | instskip(SKIP_3) | instid1(VALU_DEP_1)
	v_cndmask_b32_e64 v4, v4, v5, s2
	v_cndmask_b32_e64 v5, 0, 0x41b17218, s1
	s_add_u32 s2, s8, s6
	s_addc_u32 s3, s9, s7
	v_sub_f32_e32 v4, v4, v5
	s_and_saveexec_b32 s1, vcc_lo
	s_cbranch_execnz .LBB156_23
; %bb.17:
	s_or_b32 exec_lo, exec_lo, s1
	s_and_saveexec_b32 s1, s0
	s_cbranch_execnz .LBB156_24
.LBB156_18:
	s_nop 0
	s_sendmsg sendmsg(MSG_DEALLOC_VGPRS)
	s_endpgm
.LBB156_19:
	ds_load_b32 v12, v11
	s_or_b32 exec_lo, exec_lo, s3
	v_cmp_gt_u32_e64 s3, 32, v0
	s_delay_alu instid0(VALU_DEP_1)
	s_and_saveexec_b32 s5, s3
	s_cbranch_execz .LBB156_8
.LBB156_20:
	s_waitcnt lgkmcnt(0)
	ds_bpermute_b32 v13, v4, v12
	s_waitcnt lgkmcnt(0)
	v_cmp_lt_f32_e64 s4, v12, v13
	s_delay_alu instid0(VALU_DEP_1) | instskip(SKIP_3) | instid1(VALU_DEP_1)
	v_cndmask_b32_e64 v12, v12, v13, s4
	ds_bpermute_b32 v13, v5, v12
	s_waitcnt lgkmcnt(0)
	v_cmp_lt_f32_e64 s4, v12, v13
	v_cndmask_b32_e64 v12, v12, v13, s4
	ds_bpermute_b32 v13, v6, v12
	s_waitcnt lgkmcnt(0)
	v_cmp_lt_f32_e64 s4, v12, v13
	s_delay_alu instid0(VALU_DEP_1) | instskip(SKIP_3) | instid1(VALU_DEP_1)
	v_cndmask_b32_e64 v12, v12, v13, s4
	ds_bpermute_b32 v13, v7, v12
	s_waitcnt lgkmcnt(0)
	v_cmp_lt_f32_e64 s4, v12, v13
	v_cndmask_b32_e64 v12, v12, v13, s4
	ds_bpermute_b32 v13, v8, v12
	s_waitcnt lgkmcnt(0)
	v_cmp_lt_f32_e64 s4, v12, v13
	s_delay_alu instid0(VALU_DEP_1) | instskip(SKIP_2) | instid1(VALU_DEP_1)
	v_cndmask_b32_e64 v12, v12, v13, s4
	s_or_b32 exec_lo, exec_lo, s5
	v_cmp_eq_u32_e64 s4, 0, v0
	s_and_saveexec_b32 s5, s4
	s_cbranch_execnz .LBB156_9
	s_branch .LBB156_10
.LBB156_21:
	ds_load_b32 v12, v11
	s_or_b32 exec_lo, exec_lo, s1
	s_and_saveexec_b32 s1, s3
	s_cbranch_execz .LBB156_14
.LBB156_22:
	s_waitcnt lgkmcnt(0)
	ds_bpermute_b32 v4, v4, v12
	s_waitcnt lgkmcnt(0)
	v_add_f32_e32 v4, v12, v4
	ds_bpermute_b32 v5, v5, v4
	s_waitcnt lgkmcnt(0)
	v_add_f32_e32 v4, v4, v5
	;; [unrolled: 3-line block ×5, first 2 shown]
	s_or_b32 exec_lo, exec_lo, s1
	s_and_saveexec_b32 s1, s4
	s_cbranch_execnz .LBB156_15
	s_branch .LBB156_16
.LBB156_23:
	s_delay_alu instid0(VALU_DEP_1) | instskip(NEXT) | instid1(VALU_DEP_1)
	v_sub_f32_e32 v0, v0, v4
	v_bfe_u32 v5, v0, 16, 1
	v_cmp_o_f32_e32 vcc_lo, v0, v0
	s_delay_alu instid0(VALU_DEP_2) | instskip(NEXT) | instid1(VALU_DEP_1)
	v_add3_u32 v5, v0, v5, 0x7fff
	v_lshrrev_b32_e32 v5, 16, v5
	s_delay_alu instid0(VALU_DEP_1)
	v_cndmask_b32_e32 v0, 0x7fc0, v5, vcc_lo
	global_store_b16 v2, v0, s[2:3]
	s_or_b32 exec_lo, exec_lo, s1
	s_and_saveexec_b32 s1, s0
	s_cbranch_execz .LBB156_18
.LBB156_24:
	v_sub_f32_e32 v0, v1, v4
	s_delay_alu instid0(VALU_DEP_1) | instskip(SKIP_1) | instid1(VALU_DEP_2)
	v_bfe_u32 v1, v0, 16, 1
	v_cmp_o_f32_e32 vcc_lo, v0, v0
	v_add3_u32 v1, v0, v1, 0x7fff
	s_delay_alu instid0(VALU_DEP_1) | instskip(NEXT) | instid1(VALU_DEP_1)
	v_lshrrev_b32_e32 v1, 16, v1
	v_cndmask_b32_e32 v0, 0x7fc0, v1, vcc_lo
	global_store_b16 v3, v0, s[2:3]
	s_nop 0
	s_sendmsg sendmsg(MSG_DEALLOC_VGPRS)
	s_endpgm
	.section	.rodata,"a",@progbits
	.p2align	6, 0x0
	.amdhsa_kernel _ZN2at6native12_GLOBAL__N_122cunn_SoftMaxForwardRegIN3c108BFloat16EfS4_NS1_25LogSoftMaxForwardEpilogueElLi2EEEvPT1_PKT_T3_
		.amdhsa_group_segment_fixed_size 0
		.amdhsa_private_segment_fixed_size 0
		.amdhsa_kernarg_size 280
		.amdhsa_user_sgpr_count 15
		.amdhsa_user_sgpr_dispatch_ptr 0
		.amdhsa_user_sgpr_queue_ptr 0
		.amdhsa_user_sgpr_kernarg_segment_ptr 1
		.amdhsa_user_sgpr_dispatch_id 0
		.amdhsa_user_sgpr_private_segment_size 0
		.amdhsa_wavefront_size32 1
		.amdhsa_uses_dynamic_stack 0
		.amdhsa_enable_private_segment 0
		.amdhsa_system_sgpr_workgroup_id_x 1
		.amdhsa_system_sgpr_workgroup_id_y 0
		.amdhsa_system_sgpr_workgroup_id_z 0
		.amdhsa_system_sgpr_workgroup_info 0
		.amdhsa_system_vgpr_workitem_id 0
		.amdhsa_next_free_vgpr 18
		.amdhsa_next_free_sgpr 16
		.amdhsa_reserve_vcc 1
		.amdhsa_float_round_mode_32 0
		.amdhsa_float_round_mode_16_64 0
		.amdhsa_float_denorm_mode_32 3
		.amdhsa_float_denorm_mode_16_64 3
		.amdhsa_dx10_clamp 1
		.amdhsa_ieee_mode 1
		.amdhsa_fp16_overflow 0
		.amdhsa_workgroup_processor_mode 1
		.amdhsa_memory_ordered 1
		.amdhsa_forward_progress 0
		.amdhsa_shared_vgpr_count 0
		.amdhsa_exception_fp_ieee_invalid_op 0
		.amdhsa_exception_fp_denorm_src 0
		.amdhsa_exception_fp_ieee_div_zero 0
		.amdhsa_exception_fp_ieee_overflow 0
		.amdhsa_exception_fp_ieee_underflow 0
		.amdhsa_exception_fp_ieee_inexact 0
		.amdhsa_exception_int_div_zero 0
	.end_amdhsa_kernel
	.section	.text._ZN2at6native12_GLOBAL__N_122cunn_SoftMaxForwardRegIN3c108BFloat16EfS4_NS1_25LogSoftMaxForwardEpilogueElLi2EEEvPT1_PKT_T3_,"axG",@progbits,_ZN2at6native12_GLOBAL__N_122cunn_SoftMaxForwardRegIN3c108BFloat16EfS4_NS1_25LogSoftMaxForwardEpilogueElLi2EEEvPT1_PKT_T3_,comdat
.Lfunc_end156:
	.size	_ZN2at6native12_GLOBAL__N_122cunn_SoftMaxForwardRegIN3c108BFloat16EfS4_NS1_25LogSoftMaxForwardEpilogueElLi2EEEvPT1_PKT_T3_, .Lfunc_end156-_ZN2at6native12_GLOBAL__N_122cunn_SoftMaxForwardRegIN3c108BFloat16EfS4_NS1_25LogSoftMaxForwardEpilogueElLi2EEEvPT1_PKT_T3_
                                        ; -- End function
	.section	.AMDGPU.csdata,"",@progbits
; Kernel info:
; codeLenInByte = 1852
; NumSgprs: 18
; NumVgprs: 18
; ScratchSize: 0
; MemoryBound: 0
; FloatMode: 240
; IeeeMode: 1
; LDSByteSize: 0 bytes/workgroup (compile time only)
; SGPRBlocks: 2
; VGPRBlocks: 2
; NumSGPRsForWavesPerEU: 18
; NumVGPRsForWavesPerEU: 18
; Occupancy: 16
; WaveLimiterHint : 0
; COMPUTE_PGM_RSRC2:SCRATCH_EN: 0
; COMPUTE_PGM_RSRC2:USER_SGPR: 15
; COMPUTE_PGM_RSRC2:TRAP_HANDLER: 0
; COMPUTE_PGM_RSRC2:TGID_X_EN: 1
; COMPUTE_PGM_RSRC2:TGID_Y_EN: 0
; COMPUTE_PGM_RSRC2:TGID_Z_EN: 0
; COMPUTE_PGM_RSRC2:TIDIG_COMP_CNT: 0
	.section	.text._ZN2at6native12_GLOBAL__N_122cunn_SoftMaxForwardRegIN3c108BFloat16EfS4_NS1_25LogSoftMaxForwardEpilogueElLi3EEEvPT1_PKT_T3_,"axG",@progbits,_ZN2at6native12_GLOBAL__N_122cunn_SoftMaxForwardRegIN3c108BFloat16EfS4_NS1_25LogSoftMaxForwardEpilogueElLi3EEEvPT1_PKT_T3_,comdat
	.globl	_ZN2at6native12_GLOBAL__N_122cunn_SoftMaxForwardRegIN3c108BFloat16EfS4_NS1_25LogSoftMaxForwardEpilogueElLi3EEEvPT1_PKT_T3_ ; -- Begin function _ZN2at6native12_GLOBAL__N_122cunn_SoftMaxForwardRegIN3c108BFloat16EfS4_NS1_25LogSoftMaxForwardEpilogueElLi3EEEvPT1_PKT_T3_
	.p2align	8
	.type	_ZN2at6native12_GLOBAL__N_122cunn_SoftMaxForwardRegIN3c108BFloat16EfS4_NS1_25LogSoftMaxForwardEpilogueElLi3EEEvPT1_PKT_T3_,@function
_ZN2at6native12_GLOBAL__N_122cunn_SoftMaxForwardRegIN3c108BFloat16EfS4_NS1_25LogSoftMaxForwardEpilogueElLi3EEEvPT1_PKT_T3_: ; @_ZN2at6native12_GLOBAL__N_122cunn_SoftMaxForwardRegIN3c108BFloat16EfS4_NS1_25LogSoftMaxForwardEpilogueElLi3EEEvPT1_PKT_T3_
; %bb.0:
	s_clause 0x2
	s_load_b64 s[2:3], s[0:1], 0x10
	s_load_b128 s[8:11], s[0:1], 0x0
	s_load_b32 s0, s[0:1], 0x24
	v_dual_mov_b32 v2, 0 :: v_dual_lshlrev_b32 v5, 1, v0
	v_dual_mov_b32 v8, 0xff7fffff :: v_dual_mov_b32 v11, 0
	s_delay_alu instid0(VALU_DEP_2)
	v_mov_b32_e32 v1, v2
	s_waitcnt lgkmcnt(0)
	s_mul_i32 s1, s15, s3
	s_mul_hi_u32 s5, s15, s2
	s_mul_i32 s4, s15, s2
	s_add_i32 s5, s5, s1
	v_cmp_gt_i64_e32 vcc_lo, s[2:3], v[0:1]
	s_lshl_b64 s[12:13], s[4:5], 1
	s_delay_alu instid0(SALU_CYCLE_1)
	s_add_u32 s4, s10, s12
	s_addc_u32 s5, s11, s13
	s_and_saveexec_b32 s1, vcc_lo
	s_cbranch_execz .LBB157_2
; %bb.1:
	global_load_u16 v1, v5, s[4:5]
	s_waitcnt vmcnt(0)
	v_lshlrev_b32_e32 v11, 16, v1
	s_delay_alu instid0(VALU_DEP_1) | instskip(NEXT) | instid1(VALU_DEP_1)
	v_max_f32_e32 v1, v11, v11
	v_max_f32_e32 v8, 0xff7fffff, v1
.LBB157_2:
	s_or_b32 exec_lo, exec_lo, s1
	s_and_b32 s6, 0xffff, s0
	s_delay_alu instid0(SALU_CYCLE_1) | instskip(NEXT) | instid1(VALU_DEP_1)
	v_add_nc_u32_e32 v1, s6, v0
	v_cmp_gt_i64_e64 s0, s[2:3], v[1:2]
	v_lshlrev_b32_e32 v6, 1, v1
	s_delay_alu instid0(VALU_DEP_2)
	s_and_saveexec_b32 s1, s0
	s_cbranch_execz .LBB157_4
; %bb.3:
	global_load_u16 v2, v6, s[4:5]
	v_max_f32_e32 v4, v8, v8
	s_waitcnt vmcnt(0)
	v_lshlrev_b32_e32 v2, 16, v2
	s_delay_alu instid0(VALU_DEP_1) | instskip(NEXT) | instid1(VALU_DEP_1)
	v_max_f32_e32 v3, v2, v2
	v_max_f32_e32 v8, v4, v3
.LBB157_4:
	s_or_b32 exec_lo, exec_lo, s1
	v_dual_mov_b32 v4, 0 :: v_dual_add_nc_u32 v3, s6, v1
	s_delay_alu instid0(VALU_DEP_1) | instskip(NEXT) | instid1(VALU_DEP_2)
	v_lshlrev_b32_e32 v1, 1, v3
	v_cmp_gt_i64_e64 s1, s[2:3], v[3:4]
	s_delay_alu instid0(VALU_DEP_1)
	s_and_saveexec_b32 s2, s1
	s_cbranch_execz .LBB157_6
; %bb.5:
	global_load_u16 v3, v1, s[4:5]
	s_waitcnt vmcnt(0)
	v_dual_max_f32 v7, v8, v8 :: v_dual_lshlrev_b32 v4, 16, v3
	s_delay_alu instid0(VALU_DEP_1) | instskip(NEXT) | instid1(VALU_DEP_1)
	v_max_f32_e32 v3, v4, v4
	v_max_f32_e32 v8, v7, v3
.LBB157_6:
	s_or_b32 exec_lo, exec_lo, s2
	v_mbcnt_lo_u32_b32 v10, -1, 0
	s_barrier
	buffer_gl0_inv
	v_cmp_gt_u32_e64 s2, 16, v10
	s_delay_alu instid0(VALU_DEP_1) | instskip(SKIP_1) | instid1(VALU_DEP_2)
	v_cndmask_b32_e64 v3, 0, 1, s2
	v_cmp_gt_u32_e64 s2, 24, v10
	v_lshlrev_b32_e32 v3, 4, v3
	s_delay_alu instid0(VALU_DEP_2) | instskip(NEXT) | instid1(VALU_DEP_2)
	v_cndmask_b32_e64 v7, 0, 1, s2
	v_add_lshl_u32 v3, v3, v10, 2
	s_delay_alu instid0(VALU_DEP_2) | instskip(SKIP_4) | instid1(VALU_DEP_1)
	v_lshlrev_b32_e32 v7, 3, v7
	ds_bpermute_b32 v9, v3, v8
	v_add_lshl_u32 v7, v7, v10, 2
	s_waitcnt lgkmcnt(0)
	v_cmp_lt_f32_e64 s2, v8, v9
	v_cndmask_b32_e64 v9, v8, v9, s2
	v_cmp_gt_u32_e64 s2, 28, v10
	ds_bpermute_b32 v12, v7, v9
	v_cndmask_b32_e64 v8, 0, 1, s2
	s_delay_alu instid0(VALU_DEP_1) | instskip(NEXT) | instid1(VALU_DEP_1)
	v_lshlrev_b32_e32 v8, 2, v8
	v_add_lshl_u32 v8, v8, v10, 2
	s_waitcnt lgkmcnt(0)
	v_cmp_lt_f32_e64 s2, v9, v12
	s_delay_alu instid0(VALU_DEP_1) | instskip(SKIP_3) | instid1(VALU_DEP_1)
	v_cndmask_b32_e64 v12, v9, v12, s2
	v_cmp_gt_u32_e64 s2, 30, v10
	ds_bpermute_b32 v13, v8, v12
	v_cndmask_b32_e64 v9, 0, 1, s2
	v_lshlrev_b32_e32 v9, 1, v9
	s_delay_alu instid0(VALU_DEP_1) | instskip(SKIP_2) | instid1(VALU_DEP_1)
	v_add_lshl_u32 v9, v9, v10, 2
	s_waitcnt lgkmcnt(0)
	v_cmp_lt_f32_e64 s2, v12, v13
	v_cndmask_b32_e64 v12, v12, v13, s2
	v_cmp_ne_u32_e64 s2, 31, v10
	ds_bpermute_b32 v13, v9, v12
	v_add_co_ci_u32_e64 v10, s2, 0, v10, s2
	s_delay_alu instid0(VALU_DEP_1) | instskip(SKIP_2) | instid1(VALU_DEP_1)
	v_lshlrev_b32_e32 v10, 2, v10
	s_waitcnt lgkmcnt(0)
	v_cmp_lt_f32_e64 s2, v12, v13
	v_cndmask_b32_e64 v14, v12, v13, s2
	v_and_b32_e32 v13, 31, v0
	v_lshrrev_b32_e32 v12, 3, v0
	ds_bpermute_b32 v15, v10, v14
	v_cmp_eq_u32_e64 s2, 0, v13
	s_delay_alu instid0(VALU_DEP_1) | instskip(NEXT) | instid1(SALU_CYCLE_1)
	s_and_saveexec_b32 s3, s2
	s_xor_b32 s4, exec_lo, s3
	s_cbranch_execz .LBB157_8
; %bb.7:
	s_waitcnt lgkmcnt(0)
	v_cmp_lt_f32_e64 s3, v14, v15
	v_add_nc_u32_e32 v16, 0, v12
	s_delay_alu instid0(VALU_DEP_2)
	v_cndmask_b32_e64 v14, v14, v15, s3
	ds_store_b32 v16, v14
.LBB157_8:
	s_or_b32 exec_lo, exec_lo, s4
	s_lshr_b32 s3, s6, 5
	v_mov_b32_e32 v14, 0xff7fffff
	v_cmp_gt_u32_e64 s3, s3, v0
	v_lshl_add_u32 v13, v13, 2, 0
	s_waitcnt lgkmcnt(0)
	s_barrier
	buffer_gl0_inv
	s_and_saveexec_b32 s4, s3
	s_cbranch_execnz .LBB157_22
; %bb.9:
	s_or_b32 exec_lo, exec_lo, s4
	v_cmp_gt_u32_e64 s4, 32, v0
	s_delay_alu instid0(VALU_DEP_1)
	s_and_saveexec_b32 s6, s4
	s_cbranch_execnz .LBB157_23
.LBB157_10:
	s_or_b32 exec_lo, exec_lo, s6
	v_cmp_eq_u32_e64 s5, 0, v0
	s_delay_alu instid0(VALU_DEP_1)
	s_and_saveexec_b32 s6, s5
	s_cbranch_execz .LBB157_12
.LBB157_11:
	v_mov_b32_e32 v0, 0
	s_waitcnt lgkmcnt(0)
	ds_store_b32 v0, v14
.LBB157_12:
	s_or_b32 exec_lo, exec_lo, s6
	s_waitcnt lgkmcnt(0)
	v_mov_b32_e32 v14, 0
	s_barrier
	buffer_gl0_inv
	ds_load_b32 v15, v14
	s_waitcnt lgkmcnt(0)
	s_barrier
	buffer_gl0_inv
	v_sub_f32_e32 v2, v2, v15
	v_sub_f32_e32 v0, v11, v15
	;; [unrolled: 1-line block ×3, first 2 shown]
	s_delay_alu instid0(VALU_DEP_3) | instskip(NEXT) | instid1(VALU_DEP_1)
	v_mul_f32_e32 v16, 0x3fb8aa3b, v2
	v_fma_f32 v15, 0x3fb8aa3b, v2, -v16
	s_delay_alu instid0(VALU_DEP_1) | instskip(SKIP_2) | instid1(VALU_DEP_2)
	v_fmac_f32_e32 v15, 0x32a5705f, v2
	v_mul_f32_e32 v11, 0x3fb8aa3b, v0
	v_cmp_ngt_f32_e64 s6, 0xc2ce8ed0, v0
	v_fma_f32 v17, 0x3fb8aa3b, v0, -v11
	v_rndne_f32_e32 v18, v11
	s_delay_alu instid0(VALU_DEP_2) | instskip(NEXT) | instid1(VALU_DEP_2)
	v_fmac_f32_e32 v17, 0x32a5705f, v0
	v_sub_f32_e32 v11, v11, v18
	v_cvt_i32_f32_e32 v18, v18
	s_delay_alu instid0(VALU_DEP_2) | instskip(SKIP_1) | instid1(VALU_DEP_2)
	v_add_f32_e32 v11, v11, v17
	v_rndne_f32_e32 v19, v16
	v_exp_f32_e32 v11, v11
	s_delay_alu instid0(VALU_DEP_1) | instskip(SKIP_2) | instid1(VALU_DEP_3)
	v_sub_f32_e32 v16, v16, v19
	v_mul_f32_e32 v20, 0x3fb8aa3b, v4
	v_cvt_i32_f32_e32 v19, v19
	v_add_f32_e32 v15, v16, v15
	s_delay_alu instid0(VALU_DEP_3) | instskip(SKIP_1) | instid1(TRANS32_DEP_1)
	v_fma_f32 v16, 0x3fb8aa3b, v4, -v20
	v_rndne_f32_e32 v17, v20
	v_ldexp_f32 v11, v11, v18
	s_delay_alu instid0(VALU_DEP_4) | instskip(NEXT) | instid1(VALU_DEP_1)
	v_exp_f32_e32 v15, v15
	v_cndmask_b32_e64 v11, 0, v11, s6
	v_cmp_ngt_f32_e64 s6, 0xc2ce8ed0, v2
	s_waitcnt_depctr 0xfff
	v_ldexp_f32 v15, v15, v19
	s_delay_alu instid0(VALU_DEP_1) | instskip(SKIP_1) | instid1(VALU_DEP_1)
	v_cndmask_b32_e64 v15, 0, v15, s6
	v_cmp_nlt_f32_e64 s6, 0x42b17218, v0
	v_cndmask_b32_e64 v11, 0x7f800000, v11, s6
	v_cmp_nlt_f32_e64 s6, 0x42b17218, v2
	s_delay_alu instid0(VALU_DEP_2) | instskip(NEXT) | instid1(VALU_DEP_2)
	v_dual_fmac_f32 v16, 0x32a5705f, v4 :: v_dual_cndmask_b32 v11, 0, v11
	v_cndmask_b32_e64 v15, 0x7f800000, v15, s6
	v_sub_f32_e32 v20, v20, v17
	v_cvt_i32_f32_e32 v17, v17
	v_cmp_ngt_f32_e64 s6, 0xc2ce8ed0, v4
	s_delay_alu instid0(VALU_DEP_4) | instskip(NEXT) | instid1(VALU_DEP_1)
	v_add_f32_e32 v15, v11, v15
	v_cndmask_b32_e64 v11, v11, v15, s0
	v_add_f32_e32 v16, v20, v16
	s_delay_alu instid0(VALU_DEP_1) | instskip(SKIP_2) | instid1(VALU_DEP_1)
	v_exp_f32_e32 v16, v16
	s_waitcnt_depctr 0xfff
	v_ldexp_f32 v16, v16, v17
	v_cndmask_b32_e64 v16, 0, v16, s6
	v_cmp_nlt_f32_e64 s6, 0x42b17218, v4
	s_delay_alu instid0(VALU_DEP_1) | instskip(NEXT) | instid1(VALU_DEP_1)
	v_cndmask_b32_e64 v15, 0x7f800000, v16, s6
	v_add_f32_e32 v15, v11, v15
	s_delay_alu instid0(VALU_DEP_1)
	v_cndmask_b32_e64 v11, v11, v15, s1
	ds_bpermute_b32 v15, v3, v11
	s_waitcnt lgkmcnt(0)
	v_add_f32_e32 v11, v11, v15
	ds_bpermute_b32 v15, v7, v11
	s_waitcnt lgkmcnt(0)
	v_add_f32_e32 v11, v11, v15
	ds_bpermute_b32 v15, v8, v11
	s_waitcnt lgkmcnt(0)
	v_add_f32_e32 v11, v11, v15
	ds_bpermute_b32 v15, v9, v11
	s_waitcnt lgkmcnt(0)
	v_add_f32_e32 v11, v11, v15
	ds_bpermute_b32 v15, v10, v11
	s_and_saveexec_b32 s6, s2
	s_cbranch_execz .LBB157_14
; %bb.13:
	s_waitcnt lgkmcnt(0)
	v_dual_add_f32 v11, v11, v15 :: v_dual_add_nc_u32 v12, 0, v12
	ds_store_b32 v12, v11
.LBB157_14:
	s_or_b32 exec_lo, exec_lo, s6
	s_waitcnt lgkmcnt(0)
	s_barrier
	buffer_gl0_inv
	s_and_saveexec_b32 s2, s3
	s_cbranch_execnz .LBB157_24
; %bb.15:
	s_or_b32 exec_lo, exec_lo, s2
	s_and_saveexec_b32 s2, s4
	s_cbranch_execnz .LBB157_25
.LBB157_16:
	s_or_b32 exec_lo, exec_lo, s2
	s_and_saveexec_b32 s2, s5
	s_cbranch_execz .LBB157_18
.LBB157_17:
	v_mov_b32_e32 v3, 0
	s_waitcnt lgkmcnt(0)
	ds_store_b32 v3, v14
.LBB157_18:
	s_or_b32 exec_lo, exec_lo, s2
	v_mov_b32_e32 v3, 0
	s_waitcnt lgkmcnt(0)
	s_barrier
	buffer_gl0_inv
	ds_load_b32 v3, v3
	s_waitcnt lgkmcnt(0)
	v_cmp_gt_f32_e64 s2, 0x800000, v3
	s_delay_alu instid0(VALU_DEP_1) | instskip(NEXT) | instid1(VALU_DEP_1)
	v_cndmask_b32_e64 v7, 1.0, 0x4f800000, s2
	v_mul_f32_e32 v3, v3, v7
	s_delay_alu instid0(VALU_DEP_1) | instskip(SKIP_3) | instid1(VALU_DEP_2)
	v_log_f32_e32 v3, v3
	s_waitcnt_depctr 0xfff
	v_mul_f32_e32 v7, 0x3f317217, v3
	v_cmp_gt_f32_e64 s3, 0x7f800000, |v3|
	v_fma_f32 v8, 0x3f317217, v3, -v7
	s_delay_alu instid0(VALU_DEP_1) | instskip(NEXT) | instid1(VALU_DEP_1)
	v_fmamk_f32 v8, v3, 0x3377d1cf, v8
	v_add_f32_e32 v7, v7, v8
	s_delay_alu instid0(VALU_DEP_1) | instskip(SKIP_3) | instid1(VALU_DEP_1)
	v_cndmask_b32_e64 v3, v3, v7, s3
	v_cndmask_b32_e64 v7, 0, 0x41b17218, s2
	s_add_u32 s2, s8, s12
	s_addc_u32 s3, s9, s13
	v_sub_f32_e32 v3, v3, v7
	s_and_saveexec_b32 s4, vcc_lo
	s_cbranch_execnz .LBB157_26
; %bb.19:
	s_or_b32 exec_lo, exec_lo, s4
	s_and_saveexec_b32 s4, s0
	s_cbranch_execnz .LBB157_27
.LBB157_20:
	s_or_b32 exec_lo, exec_lo, s4
	s_and_saveexec_b32 s0, s1
	s_cbranch_execnz .LBB157_28
.LBB157_21:
	s_nop 0
	s_sendmsg sendmsg(MSG_DEALLOC_VGPRS)
	s_endpgm
.LBB157_22:
	ds_load_b32 v14, v13
	s_or_b32 exec_lo, exec_lo, s4
	v_cmp_gt_u32_e64 s4, 32, v0
	s_delay_alu instid0(VALU_DEP_1)
	s_and_saveexec_b32 s6, s4
	s_cbranch_execz .LBB157_10
.LBB157_23:
	s_waitcnt lgkmcnt(0)
	ds_bpermute_b32 v15, v3, v14
	s_waitcnt lgkmcnt(0)
	v_cmp_lt_f32_e64 s5, v14, v15
	s_delay_alu instid0(VALU_DEP_1) | instskip(SKIP_3) | instid1(VALU_DEP_1)
	v_cndmask_b32_e64 v14, v14, v15, s5
	ds_bpermute_b32 v15, v7, v14
	s_waitcnt lgkmcnt(0)
	v_cmp_lt_f32_e64 s5, v14, v15
	v_cndmask_b32_e64 v14, v14, v15, s5
	ds_bpermute_b32 v15, v8, v14
	s_waitcnt lgkmcnt(0)
	v_cmp_lt_f32_e64 s5, v14, v15
	s_delay_alu instid0(VALU_DEP_1) | instskip(SKIP_3) | instid1(VALU_DEP_1)
	v_cndmask_b32_e64 v14, v14, v15, s5
	ds_bpermute_b32 v15, v9, v14
	s_waitcnt lgkmcnt(0)
	v_cmp_lt_f32_e64 s5, v14, v15
	v_cndmask_b32_e64 v14, v14, v15, s5
	ds_bpermute_b32 v15, v10, v14
	s_waitcnt lgkmcnt(0)
	v_cmp_lt_f32_e64 s5, v14, v15
	s_delay_alu instid0(VALU_DEP_1) | instskip(SKIP_2) | instid1(VALU_DEP_1)
	v_cndmask_b32_e64 v14, v14, v15, s5
	s_or_b32 exec_lo, exec_lo, s6
	v_cmp_eq_u32_e64 s5, 0, v0
	s_and_saveexec_b32 s6, s5
	s_cbranch_execnz .LBB157_11
	s_branch .LBB157_12
.LBB157_24:
	ds_load_b32 v14, v13
	s_or_b32 exec_lo, exec_lo, s2
	s_and_saveexec_b32 s2, s4
	s_cbranch_execz .LBB157_16
.LBB157_25:
	s_waitcnt lgkmcnt(0)
	ds_bpermute_b32 v3, v3, v14
	s_waitcnt lgkmcnt(0)
	v_add_f32_e32 v3, v14, v3
	ds_bpermute_b32 v7, v7, v3
	s_waitcnt lgkmcnt(0)
	v_add_f32_e32 v3, v3, v7
	;; [unrolled: 3-line block ×5, first 2 shown]
	s_or_b32 exec_lo, exec_lo, s2
	s_and_saveexec_b32 s2, s5
	s_cbranch_execnz .LBB157_17
	s_branch .LBB157_18
.LBB157_26:
	s_delay_alu instid0(VALU_DEP_1) | instskip(NEXT) | instid1(VALU_DEP_1)
	v_sub_f32_e32 v0, v0, v3
	v_bfe_u32 v7, v0, 16, 1
	v_cmp_o_f32_e32 vcc_lo, v0, v0
	s_delay_alu instid0(VALU_DEP_2) | instskip(NEXT) | instid1(VALU_DEP_1)
	v_add3_u32 v7, v0, v7, 0x7fff
	v_lshrrev_b32_e32 v7, 16, v7
	s_delay_alu instid0(VALU_DEP_1)
	v_cndmask_b32_e32 v0, 0x7fc0, v7, vcc_lo
	global_store_b16 v5, v0, s[2:3]
	s_or_b32 exec_lo, exec_lo, s4
	s_and_saveexec_b32 s4, s0
	s_cbranch_execz .LBB157_20
.LBB157_27:
	v_sub_f32_e32 v0, v2, v3
	s_delay_alu instid0(VALU_DEP_1) | instskip(SKIP_1) | instid1(VALU_DEP_2)
	v_bfe_u32 v2, v0, 16, 1
	v_cmp_o_f32_e32 vcc_lo, v0, v0
	v_add3_u32 v2, v0, v2, 0x7fff
	s_delay_alu instid0(VALU_DEP_1) | instskip(NEXT) | instid1(VALU_DEP_1)
	v_lshrrev_b32_e32 v2, 16, v2
	v_cndmask_b32_e32 v0, 0x7fc0, v2, vcc_lo
	global_store_b16 v6, v0, s[2:3]
	s_or_b32 exec_lo, exec_lo, s4
	s_and_saveexec_b32 s0, s1
	s_cbranch_execz .LBB157_21
.LBB157_28:
	v_sub_f32_e32 v0, v4, v3
	s_delay_alu instid0(VALU_DEP_1) | instskip(SKIP_1) | instid1(VALU_DEP_2)
	v_bfe_u32 v2, v0, 16, 1
	v_cmp_o_f32_e32 vcc_lo, v0, v0
	v_add3_u32 v2, v0, v2, 0x7fff
	s_delay_alu instid0(VALU_DEP_1) | instskip(NEXT) | instid1(VALU_DEP_1)
	v_lshrrev_b32_e32 v2, 16, v2
	v_cndmask_b32_e32 v0, 0x7fc0, v2, vcc_lo
	global_store_b16 v1, v0, s[2:3]
	s_nop 0
	s_sendmsg sendmsg(MSG_DEALLOC_VGPRS)
	s_endpgm
	.section	.rodata,"a",@progbits
	.p2align	6, 0x0
	.amdhsa_kernel _ZN2at6native12_GLOBAL__N_122cunn_SoftMaxForwardRegIN3c108BFloat16EfS4_NS1_25LogSoftMaxForwardEpilogueElLi3EEEvPT1_PKT_T3_
		.amdhsa_group_segment_fixed_size 0
		.amdhsa_private_segment_fixed_size 0
		.amdhsa_kernarg_size 280
		.amdhsa_user_sgpr_count 15
		.amdhsa_user_sgpr_dispatch_ptr 0
		.amdhsa_user_sgpr_queue_ptr 0
		.amdhsa_user_sgpr_kernarg_segment_ptr 1
		.amdhsa_user_sgpr_dispatch_id 0
		.amdhsa_user_sgpr_private_segment_size 0
		.amdhsa_wavefront_size32 1
		.amdhsa_uses_dynamic_stack 0
		.amdhsa_enable_private_segment 0
		.amdhsa_system_sgpr_workgroup_id_x 1
		.amdhsa_system_sgpr_workgroup_id_y 0
		.amdhsa_system_sgpr_workgroup_id_z 0
		.amdhsa_system_sgpr_workgroup_info 0
		.amdhsa_system_vgpr_workitem_id 0
		.amdhsa_next_free_vgpr 21
		.amdhsa_next_free_sgpr 16
		.amdhsa_reserve_vcc 1
		.amdhsa_float_round_mode_32 0
		.amdhsa_float_round_mode_16_64 0
		.amdhsa_float_denorm_mode_32 3
		.amdhsa_float_denorm_mode_16_64 3
		.amdhsa_dx10_clamp 1
		.amdhsa_ieee_mode 1
		.amdhsa_fp16_overflow 0
		.amdhsa_workgroup_processor_mode 1
		.amdhsa_memory_ordered 1
		.amdhsa_forward_progress 0
		.amdhsa_shared_vgpr_count 0
		.amdhsa_exception_fp_ieee_invalid_op 0
		.amdhsa_exception_fp_denorm_src 0
		.amdhsa_exception_fp_ieee_div_zero 0
		.amdhsa_exception_fp_ieee_overflow 0
		.amdhsa_exception_fp_ieee_underflow 0
		.amdhsa_exception_fp_ieee_inexact 0
		.amdhsa_exception_int_div_zero 0
	.end_amdhsa_kernel
	.section	.text._ZN2at6native12_GLOBAL__N_122cunn_SoftMaxForwardRegIN3c108BFloat16EfS4_NS1_25LogSoftMaxForwardEpilogueElLi3EEEvPT1_PKT_T3_,"axG",@progbits,_ZN2at6native12_GLOBAL__N_122cunn_SoftMaxForwardRegIN3c108BFloat16EfS4_NS1_25LogSoftMaxForwardEpilogueElLi3EEEvPT1_PKT_T3_,comdat
.Lfunc_end157:
	.size	_ZN2at6native12_GLOBAL__N_122cunn_SoftMaxForwardRegIN3c108BFloat16EfS4_NS1_25LogSoftMaxForwardEpilogueElLi3EEEvPT1_PKT_T3_, .Lfunc_end157-_ZN2at6native12_GLOBAL__N_122cunn_SoftMaxForwardRegIN3c108BFloat16EfS4_NS1_25LogSoftMaxForwardEpilogueElLi3EEEvPT1_PKT_T3_
                                        ; -- End function
	.section	.AMDGPU.csdata,"",@progbits
; Kernel info:
; codeLenInByte = 2140
; NumSgprs: 18
; NumVgprs: 21
; ScratchSize: 0
; MemoryBound: 0
; FloatMode: 240
; IeeeMode: 1
; LDSByteSize: 0 bytes/workgroup (compile time only)
; SGPRBlocks: 2
; VGPRBlocks: 2
; NumSGPRsForWavesPerEU: 18
; NumVGPRsForWavesPerEU: 21
; Occupancy: 16
; WaveLimiterHint : 0
; COMPUTE_PGM_RSRC2:SCRATCH_EN: 0
; COMPUTE_PGM_RSRC2:USER_SGPR: 15
; COMPUTE_PGM_RSRC2:TRAP_HANDLER: 0
; COMPUTE_PGM_RSRC2:TGID_X_EN: 1
; COMPUTE_PGM_RSRC2:TGID_Y_EN: 0
; COMPUTE_PGM_RSRC2:TGID_Z_EN: 0
; COMPUTE_PGM_RSRC2:TIDIG_COMP_CNT: 0
	.section	.text._ZN2at6native12_GLOBAL__N_122cunn_SoftMaxForwardRegIN3c108BFloat16EfS4_NS1_25LogSoftMaxForwardEpilogueElLi4EEEvPT1_PKT_T3_,"axG",@progbits,_ZN2at6native12_GLOBAL__N_122cunn_SoftMaxForwardRegIN3c108BFloat16EfS4_NS1_25LogSoftMaxForwardEpilogueElLi4EEEvPT1_PKT_T3_,comdat
	.globl	_ZN2at6native12_GLOBAL__N_122cunn_SoftMaxForwardRegIN3c108BFloat16EfS4_NS1_25LogSoftMaxForwardEpilogueElLi4EEEvPT1_PKT_T3_ ; -- Begin function _ZN2at6native12_GLOBAL__N_122cunn_SoftMaxForwardRegIN3c108BFloat16EfS4_NS1_25LogSoftMaxForwardEpilogueElLi4EEEvPT1_PKT_T3_
	.p2align	8
	.type	_ZN2at6native12_GLOBAL__N_122cunn_SoftMaxForwardRegIN3c108BFloat16EfS4_NS1_25LogSoftMaxForwardEpilogueElLi4EEEvPT1_PKT_T3_,@function
_ZN2at6native12_GLOBAL__N_122cunn_SoftMaxForwardRegIN3c108BFloat16EfS4_NS1_25LogSoftMaxForwardEpilogueElLi4EEEvPT1_PKT_T3_: ; @_ZN2at6native12_GLOBAL__N_122cunn_SoftMaxForwardRegIN3c108BFloat16EfS4_NS1_25LogSoftMaxForwardEpilogueElLi4EEEvPT1_PKT_T3_
; %bb.0:
	s_clause 0x2
	s_load_b64 s[2:3], s[0:1], 0x10
	s_load_b128 s[8:11], s[0:1], 0x0
	s_load_b32 s0, s[0:1], 0x24
	v_dual_mov_b32 v2, 0 :: v_dual_mov_b32 v7, 0xff7fffff
	v_lshlrev_b32_e32 v3, 1, v0
                                        ; implicit-def: $vgpr13
	s_delay_alu instid0(VALU_DEP_2)
	v_mov_b32_e32 v1, v2
	s_waitcnt lgkmcnt(0)
	s_mul_i32 s1, s15, s3
	s_mul_hi_u32 s5, s15, s2
	s_mul_i32 s4, s15, s2
	s_add_i32 s5, s5, s1
	v_cmp_gt_i64_e32 vcc_lo, s[2:3], v[0:1]
	s_lshl_b64 s[12:13], s[4:5], 1
	s_delay_alu instid0(SALU_CYCLE_1)
	s_add_u32 s4, s10, s12
	s_addc_u32 s5, s11, s13
	s_and_saveexec_b32 s1, vcc_lo
	s_cbranch_execz .LBB158_2
; %bb.1:
	global_load_u16 v13, v3, s[4:5]
	s_waitcnt vmcnt(0)
	v_lshlrev_b32_e32 v1, 16, v13
	s_delay_alu instid0(VALU_DEP_1) | instskip(NEXT) | instid1(VALU_DEP_1)
	v_max_f32_e32 v1, v1, v1
	v_max_f32_e32 v7, 0xff7fffff, v1
.LBB158_2:
	s_or_b32 exec_lo, exec_lo, s1
	s_and_b32 s6, 0xffff, s0
                                        ; implicit-def: $vgpr12
	s_delay_alu instid0(SALU_CYCLE_1) | instskip(NEXT) | instid1(VALU_DEP_1)
	v_add_nc_u32_e32 v1, s6, v0
	v_cmp_gt_i64_e64 s0, s[2:3], v[1:2]
	v_lshlrev_b32_e32 v4, 1, v1
	s_delay_alu instid0(VALU_DEP_2)
	s_and_saveexec_b32 s1, s0
	s_cbranch_execz .LBB158_4
; %bb.3:
	global_load_u16 v12, v4, s[4:5]
	s_waitcnt vmcnt(0)
	v_dual_max_f32 v5, v7, v7 :: v_dual_lshlrev_b32 v2, 16, v12
	s_delay_alu instid0(VALU_DEP_1) | instskip(NEXT) | instid1(VALU_DEP_1)
	v_max_f32_e32 v2, v2, v2
	v_max_f32_e32 v7, v5, v2
.LBB158_4:
	s_or_b32 exec_lo, exec_lo, s1
	v_dual_mov_b32 v2, 0 :: v_dual_add_nc_u32 v1, s6, v1
                                        ; implicit-def: $vgpr11
	s_delay_alu instid0(VALU_DEP_1) | instskip(NEXT) | instid1(VALU_DEP_2)
	v_lshlrev_b32_e32 v5, 1, v1
	v_cmp_gt_i64_e64 s1, s[2:3], v[1:2]
	s_delay_alu instid0(VALU_DEP_1)
	s_and_saveexec_b32 s7, s1
	s_cbranch_execz .LBB158_6
; %bb.5:
	global_load_u16 v11, v5, s[4:5]
	v_max_f32_e32 v7, v7, v7
	s_waitcnt vmcnt(0)
	v_lshlrev_b32_e32 v6, 16, v11
	s_delay_alu instid0(VALU_DEP_1) | instskip(NEXT) | instid1(VALU_DEP_1)
	v_max_f32_e32 v6, v6, v6
	v_max_f32_e32 v7, v7, v6
.LBB158_6:
	s_or_b32 exec_lo, exec_lo, s7
	v_add_nc_u32_e32 v1, s6, v1
                                        ; implicit-def: $vgpr10
	s_delay_alu instid0(VALU_DEP_1) | instskip(SKIP_1) | instid1(VALU_DEP_2)
	v_cmp_gt_i64_e64 s2, s[2:3], v[1:2]
	v_lshlrev_b32_e32 v1, 1, v1
	s_and_saveexec_b32 s3, s2
	s_cbranch_execz .LBB158_8
; %bb.7:
	global_load_u16 v10, v1, s[4:5]
	v_max_f32_e32 v6, v7, v7
	s_waitcnt vmcnt(0)
	v_lshlrev_b32_e32 v2, 16, v10
	s_delay_alu instid0(VALU_DEP_1) | instskip(NEXT) | instid1(VALU_DEP_1)
	v_max_f32_e32 v2, v2, v2
	v_max_f32_e32 v7, v6, v2
.LBB158_8:
	s_or_b32 exec_lo, exec_lo, s3
	v_mbcnt_lo_u32_b32 v9, -1, 0
	s_barrier
	buffer_gl0_inv
	v_cmp_gt_u32_e64 s3, 16, v9
	s_delay_alu instid0(VALU_DEP_1) | instskip(SKIP_1) | instid1(VALU_DEP_2)
	v_cndmask_b32_e64 v2, 0, 1, s3
	v_cmp_gt_u32_e64 s3, 24, v9
	v_lshlrev_b32_e32 v2, 4, v2
	s_delay_alu instid0(VALU_DEP_2) | instskip(NEXT) | instid1(VALU_DEP_2)
	v_cndmask_b32_e64 v6, 0, 1, s3
	v_add_lshl_u32 v2, v2, v9, 2
	s_delay_alu instid0(VALU_DEP_2) | instskip(SKIP_4) | instid1(VALU_DEP_1)
	v_lshlrev_b32_e32 v6, 3, v6
	ds_bpermute_b32 v8, v2, v7
	v_add_lshl_u32 v6, v6, v9, 2
	s_waitcnt lgkmcnt(0)
	v_cmp_lt_f32_e64 s3, v7, v8
	v_cndmask_b32_e64 v8, v7, v8, s3
	v_cmp_gt_u32_e64 s3, 28, v9
	ds_bpermute_b32 v14, v6, v8
	v_cndmask_b32_e64 v7, 0, 1, s3
	s_delay_alu instid0(VALU_DEP_1) | instskip(NEXT) | instid1(VALU_DEP_1)
	v_lshlrev_b32_e32 v7, 2, v7
	v_add_lshl_u32 v7, v7, v9, 2
	s_waitcnt lgkmcnt(0)
	v_cmp_lt_f32_e64 s3, v8, v14
	s_delay_alu instid0(VALU_DEP_1) | instskip(SKIP_3) | instid1(VALU_DEP_1)
	v_cndmask_b32_e64 v14, v8, v14, s3
	v_cmp_gt_u32_e64 s3, 30, v9
	ds_bpermute_b32 v15, v7, v14
	v_cndmask_b32_e64 v8, 0, 1, s3
	v_lshlrev_b32_e32 v8, 1, v8
	s_delay_alu instid0(VALU_DEP_1) | instskip(SKIP_2) | instid1(VALU_DEP_1)
	v_add_lshl_u32 v8, v8, v9, 2
	s_waitcnt lgkmcnt(0)
	v_cmp_lt_f32_e64 s3, v14, v15
	v_cndmask_b32_e64 v14, v14, v15, s3
	v_cmp_ne_u32_e64 s3, 31, v9
	ds_bpermute_b32 v15, v8, v14
	v_add_co_ci_u32_e64 v9, s3, 0, v9, s3
	s_delay_alu instid0(VALU_DEP_1) | instskip(SKIP_2) | instid1(VALU_DEP_1)
	v_lshlrev_b32_e32 v9, 2, v9
	s_waitcnt lgkmcnt(0)
	v_cmp_lt_f32_e64 s3, v14, v15
	v_cndmask_b32_e64 v16, v14, v15, s3
	v_and_b32_e32 v15, 31, v0
	v_lshrrev_b32_e32 v14, 3, v0
	ds_bpermute_b32 v17, v9, v16
	v_cmp_eq_u32_e64 s3, 0, v15
	s_delay_alu instid0(VALU_DEP_1) | instskip(NEXT) | instid1(SALU_CYCLE_1)
	s_and_saveexec_b32 s4, s3
	s_xor_b32 s5, exec_lo, s4
	s_cbranch_execz .LBB158_10
; %bb.9:
	s_waitcnt lgkmcnt(0)
	v_cmp_lt_f32_e64 s4, v16, v17
	v_add_nc_u32_e32 v18, 0, v14
	s_delay_alu instid0(VALU_DEP_2)
	v_cndmask_b32_e64 v16, v16, v17, s4
	ds_store_b32 v18, v16
.LBB158_10:
	s_or_b32 exec_lo, exec_lo, s5
	s_lshr_b32 s4, s6, 5
	v_mov_b32_e32 v16, 0xff7fffff
	v_cmp_gt_u32_e64 s4, s4, v0
	v_lshl_add_u32 v15, v15, 2, 0
	s_waitcnt lgkmcnt(0)
	s_barrier
	buffer_gl0_inv
	s_and_saveexec_b32 s5, s4
	s_cbranch_execnz .LBB158_33
; %bb.11:
	s_or_b32 exec_lo, exec_lo, s5
	v_cmp_gt_u32_e64 s5, 32, v0
	s_delay_alu instid0(VALU_DEP_1)
	s_and_saveexec_b32 s7, s5
	s_cbranch_execnz .LBB158_34
.LBB158_12:
	s_or_b32 exec_lo, exec_lo, s7
	v_cmp_eq_u32_e64 s6, 0, v0
	s_delay_alu instid0(VALU_DEP_1)
	s_and_saveexec_b32 s7, s6
	s_cbranch_execz .LBB158_14
.LBB158_13:
	v_mov_b32_e32 v0, 0
	s_waitcnt lgkmcnt(0)
	ds_store_b32 v0, v16
.LBB158_14:
	s_or_b32 exec_lo, exec_lo, s7
	s_waitcnt lgkmcnt(0)
	v_mov_b32_e32 v16, 0
	s_barrier
	buffer_gl0_inv
	v_lshlrev_b32_e32 v0, 16, v13
	ds_load_b32 v17, v16
	s_waitcnt lgkmcnt(0)
	v_sub_f32_e32 v0, v0, v17
	s_and_saveexec_b32 s10, vcc_lo
	s_cbranch_execz .LBB158_16
; %bb.15:
	s_delay_alu instid0(VALU_DEP_1) | instskip(SKIP_1) | instid1(VALU_DEP_2)
	v_mul_f32_e32 v13, 0x3fb8aa3b, v0
	v_cmp_ngt_f32_e64 s7, 0xc2ce8ed0, v0
	v_fma_f32 v16, 0x3fb8aa3b, v0, -v13
	v_rndne_f32_e32 v18, v13
	s_delay_alu instid0(VALU_DEP_1) | instskip(NEXT) | instid1(VALU_DEP_1)
	v_dual_fmamk_f32 v16, v0, 0x32a5705f, v16 :: v_dual_sub_f32 v13, v13, v18
	v_add_f32_e32 v13, v13, v16
	v_cvt_i32_f32_e32 v16, v18
	s_delay_alu instid0(VALU_DEP_2) | instskip(SKIP_2) | instid1(VALU_DEP_1)
	v_exp_f32_e32 v13, v13
	s_waitcnt_depctr 0xfff
	v_ldexp_f32 v13, v13, v16
	v_cndmask_b32_e64 v13, 0, v13, s7
	v_cmp_nlt_f32_e64 s7, 0x42b17218, v0
	s_delay_alu instid0(VALU_DEP_1)
	v_cndmask_b32_e64 v16, 0x7f800000, v13, s7
.LBB158_16:
	s_or_b32 exec_lo, exec_lo, s10
	v_lshlrev_b32_e32 v12, 16, v12
	s_delay_alu instid0(VALU_DEP_1)
	v_sub_f32_e32 v12, v12, v17
	s_and_saveexec_b32 s10, s0
	s_cbranch_execz .LBB158_18
; %bb.17:
	s_delay_alu instid0(VALU_DEP_1) | instskip(SKIP_1) | instid1(VALU_DEP_2)
	v_mul_f32_e32 v13, 0x3fb8aa3b, v12
	v_cmp_ngt_f32_e64 s7, 0xc2ce8ed0, v12
	v_fma_f32 v18, 0x3fb8aa3b, v12, -v13
	v_rndne_f32_e32 v19, v13
	s_delay_alu instid0(VALU_DEP_1) | instskip(NEXT) | instid1(VALU_DEP_1)
	v_dual_fmamk_f32 v18, v12, 0x32a5705f, v18 :: v_dual_sub_f32 v13, v13, v19
	v_add_f32_e32 v13, v13, v18
	v_cvt_i32_f32_e32 v18, v19
	s_delay_alu instid0(VALU_DEP_2) | instskip(SKIP_2) | instid1(VALU_DEP_1)
	v_exp_f32_e32 v13, v13
	s_waitcnt_depctr 0xfff
	v_ldexp_f32 v13, v13, v18
	v_cndmask_b32_e64 v13, 0, v13, s7
	v_cmp_nlt_f32_e64 s7, 0x42b17218, v12
	s_delay_alu instid0(VALU_DEP_1) | instskip(NEXT) | instid1(VALU_DEP_1)
	v_cndmask_b32_e64 v13, 0x7f800000, v13, s7
	v_add_f32_e32 v16, v16, v13
.LBB158_18:
	s_or_b32 exec_lo, exec_lo, s10
	v_lshlrev_b32_e32 v11, 16, v11
	s_delay_alu instid0(VALU_DEP_1)
	v_sub_f32_e32 v11, v11, v17
	s_and_saveexec_b32 s10, s1
	s_cbranch_execz .LBB158_20
; %bb.19:
	s_delay_alu instid0(VALU_DEP_1) | instskip(SKIP_1) | instid1(VALU_DEP_2)
	v_mul_f32_e32 v13, 0x3fb8aa3b, v11
	v_cmp_ngt_f32_e64 s7, 0xc2ce8ed0, v11
	v_fma_f32 v18, 0x3fb8aa3b, v11, -v13
	v_rndne_f32_e32 v19, v13
	s_delay_alu instid0(VALU_DEP_1) | instskip(NEXT) | instid1(VALU_DEP_1)
	v_dual_fmamk_f32 v18, v11, 0x32a5705f, v18 :: v_dual_sub_f32 v13, v13, v19
	v_add_f32_e32 v13, v13, v18
	v_cvt_i32_f32_e32 v18, v19
	s_delay_alu instid0(VALU_DEP_2) | instskip(SKIP_2) | instid1(VALU_DEP_1)
	v_exp_f32_e32 v13, v13
	s_waitcnt_depctr 0xfff
	v_ldexp_f32 v13, v13, v18
	v_cndmask_b32_e64 v13, 0, v13, s7
	v_cmp_nlt_f32_e64 s7, 0x42b17218, v11
	s_delay_alu instid0(VALU_DEP_1) | instskip(NEXT) | instid1(VALU_DEP_1)
	v_cndmask_b32_e64 v13, 0x7f800000, v13, s7
	v_add_f32_e32 v16, v16, v13
.LBB158_20:
	s_or_b32 exec_lo, exec_lo, s10
	v_lshlrev_b32_e32 v10, 16, v10
	s_delay_alu instid0(VALU_DEP_1)
	v_sub_f32_e32 v10, v10, v17
	s_and_saveexec_b32 s10, s2
	s_cbranch_execz .LBB158_22
; %bb.21:
	s_delay_alu instid0(VALU_DEP_1) | instskip(SKIP_1) | instid1(VALU_DEP_2)
	v_mul_f32_e32 v13, 0x3fb8aa3b, v10
	v_cmp_ngt_f32_e64 s7, 0xc2ce8ed0, v10
	v_fma_f32 v17, 0x3fb8aa3b, v10, -v13
	v_rndne_f32_e32 v18, v13
	s_delay_alu instid0(VALU_DEP_2) | instskip(NEXT) | instid1(VALU_DEP_2)
	v_fmamk_f32 v17, v10, 0x32a5705f, v17
	v_sub_f32_e32 v13, v13, v18
	s_delay_alu instid0(VALU_DEP_1) | instskip(SKIP_1) | instid1(VALU_DEP_2)
	v_add_f32_e32 v13, v13, v17
	v_cvt_i32_f32_e32 v17, v18
	v_exp_f32_e32 v13, v13
	s_waitcnt_depctr 0xfff
	v_ldexp_f32 v13, v13, v17
	s_delay_alu instid0(VALU_DEP_1) | instskip(SKIP_1) | instid1(VALU_DEP_1)
	v_cndmask_b32_e64 v13, 0, v13, s7
	v_cmp_nlt_f32_e64 s7, 0x42b17218, v10
	v_cndmask_b32_e64 v13, 0x7f800000, v13, s7
	s_delay_alu instid0(VALU_DEP_1)
	v_add_f32_e32 v16, v16, v13
.LBB158_22:
	s_or_b32 exec_lo, exec_lo, s10
	ds_bpermute_b32 v13, v2, v16
	s_waitcnt lgkmcnt(0)
	s_barrier
	buffer_gl0_inv
	v_add_f32_e32 v13, v16, v13
	ds_bpermute_b32 v16, v6, v13
	s_waitcnt lgkmcnt(0)
	v_add_f32_e32 v13, v13, v16
	ds_bpermute_b32 v16, v7, v13
	s_waitcnt lgkmcnt(0)
	;; [unrolled: 3-line block ×3, first 2 shown]
	v_add_f32_e32 v13, v13, v16
	ds_bpermute_b32 v16, v9, v13
	s_and_saveexec_b32 s7, s3
	s_delay_alu instid0(SALU_CYCLE_1)
	s_xor_b32 s3, exec_lo, s7
	s_cbranch_execz .LBB158_24
; %bb.23:
	s_waitcnt lgkmcnt(0)
	v_dual_add_f32 v13, v13, v16 :: v_dual_add_nc_u32 v14, 0, v14
	ds_store_b32 v14, v13
.LBB158_24:
	s_or_b32 exec_lo, exec_lo, s3
	v_mov_b32_e32 v13, 0
	s_waitcnt lgkmcnt(0)
	s_barrier
	buffer_gl0_inv
	s_and_saveexec_b32 s3, s4
	s_cbranch_execnz .LBB158_35
; %bb.25:
	s_or_b32 exec_lo, exec_lo, s3
	s_and_saveexec_b32 s3, s5
	s_cbranch_execnz .LBB158_36
.LBB158_26:
	s_or_b32 exec_lo, exec_lo, s3
	s_and_saveexec_b32 s3, s6
	s_cbranch_execz .LBB158_28
.LBB158_27:
	v_mov_b32_e32 v2, 0
	s_waitcnt lgkmcnt(0)
	ds_store_b32 v2, v13
.LBB158_28:
	s_or_b32 exec_lo, exec_lo, s3
	v_mov_b32_e32 v2, 0
	s_waitcnt lgkmcnt(0)
	s_barrier
	buffer_gl0_inv
	ds_load_b32 v2, v2
	s_waitcnt lgkmcnt(0)
	v_cmp_gt_f32_e64 s3, 0x800000, v2
	s_delay_alu instid0(VALU_DEP_1) | instskip(NEXT) | instid1(VALU_DEP_1)
	v_cndmask_b32_e64 v6, 1.0, 0x4f800000, s3
	v_mul_f32_e32 v2, v2, v6
	s_delay_alu instid0(VALU_DEP_1) | instskip(SKIP_3) | instid1(VALU_DEP_2)
	v_log_f32_e32 v2, v2
	s_waitcnt_depctr 0xfff
	v_mul_f32_e32 v6, 0x3f317217, v2
	v_cmp_gt_f32_e64 s4, 0x7f800000, |v2|
	v_fma_f32 v7, 0x3f317217, v2, -v6
	s_delay_alu instid0(VALU_DEP_1) | instskip(NEXT) | instid1(VALU_DEP_1)
	v_fmamk_f32 v7, v2, 0x3377d1cf, v7
	v_add_f32_e32 v6, v6, v7
	s_delay_alu instid0(VALU_DEP_1) | instskip(SKIP_3) | instid1(VALU_DEP_1)
	v_cndmask_b32_e64 v2, v2, v6, s4
	v_cndmask_b32_e64 v6, 0, 0x41b17218, s3
	s_add_u32 s4, s8, s12
	s_addc_u32 s5, s9, s13
	v_sub_f32_e32 v2, v2, v6
	s_and_saveexec_b32 s3, vcc_lo
	s_cbranch_execnz .LBB158_37
; %bb.29:
	s_or_b32 exec_lo, exec_lo, s3
	s_and_saveexec_b32 s3, s0
	s_cbranch_execnz .LBB158_38
.LBB158_30:
	s_or_b32 exec_lo, exec_lo, s3
	s_and_saveexec_b32 s0, s1
	s_cbranch_execnz .LBB158_39
.LBB158_31:
	s_or_b32 exec_lo, exec_lo, s0
	s_and_saveexec_b32 s0, s2
	s_cbranch_execnz .LBB158_40
.LBB158_32:
	s_nop 0
	s_sendmsg sendmsg(MSG_DEALLOC_VGPRS)
	s_endpgm
.LBB158_33:
	ds_load_b32 v16, v15
	s_or_b32 exec_lo, exec_lo, s5
	v_cmp_gt_u32_e64 s5, 32, v0
	s_delay_alu instid0(VALU_DEP_1)
	s_and_saveexec_b32 s7, s5
	s_cbranch_execz .LBB158_12
.LBB158_34:
	s_waitcnt lgkmcnt(0)
	ds_bpermute_b32 v17, v2, v16
	s_waitcnt lgkmcnt(0)
	v_cmp_lt_f32_e64 s6, v16, v17
	s_delay_alu instid0(VALU_DEP_1) | instskip(SKIP_3) | instid1(VALU_DEP_1)
	v_cndmask_b32_e64 v16, v16, v17, s6
	ds_bpermute_b32 v17, v6, v16
	s_waitcnt lgkmcnt(0)
	v_cmp_lt_f32_e64 s6, v16, v17
	v_cndmask_b32_e64 v16, v16, v17, s6
	ds_bpermute_b32 v17, v7, v16
	s_waitcnt lgkmcnt(0)
	v_cmp_lt_f32_e64 s6, v16, v17
	s_delay_alu instid0(VALU_DEP_1) | instskip(SKIP_3) | instid1(VALU_DEP_1)
	v_cndmask_b32_e64 v16, v16, v17, s6
	ds_bpermute_b32 v17, v8, v16
	s_waitcnt lgkmcnt(0)
	v_cmp_lt_f32_e64 s6, v16, v17
	v_cndmask_b32_e64 v16, v16, v17, s6
	ds_bpermute_b32 v17, v9, v16
	s_waitcnt lgkmcnt(0)
	v_cmp_lt_f32_e64 s6, v16, v17
	s_delay_alu instid0(VALU_DEP_1) | instskip(SKIP_2) | instid1(VALU_DEP_1)
	v_cndmask_b32_e64 v16, v16, v17, s6
	s_or_b32 exec_lo, exec_lo, s7
	v_cmp_eq_u32_e64 s6, 0, v0
	s_and_saveexec_b32 s7, s6
	s_cbranch_execnz .LBB158_13
	s_branch .LBB158_14
.LBB158_35:
	ds_load_b32 v13, v15
	s_or_b32 exec_lo, exec_lo, s3
	s_and_saveexec_b32 s3, s5
	s_cbranch_execz .LBB158_26
.LBB158_36:
	s_waitcnt lgkmcnt(0)
	ds_bpermute_b32 v2, v2, v13
	s_waitcnt lgkmcnt(0)
	v_add_f32_e32 v2, v13, v2
	ds_bpermute_b32 v6, v6, v2
	s_waitcnt lgkmcnt(0)
	v_add_f32_e32 v2, v2, v6
	;; [unrolled: 3-line block ×5, first 2 shown]
	s_or_b32 exec_lo, exec_lo, s3
	s_and_saveexec_b32 s3, s6
	s_cbranch_execnz .LBB158_27
	s_branch .LBB158_28
.LBB158_37:
	s_delay_alu instid0(VALU_DEP_1) | instskip(NEXT) | instid1(VALU_DEP_1)
	v_sub_f32_e32 v0, v0, v2
	v_bfe_u32 v6, v0, 16, 1
	v_cmp_o_f32_e32 vcc_lo, v0, v0
	s_delay_alu instid0(VALU_DEP_2) | instskip(NEXT) | instid1(VALU_DEP_1)
	v_add3_u32 v6, v0, v6, 0x7fff
	v_lshrrev_b32_e32 v6, 16, v6
	s_delay_alu instid0(VALU_DEP_1)
	v_cndmask_b32_e32 v0, 0x7fc0, v6, vcc_lo
	global_store_b16 v3, v0, s[4:5]
	s_or_b32 exec_lo, exec_lo, s3
	s_and_saveexec_b32 s3, s0
	s_cbranch_execz .LBB158_30
.LBB158_38:
	v_sub_f32_e32 v0, v12, v2
	s_delay_alu instid0(VALU_DEP_1) | instskip(SKIP_1) | instid1(VALU_DEP_2)
	v_bfe_u32 v3, v0, 16, 1
	v_cmp_o_f32_e32 vcc_lo, v0, v0
	v_add3_u32 v3, v0, v3, 0x7fff
	s_delay_alu instid0(VALU_DEP_1) | instskip(NEXT) | instid1(VALU_DEP_1)
	v_lshrrev_b32_e32 v3, 16, v3
	v_cndmask_b32_e32 v0, 0x7fc0, v3, vcc_lo
	global_store_b16 v4, v0, s[4:5]
	s_or_b32 exec_lo, exec_lo, s3
	s_and_saveexec_b32 s0, s1
	s_cbranch_execz .LBB158_31
.LBB158_39:
	v_sub_f32_e32 v0, v11, v2
	s_delay_alu instid0(VALU_DEP_1) | instskip(SKIP_1) | instid1(VALU_DEP_2)
	v_bfe_u32 v3, v0, 16, 1
	v_cmp_o_f32_e32 vcc_lo, v0, v0
	v_add3_u32 v3, v0, v3, 0x7fff
	s_delay_alu instid0(VALU_DEP_1) | instskip(NEXT) | instid1(VALU_DEP_1)
	v_lshrrev_b32_e32 v3, 16, v3
	v_cndmask_b32_e32 v0, 0x7fc0, v3, vcc_lo
	global_store_b16 v5, v0, s[4:5]
	s_or_b32 exec_lo, exec_lo, s0
	s_and_saveexec_b32 s0, s2
	s_cbranch_execz .LBB158_32
.LBB158_40:
	v_sub_f32_e32 v0, v10, v2
	s_delay_alu instid0(VALU_DEP_1) | instskip(SKIP_1) | instid1(VALU_DEP_2)
	v_bfe_u32 v2, v0, 16, 1
	v_cmp_o_f32_e32 vcc_lo, v0, v0
	v_add3_u32 v2, v0, v2, 0x7fff
	s_delay_alu instid0(VALU_DEP_1) | instskip(NEXT) | instid1(VALU_DEP_1)
	v_lshrrev_b32_e32 v2, 16, v2
	v_cndmask_b32_e32 v0, 0x7fc0, v2, vcc_lo
	global_store_b16 v1, v0, s[4:5]
	s_nop 0
	s_sendmsg sendmsg(MSG_DEALLOC_VGPRS)
	s_endpgm
	.section	.rodata,"a",@progbits
	.p2align	6, 0x0
	.amdhsa_kernel _ZN2at6native12_GLOBAL__N_122cunn_SoftMaxForwardRegIN3c108BFloat16EfS4_NS1_25LogSoftMaxForwardEpilogueElLi4EEEvPT1_PKT_T3_
		.amdhsa_group_segment_fixed_size 0
		.amdhsa_private_segment_fixed_size 0
		.amdhsa_kernarg_size 280
		.amdhsa_user_sgpr_count 15
		.amdhsa_user_sgpr_dispatch_ptr 0
		.amdhsa_user_sgpr_queue_ptr 0
		.amdhsa_user_sgpr_kernarg_segment_ptr 1
		.amdhsa_user_sgpr_dispatch_id 0
		.amdhsa_user_sgpr_private_segment_size 0
		.amdhsa_wavefront_size32 1
		.amdhsa_uses_dynamic_stack 0
		.amdhsa_enable_private_segment 0
		.amdhsa_system_sgpr_workgroup_id_x 1
		.amdhsa_system_sgpr_workgroup_id_y 0
		.amdhsa_system_sgpr_workgroup_id_z 0
		.amdhsa_system_sgpr_workgroup_info 0
		.amdhsa_system_vgpr_workitem_id 0
		.amdhsa_next_free_vgpr 20
		.amdhsa_next_free_sgpr 16
		.amdhsa_reserve_vcc 1
		.amdhsa_float_round_mode_32 0
		.amdhsa_float_round_mode_16_64 0
		.amdhsa_float_denorm_mode_32 3
		.amdhsa_float_denorm_mode_16_64 3
		.amdhsa_dx10_clamp 1
		.amdhsa_ieee_mode 1
		.amdhsa_fp16_overflow 0
		.amdhsa_workgroup_processor_mode 1
		.amdhsa_memory_ordered 1
		.amdhsa_forward_progress 0
		.amdhsa_shared_vgpr_count 0
		.amdhsa_exception_fp_ieee_invalid_op 0
		.amdhsa_exception_fp_denorm_src 0
		.amdhsa_exception_fp_ieee_div_zero 0
		.amdhsa_exception_fp_ieee_overflow 0
		.amdhsa_exception_fp_ieee_underflow 0
		.amdhsa_exception_fp_ieee_inexact 0
		.amdhsa_exception_int_div_zero 0
	.end_amdhsa_kernel
	.section	.text._ZN2at6native12_GLOBAL__N_122cunn_SoftMaxForwardRegIN3c108BFloat16EfS4_NS1_25LogSoftMaxForwardEpilogueElLi4EEEvPT1_PKT_T3_,"axG",@progbits,_ZN2at6native12_GLOBAL__N_122cunn_SoftMaxForwardRegIN3c108BFloat16EfS4_NS1_25LogSoftMaxForwardEpilogueElLi4EEEvPT1_PKT_T3_,comdat
.Lfunc_end158:
	.size	_ZN2at6native12_GLOBAL__N_122cunn_SoftMaxForwardRegIN3c108BFloat16EfS4_NS1_25LogSoftMaxForwardEpilogueElLi4EEEvPT1_PKT_T3_, .Lfunc_end158-_ZN2at6native12_GLOBAL__N_122cunn_SoftMaxForwardRegIN3c108BFloat16EfS4_NS1_25LogSoftMaxForwardEpilogueElLi4EEEvPT1_PKT_T3_
                                        ; -- End function
	.section	.AMDGPU.csdata,"",@progbits
; Kernel info:
; codeLenInByte = 2480
; NumSgprs: 18
; NumVgprs: 20
; ScratchSize: 0
; MemoryBound: 0
; FloatMode: 240
; IeeeMode: 1
; LDSByteSize: 0 bytes/workgroup (compile time only)
; SGPRBlocks: 2
; VGPRBlocks: 2
; NumSGPRsForWavesPerEU: 18
; NumVGPRsForWavesPerEU: 20
; Occupancy: 16
; WaveLimiterHint : 0
; COMPUTE_PGM_RSRC2:SCRATCH_EN: 0
; COMPUTE_PGM_RSRC2:USER_SGPR: 15
; COMPUTE_PGM_RSRC2:TRAP_HANDLER: 0
; COMPUTE_PGM_RSRC2:TGID_X_EN: 1
; COMPUTE_PGM_RSRC2:TGID_Y_EN: 0
; COMPUTE_PGM_RSRC2:TGID_Z_EN: 0
; COMPUTE_PGM_RSRC2:TIDIG_COMP_CNT: 0
	.section	.text._ZN2at6native12_GLOBAL__N_122cunn_SoftMaxForwardRegIN3c108BFloat16EfS4_NS1_25LogSoftMaxForwardEpilogueElLi5EEEvPT1_PKT_T3_,"axG",@progbits,_ZN2at6native12_GLOBAL__N_122cunn_SoftMaxForwardRegIN3c108BFloat16EfS4_NS1_25LogSoftMaxForwardEpilogueElLi5EEEvPT1_PKT_T3_,comdat
	.globl	_ZN2at6native12_GLOBAL__N_122cunn_SoftMaxForwardRegIN3c108BFloat16EfS4_NS1_25LogSoftMaxForwardEpilogueElLi5EEEvPT1_PKT_T3_ ; -- Begin function _ZN2at6native12_GLOBAL__N_122cunn_SoftMaxForwardRegIN3c108BFloat16EfS4_NS1_25LogSoftMaxForwardEpilogueElLi5EEEvPT1_PKT_T3_
	.p2align	8
	.type	_ZN2at6native12_GLOBAL__N_122cunn_SoftMaxForwardRegIN3c108BFloat16EfS4_NS1_25LogSoftMaxForwardEpilogueElLi5EEEvPT1_PKT_T3_,@function
_ZN2at6native12_GLOBAL__N_122cunn_SoftMaxForwardRegIN3c108BFloat16EfS4_NS1_25LogSoftMaxForwardEpilogueElLi5EEEvPT1_PKT_T3_: ; @_ZN2at6native12_GLOBAL__N_122cunn_SoftMaxForwardRegIN3c108BFloat16EfS4_NS1_25LogSoftMaxForwardEpilogueElLi5EEEvPT1_PKT_T3_
; %bb.0:
	s_clause 0x2
	s_load_b64 s[4:5], s[0:1], 0x10
	s_load_b128 s[16:19], s[0:1], 0x0
	s_load_b32 s0, s[0:1], 0x24
	v_dual_mov_b32 v2, 0 :: v_dual_lshlrev_b32 v3, 1, v0
	v_mov_b32_e32 v8, 0xff7fffff
                                        ; implicit-def: $vgpr15
	s_delay_alu instid0(VALU_DEP_2)
	v_mov_b32_e32 v1, v2
	s_waitcnt lgkmcnt(0)
	s_mul_i32 s1, s15, s5
	s_mul_hi_u32 s3, s15, s4
	s_mul_i32 s2, s15, s4
	s_add_i32 s3, s3, s1
	v_cmp_gt_i64_e32 vcc_lo, s[4:5], v[0:1]
	s_lshl_b64 s[10:11], s[2:3], 1
	s_delay_alu instid0(SALU_CYCLE_1)
	s_add_u32 s6, s18, s10
	s_addc_u32 s7, s19, s11
	s_and_saveexec_b32 s1, vcc_lo
	s_cbranch_execz .LBB159_2
; %bb.1:
	global_load_u16 v15, v3, s[6:7]
	s_waitcnt vmcnt(0)
	v_lshlrev_b32_e32 v1, 16, v15
	s_delay_alu instid0(VALU_DEP_1) | instskip(NEXT) | instid1(VALU_DEP_1)
	v_max_f32_e32 v1, v1, v1
	v_max_f32_e32 v8, 0xff7fffff, v1
.LBB159_2:
	s_or_b32 exec_lo, exec_lo, s1
	s_and_b32 s8, 0xffff, s0
                                        ; implicit-def: $vgpr14
	s_delay_alu instid0(SALU_CYCLE_1) | instskip(NEXT) | instid1(VALU_DEP_1)
	v_add_nc_u32_e32 v1, s8, v0
	v_cmp_gt_i64_e64 s0, s[4:5], v[1:2]
	v_lshlrev_b32_e32 v4, 1, v1
	s_delay_alu instid0(VALU_DEP_2)
	s_and_saveexec_b32 s1, s0
	s_cbranch_execz .LBB159_4
; %bb.3:
	global_load_u16 v14, v4, s[6:7]
	s_waitcnt vmcnt(0)
	v_dual_max_f32 v5, v8, v8 :: v_dual_lshlrev_b32 v2, 16, v14
	s_delay_alu instid0(VALU_DEP_1) | instskip(NEXT) | instid1(VALU_DEP_1)
	v_max_f32_e32 v2, v2, v2
	v_max_f32_e32 v8, v5, v2
.LBB159_4:
	s_or_b32 exec_lo, exec_lo, s1
	v_dual_mov_b32 v2, 0 :: v_dual_add_nc_u32 v1, s8, v1
                                        ; implicit-def: $vgpr13
	s_delay_alu instid0(VALU_DEP_1) | instskip(NEXT) | instid1(VALU_DEP_2)
	v_lshlrev_b32_e32 v5, 1, v1
	v_cmp_gt_i64_e64 s1, s[4:5], v[1:2]
	s_delay_alu instid0(VALU_DEP_1)
	s_and_saveexec_b32 s2, s1
	s_cbranch_execz .LBB159_6
; %bb.5:
	global_load_u16 v13, v5, s[6:7]
	s_waitcnt vmcnt(0)
	v_dual_max_f32 v7, v8, v8 :: v_dual_lshlrev_b32 v6, 16, v13
	s_delay_alu instid0(VALU_DEP_1) | instskip(NEXT) | instid1(VALU_DEP_1)
	v_max_f32_e32 v6, v6, v6
	v_max_f32_e32 v8, v7, v6
.LBB159_6:
	s_or_b32 exec_lo, exec_lo, s2
	v_add_nc_u32_e32 v1, s8, v1
                                        ; implicit-def: $vgpr12
	s_delay_alu instid0(VALU_DEP_1) | instskip(SKIP_1) | instid1(VALU_DEP_2)
	v_cmp_gt_i64_e64 s2, s[4:5], v[1:2]
	v_lshlrev_b32_e32 v2, 1, v1
	s_and_saveexec_b32 s3, s2
	s_cbranch_execz .LBB159_8
; %bb.7:
	global_load_u16 v12, v2, s[6:7]
	v_max_f32_e32 v7, v8, v8
	s_waitcnt vmcnt(0)
	v_lshlrev_b32_e32 v6, 16, v12
	s_delay_alu instid0(VALU_DEP_1) | instskip(NEXT) | instid1(VALU_DEP_1)
	v_max_f32_e32 v6, v6, v6
	v_max_f32_e32 v8, v7, v6
.LBB159_8:
	s_or_b32 exec_lo, exec_lo, s3
	v_dual_mov_b32 v7, 0 :: v_dual_add_nc_u32 v6, s8, v1
                                        ; implicit-def: $vgpr11
	s_delay_alu instid0(VALU_DEP_1) | instskip(NEXT) | instid1(VALU_DEP_2)
	v_lshlrev_b32_e32 v1, 1, v6
	v_cmp_gt_i64_e64 s3, s[4:5], v[6:7]
	s_delay_alu instid0(VALU_DEP_1)
	s_and_saveexec_b32 s4, s3
	s_cbranch_execz .LBB159_10
; %bb.9:
	global_load_u16 v11, v1, s[6:7]
	s_waitcnt vmcnt(0)
	v_dual_max_f32 v7, v8, v8 :: v_dual_lshlrev_b32 v6, 16, v11
	s_delay_alu instid0(VALU_DEP_1) | instskip(NEXT) | instid1(VALU_DEP_1)
	v_max_f32_e32 v6, v6, v6
	v_max_f32_e32 v8, v7, v6
.LBB159_10:
	s_or_b32 exec_lo, exec_lo, s4
	v_mbcnt_lo_u32_b32 v10, -1, 0
	s_barrier
	buffer_gl0_inv
	v_cmp_gt_u32_e64 s4, 16, v10
	s_delay_alu instid0(VALU_DEP_1) | instskip(SKIP_1) | instid1(VALU_DEP_2)
	v_cndmask_b32_e64 v6, 0, 1, s4
	v_cmp_gt_u32_e64 s4, 24, v10
	v_lshlrev_b32_e32 v6, 4, v6
	s_delay_alu instid0(VALU_DEP_2) | instskip(NEXT) | instid1(VALU_DEP_2)
	v_cndmask_b32_e64 v7, 0, 1, s4
	v_add_lshl_u32 v6, v6, v10, 2
	s_delay_alu instid0(VALU_DEP_2) | instskip(SKIP_4) | instid1(VALU_DEP_1)
	v_lshlrev_b32_e32 v7, 3, v7
	ds_bpermute_b32 v9, v6, v8
	v_add_lshl_u32 v7, v7, v10, 2
	s_waitcnt lgkmcnt(0)
	v_cmp_lt_f32_e64 s4, v8, v9
	v_cndmask_b32_e64 v9, v8, v9, s4
	v_cmp_gt_u32_e64 s4, 28, v10
	ds_bpermute_b32 v16, v7, v9
	v_cndmask_b32_e64 v8, 0, 1, s4
	s_delay_alu instid0(VALU_DEP_1) | instskip(NEXT) | instid1(VALU_DEP_1)
	v_lshlrev_b32_e32 v8, 2, v8
	v_add_lshl_u32 v8, v8, v10, 2
	s_waitcnt lgkmcnt(0)
	v_cmp_lt_f32_e64 s4, v9, v16
	s_delay_alu instid0(VALU_DEP_1) | instskip(SKIP_3) | instid1(VALU_DEP_1)
	v_cndmask_b32_e64 v16, v9, v16, s4
	v_cmp_gt_u32_e64 s4, 30, v10
	ds_bpermute_b32 v17, v8, v16
	v_cndmask_b32_e64 v9, 0, 1, s4
	v_lshlrev_b32_e32 v9, 1, v9
	s_delay_alu instid0(VALU_DEP_1) | instskip(SKIP_2) | instid1(VALU_DEP_1)
	v_add_lshl_u32 v9, v9, v10, 2
	s_waitcnt lgkmcnt(0)
	v_cmp_lt_f32_e64 s4, v16, v17
	v_cndmask_b32_e64 v16, v16, v17, s4
	v_cmp_ne_u32_e64 s4, 31, v10
	ds_bpermute_b32 v17, v9, v16
	v_add_co_ci_u32_e64 v10, s4, 0, v10, s4
	s_delay_alu instid0(VALU_DEP_1) | instskip(SKIP_2) | instid1(VALU_DEP_1)
	v_lshlrev_b32_e32 v10, 2, v10
	s_waitcnt lgkmcnt(0)
	v_cmp_lt_f32_e64 s4, v16, v17
	v_cndmask_b32_e64 v18, v16, v17, s4
	v_and_b32_e32 v17, 31, v0
	v_lshrrev_b32_e32 v16, 3, v0
	ds_bpermute_b32 v19, v10, v18
	v_cmp_eq_u32_e64 s4, 0, v17
	s_delay_alu instid0(VALU_DEP_1) | instskip(NEXT) | instid1(SALU_CYCLE_1)
	s_and_saveexec_b32 s5, s4
	s_xor_b32 s6, exec_lo, s5
	s_cbranch_execz .LBB159_12
; %bb.11:
	s_waitcnt lgkmcnt(0)
	v_cmp_lt_f32_e64 s5, v18, v19
	v_add_nc_u32_e32 v20, 0, v16
	s_delay_alu instid0(VALU_DEP_2)
	v_cndmask_b32_e64 v18, v18, v19, s5
	ds_store_b32 v20, v18
.LBB159_12:
	s_or_b32 exec_lo, exec_lo, s6
	s_lshr_b32 s5, s8, 5
	v_mov_b32_e32 v18, 0xff7fffff
	v_cmp_gt_u32_e64 s5, s5, v0
	v_lshl_add_u32 v17, v17, 2, 0
	s_waitcnt lgkmcnt(0)
	s_barrier
	buffer_gl0_inv
	s_and_saveexec_b32 s6, s5
	s_cbranch_execnz .LBB159_38
; %bb.13:
	s_or_b32 exec_lo, exec_lo, s6
	v_cmp_gt_u32_e64 s6, 32, v0
	s_delay_alu instid0(VALU_DEP_1)
	s_and_saveexec_b32 s8, s6
	s_cbranch_execnz .LBB159_39
.LBB159_14:
	s_or_b32 exec_lo, exec_lo, s8
	v_cmp_eq_u32_e64 s7, 0, v0
	s_delay_alu instid0(VALU_DEP_1)
	s_and_saveexec_b32 s8, s7
	s_cbranch_execz .LBB159_16
.LBB159_15:
	v_mov_b32_e32 v0, 0
	s_waitcnt lgkmcnt(0)
	ds_store_b32 v0, v18
.LBB159_16:
	s_or_b32 exec_lo, exec_lo, s8
	s_waitcnt lgkmcnt(0)
	v_mov_b32_e32 v18, 0
	s_barrier
	buffer_gl0_inv
	v_lshlrev_b32_e32 v0, 16, v15
	ds_load_b32 v19, v18
	s_waitcnt lgkmcnt(0)
	v_sub_f32_e32 v0, v0, v19
	s_and_saveexec_b32 s9, vcc_lo
	s_cbranch_execz .LBB159_18
; %bb.17:
	s_delay_alu instid0(VALU_DEP_1) | instskip(SKIP_1) | instid1(VALU_DEP_2)
	v_mul_f32_e32 v15, 0x3fb8aa3b, v0
	v_cmp_ngt_f32_e64 s8, 0xc2ce8ed0, v0
	v_fma_f32 v18, 0x3fb8aa3b, v0, -v15
	v_rndne_f32_e32 v20, v15
	s_delay_alu instid0(VALU_DEP_1) | instskip(NEXT) | instid1(VALU_DEP_1)
	v_dual_fmamk_f32 v18, v0, 0x32a5705f, v18 :: v_dual_sub_f32 v15, v15, v20
	v_add_f32_e32 v15, v15, v18
	v_cvt_i32_f32_e32 v18, v20
	s_delay_alu instid0(VALU_DEP_2) | instskip(SKIP_2) | instid1(VALU_DEP_1)
	v_exp_f32_e32 v15, v15
	s_waitcnt_depctr 0xfff
	v_ldexp_f32 v15, v15, v18
	v_cndmask_b32_e64 v15, 0, v15, s8
	v_cmp_nlt_f32_e64 s8, 0x42b17218, v0
	s_delay_alu instid0(VALU_DEP_1)
	v_cndmask_b32_e64 v18, 0x7f800000, v15, s8
.LBB159_18:
	s_or_b32 exec_lo, exec_lo, s9
	v_lshlrev_b32_e32 v14, 16, v14
	s_delay_alu instid0(VALU_DEP_1)
	v_sub_f32_e32 v14, v14, v19
	s_and_saveexec_b32 s9, s0
	s_cbranch_execz .LBB159_20
; %bb.19:
	s_delay_alu instid0(VALU_DEP_1) | instskip(SKIP_1) | instid1(VALU_DEP_2)
	v_mul_f32_e32 v15, 0x3fb8aa3b, v14
	v_cmp_ngt_f32_e64 s8, 0xc2ce8ed0, v14
	v_fma_f32 v20, 0x3fb8aa3b, v14, -v15
	v_rndne_f32_e32 v21, v15
	s_delay_alu instid0(VALU_DEP_1) | instskip(NEXT) | instid1(VALU_DEP_1)
	v_dual_fmamk_f32 v20, v14, 0x32a5705f, v20 :: v_dual_sub_f32 v15, v15, v21
	v_add_f32_e32 v15, v15, v20
	v_cvt_i32_f32_e32 v20, v21
	s_delay_alu instid0(VALU_DEP_2) | instskip(SKIP_2) | instid1(VALU_DEP_1)
	v_exp_f32_e32 v15, v15
	s_waitcnt_depctr 0xfff
	v_ldexp_f32 v15, v15, v20
	v_cndmask_b32_e64 v15, 0, v15, s8
	v_cmp_nlt_f32_e64 s8, 0x42b17218, v14
	s_delay_alu instid0(VALU_DEP_1) | instskip(NEXT) | instid1(VALU_DEP_1)
	v_cndmask_b32_e64 v15, 0x7f800000, v15, s8
	v_add_f32_e32 v18, v18, v15
.LBB159_20:
	s_or_b32 exec_lo, exec_lo, s9
	v_lshlrev_b32_e32 v13, 16, v13
	s_delay_alu instid0(VALU_DEP_1)
	v_sub_f32_e32 v13, v13, v19
	s_and_saveexec_b32 s9, s1
	s_cbranch_execz .LBB159_22
; %bb.21:
	s_delay_alu instid0(VALU_DEP_1) | instskip(SKIP_1) | instid1(VALU_DEP_2)
	v_mul_f32_e32 v15, 0x3fb8aa3b, v13
	v_cmp_ngt_f32_e64 s8, 0xc2ce8ed0, v13
	v_fma_f32 v20, 0x3fb8aa3b, v13, -v15
	v_rndne_f32_e32 v21, v15
	s_delay_alu instid0(VALU_DEP_1) | instskip(NEXT) | instid1(VALU_DEP_1)
	v_dual_fmamk_f32 v20, v13, 0x32a5705f, v20 :: v_dual_sub_f32 v15, v15, v21
	v_add_f32_e32 v15, v15, v20
	v_cvt_i32_f32_e32 v20, v21
	s_delay_alu instid0(VALU_DEP_2) | instskip(SKIP_2) | instid1(VALU_DEP_1)
	v_exp_f32_e32 v15, v15
	s_waitcnt_depctr 0xfff
	v_ldexp_f32 v15, v15, v20
	v_cndmask_b32_e64 v15, 0, v15, s8
	v_cmp_nlt_f32_e64 s8, 0x42b17218, v13
	s_delay_alu instid0(VALU_DEP_1) | instskip(NEXT) | instid1(VALU_DEP_1)
	v_cndmask_b32_e64 v15, 0x7f800000, v15, s8
	v_add_f32_e32 v18, v18, v15
.LBB159_22:
	;; [unrolled: 26-line block ×3, first 2 shown]
	s_or_b32 exec_lo, exec_lo, s9
	v_lshlrev_b32_e32 v11, 16, v11
	s_delay_alu instid0(VALU_DEP_1)
	v_sub_f32_e32 v11, v11, v19
	s_and_saveexec_b32 s9, s3
	s_cbranch_execz .LBB159_26
; %bb.25:
	s_delay_alu instid0(VALU_DEP_1) | instskip(SKIP_1) | instid1(VALU_DEP_2)
	v_mul_f32_e32 v15, 0x3fb8aa3b, v11
	v_cmp_ngt_f32_e64 s8, 0xc2ce8ed0, v11
	v_fma_f32 v19, 0x3fb8aa3b, v11, -v15
	v_rndne_f32_e32 v20, v15
	s_delay_alu instid0(VALU_DEP_2) | instskip(NEXT) | instid1(VALU_DEP_2)
	v_fmamk_f32 v19, v11, 0x32a5705f, v19
	v_sub_f32_e32 v15, v15, v20
	s_delay_alu instid0(VALU_DEP_1) | instskip(SKIP_1) | instid1(VALU_DEP_2)
	v_add_f32_e32 v15, v15, v19
	v_cvt_i32_f32_e32 v19, v20
	v_exp_f32_e32 v15, v15
	s_waitcnt_depctr 0xfff
	v_ldexp_f32 v15, v15, v19
	s_delay_alu instid0(VALU_DEP_1) | instskip(SKIP_1) | instid1(VALU_DEP_1)
	v_cndmask_b32_e64 v15, 0, v15, s8
	v_cmp_nlt_f32_e64 s8, 0x42b17218, v11
	v_cndmask_b32_e64 v15, 0x7f800000, v15, s8
	s_delay_alu instid0(VALU_DEP_1)
	v_add_f32_e32 v18, v18, v15
.LBB159_26:
	s_or_b32 exec_lo, exec_lo, s9
	ds_bpermute_b32 v15, v6, v18
	s_waitcnt lgkmcnt(0)
	s_barrier
	buffer_gl0_inv
	v_add_f32_e32 v15, v18, v15
	ds_bpermute_b32 v18, v7, v15
	s_waitcnt lgkmcnt(0)
	v_add_f32_e32 v15, v15, v18
	ds_bpermute_b32 v18, v8, v15
	s_waitcnt lgkmcnt(0)
	;; [unrolled: 3-line block ×3, first 2 shown]
	v_add_f32_e32 v15, v15, v18
	ds_bpermute_b32 v18, v10, v15
	s_and_saveexec_b32 s8, s4
	s_delay_alu instid0(SALU_CYCLE_1)
	s_xor_b32 s4, exec_lo, s8
	s_cbranch_execz .LBB159_28
; %bb.27:
	s_waitcnt lgkmcnt(0)
	v_dual_add_f32 v15, v15, v18 :: v_dual_add_nc_u32 v16, 0, v16
	ds_store_b32 v16, v15
.LBB159_28:
	s_or_b32 exec_lo, exec_lo, s4
	v_mov_b32_e32 v15, 0
	s_waitcnt lgkmcnt(0)
	s_barrier
	buffer_gl0_inv
	s_and_saveexec_b32 s4, s5
	s_cbranch_execnz .LBB159_40
; %bb.29:
	s_or_b32 exec_lo, exec_lo, s4
	s_and_saveexec_b32 s4, s6
	s_cbranch_execnz .LBB159_41
.LBB159_30:
	s_or_b32 exec_lo, exec_lo, s4
	s_and_saveexec_b32 s4, s7
	s_cbranch_execz .LBB159_32
.LBB159_31:
	v_mov_b32_e32 v6, 0
	s_waitcnt lgkmcnt(0)
	ds_store_b32 v6, v15
.LBB159_32:
	s_or_b32 exec_lo, exec_lo, s4
	v_mov_b32_e32 v6, 0
	s_waitcnt lgkmcnt(0)
	s_barrier
	buffer_gl0_inv
	ds_load_b32 v6, v6
	s_waitcnt lgkmcnt(0)
	v_cmp_gt_f32_e64 s4, 0x800000, v6
	s_delay_alu instid0(VALU_DEP_1) | instskip(NEXT) | instid1(VALU_DEP_1)
	v_cndmask_b32_e64 v7, 1.0, 0x4f800000, s4
	v_mul_f32_e32 v6, v6, v7
	s_delay_alu instid0(VALU_DEP_1) | instskip(SKIP_3) | instid1(VALU_DEP_2)
	v_log_f32_e32 v6, v6
	s_waitcnt_depctr 0xfff
	v_mul_f32_e32 v7, 0x3f317217, v6
	v_cmp_gt_f32_e64 s5, 0x7f800000, |v6|
	v_fma_f32 v8, 0x3f317217, v6, -v7
	s_delay_alu instid0(VALU_DEP_1) | instskip(NEXT) | instid1(VALU_DEP_1)
	v_fmamk_f32 v8, v6, 0x3377d1cf, v8
	v_add_f32_e32 v7, v7, v8
	s_delay_alu instid0(VALU_DEP_1) | instskip(SKIP_3) | instid1(VALU_DEP_1)
	v_cndmask_b32_e64 v6, v6, v7, s5
	v_cndmask_b32_e64 v7, 0, 0x41b17218, s4
	s_add_u32 s4, s16, s10
	s_addc_u32 s5, s17, s11
	v_sub_f32_e32 v6, v6, v7
	s_and_saveexec_b32 s6, vcc_lo
	s_cbranch_execnz .LBB159_42
; %bb.33:
	s_or_b32 exec_lo, exec_lo, s6
	s_and_saveexec_b32 s6, s0
	s_cbranch_execnz .LBB159_43
.LBB159_34:
	s_or_b32 exec_lo, exec_lo, s6
	s_and_saveexec_b32 s0, s1
	s_cbranch_execnz .LBB159_44
.LBB159_35:
	s_or_b32 exec_lo, exec_lo, s0
	s_and_saveexec_b32 s0, s2
	s_cbranch_execnz .LBB159_45
.LBB159_36:
	s_or_b32 exec_lo, exec_lo, s0
	s_and_saveexec_b32 s0, s3
	s_cbranch_execnz .LBB159_46
.LBB159_37:
	s_nop 0
	s_sendmsg sendmsg(MSG_DEALLOC_VGPRS)
	s_endpgm
.LBB159_38:
	ds_load_b32 v18, v17
	s_or_b32 exec_lo, exec_lo, s6
	v_cmp_gt_u32_e64 s6, 32, v0
	s_delay_alu instid0(VALU_DEP_1)
	s_and_saveexec_b32 s8, s6
	s_cbranch_execz .LBB159_14
.LBB159_39:
	s_waitcnt lgkmcnt(0)
	ds_bpermute_b32 v19, v6, v18
	s_waitcnt lgkmcnt(0)
	v_cmp_lt_f32_e64 s7, v18, v19
	s_delay_alu instid0(VALU_DEP_1) | instskip(SKIP_3) | instid1(VALU_DEP_1)
	v_cndmask_b32_e64 v18, v18, v19, s7
	ds_bpermute_b32 v19, v7, v18
	s_waitcnt lgkmcnt(0)
	v_cmp_lt_f32_e64 s7, v18, v19
	v_cndmask_b32_e64 v18, v18, v19, s7
	ds_bpermute_b32 v19, v8, v18
	s_waitcnt lgkmcnt(0)
	v_cmp_lt_f32_e64 s7, v18, v19
	s_delay_alu instid0(VALU_DEP_1) | instskip(SKIP_3) | instid1(VALU_DEP_1)
	v_cndmask_b32_e64 v18, v18, v19, s7
	ds_bpermute_b32 v19, v9, v18
	s_waitcnt lgkmcnt(0)
	v_cmp_lt_f32_e64 s7, v18, v19
	v_cndmask_b32_e64 v18, v18, v19, s7
	ds_bpermute_b32 v19, v10, v18
	s_waitcnt lgkmcnt(0)
	v_cmp_lt_f32_e64 s7, v18, v19
	s_delay_alu instid0(VALU_DEP_1) | instskip(SKIP_2) | instid1(VALU_DEP_1)
	v_cndmask_b32_e64 v18, v18, v19, s7
	s_or_b32 exec_lo, exec_lo, s8
	v_cmp_eq_u32_e64 s7, 0, v0
	s_and_saveexec_b32 s8, s7
	s_cbranch_execnz .LBB159_15
	s_branch .LBB159_16
.LBB159_40:
	ds_load_b32 v15, v17
	s_or_b32 exec_lo, exec_lo, s4
	s_and_saveexec_b32 s4, s6
	s_cbranch_execz .LBB159_30
.LBB159_41:
	s_waitcnt lgkmcnt(0)
	ds_bpermute_b32 v6, v6, v15
	s_waitcnt lgkmcnt(0)
	v_add_f32_e32 v6, v15, v6
	ds_bpermute_b32 v7, v7, v6
	s_waitcnt lgkmcnt(0)
	v_add_f32_e32 v6, v6, v7
	;; [unrolled: 3-line block ×5, first 2 shown]
	s_or_b32 exec_lo, exec_lo, s4
	s_and_saveexec_b32 s4, s7
	s_cbranch_execnz .LBB159_31
	s_branch .LBB159_32
.LBB159_42:
	s_delay_alu instid0(VALU_DEP_1) | instskip(NEXT) | instid1(VALU_DEP_1)
	v_sub_f32_e32 v0, v0, v6
	v_bfe_u32 v7, v0, 16, 1
	v_cmp_o_f32_e32 vcc_lo, v0, v0
	s_delay_alu instid0(VALU_DEP_2) | instskip(NEXT) | instid1(VALU_DEP_1)
	v_add3_u32 v7, v0, v7, 0x7fff
	v_lshrrev_b32_e32 v7, 16, v7
	s_delay_alu instid0(VALU_DEP_1)
	v_cndmask_b32_e32 v0, 0x7fc0, v7, vcc_lo
	global_store_b16 v3, v0, s[4:5]
	s_or_b32 exec_lo, exec_lo, s6
	s_and_saveexec_b32 s6, s0
	s_cbranch_execz .LBB159_34
.LBB159_43:
	v_sub_f32_e32 v0, v14, v6
	s_delay_alu instid0(VALU_DEP_1) | instskip(SKIP_1) | instid1(VALU_DEP_2)
	v_bfe_u32 v3, v0, 16, 1
	v_cmp_o_f32_e32 vcc_lo, v0, v0
	v_add3_u32 v3, v0, v3, 0x7fff
	s_delay_alu instid0(VALU_DEP_1) | instskip(NEXT) | instid1(VALU_DEP_1)
	v_lshrrev_b32_e32 v3, 16, v3
	v_cndmask_b32_e32 v0, 0x7fc0, v3, vcc_lo
	global_store_b16 v4, v0, s[4:5]
	s_or_b32 exec_lo, exec_lo, s6
	s_and_saveexec_b32 s0, s1
	s_cbranch_execz .LBB159_35
.LBB159_44:
	v_sub_f32_e32 v0, v13, v6
	s_delay_alu instid0(VALU_DEP_1) | instskip(SKIP_1) | instid1(VALU_DEP_2)
	v_bfe_u32 v3, v0, 16, 1
	v_cmp_o_f32_e32 vcc_lo, v0, v0
	v_add3_u32 v3, v0, v3, 0x7fff
	s_delay_alu instid0(VALU_DEP_1) | instskip(NEXT) | instid1(VALU_DEP_1)
	v_lshrrev_b32_e32 v3, 16, v3
	v_cndmask_b32_e32 v0, 0x7fc0, v3, vcc_lo
	global_store_b16 v5, v0, s[4:5]
	s_or_b32 exec_lo, exec_lo, s0
	s_and_saveexec_b32 s0, s2
	s_cbranch_execz .LBB159_36
.LBB159_45:
	v_sub_f32_e32 v0, v12, v6
	s_delay_alu instid0(VALU_DEP_1) | instskip(SKIP_1) | instid1(VALU_DEP_2)
	v_bfe_u32 v3, v0, 16, 1
	v_cmp_o_f32_e32 vcc_lo, v0, v0
	v_add3_u32 v3, v0, v3, 0x7fff
	s_delay_alu instid0(VALU_DEP_1) | instskip(NEXT) | instid1(VALU_DEP_1)
	v_lshrrev_b32_e32 v3, 16, v3
	v_cndmask_b32_e32 v0, 0x7fc0, v3, vcc_lo
	global_store_b16 v2, v0, s[4:5]
	s_or_b32 exec_lo, exec_lo, s0
	s_and_saveexec_b32 s0, s3
	s_cbranch_execz .LBB159_37
.LBB159_46:
	v_sub_f32_e32 v0, v11, v6
	s_delay_alu instid0(VALU_DEP_1) | instskip(SKIP_1) | instid1(VALU_DEP_2)
	v_bfe_u32 v2, v0, 16, 1
	v_cmp_o_f32_e32 vcc_lo, v0, v0
	v_add3_u32 v2, v0, v2, 0x7fff
	s_delay_alu instid0(VALU_DEP_1) | instskip(NEXT) | instid1(VALU_DEP_1)
	v_lshrrev_b32_e32 v2, 16, v2
	v_cndmask_b32_e32 v0, 0x7fc0, v2, vcc_lo
	global_store_b16 v1, v0, s[4:5]
	s_nop 0
	s_sendmsg sendmsg(MSG_DEALLOC_VGPRS)
	s_endpgm
	.section	.rodata,"a",@progbits
	.p2align	6, 0x0
	.amdhsa_kernel _ZN2at6native12_GLOBAL__N_122cunn_SoftMaxForwardRegIN3c108BFloat16EfS4_NS1_25LogSoftMaxForwardEpilogueElLi5EEEvPT1_PKT_T3_
		.amdhsa_group_segment_fixed_size 0
		.amdhsa_private_segment_fixed_size 0
		.amdhsa_kernarg_size 280
		.amdhsa_user_sgpr_count 15
		.amdhsa_user_sgpr_dispatch_ptr 0
		.amdhsa_user_sgpr_queue_ptr 0
		.amdhsa_user_sgpr_kernarg_segment_ptr 1
		.amdhsa_user_sgpr_dispatch_id 0
		.amdhsa_user_sgpr_private_segment_size 0
		.amdhsa_wavefront_size32 1
		.amdhsa_uses_dynamic_stack 0
		.amdhsa_enable_private_segment 0
		.amdhsa_system_sgpr_workgroup_id_x 1
		.amdhsa_system_sgpr_workgroup_id_y 0
		.amdhsa_system_sgpr_workgroup_id_z 0
		.amdhsa_system_sgpr_workgroup_info 0
		.amdhsa_system_vgpr_workitem_id 0
		.amdhsa_next_free_vgpr 22
		.amdhsa_next_free_sgpr 20
		.amdhsa_reserve_vcc 1
		.amdhsa_float_round_mode_32 0
		.amdhsa_float_round_mode_16_64 0
		.amdhsa_float_denorm_mode_32 3
		.amdhsa_float_denorm_mode_16_64 3
		.amdhsa_dx10_clamp 1
		.amdhsa_ieee_mode 1
		.amdhsa_fp16_overflow 0
		.amdhsa_workgroup_processor_mode 1
		.amdhsa_memory_ordered 1
		.amdhsa_forward_progress 0
		.amdhsa_shared_vgpr_count 0
		.amdhsa_exception_fp_ieee_invalid_op 0
		.amdhsa_exception_fp_denorm_src 0
		.amdhsa_exception_fp_ieee_div_zero 0
		.amdhsa_exception_fp_ieee_overflow 0
		.amdhsa_exception_fp_ieee_underflow 0
		.amdhsa_exception_fp_ieee_inexact 0
		.amdhsa_exception_int_div_zero 0
	.end_amdhsa_kernel
	.section	.text._ZN2at6native12_GLOBAL__N_122cunn_SoftMaxForwardRegIN3c108BFloat16EfS4_NS1_25LogSoftMaxForwardEpilogueElLi5EEEvPT1_PKT_T3_,"axG",@progbits,_ZN2at6native12_GLOBAL__N_122cunn_SoftMaxForwardRegIN3c108BFloat16EfS4_NS1_25LogSoftMaxForwardEpilogueElLi5EEEvPT1_PKT_T3_,comdat
.Lfunc_end159:
	.size	_ZN2at6native12_GLOBAL__N_122cunn_SoftMaxForwardRegIN3c108BFloat16EfS4_NS1_25LogSoftMaxForwardEpilogueElLi5EEEvPT1_PKT_T3_, .Lfunc_end159-_ZN2at6native12_GLOBAL__N_122cunn_SoftMaxForwardRegIN3c108BFloat16EfS4_NS1_25LogSoftMaxForwardEpilogueElLi5EEEvPT1_PKT_T3_
                                        ; -- End function
	.section	.AMDGPU.csdata,"",@progbits
; Kernel info:
; codeLenInByte = 2780
; NumSgprs: 22
; NumVgprs: 22
; ScratchSize: 0
; MemoryBound: 0
; FloatMode: 240
; IeeeMode: 1
; LDSByteSize: 0 bytes/workgroup (compile time only)
; SGPRBlocks: 2
; VGPRBlocks: 2
; NumSGPRsForWavesPerEU: 22
; NumVGPRsForWavesPerEU: 22
; Occupancy: 16
; WaveLimiterHint : 0
; COMPUTE_PGM_RSRC2:SCRATCH_EN: 0
; COMPUTE_PGM_RSRC2:USER_SGPR: 15
; COMPUTE_PGM_RSRC2:TRAP_HANDLER: 0
; COMPUTE_PGM_RSRC2:TGID_X_EN: 1
; COMPUTE_PGM_RSRC2:TGID_Y_EN: 0
; COMPUTE_PGM_RSRC2:TGID_Z_EN: 0
; COMPUTE_PGM_RSRC2:TIDIG_COMP_CNT: 0
	.section	.text._ZN2at6native12_GLOBAL__N_122cunn_SoftMaxForwardRegIN3c108BFloat16EfS4_NS1_25LogSoftMaxForwardEpilogueElLi6EEEvPT1_PKT_T3_,"axG",@progbits,_ZN2at6native12_GLOBAL__N_122cunn_SoftMaxForwardRegIN3c108BFloat16EfS4_NS1_25LogSoftMaxForwardEpilogueElLi6EEEvPT1_PKT_T3_,comdat
	.globl	_ZN2at6native12_GLOBAL__N_122cunn_SoftMaxForwardRegIN3c108BFloat16EfS4_NS1_25LogSoftMaxForwardEpilogueElLi6EEEvPT1_PKT_T3_ ; -- Begin function _ZN2at6native12_GLOBAL__N_122cunn_SoftMaxForwardRegIN3c108BFloat16EfS4_NS1_25LogSoftMaxForwardEpilogueElLi6EEEvPT1_PKT_T3_
	.p2align	8
	.type	_ZN2at6native12_GLOBAL__N_122cunn_SoftMaxForwardRegIN3c108BFloat16EfS4_NS1_25LogSoftMaxForwardEpilogueElLi6EEEvPT1_PKT_T3_,@function
_ZN2at6native12_GLOBAL__N_122cunn_SoftMaxForwardRegIN3c108BFloat16EfS4_NS1_25LogSoftMaxForwardEpilogueElLi6EEEvPT1_PKT_T3_: ; @_ZN2at6native12_GLOBAL__N_122cunn_SoftMaxForwardRegIN3c108BFloat16EfS4_NS1_25LogSoftMaxForwardEpilogueElLi6EEEvPT1_PKT_T3_
; %bb.0:
	s_clause 0x2
	s_load_b64 s[4:5], s[0:1], 0x10
	s_load_b128 s[16:19], s[0:1], 0x0
	s_load_b32 s0, s[0:1], 0x24
	v_dual_mov_b32 v2, 0 :: v_dual_mov_b32 v9, 0xff7fffff
	v_lshlrev_b32_e32 v3, 1, v0
                                        ; implicit-def: $vgpr17
	s_delay_alu instid0(VALU_DEP_2)
	v_mov_b32_e32 v1, v2
	s_waitcnt lgkmcnt(0)
	s_mul_i32 s1, s15, s5
	s_mul_hi_u32 s3, s15, s4
	s_mul_i32 s2, s15, s4
	s_add_i32 s3, s3, s1
	v_cmp_gt_i64_e32 vcc_lo, s[4:5], v[0:1]
	s_lshl_b64 s[10:11], s[2:3], 1
	s_delay_alu instid0(SALU_CYCLE_1)
	s_add_u32 s6, s18, s10
	s_addc_u32 s7, s19, s11
	s_and_saveexec_b32 s1, vcc_lo
	s_cbranch_execz .LBB160_2
; %bb.1:
	global_load_u16 v17, v3, s[6:7]
	s_waitcnt vmcnt(0)
	v_lshlrev_b32_e32 v1, 16, v17
	s_delay_alu instid0(VALU_DEP_1) | instskip(NEXT) | instid1(VALU_DEP_1)
	v_max_f32_e32 v1, v1, v1
	v_max_f32_e32 v9, 0xff7fffff, v1
.LBB160_2:
	s_or_b32 exec_lo, exec_lo, s1
	s_and_b32 s8, 0xffff, s0
                                        ; implicit-def: $vgpr16
	s_delay_alu instid0(SALU_CYCLE_1) | instskip(NEXT) | instid1(VALU_DEP_1)
	v_add_nc_u32_e32 v1, s8, v0
	v_cmp_gt_i64_e64 s0, s[4:5], v[1:2]
	v_lshlrev_b32_e32 v4, 1, v1
	s_delay_alu instid0(VALU_DEP_2)
	s_and_saveexec_b32 s1, s0
	s_cbranch_execz .LBB160_4
; %bb.3:
	global_load_u16 v16, v4, s[6:7]
	s_waitcnt vmcnt(0)
	v_dual_max_f32 v5, v9, v9 :: v_dual_lshlrev_b32 v2, 16, v16
	s_delay_alu instid0(VALU_DEP_1) | instskip(NEXT) | instid1(VALU_DEP_1)
	v_max_f32_e32 v2, v2, v2
	v_max_f32_e32 v9, v5, v2
.LBB160_4:
	s_or_b32 exec_lo, exec_lo, s1
	v_dual_mov_b32 v2, 0 :: v_dual_add_nc_u32 v1, s8, v1
                                        ; implicit-def: $vgpr15
	s_delay_alu instid0(VALU_DEP_1) | instskip(NEXT) | instid1(VALU_DEP_2)
	v_lshlrev_b32_e32 v5, 1, v1
	v_cmp_gt_i64_e64 s1, s[4:5], v[1:2]
	s_delay_alu instid0(VALU_DEP_1)
	s_and_saveexec_b32 s2, s1
	s_cbranch_execz .LBB160_6
; %bb.5:
	global_load_u16 v15, v5, s[6:7]
	s_waitcnt vmcnt(0)
	v_dual_max_f32 v7, v9, v9 :: v_dual_lshlrev_b32 v6, 16, v15
	s_delay_alu instid0(VALU_DEP_1) | instskip(NEXT) | instid1(VALU_DEP_1)
	v_max_f32_e32 v6, v6, v6
	v_max_f32_e32 v9, v7, v6
.LBB160_6:
	s_or_b32 exec_lo, exec_lo, s2
	v_add_nc_u32_e32 v1, s8, v1
                                        ; implicit-def: $vgpr14
	s_delay_alu instid0(VALU_DEP_1) | instskip(SKIP_1) | instid1(VALU_DEP_2)
	v_cmp_gt_i64_e64 s2, s[4:5], v[1:2]
	v_lshlrev_b32_e32 v6, 1, v1
	s_and_saveexec_b32 s3, s2
	s_cbranch_execz .LBB160_8
; %bb.7:
	global_load_u16 v14, v6, s[6:7]
	s_waitcnt vmcnt(0)
	v_dual_max_f32 v7, v9, v9 :: v_dual_lshlrev_b32 v2, 16, v14
	s_delay_alu instid0(VALU_DEP_1) | instskip(NEXT) | instid1(VALU_DEP_1)
	v_max_f32_e32 v2, v2, v2
	v_max_f32_e32 v9, v7, v2
.LBB160_8:
	s_or_b32 exec_lo, exec_lo, s3
	v_dual_mov_b32 v2, 0 :: v_dual_add_nc_u32 v1, s8, v1
                                        ; implicit-def: $vgpr13
	s_delay_alu instid0(VALU_DEP_1) | instskip(NEXT) | instid1(VALU_DEP_2)
	v_lshlrev_b32_e32 v7, 1, v1
	v_cmp_gt_i64_e64 s3, s[4:5], v[1:2]
	s_delay_alu instid0(VALU_DEP_1)
	s_and_saveexec_b32 s9, s3
	s_cbranch_execz .LBB160_10
; %bb.9:
	global_load_u16 v13, v7, s[6:7]
	v_max_f32_e32 v9, v9, v9
	s_waitcnt vmcnt(0)
	v_lshlrev_b32_e32 v8, 16, v13
	s_delay_alu instid0(VALU_DEP_1) | instskip(NEXT) | instid1(VALU_DEP_1)
	v_max_f32_e32 v8, v8, v8
	v_max_f32_e32 v9, v9, v8
.LBB160_10:
	s_or_b32 exec_lo, exec_lo, s9
	v_add_nc_u32_e32 v1, s8, v1
                                        ; implicit-def: $vgpr12
	s_delay_alu instid0(VALU_DEP_1) | instskip(SKIP_1) | instid1(VALU_DEP_2)
	v_cmp_gt_i64_e64 s4, s[4:5], v[1:2]
	v_lshlrev_b32_e32 v1, 1, v1
	s_and_saveexec_b32 s5, s4
	s_cbranch_execz .LBB160_12
; %bb.11:
	global_load_u16 v12, v1, s[6:7]
	v_max_f32_e32 v8, v9, v9
	s_waitcnt vmcnt(0)
	v_lshlrev_b32_e32 v2, 16, v12
	s_delay_alu instid0(VALU_DEP_1) | instskip(NEXT) | instid1(VALU_DEP_1)
	v_max_f32_e32 v2, v2, v2
	v_max_f32_e32 v9, v8, v2
.LBB160_12:
	s_or_b32 exec_lo, exec_lo, s5
	v_mbcnt_lo_u32_b32 v11, -1, 0
	s_barrier
	buffer_gl0_inv
	v_cmp_gt_u32_e64 s5, 16, v11
	s_delay_alu instid0(VALU_DEP_1) | instskip(SKIP_1) | instid1(VALU_DEP_2)
	v_cndmask_b32_e64 v2, 0, 1, s5
	v_cmp_gt_u32_e64 s5, 24, v11
	v_lshlrev_b32_e32 v2, 4, v2
	s_delay_alu instid0(VALU_DEP_2) | instskip(NEXT) | instid1(VALU_DEP_2)
	v_cndmask_b32_e64 v8, 0, 1, s5
	v_add_lshl_u32 v2, v2, v11, 2
	s_delay_alu instid0(VALU_DEP_2) | instskip(SKIP_4) | instid1(VALU_DEP_1)
	v_lshlrev_b32_e32 v8, 3, v8
	ds_bpermute_b32 v10, v2, v9
	v_add_lshl_u32 v8, v8, v11, 2
	s_waitcnt lgkmcnt(0)
	v_cmp_lt_f32_e64 s5, v9, v10
	v_cndmask_b32_e64 v10, v9, v10, s5
	v_cmp_gt_u32_e64 s5, 28, v11
	ds_bpermute_b32 v18, v8, v10
	v_cndmask_b32_e64 v9, 0, 1, s5
	s_delay_alu instid0(VALU_DEP_1) | instskip(NEXT) | instid1(VALU_DEP_1)
	v_lshlrev_b32_e32 v9, 2, v9
	v_add_lshl_u32 v9, v9, v11, 2
	s_waitcnt lgkmcnt(0)
	v_cmp_lt_f32_e64 s5, v10, v18
	s_delay_alu instid0(VALU_DEP_1) | instskip(SKIP_3) | instid1(VALU_DEP_1)
	v_cndmask_b32_e64 v18, v10, v18, s5
	v_cmp_gt_u32_e64 s5, 30, v11
	ds_bpermute_b32 v19, v9, v18
	v_cndmask_b32_e64 v10, 0, 1, s5
	v_lshlrev_b32_e32 v10, 1, v10
	s_delay_alu instid0(VALU_DEP_1) | instskip(SKIP_2) | instid1(VALU_DEP_1)
	v_add_lshl_u32 v10, v10, v11, 2
	s_waitcnt lgkmcnt(0)
	v_cmp_lt_f32_e64 s5, v18, v19
	v_cndmask_b32_e64 v18, v18, v19, s5
	v_cmp_ne_u32_e64 s5, 31, v11
	ds_bpermute_b32 v19, v10, v18
	v_add_co_ci_u32_e64 v11, s5, 0, v11, s5
	s_delay_alu instid0(VALU_DEP_1) | instskip(SKIP_2) | instid1(VALU_DEP_1)
	v_lshlrev_b32_e32 v11, 2, v11
	s_waitcnt lgkmcnt(0)
	v_cmp_lt_f32_e64 s5, v18, v19
	v_cndmask_b32_e64 v20, v18, v19, s5
	v_and_b32_e32 v19, 31, v0
	v_lshrrev_b32_e32 v18, 3, v0
	ds_bpermute_b32 v21, v11, v20
	v_cmp_eq_u32_e64 s5, 0, v19
	s_delay_alu instid0(VALU_DEP_1) | instskip(NEXT) | instid1(SALU_CYCLE_1)
	s_and_saveexec_b32 s6, s5
	s_xor_b32 s7, exec_lo, s6
	s_cbranch_execz .LBB160_14
; %bb.13:
	s_waitcnt lgkmcnt(0)
	v_cmp_lt_f32_e64 s6, v20, v21
	v_add_nc_u32_e32 v22, 0, v18
	s_delay_alu instid0(VALU_DEP_2)
	v_cndmask_b32_e64 v20, v20, v21, s6
	ds_store_b32 v22, v20
.LBB160_14:
	s_or_b32 exec_lo, exec_lo, s7
	s_lshr_b32 s6, s8, 5
	v_mov_b32_e32 v20, 0xff7fffff
	v_cmp_gt_u32_e64 s6, s6, v0
	v_lshl_add_u32 v19, v19, 2, 0
	s_waitcnt lgkmcnt(0)
	s_barrier
	buffer_gl0_inv
	s_and_saveexec_b32 s7, s6
	s_cbranch_execnz .LBB160_43
; %bb.15:
	s_or_b32 exec_lo, exec_lo, s7
	v_cmp_gt_u32_e64 s7, 32, v0
	s_delay_alu instid0(VALU_DEP_1)
	s_and_saveexec_b32 s9, s7
	s_cbranch_execnz .LBB160_44
.LBB160_16:
	s_or_b32 exec_lo, exec_lo, s9
	v_cmp_eq_u32_e64 s8, 0, v0
	s_delay_alu instid0(VALU_DEP_1)
	s_and_saveexec_b32 s9, s8
	s_cbranch_execz .LBB160_18
.LBB160_17:
	v_mov_b32_e32 v0, 0
	s_waitcnt lgkmcnt(0)
	ds_store_b32 v0, v20
.LBB160_18:
	s_or_b32 exec_lo, exec_lo, s9
	s_waitcnt lgkmcnt(0)
	v_mov_b32_e32 v20, 0
	s_barrier
	buffer_gl0_inv
	v_lshlrev_b32_e32 v0, 16, v17
	ds_load_b32 v21, v20
	s_waitcnt lgkmcnt(0)
	v_sub_f32_e32 v0, v0, v21
	s_and_saveexec_b32 s12, vcc_lo
	s_cbranch_execz .LBB160_20
; %bb.19:
	s_delay_alu instid0(VALU_DEP_1) | instskip(SKIP_1) | instid1(VALU_DEP_2)
	v_mul_f32_e32 v17, 0x3fb8aa3b, v0
	v_cmp_ngt_f32_e64 s9, 0xc2ce8ed0, v0
	v_fma_f32 v20, 0x3fb8aa3b, v0, -v17
	v_rndne_f32_e32 v22, v17
	s_delay_alu instid0(VALU_DEP_1) | instskip(NEXT) | instid1(VALU_DEP_1)
	v_dual_fmamk_f32 v20, v0, 0x32a5705f, v20 :: v_dual_sub_f32 v17, v17, v22
	v_add_f32_e32 v17, v17, v20
	v_cvt_i32_f32_e32 v20, v22
	s_delay_alu instid0(VALU_DEP_2) | instskip(SKIP_2) | instid1(VALU_DEP_1)
	v_exp_f32_e32 v17, v17
	s_waitcnt_depctr 0xfff
	v_ldexp_f32 v17, v17, v20
	v_cndmask_b32_e64 v17, 0, v17, s9
	v_cmp_nlt_f32_e64 s9, 0x42b17218, v0
	s_delay_alu instid0(VALU_DEP_1)
	v_cndmask_b32_e64 v20, 0x7f800000, v17, s9
.LBB160_20:
	s_or_b32 exec_lo, exec_lo, s12
	v_lshlrev_b32_e32 v16, 16, v16
	s_delay_alu instid0(VALU_DEP_1)
	v_sub_f32_e32 v16, v16, v21
	s_and_saveexec_b32 s12, s0
	s_cbranch_execz .LBB160_22
; %bb.21:
	s_delay_alu instid0(VALU_DEP_1) | instskip(SKIP_1) | instid1(VALU_DEP_2)
	v_mul_f32_e32 v17, 0x3fb8aa3b, v16
	v_cmp_ngt_f32_e64 s9, 0xc2ce8ed0, v16
	v_fma_f32 v22, 0x3fb8aa3b, v16, -v17
	v_rndne_f32_e32 v23, v17
	s_delay_alu instid0(VALU_DEP_1) | instskip(NEXT) | instid1(VALU_DEP_1)
	v_dual_fmamk_f32 v22, v16, 0x32a5705f, v22 :: v_dual_sub_f32 v17, v17, v23
	v_add_f32_e32 v17, v17, v22
	v_cvt_i32_f32_e32 v22, v23
	s_delay_alu instid0(VALU_DEP_2) | instskip(SKIP_2) | instid1(VALU_DEP_1)
	v_exp_f32_e32 v17, v17
	s_waitcnt_depctr 0xfff
	v_ldexp_f32 v17, v17, v22
	v_cndmask_b32_e64 v17, 0, v17, s9
	v_cmp_nlt_f32_e64 s9, 0x42b17218, v16
	s_delay_alu instid0(VALU_DEP_1) | instskip(NEXT) | instid1(VALU_DEP_1)
	v_cndmask_b32_e64 v17, 0x7f800000, v17, s9
	v_add_f32_e32 v20, v20, v17
.LBB160_22:
	s_or_b32 exec_lo, exec_lo, s12
	v_lshlrev_b32_e32 v15, 16, v15
	s_delay_alu instid0(VALU_DEP_1)
	v_sub_f32_e32 v15, v15, v21
	s_and_saveexec_b32 s12, s1
	s_cbranch_execz .LBB160_24
; %bb.23:
	s_delay_alu instid0(VALU_DEP_1) | instskip(SKIP_1) | instid1(VALU_DEP_2)
	v_mul_f32_e32 v17, 0x3fb8aa3b, v15
	v_cmp_ngt_f32_e64 s9, 0xc2ce8ed0, v15
	v_fma_f32 v22, 0x3fb8aa3b, v15, -v17
	v_rndne_f32_e32 v23, v17
	s_delay_alu instid0(VALU_DEP_1) | instskip(NEXT) | instid1(VALU_DEP_1)
	v_dual_fmamk_f32 v22, v15, 0x32a5705f, v22 :: v_dual_sub_f32 v17, v17, v23
	v_add_f32_e32 v17, v17, v22
	v_cvt_i32_f32_e32 v22, v23
	s_delay_alu instid0(VALU_DEP_2) | instskip(SKIP_2) | instid1(VALU_DEP_1)
	v_exp_f32_e32 v17, v17
	s_waitcnt_depctr 0xfff
	v_ldexp_f32 v17, v17, v22
	v_cndmask_b32_e64 v17, 0, v17, s9
	v_cmp_nlt_f32_e64 s9, 0x42b17218, v15
	s_delay_alu instid0(VALU_DEP_1) | instskip(NEXT) | instid1(VALU_DEP_1)
	v_cndmask_b32_e64 v17, 0x7f800000, v17, s9
	v_add_f32_e32 v20, v20, v17
.LBB160_24:
	;; [unrolled: 26-line block ×3, first 2 shown]
	s_or_b32 exec_lo, exec_lo, s12
	v_lshlrev_b32_e32 v13, 16, v13
	s_delay_alu instid0(VALU_DEP_1)
	v_sub_f32_e32 v13, v13, v21
	s_and_saveexec_b32 s12, s3
	s_cbranch_execz .LBB160_28
; %bb.27:
	s_delay_alu instid0(VALU_DEP_1) | instskip(SKIP_1) | instid1(VALU_DEP_2)
	v_mul_f32_e32 v17, 0x3fb8aa3b, v13
	v_cmp_ngt_f32_e64 s9, 0xc2ce8ed0, v13
	v_fma_f32 v22, 0x3fb8aa3b, v13, -v17
	v_rndne_f32_e32 v23, v17
	s_delay_alu instid0(VALU_DEP_2) | instskip(NEXT) | instid1(VALU_DEP_2)
	v_fmamk_f32 v22, v13, 0x32a5705f, v22
	v_sub_f32_e32 v17, v17, v23
	s_delay_alu instid0(VALU_DEP_1) | instskip(SKIP_1) | instid1(VALU_DEP_2)
	v_add_f32_e32 v17, v17, v22
	v_cvt_i32_f32_e32 v22, v23
	v_exp_f32_e32 v17, v17
	s_waitcnt_depctr 0xfff
	v_ldexp_f32 v17, v17, v22
	s_delay_alu instid0(VALU_DEP_1) | instskip(SKIP_1) | instid1(VALU_DEP_1)
	v_cndmask_b32_e64 v17, 0, v17, s9
	v_cmp_nlt_f32_e64 s9, 0x42b17218, v13
	v_cndmask_b32_e64 v17, 0x7f800000, v17, s9
	s_delay_alu instid0(VALU_DEP_1)
	v_add_f32_e32 v20, v20, v17
.LBB160_28:
	s_or_b32 exec_lo, exec_lo, s12
	v_lshlrev_b32_e32 v12, 16, v12
	s_delay_alu instid0(VALU_DEP_1)
	v_sub_f32_e32 v12, v12, v21
	s_and_saveexec_b32 s12, s4
	s_cbranch_execz .LBB160_30
; %bb.29:
	s_delay_alu instid0(VALU_DEP_1) | instskip(SKIP_1) | instid1(VALU_DEP_2)
	v_mul_f32_e32 v17, 0x3fb8aa3b, v12
	v_cmp_ngt_f32_e64 s9, 0xc2ce8ed0, v12
	v_fma_f32 v21, 0x3fb8aa3b, v12, -v17
	v_rndne_f32_e32 v22, v17
	s_delay_alu instid0(VALU_DEP_2) | instskip(NEXT) | instid1(VALU_DEP_2)
	v_fmamk_f32 v21, v12, 0x32a5705f, v21
	v_sub_f32_e32 v17, v17, v22
	s_delay_alu instid0(VALU_DEP_1) | instskip(SKIP_1) | instid1(VALU_DEP_2)
	v_add_f32_e32 v17, v17, v21
	v_cvt_i32_f32_e32 v21, v22
	v_exp_f32_e32 v17, v17
	s_waitcnt_depctr 0xfff
	v_ldexp_f32 v17, v17, v21
	s_delay_alu instid0(VALU_DEP_1) | instskip(SKIP_1) | instid1(VALU_DEP_1)
	v_cndmask_b32_e64 v17, 0, v17, s9
	v_cmp_nlt_f32_e64 s9, 0x42b17218, v12
	v_cndmask_b32_e64 v17, 0x7f800000, v17, s9
	s_delay_alu instid0(VALU_DEP_1)
	v_add_f32_e32 v20, v20, v17
.LBB160_30:
	s_or_b32 exec_lo, exec_lo, s12
	ds_bpermute_b32 v17, v2, v20
	s_waitcnt lgkmcnt(0)
	s_barrier
	buffer_gl0_inv
	v_add_f32_e32 v17, v20, v17
	ds_bpermute_b32 v20, v8, v17
	s_waitcnt lgkmcnt(0)
	v_add_f32_e32 v17, v17, v20
	ds_bpermute_b32 v20, v9, v17
	s_waitcnt lgkmcnt(0)
	v_add_f32_e32 v17, v17, v20
	ds_bpermute_b32 v20, v10, v17
	s_waitcnt lgkmcnt(0)
	v_add_f32_e32 v17, v17, v20
	ds_bpermute_b32 v20, v11, v17
	s_and_saveexec_b32 s9, s5
	s_delay_alu instid0(SALU_CYCLE_1)
	s_xor_b32 s5, exec_lo, s9
	s_cbranch_execz .LBB160_32
; %bb.31:
	s_waitcnt lgkmcnt(0)
	v_dual_add_f32 v17, v17, v20 :: v_dual_add_nc_u32 v18, 0, v18
	ds_store_b32 v18, v17
.LBB160_32:
	s_or_b32 exec_lo, exec_lo, s5
	v_mov_b32_e32 v17, 0
	s_waitcnt lgkmcnt(0)
	s_barrier
	buffer_gl0_inv
	s_and_saveexec_b32 s5, s6
	s_cbranch_execnz .LBB160_45
; %bb.33:
	s_or_b32 exec_lo, exec_lo, s5
	s_and_saveexec_b32 s5, s7
	s_cbranch_execnz .LBB160_46
.LBB160_34:
	s_or_b32 exec_lo, exec_lo, s5
	s_and_saveexec_b32 s5, s8
	s_cbranch_execz .LBB160_36
.LBB160_35:
	v_mov_b32_e32 v2, 0
	s_waitcnt lgkmcnt(0)
	ds_store_b32 v2, v17
.LBB160_36:
	s_or_b32 exec_lo, exec_lo, s5
	v_mov_b32_e32 v2, 0
	s_waitcnt lgkmcnt(0)
	s_barrier
	buffer_gl0_inv
	ds_load_b32 v2, v2
	s_waitcnt lgkmcnt(0)
	v_cmp_gt_f32_e64 s5, 0x800000, v2
	s_delay_alu instid0(VALU_DEP_1) | instskip(NEXT) | instid1(VALU_DEP_1)
	v_cndmask_b32_e64 v8, 1.0, 0x4f800000, s5
	v_mul_f32_e32 v2, v2, v8
	s_delay_alu instid0(VALU_DEP_1) | instskip(SKIP_3) | instid1(VALU_DEP_2)
	v_log_f32_e32 v2, v2
	s_waitcnt_depctr 0xfff
	v_mul_f32_e32 v8, 0x3f317217, v2
	v_cmp_gt_f32_e64 s6, 0x7f800000, |v2|
	v_fma_f32 v9, 0x3f317217, v2, -v8
	s_delay_alu instid0(VALU_DEP_1) | instskip(NEXT) | instid1(VALU_DEP_1)
	v_fmamk_f32 v9, v2, 0x3377d1cf, v9
	v_add_f32_e32 v8, v8, v9
	s_delay_alu instid0(VALU_DEP_1) | instskip(SKIP_3) | instid1(VALU_DEP_1)
	v_cndmask_b32_e64 v2, v2, v8, s6
	v_cndmask_b32_e64 v8, 0, 0x41b17218, s5
	s_add_u32 s6, s16, s10
	s_addc_u32 s7, s17, s11
	v_sub_f32_e32 v2, v2, v8
	s_and_saveexec_b32 s5, vcc_lo
	s_cbranch_execnz .LBB160_47
; %bb.37:
	s_or_b32 exec_lo, exec_lo, s5
	s_and_saveexec_b32 s5, s0
	s_cbranch_execnz .LBB160_48
.LBB160_38:
	s_or_b32 exec_lo, exec_lo, s5
	s_and_saveexec_b32 s0, s1
	s_cbranch_execnz .LBB160_49
.LBB160_39:
	s_or_b32 exec_lo, exec_lo, s0
	s_and_saveexec_b32 s0, s2
	s_cbranch_execnz .LBB160_50
.LBB160_40:
	s_or_b32 exec_lo, exec_lo, s0
	s_and_saveexec_b32 s0, s3
	s_cbranch_execnz .LBB160_51
.LBB160_41:
	s_or_b32 exec_lo, exec_lo, s0
	s_and_saveexec_b32 s0, s4
	s_cbranch_execnz .LBB160_52
.LBB160_42:
	s_nop 0
	s_sendmsg sendmsg(MSG_DEALLOC_VGPRS)
	s_endpgm
.LBB160_43:
	ds_load_b32 v20, v19
	s_or_b32 exec_lo, exec_lo, s7
	v_cmp_gt_u32_e64 s7, 32, v0
	s_delay_alu instid0(VALU_DEP_1)
	s_and_saveexec_b32 s9, s7
	s_cbranch_execz .LBB160_16
.LBB160_44:
	s_waitcnt lgkmcnt(0)
	ds_bpermute_b32 v21, v2, v20
	s_waitcnt lgkmcnt(0)
	v_cmp_lt_f32_e64 s8, v20, v21
	s_delay_alu instid0(VALU_DEP_1) | instskip(SKIP_3) | instid1(VALU_DEP_1)
	v_cndmask_b32_e64 v20, v20, v21, s8
	ds_bpermute_b32 v21, v8, v20
	s_waitcnt lgkmcnt(0)
	v_cmp_lt_f32_e64 s8, v20, v21
	v_cndmask_b32_e64 v20, v20, v21, s8
	ds_bpermute_b32 v21, v9, v20
	s_waitcnt lgkmcnt(0)
	v_cmp_lt_f32_e64 s8, v20, v21
	s_delay_alu instid0(VALU_DEP_1) | instskip(SKIP_3) | instid1(VALU_DEP_1)
	v_cndmask_b32_e64 v20, v20, v21, s8
	ds_bpermute_b32 v21, v10, v20
	s_waitcnt lgkmcnt(0)
	v_cmp_lt_f32_e64 s8, v20, v21
	v_cndmask_b32_e64 v20, v20, v21, s8
	ds_bpermute_b32 v21, v11, v20
	s_waitcnt lgkmcnt(0)
	v_cmp_lt_f32_e64 s8, v20, v21
	s_delay_alu instid0(VALU_DEP_1) | instskip(SKIP_2) | instid1(VALU_DEP_1)
	v_cndmask_b32_e64 v20, v20, v21, s8
	s_or_b32 exec_lo, exec_lo, s9
	v_cmp_eq_u32_e64 s8, 0, v0
	s_and_saveexec_b32 s9, s8
	s_cbranch_execnz .LBB160_17
	s_branch .LBB160_18
.LBB160_45:
	ds_load_b32 v17, v19
	s_or_b32 exec_lo, exec_lo, s5
	s_and_saveexec_b32 s5, s7
	s_cbranch_execz .LBB160_34
.LBB160_46:
	s_waitcnt lgkmcnt(0)
	ds_bpermute_b32 v2, v2, v17
	s_waitcnt lgkmcnt(0)
	v_add_f32_e32 v2, v17, v2
	ds_bpermute_b32 v8, v8, v2
	s_waitcnt lgkmcnt(0)
	v_add_f32_e32 v2, v2, v8
	;; [unrolled: 3-line block ×5, first 2 shown]
	s_or_b32 exec_lo, exec_lo, s5
	s_and_saveexec_b32 s5, s8
	s_cbranch_execnz .LBB160_35
	s_branch .LBB160_36
.LBB160_47:
	s_delay_alu instid0(VALU_DEP_1) | instskip(NEXT) | instid1(VALU_DEP_1)
	v_sub_f32_e32 v0, v0, v2
	v_bfe_u32 v8, v0, 16, 1
	v_cmp_o_f32_e32 vcc_lo, v0, v0
	s_delay_alu instid0(VALU_DEP_2) | instskip(NEXT) | instid1(VALU_DEP_1)
	v_add3_u32 v8, v0, v8, 0x7fff
	v_lshrrev_b32_e32 v8, 16, v8
	s_delay_alu instid0(VALU_DEP_1)
	v_cndmask_b32_e32 v0, 0x7fc0, v8, vcc_lo
	global_store_b16 v3, v0, s[6:7]
	s_or_b32 exec_lo, exec_lo, s5
	s_and_saveexec_b32 s5, s0
	s_cbranch_execz .LBB160_38
.LBB160_48:
	v_sub_f32_e32 v0, v16, v2
	s_delay_alu instid0(VALU_DEP_1) | instskip(SKIP_1) | instid1(VALU_DEP_2)
	v_bfe_u32 v3, v0, 16, 1
	v_cmp_o_f32_e32 vcc_lo, v0, v0
	v_add3_u32 v3, v0, v3, 0x7fff
	s_delay_alu instid0(VALU_DEP_1) | instskip(NEXT) | instid1(VALU_DEP_1)
	v_lshrrev_b32_e32 v3, 16, v3
	v_cndmask_b32_e32 v0, 0x7fc0, v3, vcc_lo
	global_store_b16 v4, v0, s[6:7]
	s_or_b32 exec_lo, exec_lo, s5
	s_and_saveexec_b32 s0, s1
	s_cbranch_execz .LBB160_39
.LBB160_49:
	v_sub_f32_e32 v0, v15, v2
	s_delay_alu instid0(VALU_DEP_1) | instskip(SKIP_1) | instid1(VALU_DEP_2)
	v_bfe_u32 v3, v0, 16, 1
	v_cmp_o_f32_e32 vcc_lo, v0, v0
	v_add3_u32 v3, v0, v3, 0x7fff
	s_delay_alu instid0(VALU_DEP_1) | instskip(NEXT) | instid1(VALU_DEP_1)
	v_lshrrev_b32_e32 v3, 16, v3
	v_cndmask_b32_e32 v0, 0x7fc0, v3, vcc_lo
	global_store_b16 v5, v0, s[6:7]
	s_or_b32 exec_lo, exec_lo, s0
	s_and_saveexec_b32 s0, s2
	s_cbranch_execz .LBB160_40
.LBB160_50:
	v_sub_f32_e32 v0, v14, v2
	s_delay_alu instid0(VALU_DEP_1) | instskip(SKIP_1) | instid1(VALU_DEP_2)
	v_bfe_u32 v3, v0, 16, 1
	v_cmp_o_f32_e32 vcc_lo, v0, v0
	v_add3_u32 v3, v0, v3, 0x7fff
	s_delay_alu instid0(VALU_DEP_1) | instskip(NEXT) | instid1(VALU_DEP_1)
	v_lshrrev_b32_e32 v3, 16, v3
	v_cndmask_b32_e32 v0, 0x7fc0, v3, vcc_lo
	global_store_b16 v6, v0, s[6:7]
	s_or_b32 exec_lo, exec_lo, s0
	s_and_saveexec_b32 s0, s3
	s_cbranch_execz .LBB160_41
.LBB160_51:
	v_sub_f32_e32 v0, v13, v2
	s_delay_alu instid0(VALU_DEP_1) | instskip(SKIP_1) | instid1(VALU_DEP_2)
	v_bfe_u32 v3, v0, 16, 1
	v_cmp_o_f32_e32 vcc_lo, v0, v0
	v_add3_u32 v3, v0, v3, 0x7fff
	s_delay_alu instid0(VALU_DEP_1) | instskip(NEXT) | instid1(VALU_DEP_1)
	v_lshrrev_b32_e32 v3, 16, v3
	v_cndmask_b32_e32 v0, 0x7fc0, v3, vcc_lo
	global_store_b16 v7, v0, s[6:7]
	s_or_b32 exec_lo, exec_lo, s0
	s_and_saveexec_b32 s0, s4
	s_cbranch_execz .LBB160_42
.LBB160_52:
	v_sub_f32_e32 v0, v12, v2
	s_delay_alu instid0(VALU_DEP_1) | instskip(SKIP_1) | instid1(VALU_DEP_2)
	v_bfe_u32 v2, v0, 16, 1
	v_cmp_o_f32_e32 vcc_lo, v0, v0
	v_add3_u32 v2, v0, v2, 0x7fff
	s_delay_alu instid0(VALU_DEP_1) | instskip(NEXT) | instid1(VALU_DEP_1)
	v_lshrrev_b32_e32 v2, 16, v2
	v_cndmask_b32_e32 v0, 0x7fc0, v2, vcc_lo
	global_store_b16 v1, v0, s[6:7]
	s_nop 0
	s_sendmsg sendmsg(MSG_DEALLOC_VGPRS)
	s_endpgm
	.section	.rodata,"a",@progbits
	.p2align	6, 0x0
	.amdhsa_kernel _ZN2at6native12_GLOBAL__N_122cunn_SoftMaxForwardRegIN3c108BFloat16EfS4_NS1_25LogSoftMaxForwardEpilogueElLi6EEEvPT1_PKT_T3_
		.amdhsa_group_segment_fixed_size 0
		.amdhsa_private_segment_fixed_size 0
		.amdhsa_kernarg_size 280
		.amdhsa_user_sgpr_count 15
		.amdhsa_user_sgpr_dispatch_ptr 0
		.amdhsa_user_sgpr_queue_ptr 0
		.amdhsa_user_sgpr_kernarg_segment_ptr 1
		.amdhsa_user_sgpr_dispatch_id 0
		.amdhsa_user_sgpr_private_segment_size 0
		.amdhsa_wavefront_size32 1
		.amdhsa_uses_dynamic_stack 0
		.amdhsa_enable_private_segment 0
		.amdhsa_system_sgpr_workgroup_id_x 1
		.amdhsa_system_sgpr_workgroup_id_y 0
		.amdhsa_system_sgpr_workgroup_id_z 0
		.amdhsa_system_sgpr_workgroup_info 0
		.amdhsa_system_vgpr_workitem_id 0
		.amdhsa_next_free_vgpr 24
		.amdhsa_next_free_sgpr 20
		.amdhsa_reserve_vcc 1
		.amdhsa_float_round_mode_32 0
		.amdhsa_float_round_mode_16_64 0
		.amdhsa_float_denorm_mode_32 3
		.amdhsa_float_denorm_mode_16_64 3
		.amdhsa_dx10_clamp 1
		.amdhsa_ieee_mode 1
		.amdhsa_fp16_overflow 0
		.amdhsa_workgroup_processor_mode 1
		.amdhsa_memory_ordered 1
		.amdhsa_forward_progress 0
		.amdhsa_shared_vgpr_count 0
		.amdhsa_exception_fp_ieee_invalid_op 0
		.amdhsa_exception_fp_denorm_src 0
		.amdhsa_exception_fp_ieee_div_zero 0
		.amdhsa_exception_fp_ieee_overflow 0
		.amdhsa_exception_fp_ieee_underflow 0
		.amdhsa_exception_fp_ieee_inexact 0
		.amdhsa_exception_int_div_zero 0
	.end_amdhsa_kernel
	.section	.text._ZN2at6native12_GLOBAL__N_122cunn_SoftMaxForwardRegIN3c108BFloat16EfS4_NS1_25LogSoftMaxForwardEpilogueElLi6EEEvPT1_PKT_T3_,"axG",@progbits,_ZN2at6native12_GLOBAL__N_122cunn_SoftMaxForwardRegIN3c108BFloat16EfS4_NS1_25LogSoftMaxForwardEpilogueElLi6EEEvPT1_PKT_T3_,comdat
.Lfunc_end160:
	.size	_ZN2at6native12_GLOBAL__N_122cunn_SoftMaxForwardRegIN3c108BFloat16EfS4_NS1_25LogSoftMaxForwardEpilogueElLi6EEEvPT1_PKT_T3_, .Lfunc_end160-_ZN2at6native12_GLOBAL__N_122cunn_SoftMaxForwardRegIN3c108BFloat16EfS4_NS1_25LogSoftMaxForwardEpilogueElLi6EEEvPT1_PKT_T3_
                                        ; -- End function
	.section	.AMDGPU.csdata,"",@progbits
; Kernel info:
; codeLenInByte = 3076
; NumSgprs: 22
; NumVgprs: 24
; ScratchSize: 0
; MemoryBound: 0
; FloatMode: 240
; IeeeMode: 1
; LDSByteSize: 0 bytes/workgroup (compile time only)
; SGPRBlocks: 2
; VGPRBlocks: 2
; NumSGPRsForWavesPerEU: 22
; NumVGPRsForWavesPerEU: 24
; Occupancy: 16
; WaveLimiterHint : 0
; COMPUTE_PGM_RSRC2:SCRATCH_EN: 0
; COMPUTE_PGM_RSRC2:USER_SGPR: 15
; COMPUTE_PGM_RSRC2:TRAP_HANDLER: 0
; COMPUTE_PGM_RSRC2:TGID_X_EN: 1
; COMPUTE_PGM_RSRC2:TGID_Y_EN: 0
; COMPUTE_PGM_RSRC2:TGID_Z_EN: 0
; COMPUTE_PGM_RSRC2:TIDIG_COMP_CNT: 0
	.section	.text._ZN2at6native12_GLOBAL__N_122cunn_SoftMaxForwardRegIN3c108BFloat16EfS4_NS1_25LogSoftMaxForwardEpilogueElLi7EEEvPT1_PKT_T3_,"axG",@progbits,_ZN2at6native12_GLOBAL__N_122cunn_SoftMaxForwardRegIN3c108BFloat16EfS4_NS1_25LogSoftMaxForwardEpilogueElLi7EEEvPT1_PKT_T3_,comdat
	.globl	_ZN2at6native12_GLOBAL__N_122cunn_SoftMaxForwardRegIN3c108BFloat16EfS4_NS1_25LogSoftMaxForwardEpilogueElLi7EEEvPT1_PKT_T3_ ; -- Begin function _ZN2at6native12_GLOBAL__N_122cunn_SoftMaxForwardRegIN3c108BFloat16EfS4_NS1_25LogSoftMaxForwardEpilogueElLi7EEEvPT1_PKT_T3_
	.p2align	8
	.type	_ZN2at6native12_GLOBAL__N_122cunn_SoftMaxForwardRegIN3c108BFloat16EfS4_NS1_25LogSoftMaxForwardEpilogueElLi7EEEvPT1_PKT_T3_,@function
_ZN2at6native12_GLOBAL__N_122cunn_SoftMaxForwardRegIN3c108BFloat16EfS4_NS1_25LogSoftMaxForwardEpilogueElLi7EEEvPT1_PKT_T3_: ; @_ZN2at6native12_GLOBAL__N_122cunn_SoftMaxForwardRegIN3c108BFloat16EfS4_NS1_25LogSoftMaxForwardEpilogueElLi7EEEvPT1_PKT_T3_
; %bb.0:
	s_clause 0x2
	s_load_b64 s[6:7], s[0:1], 0x10
	s_load_b128 s[16:19], s[0:1], 0x0
	s_load_b32 s0, s[0:1], 0x24
	v_dual_mov_b32 v2, 0 :: v_dual_lshlrev_b32 v3, 1, v0
	v_mov_b32_e32 v10, 0xff7fffff
                                        ; implicit-def: $vgpr19
	s_delay_alu instid0(VALU_DEP_2)
	v_mov_b32_e32 v1, v2
	s_waitcnt lgkmcnt(0)
	s_mul_i32 s1, s15, s7
	s_mul_hi_u32 s3, s15, s6
	s_mul_i32 s2, s15, s6
	s_add_i32 s3, s3, s1
	v_cmp_gt_i64_e32 vcc_lo, s[6:7], v[0:1]
	s_lshl_b64 s[12:13], s[2:3], 1
	s_delay_alu instid0(SALU_CYCLE_1)
	s_add_u32 s8, s18, s12
	s_addc_u32 s9, s19, s13
	s_and_saveexec_b32 s1, vcc_lo
	s_cbranch_execz .LBB161_2
; %bb.1:
	global_load_u16 v19, v3, s[8:9]
	s_waitcnt vmcnt(0)
	v_lshlrev_b32_e32 v1, 16, v19
	s_delay_alu instid0(VALU_DEP_1) | instskip(NEXT) | instid1(VALU_DEP_1)
	v_max_f32_e32 v1, v1, v1
	v_max_f32_e32 v10, 0xff7fffff, v1
.LBB161_2:
	s_or_b32 exec_lo, exec_lo, s1
	s_and_b32 s10, 0xffff, s0
                                        ; implicit-def: $vgpr18
	s_delay_alu instid0(SALU_CYCLE_1) | instskip(NEXT) | instid1(VALU_DEP_1)
	v_add_nc_u32_e32 v1, s10, v0
	v_cmp_gt_i64_e64 s0, s[6:7], v[1:2]
	v_lshlrev_b32_e32 v4, 1, v1
	s_delay_alu instid0(VALU_DEP_2)
	s_and_saveexec_b32 s1, s0
	s_cbranch_execz .LBB161_4
; %bb.3:
	global_load_u16 v18, v4, s[8:9]
	v_max_f32_e32 v5, v10, v10
	s_waitcnt vmcnt(0)
	v_lshlrev_b32_e32 v2, 16, v18
	s_delay_alu instid0(VALU_DEP_1) | instskip(NEXT) | instid1(VALU_DEP_1)
	v_max_f32_e32 v2, v2, v2
	v_max_f32_e32 v10, v5, v2
.LBB161_4:
	s_or_b32 exec_lo, exec_lo, s1
	v_dual_mov_b32 v2, 0 :: v_dual_add_nc_u32 v1, s10, v1
                                        ; implicit-def: $vgpr17
	s_delay_alu instid0(VALU_DEP_1) | instskip(NEXT) | instid1(VALU_DEP_2)
	v_lshlrev_b32_e32 v5, 1, v1
	v_cmp_gt_i64_e64 s1, s[6:7], v[1:2]
	s_delay_alu instid0(VALU_DEP_1)
	s_and_saveexec_b32 s2, s1
	s_cbranch_execz .LBB161_6
; %bb.5:
	global_load_u16 v17, v5, s[8:9]
	s_waitcnt vmcnt(0)
	v_dual_max_f32 v7, v10, v10 :: v_dual_lshlrev_b32 v6, 16, v17
	s_delay_alu instid0(VALU_DEP_1) | instskip(NEXT) | instid1(VALU_DEP_1)
	v_max_f32_e32 v6, v6, v6
	v_max_f32_e32 v10, v7, v6
.LBB161_6:
	s_or_b32 exec_lo, exec_lo, s2
	v_add_nc_u32_e32 v1, s10, v1
                                        ; implicit-def: $vgpr16
	s_delay_alu instid0(VALU_DEP_1) | instskip(SKIP_1) | instid1(VALU_DEP_2)
	v_cmp_gt_i64_e64 s2, s[6:7], v[1:2]
	v_lshlrev_b32_e32 v6, 1, v1
	s_and_saveexec_b32 s3, s2
	s_cbranch_execz .LBB161_8
; %bb.7:
	global_load_u16 v16, v6, s[8:9]
	s_waitcnt vmcnt(0)
	v_dual_max_f32 v7, v10, v10 :: v_dual_lshlrev_b32 v2, 16, v16
	s_delay_alu instid0(VALU_DEP_1) | instskip(NEXT) | instid1(VALU_DEP_1)
	v_max_f32_e32 v2, v2, v2
	v_max_f32_e32 v10, v7, v2
.LBB161_8:
	s_or_b32 exec_lo, exec_lo, s3
	v_dual_mov_b32 v2, 0 :: v_dual_add_nc_u32 v1, s10, v1
                                        ; implicit-def: $vgpr15
	s_delay_alu instid0(VALU_DEP_1) | instskip(NEXT) | instid1(VALU_DEP_2)
	v_lshlrev_b32_e32 v7, 1, v1
	v_cmp_gt_i64_e64 s3, s[6:7], v[1:2]
	s_delay_alu instid0(VALU_DEP_1)
	s_and_saveexec_b32 s4, s3
	s_cbranch_execz .LBB161_10
; %bb.9:
	global_load_u16 v15, v7, s[8:9]
	s_waitcnt vmcnt(0)
	v_dual_max_f32 v9, v10, v10 :: v_dual_lshlrev_b32 v8, 16, v15
	s_delay_alu instid0(VALU_DEP_1) | instskip(NEXT) | instid1(VALU_DEP_1)
	v_max_f32_e32 v8, v8, v8
	v_max_f32_e32 v10, v9, v8
.LBB161_10:
	s_or_b32 exec_lo, exec_lo, s4
	v_add_nc_u32_e32 v1, s10, v1
                                        ; implicit-def: $vgpr14
	s_delay_alu instid0(VALU_DEP_1) | instskip(SKIP_1) | instid1(VALU_DEP_2)
	v_cmp_gt_i64_e64 s4, s[6:7], v[1:2]
	v_lshlrev_b32_e32 v2, 1, v1
	s_and_saveexec_b32 s5, s4
	s_cbranch_execz .LBB161_12
; %bb.11:
	global_load_u16 v14, v2, s[8:9]
	v_max_f32_e32 v9, v10, v10
	s_waitcnt vmcnt(0)
	v_lshlrev_b32_e32 v8, 16, v14
	s_delay_alu instid0(VALU_DEP_1) | instskip(NEXT) | instid1(VALU_DEP_1)
	v_max_f32_e32 v8, v8, v8
	v_max_f32_e32 v10, v9, v8
.LBB161_12:
	s_or_b32 exec_lo, exec_lo, s5
	v_dual_mov_b32 v9, 0 :: v_dual_add_nc_u32 v8, s10, v1
                                        ; implicit-def: $vgpr13
	s_delay_alu instid0(VALU_DEP_1) | instskip(NEXT) | instid1(VALU_DEP_2)
	v_lshlrev_b32_e32 v1, 1, v8
	v_cmp_gt_i64_e64 s5, s[6:7], v[8:9]
	s_delay_alu instid0(VALU_DEP_1)
	s_and_saveexec_b32 s6, s5
	s_cbranch_execz .LBB161_14
; %bb.13:
	global_load_u16 v13, v1, s[8:9]
	s_waitcnt vmcnt(0)
	v_dual_max_f32 v9, v10, v10 :: v_dual_lshlrev_b32 v8, 16, v13
	s_delay_alu instid0(VALU_DEP_1) | instskip(NEXT) | instid1(VALU_DEP_1)
	v_max_f32_e32 v8, v8, v8
	v_max_f32_e32 v10, v9, v8
.LBB161_14:
	s_or_b32 exec_lo, exec_lo, s6
	v_mbcnt_lo_u32_b32 v12, -1, 0
	s_barrier
	buffer_gl0_inv
	v_cmp_gt_u32_e64 s6, 16, v12
	s_delay_alu instid0(VALU_DEP_1) | instskip(SKIP_1) | instid1(VALU_DEP_2)
	v_cndmask_b32_e64 v8, 0, 1, s6
	v_cmp_gt_u32_e64 s6, 24, v12
	v_lshlrev_b32_e32 v8, 4, v8
	s_delay_alu instid0(VALU_DEP_2) | instskip(NEXT) | instid1(VALU_DEP_2)
	v_cndmask_b32_e64 v9, 0, 1, s6
	v_add_lshl_u32 v8, v8, v12, 2
	s_delay_alu instid0(VALU_DEP_2) | instskip(SKIP_4) | instid1(VALU_DEP_1)
	v_lshlrev_b32_e32 v9, 3, v9
	ds_bpermute_b32 v11, v8, v10
	v_add_lshl_u32 v9, v9, v12, 2
	s_waitcnt lgkmcnt(0)
	v_cmp_lt_f32_e64 s6, v10, v11
	v_cndmask_b32_e64 v11, v10, v11, s6
	v_cmp_gt_u32_e64 s6, 28, v12
	ds_bpermute_b32 v20, v9, v11
	v_cndmask_b32_e64 v10, 0, 1, s6
	s_delay_alu instid0(VALU_DEP_1) | instskip(NEXT) | instid1(VALU_DEP_1)
	v_lshlrev_b32_e32 v10, 2, v10
	v_add_lshl_u32 v10, v10, v12, 2
	s_waitcnt lgkmcnt(0)
	v_cmp_lt_f32_e64 s6, v11, v20
	s_delay_alu instid0(VALU_DEP_1) | instskip(SKIP_3) | instid1(VALU_DEP_1)
	v_cndmask_b32_e64 v20, v11, v20, s6
	v_cmp_gt_u32_e64 s6, 30, v12
	ds_bpermute_b32 v21, v10, v20
	v_cndmask_b32_e64 v11, 0, 1, s6
	v_lshlrev_b32_e32 v11, 1, v11
	s_delay_alu instid0(VALU_DEP_1) | instskip(SKIP_2) | instid1(VALU_DEP_1)
	v_add_lshl_u32 v11, v11, v12, 2
	s_waitcnt lgkmcnt(0)
	v_cmp_lt_f32_e64 s6, v20, v21
	v_cndmask_b32_e64 v20, v20, v21, s6
	v_cmp_ne_u32_e64 s6, 31, v12
	ds_bpermute_b32 v21, v11, v20
	v_add_co_ci_u32_e64 v12, s6, 0, v12, s6
	s_delay_alu instid0(VALU_DEP_1) | instskip(SKIP_2) | instid1(VALU_DEP_1)
	v_lshlrev_b32_e32 v12, 2, v12
	s_waitcnt lgkmcnt(0)
	v_cmp_lt_f32_e64 s6, v20, v21
	v_cndmask_b32_e64 v22, v20, v21, s6
	v_and_b32_e32 v21, 31, v0
	v_lshrrev_b32_e32 v20, 3, v0
	ds_bpermute_b32 v23, v12, v22
	v_cmp_eq_u32_e64 s6, 0, v21
	s_delay_alu instid0(VALU_DEP_1) | instskip(NEXT) | instid1(SALU_CYCLE_1)
	s_and_saveexec_b32 s7, s6
	s_xor_b32 s8, exec_lo, s7
	s_cbranch_execz .LBB161_16
; %bb.15:
	s_waitcnt lgkmcnt(0)
	v_cmp_lt_f32_e64 s7, v22, v23
	v_add_nc_u32_e32 v24, 0, v20
	s_delay_alu instid0(VALU_DEP_2)
	v_cndmask_b32_e64 v22, v22, v23, s7
	ds_store_b32 v24, v22
.LBB161_16:
	s_or_b32 exec_lo, exec_lo, s8
	s_lshr_b32 s7, s10, 5
	v_mov_b32_e32 v22, 0xff7fffff
	v_cmp_gt_u32_e64 s7, s7, v0
	v_lshl_add_u32 v21, v21, 2, 0
	s_waitcnt lgkmcnt(0)
	s_barrier
	buffer_gl0_inv
	s_and_saveexec_b32 s8, s7
	s_cbranch_execnz .LBB161_48
; %bb.17:
	s_or_b32 exec_lo, exec_lo, s8
	v_cmp_gt_u32_e64 s8, 32, v0
	s_delay_alu instid0(VALU_DEP_1)
	s_and_saveexec_b32 s10, s8
	s_cbranch_execnz .LBB161_49
.LBB161_18:
	s_or_b32 exec_lo, exec_lo, s10
	v_cmp_eq_u32_e64 s9, 0, v0
	s_delay_alu instid0(VALU_DEP_1)
	s_and_saveexec_b32 s10, s9
	s_cbranch_execz .LBB161_20
.LBB161_19:
	v_mov_b32_e32 v0, 0
	s_waitcnt lgkmcnt(0)
	ds_store_b32 v0, v22
.LBB161_20:
	s_or_b32 exec_lo, exec_lo, s10
	s_waitcnt lgkmcnt(0)
	v_mov_b32_e32 v22, 0
	s_barrier
	buffer_gl0_inv
	v_lshlrev_b32_e32 v0, 16, v19
	ds_load_b32 v23, v22
	s_waitcnt lgkmcnt(0)
	v_sub_f32_e32 v0, v0, v23
	s_and_saveexec_b32 s11, vcc_lo
	s_cbranch_execz .LBB161_22
; %bb.21:
	s_delay_alu instid0(VALU_DEP_1) | instskip(SKIP_1) | instid1(VALU_DEP_2)
	v_mul_f32_e32 v19, 0x3fb8aa3b, v0
	v_cmp_ngt_f32_e64 s10, 0xc2ce8ed0, v0
	v_fma_f32 v22, 0x3fb8aa3b, v0, -v19
	v_rndne_f32_e32 v24, v19
	s_delay_alu instid0(VALU_DEP_1) | instskip(NEXT) | instid1(VALU_DEP_1)
	v_dual_fmamk_f32 v22, v0, 0x32a5705f, v22 :: v_dual_sub_f32 v19, v19, v24
	v_add_f32_e32 v19, v19, v22
	v_cvt_i32_f32_e32 v22, v24
	s_delay_alu instid0(VALU_DEP_2) | instskip(SKIP_2) | instid1(VALU_DEP_1)
	v_exp_f32_e32 v19, v19
	s_waitcnt_depctr 0xfff
	v_ldexp_f32 v19, v19, v22
	v_cndmask_b32_e64 v19, 0, v19, s10
	v_cmp_nlt_f32_e64 s10, 0x42b17218, v0
	s_delay_alu instid0(VALU_DEP_1)
	v_cndmask_b32_e64 v22, 0x7f800000, v19, s10
.LBB161_22:
	s_or_b32 exec_lo, exec_lo, s11
	v_lshlrev_b32_e32 v18, 16, v18
	s_delay_alu instid0(VALU_DEP_1)
	v_sub_f32_e32 v18, v18, v23
	s_and_saveexec_b32 s11, s0
	s_cbranch_execz .LBB161_24
; %bb.23:
	s_delay_alu instid0(VALU_DEP_1) | instskip(SKIP_1) | instid1(VALU_DEP_2)
	v_mul_f32_e32 v19, 0x3fb8aa3b, v18
	v_cmp_ngt_f32_e64 s10, 0xc2ce8ed0, v18
	v_fma_f32 v24, 0x3fb8aa3b, v18, -v19
	v_rndne_f32_e32 v25, v19
	s_delay_alu instid0(VALU_DEP_1) | instskip(NEXT) | instid1(VALU_DEP_1)
	v_dual_fmamk_f32 v24, v18, 0x32a5705f, v24 :: v_dual_sub_f32 v19, v19, v25
	v_add_f32_e32 v19, v19, v24
	v_cvt_i32_f32_e32 v24, v25
	s_delay_alu instid0(VALU_DEP_2) | instskip(SKIP_2) | instid1(VALU_DEP_1)
	v_exp_f32_e32 v19, v19
	s_waitcnt_depctr 0xfff
	v_ldexp_f32 v19, v19, v24
	v_cndmask_b32_e64 v19, 0, v19, s10
	v_cmp_nlt_f32_e64 s10, 0x42b17218, v18
	s_delay_alu instid0(VALU_DEP_1) | instskip(NEXT) | instid1(VALU_DEP_1)
	v_cndmask_b32_e64 v19, 0x7f800000, v19, s10
	v_add_f32_e32 v22, v22, v19
.LBB161_24:
	s_or_b32 exec_lo, exec_lo, s11
	v_lshlrev_b32_e32 v17, 16, v17
	s_delay_alu instid0(VALU_DEP_1)
	v_sub_f32_e32 v17, v17, v23
	s_and_saveexec_b32 s11, s1
	s_cbranch_execz .LBB161_26
; %bb.25:
	s_delay_alu instid0(VALU_DEP_1) | instskip(SKIP_1) | instid1(VALU_DEP_2)
	v_mul_f32_e32 v19, 0x3fb8aa3b, v17
	v_cmp_ngt_f32_e64 s10, 0xc2ce8ed0, v17
	v_fma_f32 v24, 0x3fb8aa3b, v17, -v19
	v_rndne_f32_e32 v25, v19
	s_delay_alu instid0(VALU_DEP_1) | instskip(NEXT) | instid1(VALU_DEP_1)
	v_dual_fmamk_f32 v24, v17, 0x32a5705f, v24 :: v_dual_sub_f32 v19, v19, v25
	v_add_f32_e32 v19, v19, v24
	v_cvt_i32_f32_e32 v24, v25
	s_delay_alu instid0(VALU_DEP_2) | instskip(SKIP_2) | instid1(VALU_DEP_1)
	v_exp_f32_e32 v19, v19
	s_waitcnt_depctr 0xfff
	v_ldexp_f32 v19, v19, v24
	v_cndmask_b32_e64 v19, 0, v19, s10
	v_cmp_nlt_f32_e64 s10, 0x42b17218, v17
	s_delay_alu instid0(VALU_DEP_1) | instskip(NEXT) | instid1(VALU_DEP_1)
	v_cndmask_b32_e64 v19, 0x7f800000, v19, s10
	v_add_f32_e32 v22, v22, v19
.LBB161_26:
	;; [unrolled: 26-line block ×3, first 2 shown]
	s_or_b32 exec_lo, exec_lo, s11
	v_lshlrev_b32_e32 v15, 16, v15
	s_delay_alu instid0(VALU_DEP_1)
	v_sub_f32_e32 v15, v15, v23
	s_and_saveexec_b32 s11, s3
	s_cbranch_execz .LBB161_30
; %bb.29:
	s_delay_alu instid0(VALU_DEP_1) | instskip(SKIP_1) | instid1(VALU_DEP_2)
	v_mul_f32_e32 v19, 0x3fb8aa3b, v15
	v_cmp_ngt_f32_e64 s10, 0xc2ce8ed0, v15
	v_fma_f32 v24, 0x3fb8aa3b, v15, -v19
	v_rndne_f32_e32 v25, v19
	s_delay_alu instid0(VALU_DEP_2) | instskip(NEXT) | instid1(VALU_DEP_2)
	v_fmamk_f32 v24, v15, 0x32a5705f, v24
	v_sub_f32_e32 v19, v19, v25
	s_delay_alu instid0(VALU_DEP_1) | instskip(SKIP_1) | instid1(VALU_DEP_2)
	v_add_f32_e32 v19, v19, v24
	v_cvt_i32_f32_e32 v24, v25
	v_exp_f32_e32 v19, v19
	s_waitcnt_depctr 0xfff
	v_ldexp_f32 v19, v19, v24
	s_delay_alu instid0(VALU_DEP_1) | instskip(SKIP_1) | instid1(VALU_DEP_1)
	v_cndmask_b32_e64 v19, 0, v19, s10
	v_cmp_nlt_f32_e64 s10, 0x42b17218, v15
	v_cndmask_b32_e64 v19, 0x7f800000, v19, s10
	s_delay_alu instid0(VALU_DEP_1)
	v_add_f32_e32 v22, v22, v19
.LBB161_30:
	s_or_b32 exec_lo, exec_lo, s11
	v_lshlrev_b32_e32 v14, 16, v14
	s_delay_alu instid0(VALU_DEP_1)
	v_sub_f32_e32 v14, v14, v23
	s_and_saveexec_b32 s11, s4
	s_cbranch_execz .LBB161_32
; %bb.31:
	s_delay_alu instid0(VALU_DEP_1) | instskip(SKIP_1) | instid1(VALU_DEP_2)
	v_mul_f32_e32 v19, 0x3fb8aa3b, v14
	v_cmp_ngt_f32_e64 s10, 0xc2ce8ed0, v14
	v_fma_f32 v24, 0x3fb8aa3b, v14, -v19
	v_rndne_f32_e32 v25, v19
	s_delay_alu instid0(VALU_DEP_1) | instskip(NEXT) | instid1(VALU_DEP_1)
	v_dual_fmamk_f32 v24, v14, 0x32a5705f, v24 :: v_dual_sub_f32 v19, v19, v25
	v_add_f32_e32 v19, v19, v24
	v_cvt_i32_f32_e32 v24, v25
	s_delay_alu instid0(VALU_DEP_2) | instskip(SKIP_2) | instid1(VALU_DEP_1)
	v_exp_f32_e32 v19, v19
	s_waitcnt_depctr 0xfff
	v_ldexp_f32 v19, v19, v24
	v_cndmask_b32_e64 v19, 0, v19, s10
	v_cmp_nlt_f32_e64 s10, 0x42b17218, v14
	s_delay_alu instid0(VALU_DEP_1) | instskip(NEXT) | instid1(VALU_DEP_1)
	v_cndmask_b32_e64 v19, 0x7f800000, v19, s10
	v_add_f32_e32 v22, v22, v19
.LBB161_32:
	s_or_b32 exec_lo, exec_lo, s11
	v_lshlrev_b32_e32 v13, 16, v13
	s_delay_alu instid0(VALU_DEP_1)
	v_sub_f32_e32 v13, v13, v23
	s_and_saveexec_b32 s11, s5
	s_cbranch_execz .LBB161_34
; %bb.33:
	s_delay_alu instid0(VALU_DEP_1) | instskip(SKIP_1) | instid1(VALU_DEP_2)
	v_mul_f32_e32 v19, 0x3fb8aa3b, v13
	v_cmp_ngt_f32_e64 s10, 0xc2ce8ed0, v13
	v_fma_f32 v23, 0x3fb8aa3b, v13, -v19
	v_rndne_f32_e32 v24, v19
	s_delay_alu instid0(VALU_DEP_2) | instskip(NEXT) | instid1(VALU_DEP_2)
	v_fmamk_f32 v23, v13, 0x32a5705f, v23
	v_sub_f32_e32 v19, v19, v24
	s_delay_alu instid0(VALU_DEP_1) | instskip(SKIP_1) | instid1(VALU_DEP_2)
	v_add_f32_e32 v19, v19, v23
	v_cvt_i32_f32_e32 v23, v24
	v_exp_f32_e32 v19, v19
	s_waitcnt_depctr 0xfff
	v_ldexp_f32 v19, v19, v23
	s_delay_alu instid0(VALU_DEP_1) | instskip(SKIP_1) | instid1(VALU_DEP_1)
	v_cndmask_b32_e64 v19, 0, v19, s10
	v_cmp_nlt_f32_e64 s10, 0x42b17218, v13
	v_cndmask_b32_e64 v19, 0x7f800000, v19, s10
	s_delay_alu instid0(VALU_DEP_1)
	v_add_f32_e32 v22, v22, v19
.LBB161_34:
	s_or_b32 exec_lo, exec_lo, s11
	ds_bpermute_b32 v19, v8, v22
	s_waitcnt lgkmcnt(0)
	s_barrier
	buffer_gl0_inv
	v_add_f32_e32 v19, v22, v19
	ds_bpermute_b32 v22, v9, v19
	s_waitcnt lgkmcnt(0)
	v_add_f32_e32 v19, v19, v22
	ds_bpermute_b32 v22, v10, v19
	s_waitcnt lgkmcnt(0)
	;; [unrolled: 3-line block ×3, first 2 shown]
	v_add_f32_e32 v19, v19, v22
	ds_bpermute_b32 v22, v12, v19
	s_and_saveexec_b32 s10, s6
	s_delay_alu instid0(SALU_CYCLE_1)
	s_xor_b32 s6, exec_lo, s10
	s_cbranch_execz .LBB161_36
; %bb.35:
	s_waitcnt lgkmcnt(0)
	v_dual_add_f32 v19, v19, v22 :: v_dual_add_nc_u32 v20, 0, v20
	ds_store_b32 v20, v19
.LBB161_36:
	s_or_b32 exec_lo, exec_lo, s6
	v_mov_b32_e32 v19, 0
	s_waitcnt lgkmcnt(0)
	s_barrier
	buffer_gl0_inv
	s_and_saveexec_b32 s6, s7
	s_cbranch_execnz .LBB161_50
; %bb.37:
	s_or_b32 exec_lo, exec_lo, s6
	s_and_saveexec_b32 s6, s8
	s_cbranch_execnz .LBB161_51
.LBB161_38:
	s_or_b32 exec_lo, exec_lo, s6
	s_and_saveexec_b32 s6, s9
	s_cbranch_execz .LBB161_40
.LBB161_39:
	v_mov_b32_e32 v8, 0
	s_waitcnt lgkmcnt(0)
	ds_store_b32 v8, v19
.LBB161_40:
	s_or_b32 exec_lo, exec_lo, s6
	v_mov_b32_e32 v8, 0
	s_waitcnt lgkmcnt(0)
	s_barrier
	buffer_gl0_inv
	ds_load_b32 v8, v8
	s_waitcnt lgkmcnt(0)
	v_cmp_gt_f32_e64 s6, 0x800000, v8
	s_delay_alu instid0(VALU_DEP_1) | instskip(NEXT) | instid1(VALU_DEP_1)
	v_cndmask_b32_e64 v9, 1.0, 0x4f800000, s6
	v_mul_f32_e32 v8, v8, v9
	s_delay_alu instid0(VALU_DEP_1) | instskip(SKIP_3) | instid1(VALU_DEP_2)
	v_log_f32_e32 v8, v8
	s_waitcnt_depctr 0xfff
	v_mul_f32_e32 v9, 0x3f317217, v8
	v_cmp_gt_f32_e64 s7, 0x7f800000, |v8|
	v_fma_f32 v10, 0x3f317217, v8, -v9
	s_delay_alu instid0(VALU_DEP_1) | instskip(NEXT) | instid1(VALU_DEP_1)
	v_fmamk_f32 v10, v8, 0x3377d1cf, v10
	v_add_f32_e32 v9, v9, v10
	s_delay_alu instid0(VALU_DEP_1) | instskip(SKIP_3) | instid1(VALU_DEP_1)
	v_cndmask_b32_e64 v8, v8, v9, s7
	v_cndmask_b32_e64 v9, 0, 0x41b17218, s6
	s_add_u32 s6, s16, s12
	s_addc_u32 s7, s17, s13
	v_sub_f32_e32 v8, v8, v9
	s_and_saveexec_b32 s8, vcc_lo
	s_cbranch_execnz .LBB161_52
; %bb.41:
	s_or_b32 exec_lo, exec_lo, s8
	s_and_saveexec_b32 s8, s0
	s_cbranch_execnz .LBB161_53
.LBB161_42:
	s_or_b32 exec_lo, exec_lo, s8
	s_and_saveexec_b32 s0, s1
	s_cbranch_execnz .LBB161_54
.LBB161_43:
	s_or_b32 exec_lo, exec_lo, s0
	s_and_saveexec_b32 s0, s2
	s_cbranch_execnz .LBB161_55
.LBB161_44:
	s_or_b32 exec_lo, exec_lo, s0
	s_and_saveexec_b32 s0, s3
	s_cbranch_execnz .LBB161_56
.LBB161_45:
	s_or_b32 exec_lo, exec_lo, s0
	s_and_saveexec_b32 s0, s4
	s_cbranch_execnz .LBB161_57
.LBB161_46:
	s_or_b32 exec_lo, exec_lo, s0
	s_and_saveexec_b32 s0, s5
	s_cbranch_execnz .LBB161_58
.LBB161_47:
	s_nop 0
	s_sendmsg sendmsg(MSG_DEALLOC_VGPRS)
	s_endpgm
.LBB161_48:
	ds_load_b32 v22, v21
	s_or_b32 exec_lo, exec_lo, s8
	v_cmp_gt_u32_e64 s8, 32, v0
	s_delay_alu instid0(VALU_DEP_1)
	s_and_saveexec_b32 s10, s8
	s_cbranch_execz .LBB161_18
.LBB161_49:
	s_waitcnt lgkmcnt(0)
	ds_bpermute_b32 v23, v8, v22
	s_waitcnt lgkmcnt(0)
	v_cmp_lt_f32_e64 s9, v22, v23
	s_delay_alu instid0(VALU_DEP_1) | instskip(SKIP_3) | instid1(VALU_DEP_1)
	v_cndmask_b32_e64 v22, v22, v23, s9
	ds_bpermute_b32 v23, v9, v22
	s_waitcnt lgkmcnt(0)
	v_cmp_lt_f32_e64 s9, v22, v23
	v_cndmask_b32_e64 v22, v22, v23, s9
	ds_bpermute_b32 v23, v10, v22
	s_waitcnt lgkmcnt(0)
	v_cmp_lt_f32_e64 s9, v22, v23
	s_delay_alu instid0(VALU_DEP_1) | instskip(SKIP_3) | instid1(VALU_DEP_1)
	v_cndmask_b32_e64 v22, v22, v23, s9
	ds_bpermute_b32 v23, v11, v22
	s_waitcnt lgkmcnt(0)
	v_cmp_lt_f32_e64 s9, v22, v23
	v_cndmask_b32_e64 v22, v22, v23, s9
	ds_bpermute_b32 v23, v12, v22
	s_waitcnt lgkmcnt(0)
	v_cmp_lt_f32_e64 s9, v22, v23
	s_delay_alu instid0(VALU_DEP_1) | instskip(SKIP_2) | instid1(VALU_DEP_1)
	v_cndmask_b32_e64 v22, v22, v23, s9
	s_or_b32 exec_lo, exec_lo, s10
	v_cmp_eq_u32_e64 s9, 0, v0
	s_and_saveexec_b32 s10, s9
	s_cbranch_execnz .LBB161_19
	s_branch .LBB161_20
.LBB161_50:
	ds_load_b32 v19, v21
	s_or_b32 exec_lo, exec_lo, s6
	s_and_saveexec_b32 s6, s8
	s_cbranch_execz .LBB161_38
.LBB161_51:
	s_waitcnt lgkmcnt(0)
	ds_bpermute_b32 v8, v8, v19
	s_waitcnt lgkmcnt(0)
	v_add_f32_e32 v8, v19, v8
	ds_bpermute_b32 v9, v9, v8
	s_waitcnt lgkmcnt(0)
	v_add_f32_e32 v8, v8, v9
	;; [unrolled: 3-line block ×5, first 2 shown]
	s_or_b32 exec_lo, exec_lo, s6
	s_and_saveexec_b32 s6, s9
	s_cbranch_execnz .LBB161_39
	s_branch .LBB161_40
.LBB161_52:
	s_delay_alu instid0(VALU_DEP_1) | instskip(NEXT) | instid1(VALU_DEP_1)
	v_sub_f32_e32 v0, v0, v8
	v_bfe_u32 v9, v0, 16, 1
	v_cmp_o_f32_e32 vcc_lo, v0, v0
	s_delay_alu instid0(VALU_DEP_2) | instskip(NEXT) | instid1(VALU_DEP_1)
	v_add3_u32 v9, v0, v9, 0x7fff
	v_lshrrev_b32_e32 v9, 16, v9
	s_delay_alu instid0(VALU_DEP_1)
	v_cndmask_b32_e32 v0, 0x7fc0, v9, vcc_lo
	global_store_b16 v3, v0, s[6:7]
	s_or_b32 exec_lo, exec_lo, s8
	s_and_saveexec_b32 s8, s0
	s_cbranch_execz .LBB161_42
.LBB161_53:
	v_sub_f32_e32 v0, v18, v8
	s_delay_alu instid0(VALU_DEP_1) | instskip(SKIP_1) | instid1(VALU_DEP_2)
	v_bfe_u32 v3, v0, 16, 1
	v_cmp_o_f32_e32 vcc_lo, v0, v0
	v_add3_u32 v3, v0, v3, 0x7fff
	s_delay_alu instid0(VALU_DEP_1) | instskip(NEXT) | instid1(VALU_DEP_1)
	v_lshrrev_b32_e32 v3, 16, v3
	v_cndmask_b32_e32 v0, 0x7fc0, v3, vcc_lo
	global_store_b16 v4, v0, s[6:7]
	s_or_b32 exec_lo, exec_lo, s8
	s_and_saveexec_b32 s0, s1
	s_cbranch_execz .LBB161_43
.LBB161_54:
	v_sub_f32_e32 v0, v17, v8
	s_delay_alu instid0(VALU_DEP_1) | instskip(SKIP_1) | instid1(VALU_DEP_2)
	v_bfe_u32 v3, v0, 16, 1
	v_cmp_o_f32_e32 vcc_lo, v0, v0
	v_add3_u32 v3, v0, v3, 0x7fff
	s_delay_alu instid0(VALU_DEP_1) | instskip(NEXT) | instid1(VALU_DEP_1)
	v_lshrrev_b32_e32 v3, 16, v3
	v_cndmask_b32_e32 v0, 0x7fc0, v3, vcc_lo
	global_store_b16 v5, v0, s[6:7]
	s_or_b32 exec_lo, exec_lo, s0
	s_and_saveexec_b32 s0, s2
	s_cbranch_execz .LBB161_44
.LBB161_55:
	v_sub_f32_e32 v0, v16, v8
	s_delay_alu instid0(VALU_DEP_1) | instskip(SKIP_1) | instid1(VALU_DEP_2)
	v_bfe_u32 v3, v0, 16, 1
	v_cmp_o_f32_e32 vcc_lo, v0, v0
	v_add3_u32 v3, v0, v3, 0x7fff
	s_delay_alu instid0(VALU_DEP_1) | instskip(NEXT) | instid1(VALU_DEP_1)
	v_lshrrev_b32_e32 v3, 16, v3
	v_cndmask_b32_e32 v0, 0x7fc0, v3, vcc_lo
	global_store_b16 v6, v0, s[6:7]
	s_or_b32 exec_lo, exec_lo, s0
	s_and_saveexec_b32 s0, s3
	s_cbranch_execz .LBB161_45
.LBB161_56:
	v_sub_f32_e32 v0, v15, v8
	s_delay_alu instid0(VALU_DEP_1) | instskip(SKIP_1) | instid1(VALU_DEP_2)
	v_bfe_u32 v3, v0, 16, 1
	v_cmp_o_f32_e32 vcc_lo, v0, v0
	v_add3_u32 v3, v0, v3, 0x7fff
	s_delay_alu instid0(VALU_DEP_1) | instskip(NEXT) | instid1(VALU_DEP_1)
	v_lshrrev_b32_e32 v3, 16, v3
	v_cndmask_b32_e32 v0, 0x7fc0, v3, vcc_lo
	global_store_b16 v7, v0, s[6:7]
	s_or_b32 exec_lo, exec_lo, s0
	s_and_saveexec_b32 s0, s4
	s_cbranch_execz .LBB161_46
.LBB161_57:
	v_sub_f32_e32 v0, v14, v8
	s_delay_alu instid0(VALU_DEP_1) | instskip(SKIP_1) | instid1(VALU_DEP_2)
	v_bfe_u32 v3, v0, 16, 1
	v_cmp_o_f32_e32 vcc_lo, v0, v0
	v_add3_u32 v3, v0, v3, 0x7fff
	s_delay_alu instid0(VALU_DEP_1) | instskip(NEXT) | instid1(VALU_DEP_1)
	v_lshrrev_b32_e32 v3, 16, v3
	v_cndmask_b32_e32 v0, 0x7fc0, v3, vcc_lo
	global_store_b16 v2, v0, s[6:7]
	s_or_b32 exec_lo, exec_lo, s0
	s_and_saveexec_b32 s0, s5
	s_cbranch_execz .LBB161_47
.LBB161_58:
	v_sub_f32_e32 v0, v13, v8
	s_delay_alu instid0(VALU_DEP_1) | instskip(SKIP_1) | instid1(VALU_DEP_2)
	v_bfe_u32 v2, v0, 16, 1
	v_cmp_o_f32_e32 vcc_lo, v0, v0
	v_add3_u32 v2, v0, v2, 0x7fff
	s_delay_alu instid0(VALU_DEP_1) | instskip(NEXT) | instid1(VALU_DEP_1)
	v_lshrrev_b32_e32 v2, 16, v2
	v_cndmask_b32_e32 v0, 0x7fc0, v2, vcc_lo
	global_store_b16 v1, v0, s[6:7]
	s_nop 0
	s_sendmsg sendmsg(MSG_DEALLOC_VGPRS)
	s_endpgm
	.section	.rodata,"a",@progbits
	.p2align	6, 0x0
	.amdhsa_kernel _ZN2at6native12_GLOBAL__N_122cunn_SoftMaxForwardRegIN3c108BFloat16EfS4_NS1_25LogSoftMaxForwardEpilogueElLi7EEEvPT1_PKT_T3_
		.amdhsa_group_segment_fixed_size 0
		.amdhsa_private_segment_fixed_size 0
		.amdhsa_kernarg_size 280
		.amdhsa_user_sgpr_count 15
		.amdhsa_user_sgpr_dispatch_ptr 0
		.amdhsa_user_sgpr_queue_ptr 0
		.amdhsa_user_sgpr_kernarg_segment_ptr 1
		.amdhsa_user_sgpr_dispatch_id 0
		.amdhsa_user_sgpr_private_segment_size 0
		.amdhsa_wavefront_size32 1
		.amdhsa_uses_dynamic_stack 0
		.amdhsa_enable_private_segment 0
		.amdhsa_system_sgpr_workgroup_id_x 1
		.amdhsa_system_sgpr_workgroup_id_y 0
		.amdhsa_system_sgpr_workgroup_id_z 0
		.amdhsa_system_sgpr_workgroup_info 0
		.amdhsa_system_vgpr_workitem_id 0
		.amdhsa_next_free_vgpr 26
		.amdhsa_next_free_sgpr 20
		.amdhsa_reserve_vcc 1
		.amdhsa_float_round_mode_32 0
		.amdhsa_float_round_mode_16_64 0
		.amdhsa_float_denorm_mode_32 3
		.amdhsa_float_denorm_mode_16_64 3
		.amdhsa_dx10_clamp 1
		.amdhsa_ieee_mode 1
		.amdhsa_fp16_overflow 0
		.amdhsa_workgroup_processor_mode 1
		.amdhsa_memory_ordered 1
		.amdhsa_forward_progress 0
		.amdhsa_shared_vgpr_count 0
		.amdhsa_exception_fp_ieee_invalid_op 0
		.amdhsa_exception_fp_denorm_src 0
		.amdhsa_exception_fp_ieee_div_zero 0
		.amdhsa_exception_fp_ieee_overflow 0
		.amdhsa_exception_fp_ieee_underflow 0
		.amdhsa_exception_fp_ieee_inexact 0
		.amdhsa_exception_int_div_zero 0
	.end_amdhsa_kernel
	.section	.text._ZN2at6native12_GLOBAL__N_122cunn_SoftMaxForwardRegIN3c108BFloat16EfS4_NS1_25LogSoftMaxForwardEpilogueElLi7EEEvPT1_PKT_T3_,"axG",@progbits,_ZN2at6native12_GLOBAL__N_122cunn_SoftMaxForwardRegIN3c108BFloat16EfS4_NS1_25LogSoftMaxForwardEpilogueElLi7EEEvPT1_PKT_T3_,comdat
.Lfunc_end161:
	.size	_ZN2at6native12_GLOBAL__N_122cunn_SoftMaxForwardRegIN3c108BFloat16EfS4_NS1_25LogSoftMaxForwardEpilogueElLi7EEEvPT1_PKT_T3_, .Lfunc_end161-_ZN2at6native12_GLOBAL__N_122cunn_SoftMaxForwardRegIN3c108BFloat16EfS4_NS1_25LogSoftMaxForwardEpilogueElLi7EEEvPT1_PKT_T3_
                                        ; -- End function
	.section	.AMDGPU.csdata,"",@progbits
; Kernel info:
; codeLenInByte = 3376
; NumSgprs: 22
; NumVgprs: 26
; ScratchSize: 0
; MemoryBound: 0
; FloatMode: 240
; IeeeMode: 1
; LDSByteSize: 0 bytes/workgroup (compile time only)
; SGPRBlocks: 2
; VGPRBlocks: 3
; NumSGPRsForWavesPerEU: 22
; NumVGPRsForWavesPerEU: 26
; Occupancy: 16
; WaveLimiterHint : 0
; COMPUTE_PGM_RSRC2:SCRATCH_EN: 0
; COMPUTE_PGM_RSRC2:USER_SGPR: 15
; COMPUTE_PGM_RSRC2:TRAP_HANDLER: 0
; COMPUTE_PGM_RSRC2:TGID_X_EN: 1
; COMPUTE_PGM_RSRC2:TGID_Y_EN: 0
; COMPUTE_PGM_RSRC2:TGID_Z_EN: 0
; COMPUTE_PGM_RSRC2:TIDIG_COMP_CNT: 0
	.section	.text._ZN2at6native12_GLOBAL__N_122cunn_SoftMaxForwardRegIN3c108BFloat16EfS4_NS1_25LogSoftMaxForwardEpilogueElLi8EEEvPT1_PKT_T3_,"axG",@progbits,_ZN2at6native12_GLOBAL__N_122cunn_SoftMaxForwardRegIN3c108BFloat16EfS4_NS1_25LogSoftMaxForwardEpilogueElLi8EEEvPT1_PKT_T3_,comdat
	.globl	_ZN2at6native12_GLOBAL__N_122cunn_SoftMaxForwardRegIN3c108BFloat16EfS4_NS1_25LogSoftMaxForwardEpilogueElLi8EEEvPT1_PKT_T3_ ; -- Begin function _ZN2at6native12_GLOBAL__N_122cunn_SoftMaxForwardRegIN3c108BFloat16EfS4_NS1_25LogSoftMaxForwardEpilogueElLi8EEEvPT1_PKT_T3_
	.p2align	8
	.type	_ZN2at6native12_GLOBAL__N_122cunn_SoftMaxForwardRegIN3c108BFloat16EfS4_NS1_25LogSoftMaxForwardEpilogueElLi8EEEvPT1_PKT_T3_,@function
_ZN2at6native12_GLOBAL__N_122cunn_SoftMaxForwardRegIN3c108BFloat16EfS4_NS1_25LogSoftMaxForwardEpilogueElLi8EEEvPT1_PKT_T3_: ; @_ZN2at6native12_GLOBAL__N_122cunn_SoftMaxForwardRegIN3c108BFloat16EfS4_NS1_25LogSoftMaxForwardEpilogueElLi8EEEvPT1_PKT_T3_
; %bb.0:
	s_clause 0x2
	s_load_b64 s[6:7], s[0:1], 0x10
	s_load_b128 s[16:19], s[0:1], 0x0
	s_load_b32 s0, s[0:1], 0x24
	v_dual_mov_b32 v2, 0 :: v_dual_mov_b32 v11, 0xff7fffff
	v_lshlrev_b32_e32 v3, 1, v0
                                        ; implicit-def: $vgpr22
	s_delay_alu instid0(VALU_DEP_2)
	v_mov_b32_e32 v1, v2
	s_waitcnt lgkmcnt(0)
	s_mul_i32 s1, s15, s7
	s_mul_hi_u32 s3, s15, s6
	s_mul_i32 s2, s15, s6
	s_add_i32 s3, s3, s1
	v_cmp_gt_i64_e32 vcc_lo, s[6:7], v[0:1]
	s_lshl_b64 s[12:13], s[2:3], 1
	s_delay_alu instid0(SALU_CYCLE_1)
	s_add_u32 s8, s18, s12
	s_addc_u32 s9, s19, s13
	s_and_saveexec_b32 s1, vcc_lo
	s_cbranch_execz .LBB162_2
; %bb.1:
	global_load_u16 v22, v3, s[8:9]
	s_waitcnt vmcnt(0)
	v_lshlrev_b32_e32 v1, 16, v22
	s_delay_alu instid0(VALU_DEP_1) | instskip(NEXT) | instid1(VALU_DEP_1)
	v_max_f32_e32 v1, v1, v1
	v_max_f32_e32 v11, 0xff7fffff, v1
.LBB162_2:
	s_or_b32 exec_lo, exec_lo, s1
	s_and_b32 s10, 0xffff, s0
                                        ; implicit-def: $vgpr21
	s_delay_alu instid0(SALU_CYCLE_1) | instskip(NEXT) | instid1(VALU_DEP_1)
	v_add_nc_u32_e32 v1, s10, v0
	v_cmp_gt_i64_e64 s0, s[6:7], v[1:2]
	v_lshlrev_b32_e32 v4, 1, v1
	s_delay_alu instid0(VALU_DEP_2)
	s_and_saveexec_b32 s1, s0
	s_cbranch_execz .LBB162_4
; %bb.3:
	global_load_u16 v21, v4, s[8:9]
	s_waitcnt vmcnt(0)
	v_dual_max_f32 v5, v11, v11 :: v_dual_lshlrev_b32 v2, 16, v21
	s_delay_alu instid0(VALU_DEP_1) | instskip(NEXT) | instid1(VALU_DEP_1)
	v_max_f32_e32 v2, v2, v2
	v_max_f32_e32 v11, v5, v2
.LBB162_4:
	s_or_b32 exec_lo, exec_lo, s1
	v_dual_mov_b32 v2, 0 :: v_dual_add_nc_u32 v1, s10, v1
                                        ; implicit-def: $vgpr19
	s_delay_alu instid0(VALU_DEP_1) | instskip(NEXT) | instid1(VALU_DEP_2)
	v_lshlrev_b32_e32 v5, 1, v1
	v_cmp_gt_i64_e64 s1, s[6:7], v[1:2]
	s_delay_alu instid0(VALU_DEP_1)
	s_and_saveexec_b32 s2, s1
	s_cbranch_execz .LBB162_6
; %bb.5:
	global_load_u16 v19, v5, s[8:9]
	v_max_f32_e32 v7, v11, v11
	s_waitcnt vmcnt(0)
	v_lshlrev_b32_e32 v6, 16, v19
	s_delay_alu instid0(VALU_DEP_1) | instskip(NEXT) | instid1(VALU_DEP_1)
	v_max_f32_e32 v6, v6, v6
	v_max_f32_e32 v11, v7, v6
.LBB162_6:
	s_or_b32 exec_lo, exec_lo, s2
	v_add_nc_u32_e32 v1, s10, v1
                                        ; implicit-def: $vgpr18
	s_delay_alu instid0(VALU_DEP_1) | instskip(SKIP_1) | instid1(VALU_DEP_2)
	v_cmp_gt_i64_e64 s2, s[6:7], v[1:2]
	v_lshlrev_b32_e32 v6, 1, v1
	s_and_saveexec_b32 s3, s2
	s_cbranch_execz .LBB162_8
; %bb.7:
	global_load_u16 v18, v6, s[8:9]
	s_waitcnt vmcnt(0)
	v_dual_max_f32 v7, v11, v11 :: v_dual_lshlrev_b32 v2, 16, v18
	s_delay_alu instid0(VALU_DEP_1) | instskip(NEXT) | instid1(VALU_DEP_1)
	v_max_f32_e32 v2, v2, v2
	v_max_f32_e32 v11, v7, v2
.LBB162_8:
	s_or_b32 exec_lo, exec_lo, s3
	v_dual_mov_b32 v2, 0 :: v_dual_add_nc_u32 v1, s10, v1
                                        ; implicit-def: $vgpr17
	s_delay_alu instid0(VALU_DEP_1) | instskip(NEXT) | instid1(VALU_DEP_2)
	v_lshlrev_b32_e32 v7, 1, v1
	v_cmp_gt_i64_e64 s3, s[6:7], v[1:2]
	s_delay_alu instid0(VALU_DEP_1)
	s_and_saveexec_b32 s4, s3
	s_cbranch_execz .LBB162_10
; %bb.9:
	global_load_u16 v17, v7, s[8:9]
	s_waitcnt vmcnt(0)
	v_dual_max_f32 v9, v11, v11 :: v_dual_lshlrev_b32 v8, 16, v17
	s_delay_alu instid0(VALU_DEP_1) | instskip(NEXT) | instid1(VALU_DEP_1)
	v_max_f32_e32 v8, v8, v8
	v_max_f32_e32 v11, v9, v8
.LBB162_10:
	s_or_b32 exec_lo, exec_lo, s4
	v_add_nc_u32_e32 v1, s10, v1
                                        ; implicit-def: $vgpr16
	s_delay_alu instid0(VALU_DEP_1) | instskip(SKIP_1) | instid1(VALU_DEP_2)
	v_cmp_gt_i64_e64 s4, s[6:7], v[1:2]
	v_lshlrev_b32_e32 v8, 1, v1
	s_and_saveexec_b32 s5, s4
	s_cbranch_execz .LBB162_12
; %bb.11:
	global_load_u16 v16, v8, s[8:9]
	s_waitcnt vmcnt(0)
	v_dual_max_f32 v9, v11, v11 :: v_dual_lshlrev_b32 v2, 16, v16
	s_delay_alu instid0(VALU_DEP_1) | instskip(NEXT) | instid1(VALU_DEP_1)
	v_max_f32_e32 v2, v2, v2
	v_max_f32_e32 v11, v9, v2
.LBB162_12:
	s_or_b32 exec_lo, exec_lo, s5
	v_dual_mov_b32 v2, 0 :: v_dual_add_nc_u32 v1, s10, v1
                                        ; implicit-def: $vgpr15
	s_delay_alu instid0(VALU_DEP_1) | instskip(NEXT) | instid1(VALU_DEP_2)
	v_lshlrev_b32_e32 v9, 1, v1
	v_cmp_gt_i64_e64 s5, s[6:7], v[1:2]
	s_delay_alu instid0(VALU_DEP_1)
	s_and_saveexec_b32 s11, s5
	s_cbranch_execz .LBB162_14
; %bb.13:
	global_load_u16 v15, v9, s[8:9]
	v_max_f32_e32 v11, v11, v11
	s_waitcnt vmcnt(0)
	v_lshlrev_b32_e32 v10, 16, v15
	s_delay_alu instid0(VALU_DEP_1) | instskip(NEXT) | instid1(VALU_DEP_1)
	v_max_f32_e32 v10, v10, v10
	v_max_f32_e32 v11, v11, v10
.LBB162_14:
	s_or_b32 exec_lo, exec_lo, s11
	v_add_nc_u32_e32 v1, s10, v1
                                        ; implicit-def: $vgpr14
	s_delay_alu instid0(VALU_DEP_1) | instskip(SKIP_1) | instid1(VALU_DEP_2)
	v_cmp_gt_i64_e64 s6, s[6:7], v[1:2]
	v_lshlrev_b32_e32 v1, 1, v1
	s_and_saveexec_b32 s7, s6
	s_cbranch_execz .LBB162_16
; %bb.15:
	global_load_u16 v14, v1, s[8:9]
	v_max_f32_e32 v10, v11, v11
	s_waitcnt vmcnt(0)
	v_lshlrev_b32_e32 v2, 16, v14
	s_delay_alu instid0(VALU_DEP_1) | instskip(NEXT) | instid1(VALU_DEP_1)
	v_max_f32_e32 v2, v2, v2
	v_max_f32_e32 v11, v10, v2
.LBB162_16:
	s_or_b32 exec_lo, exec_lo, s7
	v_mbcnt_lo_u32_b32 v13, -1, 0
	s_barrier
	buffer_gl0_inv
	v_cmp_gt_u32_e64 s7, 16, v13
	s_delay_alu instid0(VALU_DEP_1) | instskip(SKIP_1) | instid1(VALU_DEP_2)
	v_cndmask_b32_e64 v2, 0, 1, s7
	v_cmp_gt_u32_e64 s7, 24, v13
	v_lshlrev_b32_e32 v2, 4, v2
	s_delay_alu instid0(VALU_DEP_2) | instskip(NEXT) | instid1(VALU_DEP_2)
	v_cndmask_b32_e64 v10, 0, 1, s7
	v_add_lshl_u32 v2, v2, v13, 2
	s_delay_alu instid0(VALU_DEP_2) | instskip(SKIP_4) | instid1(VALU_DEP_1)
	v_lshlrev_b32_e32 v10, 3, v10
	ds_bpermute_b32 v12, v2, v11
	v_add_lshl_u32 v10, v10, v13, 2
	s_waitcnt lgkmcnt(0)
	v_cmp_lt_f32_e64 s7, v11, v12
	v_cndmask_b32_e64 v12, v11, v12, s7
	v_cmp_gt_u32_e64 s7, 28, v13
	ds_bpermute_b32 v20, v10, v12
	v_cndmask_b32_e64 v11, 0, 1, s7
	s_delay_alu instid0(VALU_DEP_1) | instskip(NEXT) | instid1(VALU_DEP_1)
	v_lshlrev_b32_e32 v11, 2, v11
	v_add_lshl_u32 v11, v11, v13, 2
	s_waitcnt lgkmcnt(0)
	v_cmp_lt_f32_e64 s7, v12, v20
	s_delay_alu instid0(VALU_DEP_1) | instskip(SKIP_3) | instid1(VALU_DEP_1)
	v_cndmask_b32_e64 v20, v12, v20, s7
	v_cmp_gt_u32_e64 s7, 30, v13
	ds_bpermute_b32 v23, v11, v20
	v_cndmask_b32_e64 v12, 0, 1, s7
	v_lshlrev_b32_e32 v12, 1, v12
	s_delay_alu instid0(VALU_DEP_1) | instskip(SKIP_2) | instid1(VALU_DEP_1)
	v_add_lshl_u32 v12, v12, v13, 2
	s_waitcnt lgkmcnt(0)
	v_cmp_lt_f32_e64 s7, v20, v23
	v_cndmask_b32_e64 v20, v20, v23, s7
	v_cmp_ne_u32_e64 s7, 31, v13
	ds_bpermute_b32 v23, v12, v20
	v_add_co_ci_u32_e64 v13, s7, 0, v13, s7
	s_delay_alu instid0(VALU_DEP_1) | instskip(SKIP_2) | instid1(VALU_DEP_1)
	v_lshlrev_b32_e32 v13, 2, v13
	s_waitcnt lgkmcnt(0)
	v_cmp_lt_f32_e64 s7, v20, v23
	v_cndmask_b32_e64 v24, v20, v23, s7
	v_and_b32_e32 v23, 31, v0
	v_lshrrev_b32_e32 v20, 3, v0
	ds_bpermute_b32 v25, v13, v24
	v_cmp_eq_u32_e64 s7, 0, v23
	s_delay_alu instid0(VALU_DEP_1) | instskip(NEXT) | instid1(SALU_CYCLE_1)
	s_and_saveexec_b32 s8, s7
	s_xor_b32 s9, exec_lo, s8
	s_cbranch_execz .LBB162_18
; %bb.17:
	s_waitcnt lgkmcnt(0)
	v_cmp_lt_f32_e64 s8, v24, v25
	v_add_nc_u32_e32 v26, 0, v20
	s_delay_alu instid0(VALU_DEP_2)
	v_cndmask_b32_e64 v24, v24, v25, s8
	ds_store_b32 v26, v24
.LBB162_18:
	s_or_b32 exec_lo, exec_lo, s9
	s_lshr_b32 s8, s10, 5
	v_mov_b32_e32 v24, 0xff7fffff
	v_cmp_gt_u32_e64 s8, s8, v0
	v_lshl_add_u32 v23, v23, 2, 0
	s_waitcnt lgkmcnt(0)
	s_barrier
	buffer_gl0_inv
	s_and_saveexec_b32 s9, s8
	s_cbranch_execnz .LBB162_53
; %bb.19:
	s_or_b32 exec_lo, exec_lo, s9
	v_cmp_gt_u32_e64 s9, 32, v0
	s_delay_alu instid0(VALU_DEP_1)
	s_and_saveexec_b32 s11, s9
	s_cbranch_execnz .LBB162_54
.LBB162_20:
	s_or_b32 exec_lo, exec_lo, s11
	v_cmp_eq_u32_e64 s10, 0, v0
	s_delay_alu instid0(VALU_DEP_1)
	s_and_saveexec_b32 s11, s10
	s_cbranch_execz .LBB162_22
.LBB162_21:
	v_mov_b32_e32 v0, 0
	s_waitcnt lgkmcnt(0)
	ds_store_b32 v0, v24
.LBB162_22:
	s_or_b32 exec_lo, exec_lo, s11
	s_waitcnt lgkmcnt(0)
	v_mov_b32_e32 v24, 0
	s_barrier
	buffer_gl0_inv
	v_lshlrev_b32_e32 v0, 16, v22
	ds_load_b32 v25, v24
	s_waitcnt lgkmcnt(0)
	v_sub_f32_e32 v0, v0, v25
	s_and_saveexec_b32 s14, vcc_lo
	s_cbranch_execz .LBB162_24
; %bb.23:
	s_delay_alu instid0(VALU_DEP_1) | instskip(SKIP_1) | instid1(VALU_DEP_2)
	v_mul_f32_e32 v22, 0x3fb8aa3b, v0
	v_cmp_ngt_f32_e64 s11, 0xc2ce8ed0, v0
	v_fma_f32 v24, 0x3fb8aa3b, v0, -v22
	v_rndne_f32_e32 v26, v22
	s_delay_alu instid0(VALU_DEP_2) | instskip(NEXT) | instid1(VALU_DEP_2)
	v_fmamk_f32 v24, v0, 0x32a5705f, v24
	v_sub_f32_e32 v22, v22, v26
	s_delay_alu instid0(VALU_DEP_1) | instskip(SKIP_1) | instid1(VALU_DEP_2)
	v_add_f32_e32 v22, v22, v24
	v_cvt_i32_f32_e32 v24, v26
	v_exp_f32_e32 v22, v22
	s_waitcnt_depctr 0xfff
	v_ldexp_f32 v22, v22, v24
	s_delay_alu instid0(VALU_DEP_1) | instskip(SKIP_1) | instid1(VALU_DEP_1)
	v_cndmask_b32_e64 v22, 0, v22, s11
	v_cmp_nlt_f32_e64 s11, 0x42b17218, v0
	v_cndmask_b32_e64 v24, 0x7f800000, v22, s11
.LBB162_24:
	s_or_b32 exec_lo, exec_lo, s14
	v_lshlrev_b32_e32 v21, 16, v21
	s_delay_alu instid0(VALU_DEP_1)
	v_sub_f32_e32 v21, v21, v25
	s_and_saveexec_b32 s14, s0
	s_cbranch_execz .LBB162_26
; %bb.25:
	s_delay_alu instid0(VALU_DEP_1) | instskip(SKIP_1) | instid1(VALU_DEP_2)
	v_mul_f32_e32 v22, 0x3fb8aa3b, v21
	v_cmp_ngt_f32_e64 s11, 0xc2ce8ed0, v21
	v_fma_f32 v26, 0x3fb8aa3b, v21, -v22
	v_rndne_f32_e32 v27, v22
	s_delay_alu instid0(VALU_DEP_2) | instskip(NEXT) | instid1(VALU_DEP_2)
	v_fmamk_f32 v26, v21, 0x32a5705f, v26
	v_sub_f32_e32 v22, v22, v27
	s_delay_alu instid0(VALU_DEP_1) | instskip(SKIP_1) | instid1(VALU_DEP_2)
	v_add_f32_e32 v22, v22, v26
	v_cvt_i32_f32_e32 v26, v27
	v_exp_f32_e32 v22, v22
	s_waitcnt_depctr 0xfff
	v_ldexp_f32 v22, v22, v26
	s_delay_alu instid0(VALU_DEP_1) | instskip(SKIP_1) | instid1(VALU_DEP_1)
	v_cndmask_b32_e64 v22, 0, v22, s11
	v_cmp_nlt_f32_e64 s11, 0x42b17218, v21
	v_cndmask_b32_e64 v22, 0x7f800000, v22, s11
	s_delay_alu instid0(VALU_DEP_1)
	v_add_f32_e32 v24, v24, v22
.LBB162_26:
	s_or_b32 exec_lo, exec_lo, s14
	v_lshlrev_b32_e32 v19, 16, v19
	s_delay_alu instid0(VALU_DEP_1)
	v_sub_f32_e32 v19, v19, v25
	s_and_saveexec_b32 s14, s1
	s_cbranch_execz .LBB162_28
; %bb.27:
	s_delay_alu instid0(VALU_DEP_1) | instskip(SKIP_1) | instid1(VALU_DEP_2)
	v_mul_f32_e32 v22, 0x3fb8aa3b, v19
	v_cmp_ngt_f32_e64 s11, 0xc2ce8ed0, v19
	v_fma_f32 v26, 0x3fb8aa3b, v19, -v22
	v_rndne_f32_e32 v27, v22
	s_delay_alu instid0(VALU_DEP_2) | instskip(NEXT) | instid1(VALU_DEP_2)
	v_fmamk_f32 v26, v19, 0x32a5705f, v26
	v_sub_f32_e32 v22, v22, v27
	s_delay_alu instid0(VALU_DEP_1) | instskip(SKIP_1) | instid1(VALU_DEP_2)
	v_add_f32_e32 v22, v22, v26
	v_cvt_i32_f32_e32 v26, v27
	v_exp_f32_e32 v22, v22
	s_waitcnt_depctr 0xfff
	v_ldexp_f32 v22, v22, v26
	s_delay_alu instid0(VALU_DEP_1) | instskip(SKIP_1) | instid1(VALU_DEP_1)
	v_cndmask_b32_e64 v22, 0, v22, s11
	v_cmp_nlt_f32_e64 s11, 0x42b17218, v19
	v_cndmask_b32_e64 v22, 0x7f800000, v22, s11
	s_delay_alu instid0(VALU_DEP_1)
	v_add_f32_e32 v24, v24, v22
.LBB162_28:
	;; [unrolled: 28-line block ×7, first 2 shown]
	s_or_b32 exec_lo, exec_lo, s14
	ds_bpermute_b32 v22, v2, v24
	s_waitcnt lgkmcnt(0)
	s_barrier
	buffer_gl0_inv
	v_add_f32_e32 v22, v24, v22
	ds_bpermute_b32 v24, v10, v22
	s_waitcnt lgkmcnt(0)
	v_add_f32_e32 v22, v22, v24
	ds_bpermute_b32 v24, v11, v22
	s_waitcnt lgkmcnt(0)
	;; [unrolled: 3-line block ×3, first 2 shown]
	v_add_f32_e32 v22, v22, v24
	ds_bpermute_b32 v24, v13, v22
	s_and_saveexec_b32 s11, s7
	s_delay_alu instid0(SALU_CYCLE_1)
	s_xor_b32 s7, exec_lo, s11
	s_cbranch_execz .LBB162_40
; %bb.39:
	v_add_nc_u32_e32 v20, 0, v20
	s_waitcnt lgkmcnt(0)
	v_add_f32_e32 v22, v22, v24
	ds_store_b32 v20, v22
.LBB162_40:
	s_or_b32 exec_lo, exec_lo, s7
	v_mov_b32_e32 v20, 0
	s_waitcnt lgkmcnt(0)
	s_barrier
	buffer_gl0_inv
	s_and_saveexec_b32 s7, s8
	s_cbranch_execnz .LBB162_55
; %bb.41:
	s_or_b32 exec_lo, exec_lo, s7
	s_and_saveexec_b32 s7, s9
	s_cbranch_execnz .LBB162_56
.LBB162_42:
	s_or_b32 exec_lo, exec_lo, s7
	s_and_saveexec_b32 s7, s10
	s_cbranch_execz .LBB162_44
.LBB162_43:
	v_mov_b32_e32 v2, 0
	s_waitcnt lgkmcnt(0)
	ds_store_b32 v2, v20
.LBB162_44:
	s_or_b32 exec_lo, exec_lo, s7
	v_mov_b32_e32 v2, 0
	s_waitcnt lgkmcnt(0)
	s_barrier
	buffer_gl0_inv
	ds_load_b32 v2, v2
	s_waitcnt lgkmcnt(0)
	v_cmp_gt_f32_e64 s7, 0x800000, v2
	s_delay_alu instid0(VALU_DEP_1) | instskip(NEXT) | instid1(VALU_DEP_1)
	v_cndmask_b32_e64 v10, 1.0, 0x4f800000, s7
	v_mul_f32_e32 v2, v2, v10
	s_delay_alu instid0(VALU_DEP_1) | instskip(SKIP_3) | instid1(VALU_DEP_2)
	v_log_f32_e32 v2, v2
	s_waitcnt_depctr 0xfff
	v_mul_f32_e32 v10, 0x3f317217, v2
	v_cmp_gt_f32_e64 s8, 0x7f800000, |v2|
	v_fma_f32 v11, 0x3f317217, v2, -v10
	s_delay_alu instid0(VALU_DEP_1) | instskip(NEXT) | instid1(VALU_DEP_1)
	v_fmamk_f32 v11, v2, 0x3377d1cf, v11
	v_add_f32_e32 v10, v10, v11
	s_delay_alu instid0(VALU_DEP_1) | instskip(SKIP_3) | instid1(VALU_DEP_1)
	v_cndmask_b32_e64 v2, v2, v10, s8
	v_cndmask_b32_e64 v10, 0, 0x41b17218, s7
	s_add_u32 s8, s16, s12
	s_addc_u32 s9, s17, s13
	v_sub_f32_e32 v2, v2, v10
	s_and_saveexec_b32 s7, vcc_lo
	s_cbranch_execnz .LBB162_57
; %bb.45:
	s_or_b32 exec_lo, exec_lo, s7
	s_and_saveexec_b32 s7, s0
	s_cbranch_execnz .LBB162_58
.LBB162_46:
	s_or_b32 exec_lo, exec_lo, s7
	s_and_saveexec_b32 s0, s1
	s_cbranch_execnz .LBB162_59
.LBB162_47:
	s_or_b32 exec_lo, exec_lo, s0
	s_and_saveexec_b32 s0, s2
	s_cbranch_execnz .LBB162_60
.LBB162_48:
	s_or_b32 exec_lo, exec_lo, s0
	s_and_saveexec_b32 s0, s3
	s_cbranch_execnz .LBB162_61
.LBB162_49:
	s_or_b32 exec_lo, exec_lo, s0
	s_and_saveexec_b32 s0, s4
	s_cbranch_execnz .LBB162_62
.LBB162_50:
	s_or_b32 exec_lo, exec_lo, s0
	s_and_saveexec_b32 s0, s5
	s_cbranch_execnz .LBB162_63
.LBB162_51:
	s_or_b32 exec_lo, exec_lo, s0
	s_and_saveexec_b32 s0, s6
	s_cbranch_execnz .LBB162_64
.LBB162_52:
	s_nop 0
	s_sendmsg sendmsg(MSG_DEALLOC_VGPRS)
	s_endpgm
.LBB162_53:
	ds_load_b32 v24, v23
	s_or_b32 exec_lo, exec_lo, s9
	v_cmp_gt_u32_e64 s9, 32, v0
	s_delay_alu instid0(VALU_DEP_1)
	s_and_saveexec_b32 s11, s9
	s_cbranch_execz .LBB162_20
.LBB162_54:
	s_waitcnt lgkmcnt(0)
	ds_bpermute_b32 v25, v2, v24
	s_waitcnt lgkmcnt(0)
	v_cmp_lt_f32_e64 s10, v24, v25
	s_delay_alu instid0(VALU_DEP_1) | instskip(SKIP_3) | instid1(VALU_DEP_1)
	v_cndmask_b32_e64 v24, v24, v25, s10
	ds_bpermute_b32 v25, v10, v24
	s_waitcnt lgkmcnt(0)
	v_cmp_lt_f32_e64 s10, v24, v25
	v_cndmask_b32_e64 v24, v24, v25, s10
	ds_bpermute_b32 v25, v11, v24
	s_waitcnt lgkmcnt(0)
	v_cmp_lt_f32_e64 s10, v24, v25
	s_delay_alu instid0(VALU_DEP_1) | instskip(SKIP_3) | instid1(VALU_DEP_1)
	v_cndmask_b32_e64 v24, v24, v25, s10
	ds_bpermute_b32 v25, v12, v24
	s_waitcnt lgkmcnt(0)
	v_cmp_lt_f32_e64 s10, v24, v25
	v_cndmask_b32_e64 v24, v24, v25, s10
	ds_bpermute_b32 v25, v13, v24
	s_waitcnt lgkmcnt(0)
	v_cmp_lt_f32_e64 s10, v24, v25
	s_delay_alu instid0(VALU_DEP_1) | instskip(SKIP_2) | instid1(VALU_DEP_1)
	v_cndmask_b32_e64 v24, v24, v25, s10
	s_or_b32 exec_lo, exec_lo, s11
	v_cmp_eq_u32_e64 s10, 0, v0
	s_and_saveexec_b32 s11, s10
	s_cbranch_execnz .LBB162_21
	s_branch .LBB162_22
.LBB162_55:
	ds_load_b32 v20, v23
	s_or_b32 exec_lo, exec_lo, s7
	s_and_saveexec_b32 s7, s9
	s_cbranch_execz .LBB162_42
.LBB162_56:
	s_waitcnt lgkmcnt(0)
	ds_bpermute_b32 v2, v2, v20
	s_waitcnt lgkmcnt(0)
	v_add_f32_e32 v2, v20, v2
	ds_bpermute_b32 v10, v10, v2
	s_waitcnt lgkmcnt(0)
	v_add_f32_e32 v2, v2, v10
	;; [unrolled: 3-line block ×5, first 2 shown]
	s_or_b32 exec_lo, exec_lo, s7
	s_and_saveexec_b32 s7, s10
	s_cbranch_execnz .LBB162_43
	s_branch .LBB162_44
.LBB162_57:
	s_delay_alu instid0(VALU_DEP_1) | instskip(NEXT) | instid1(VALU_DEP_1)
	v_sub_f32_e32 v0, v0, v2
	v_bfe_u32 v10, v0, 16, 1
	v_cmp_o_f32_e32 vcc_lo, v0, v0
	s_delay_alu instid0(VALU_DEP_2) | instskip(NEXT) | instid1(VALU_DEP_1)
	v_add3_u32 v10, v0, v10, 0x7fff
	v_lshrrev_b32_e32 v10, 16, v10
	s_delay_alu instid0(VALU_DEP_1)
	v_cndmask_b32_e32 v0, 0x7fc0, v10, vcc_lo
	global_store_b16 v3, v0, s[8:9]
	s_or_b32 exec_lo, exec_lo, s7
	s_and_saveexec_b32 s7, s0
	s_cbranch_execz .LBB162_46
.LBB162_58:
	v_sub_f32_e32 v0, v21, v2
	s_delay_alu instid0(VALU_DEP_1) | instskip(SKIP_1) | instid1(VALU_DEP_2)
	v_bfe_u32 v3, v0, 16, 1
	v_cmp_o_f32_e32 vcc_lo, v0, v0
	v_add3_u32 v3, v0, v3, 0x7fff
	s_delay_alu instid0(VALU_DEP_1) | instskip(NEXT) | instid1(VALU_DEP_1)
	v_lshrrev_b32_e32 v3, 16, v3
	v_cndmask_b32_e32 v0, 0x7fc0, v3, vcc_lo
	global_store_b16 v4, v0, s[8:9]
	s_or_b32 exec_lo, exec_lo, s7
	s_and_saveexec_b32 s0, s1
	s_cbranch_execz .LBB162_47
.LBB162_59:
	v_sub_f32_e32 v0, v19, v2
	s_delay_alu instid0(VALU_DEP_1) | instskip(SKIP_1) | instid1(VALU_DEP_2)
	v_bfe_u32 v3, v0, 16, 1
	v_cmp_o_f32_e32 vcc_lo, v0, v0
	v_add3_u32 v3, v0, v3, 0x7fff
	s_delay_alu instid0(VALU_DEP_1) | instskip(NEXT) | instid1(VALU_DEP_1)
	v_lshrrev_b32_e32 v3, 16, v3
	v_cndmask_b32_e32 v0, 0x7fc0, v3, vcc_lo
	global_store_b16 v5, v0, s[8:9]
	s_or_b32 exec_lo, exec_lo, s0
	s_and_saveexec_b32 s0, s2
	s_cbranch_execz .LBB162_48
.LBB162_60:
	v_sub_f32_e32 v0, v18, v2
	s_delay_alu instid0(VALU_DEP_1) | instskip(SKIP_1) | instid1(VALU_DEP_2)
	v_bfe_u32 v3, v0, 16, 1
	v_cmp_o_f32_e32 vcc_lo, v0, v0
	v_add3_u32 v3, v0, v3, 0x7fff
	s_delay_alu instid0(VALU_DEP_1) | instskip(NEXT) | instid1(VALU_DEP_1)
	v_lshrrev_b32_e32 v3, 16, v3
	v_cndmask_b32_e32 v0, 0x7fc0, v3, vcc_lo
	global_store_b16 v6, v0, s[8:9]
	s_or_b32 exec_lo, exec_lo, s0
	s_and_saveexec_b32 s0, s3
	s_cbranch_execz .LBB162_49
.LBB162_61:
	v_sub_f32_e32 v0, v17, v2
	s_delay_alu instid0(VALU_DEP_1) | instskip(SKIP_1) | instid1(VALU_DEP_2)
	v_bfe_u32 v3, v0, 16, 1
	v_cmp_o_f32_e32 vcc_lo, v0, v0
	v_add3_u32 v3, v0, v3, 0x7fff
	s_delay_alu instid0(VALU_DEP_1) | instskip(NEXT) | instid1(VALU_DEP_1)
	v_lshrrev_b32_e32 v3, 16, v3
	v_cndmask_b32_e32 v0, 0x7fc0, v3, vcc_lo
	global_store_b16 v7, v0, s[8:9]
	s_or_b32 exec_lo, exec_lo, s0
	s_and_saveexec_b32 s0, s4
	s_cbranch_execz .LBB162_50
.LBB162_62:
	v_sub_f32_e32 v0, v16, v2
	s_delay_alu instid0(VALU_DEP_1) | instskip(SKIP_1) | instid1(VALU_DEP_2)
	v_bfe_u32 v3, v0, 16, 1
	v_cmp_o_f32_e32 vcc_lo, v0, v0
	v_add3_u32 v3, v0, v3, 0x7fff
	s_delay_alu instid0(VALU_DEP_1) | instskip(NEXT) | instid1(VALU_DEP_1)
	v_lshrrev_b32_e32 v3, 16, v3
	v_cndmask_b32_e32 v0, 0x7fc0, v3, vcc_lo
	global_store_b16 v8, v0, s[8:9]
	s_or_b32 exec_lo, exec_lo, s0
	s_and_saveexec_b32 s0, s5
	s_cbranch_execz .LBB162_51
.LBB162_63:
	v_sub_f32_e32 v0, v15, v2
	s_delay_alu instid0(VALU_DEP_1) | instskip(SKIP_1) | instid1(VALU_DEP_2)
	v_bfe_u32 v3, v0, 16, 1
	v_cmp_o_f32_e32 vcc_lo, v0, v0
	v_add3_u32 v3, v0, v3, 0x7fff
	s_delay_alu instid0(VALU_DEP_1) | instskip(NEXT) | instid1(VALU_DEP_1)
	v_lshrrev_b32_e32 v3, 16, v3
	v_cndmask_b32_e32 v0, 0x7fc0, v3, vcc_lo
	global_store_b16 v9, v0, s[8:9]
	s_or_b32 exec_lo, exec_lo, s0
	s_and_saveexec_b32 s0, s6
	s_cbranch_execz .LBB162_52
.LBB162_64:
	v_sub_f32_e32 v0, v14, v2
	s_delay_alu instid0(VALU_DEP_1) | instskip(SKIP_1) | instid1(VALU_DEP_2)
	v_bfe_u32 v2, v0, 16, 1
	v_cmp_o_f32_e32 vcc_lo, v0, v0
	v_add3_u32 v2, v0, v2, 0x7fff
	s_delay_alu instid0(VALU_DEP_1) | instskip(NEXT) | instid1(VALU_DEP_1)
	v_lshrrev_b32_e32 v2, 16, v2
	v_cndmask_b32_e32 v0, 0x7fc0, v2, vcc_lo
	global_store_b16 v1, v0, s[8:9]
	s_nop 0
	s_sendmsg sendmsg(MSG_DEALLOC_VGPRS)
	s_endpgm
	.section	.rodata,"a",@progbits
	.p2align	6, 0x0
	.amdhsa_kernel _ZN2at6native12_GLOBAL__N_122cunn_SoftMaxForwardRegIN3c108BFloat16EfS4_NS1_25LogSoftMaxForwardEpilogueElLi8EEEvPT1_PKT_T3_
		.amdhsa_group_segment_fixed_size 0
		.amdhsa_private_segment_fixed_size 0
		.amdhsa_kernarg_size 280
		.amdhsa_user_sgpr_count 15
		.amdhsa_user_sgpr_dispatch_ptr 0
		.amdhsa_user_sgpr_queue_ptr 0
		.amdhsa_user_sgpr_kernarg_segment_ptr 1
		.amdhsa_user_sgpr_dispatch_id 0
		.amdhsa_user_sgpr_private_segment_size 0
		.amdhsa_wavefront_size32 1
		.amdhsa_uses_dynamic_stack 0
		.amdhsa_enable_private_segment 0
		.amdhsa_system_sgpr_workgroup_id_x 1
		.amdhsa_system_sgpr_workgroup_id_y 0
		.amdhsa_system_sgpr_workgroup_id_z 0
		.amdhsa_system_sgpr_workgroup_info 0
		.amdhsa_system_vgpr_workitem_id 0
		.amdhsa_next_free_vgpr 28
		.amdhsa_next_free_sgpr 20
		.amdhsa_reserve_vcc 1
		.amdhsa_float_round_mode_32 0
		.amdhsa_float_round_mode_16_64 0
		.amdhsa_float_denorm_mode_32 3
		.amdhsa_float_denorm_mode_16_64 3
		.amdhsa_dx10_clamp 1
		.amdhsa_ieee_mode 1
		.amdhsa_fp16_overflow 0
		.amdhsa_workgroup_processor_mode 1
		.amdhsa_memory_ordered 1
		.amdhsa_forward_progress 0
		.amdhsa_shared_vgpr_count 0
		.amdhsa_exception_fp_ieee_invalid_op 0
		.amdhsa_exception_fp_denorm_src 0
		.amdhsa_exception_fp_ieee_div_zero 0
		.amdhsa_exception_fp_ieee_overflow 0
		.amdhsa_exception_fp_ieee_underflow 0
		.amdhsa_exception_fp_ieee_inexact 0
		.amdhsa_exception_int_div_zero 0
	.end_amdhsa_kernel
	.section	.text._ZN2at6native12_GLOBAL__N_122cunn_SoftMaxForwardRegIN3c108BFloat16EfS4_NS1_25LogSoftMaxForwardEpilogueElLi8EEEvPT1_PKT_T3_,"axG",@progbits,_ZN2at6native12_GLOBAL__N_122cunn_SoftMaxForwardRegIN3c108BFloat16EfS4_NS1_25LogSoftMaxForwardEpilogueElLi8EEEvPT1_PKT_T3_,comdat
.Lfunc_end162:
	.size	_ZN2at6native12_GLOBAL__N_122cunn_SoftMaxForwardRegIN3c108BFloat16EfS4_NS1_25LogSoftMaxForwardEpilogueElLi8EEEvPT1_PKT_T3_, .Lfunc_end162-_ZN2at6native12_GLOBAL__N_122cunn_SoftMaxForwardRegIN3c108BFloat16EfS4_NS1_25LogSoftMaxForwardEpilogueElLi8EEEvPT1_PKT_T3_
                                        ; -- End function
	.section	.AMDGPU.csdata,"",@progbits
; Kernel info:
; codeLenInByte = 3688
; NumSgprs: 22
; NumVgprs: 28
; ScratchSize: 0
; MemoryBound: 0
; FloatMode: 240
; IeeeMode: 1
; LDSByteSize: 0 bytes/workgroup (compile time only)
; SGPRBlocks: 2
; VGPRBlocks: 3
; NumSGPRsForWavesPerEU: 22
; NumVGPRsForWavesPerEU: 28
; Occupancy: 16
; WaveLimiterHint : 0
; COMPUTE_PGM_RSRC2:SCRATCH_EN: 0
; COMPUTE_PGM_RSRC2:USER_SGPR: 15
; COMPUTE_PGM_RSRC2:TRAP_HANDLER: 0
; COMPUTE_PGM_RSRC2:TGID_X_EN: 1
; COMPUTE_PGM_RSRC2:TGID_Y_EN: 0
; COMPUTE_PGM_RSRC2:TGID_Z_EN: 0
; COMPUTE_PGM_RSRC2:TIDIG_COMP_CNT: 0
	.section	.text._ZN2at6native12_GLOBAL__N_122cunn_SoftMaxForwardRegIN3c108BFloat16EfS4_NS1_25LogSoftMaxForwardEpilogueElLi9EEEvPT1_PKT_T3_,"axG",@progbits,_ZN2at6native12_GLOBAL__N_122cunn_SoftMaxForwardRegIN3c108BFloat16EfS4_NS1_25LogSoftMaxForwardEpilogueElLi9EEEvPT1_PKT_T3_,comdat
	.globl	_ZN2at6native12_GLOBAL__N_122cunn_SoftMaxForwardRegIN3c108BFloat16EfS4_NS1_25LogSoftMaxForwardEpilogueElLi9EEEvPT1_PKT_T3_ ; -- Begin function _ZN2at6native12_GLOBAL__N_122cunn_SoftMaxForwardRegIN3c108BFloat16EfS4_NS1_25LogSoftMaxForwardEpilogueElLi9EEEvPT1_PKT_T3_
	.p2align	8
	.type	_ZN2at6native12_GLOBAL__N_122cunn_SoftMaxForwardRegIN3c108BFloat16EfS4_NS1_25LogSoftMaxForwardEpilogueElLi9EEEvPT1_PKT_T3_,@function
_ZN2at6native12_GLOBAL__N_122cunn_SoftMaxForwardRegIN3c108BFloat16EfS4_NS1_25LogSoftMaxForwardEpilogueElLi9EEEvPT1_PKT_T3_: ; @_ZN2at6native12_GLOBAL__N_122cunn_SoftMaxForwardRegIN3c108BFloat16EfS4_NS1_25LogSoftMaxForwardEpilogueElLi9EEEvPT1_PKT_T3_
; %bb.0:
	s_clause 0x2
	s_load_b64 s[8:9], s[0:1], 0x10
	s_load_b128 s[16:19], s[0:1], 0x0
	s_load_b32 s0, s[0:1], 0x24
	v_dual_mov_b32 v2, 0 :: v_dual_lshlrev_b32 v3, 1, v0
	v_mov_b32_e32 v12, 0xff7fffff
                                        ; implicit-def: $vgpr25
	s_delay_alu instid0(VALU_DEP_2)
	v_mov_b32_e32 v1, v2
	s_waitcnt lgkmcnt(0)
	s_mul_i32 s1, s15, s9
	s_mul_hi_u32 s3, s15, s8
	s_mul_i32 s2, s15, s8
	s_add_i32 s3, s3, s1
	v_cmp_gt_i64_e32 vcc_lo, s[8:9], v[0:1]
	s_lshl_b64 s[14:15], s[2:3], 1
	s_delay_alu instid0(SALU_CYCLE_1)
	s_add_u32 s10, s18, s14
	s_addc_u32 s11, s19, s15
	s_and_saveexec_b32 s1, vcc_lo
	s_cbranch_execz .LBB163_2
; %bb.1:
	global_load_u16 v25, v3, s[10:11]
	s_waitcnt vmcnt(0)
	v_lshlrev_b32_e32 v1, 16, v25
	s_delay_alu instid0(VALU_DEP_1) | instskip(NEXT) | instid1(VALU_DEP_1)
	v_max_f32_e32 v1, v1, v1
	v_max_f32_e32 v12, 0xff7fffff, v1
.LBB163_2:
	s_or_b32 exec_lo, exec_lo, s1
	s_and_b32 s12, 0xffff, s0
                                        ; implicit-def: $vgpr23
	s_delay_alu instid0(SALU_CYCLE_1) | instskip(NEXT) | instid1(VALU_DEP_1)
	v_add_nc_u32_e32 v1, s12, v0
	v_cmp_gt_i64_e64 s0, s[8:9], v[1:2]
	v_lshlrev_b32_e32 v4, 1, v1
	s_delay_alu instid0(VALU_DEP_2)
	s_and_saveexec_b32 s1, s0
	s_cbranch_execz .LBB163_4
; %bb.3:
	global_load_u16 v23, v4, s[10:11]
	s_waitcnt vmcnt(0)
	v_dual_max_f32 v5, v12, v12 :: v_dual_lshlrev_b32 v2, 16, v23
	s_delay_alu instid0(VALU_DEP_1) | instskip(NEXT) | instid1(VALU_DEP_1)
	v_max_f32_e32 v2, v2, v2
	v_max_f32_e32 v12, v5, v2
.LBB163_4:
	s_or_b32 exec_lo, exec_lo, s1
	v_dual_mov_b32 v2, 0 :: v_dual_add_nc_u32 v1, s12, v1
                                        ; implicit-def: $vgpr22
	s_delay_alu instid0(VALU_DEP_1) | instskip(NEXT) | instid1(VALU_DEP_2)
	v_lshlrev_b32_e32 v5, 1, v1
	v_cmp_gt_i64_e64 s1, s[8:9], v[1:2]
	s_delay_alu instid0(VALU_DEP_1)
	s_and_saveexec_b32 s2, s1
	s_cbranch_execz .LBB163_6
; %bb.5:
	global_load_u16 v22, v5, s[10:11]
	s_waitcnt vmcnt(0)
	v_dual_max_f32 v7, v12, v12 :: v_dual_lshlrev_b32 v6, 16, v22
	s_delay_alu instid0(VALU_DEP_1) | instskip(NEXT) | instid1(VALU_DEP_1)
	v_max_f32_e32 v6, v6, v6
	v_max_f32_e32 v12, v7, v6
.LBB163_6:
	s_or_b32 exec_lo, exec_lo, s2
	v_add_nc_u32_e32 v1, s12, v1
                                        ; implicit-def: $vgpr20
	s_delay_alu instid0(VALU_DEP_1) | instskip(SKIP_1) | instid1(VALU_DEP_2)
	v_cmp_gt_i64_e64 s2, s[8:9], v[1:2]
	v_lshlrev_b32_e32 v6, 1, v1
	s_and_saveexec_b32 s3, s2
	s_cbranch_execz .LBB163_8
; %bb.7:
	global_load_u16 v20, v6, s[10:11]
	v_max_f32_e32 v7, v12, v12
	s_waitcnt vmcnt(0)
	v_lshlrev_b32_e32 v2, 16, v20
	s_delay_alu instid0(VALU_DEP_1) | instskip(NEXT) | instid1(VALU_DEP_1)
	v_max_f32_e32 v2, v2, v2
	v_max_f32_e32 v12, v7, v2
.LBB163_8:
	s_or_b32 exec_lo, exec_lo, s3
	v_dual_mov_b32 v2, 0 :: v_dual_add_nc_u32 v1, s12, v1
                                        ; implicit-def: $vgpr19
	s_delay_alu instid0(VALU_DEP_1) | instskip(NEXT) | instid1(VALU_DEP_2)
	v_lshlrev_b32_e32 v7, 1, v1
	v_cmp_gt_i64_e64 s3, s[8:9], v[1:2]
	s_delay_alu instid0(VALU_DEP_1)
	s_and_saveexec_b32 s4, s3
	s_cbranch_execz .LBB163_10
; %bb.9:
	global_load_u16 v19, v7, s[10:11]
	s_waitcnt vmcnt(0)
	v_dual_max_f32 v9, v12, v12 :: v_dual_lshlrev_b32 v8, 16, v19
	s_delay_alu instid0(VALU_DEP_1) | instskip(NEXT) | instid1(VALU_DEP_1)
	v_max_f32_e32 v8, v8, v8
	v_max_f32_e32 v12, v9, v8
.LBB163_10:
	s_or_b32 exec_lo, exec_lo, s4
	v_add_nc_u32_e32 v1, s12, v1
                                        ; implicit-def: $vgpr18
	s_delay_alu instid0(VALU_DEP_1) | instskip(SKIP_1) | instid1(VALU_DEP_2)
	v_cmp_gt_i64_e64 s4, s[8:9], v[1:2]
	v_lshlrev_b32_e32 v8, 1, v1
	s_and_saveexec_b32 s5, s4
	s_cbranch_execz .LBB163_12
; %bb.11:
	global_load_u16 v18, v8, s[10:11]
	s_waitcnt vmcnt(0)
	v_dual_max_f32 v9, v12, v12 :: v_dual_lshlrev_b32 v2, 16, v18
	s_delay_alu instid0(VALU_DEP_1) | instskip(NEXT) | instid1(VALU_DEP_1)
	v_max_f32_e32 v2, v2, v2
	v_max_f32_e32 v12, v9, v2
.LBB163_12:
	s_or_b32 exec_lo, exec_lo, s5
	v_dual_mov_b32 v2, 0 :: v_dual_add_nc_u32 v1, s12, v1
                                        ; implicit-def: $vgpr17
	s_delay_alu instid0(VALU_DEP_1) | instskip(NEXT) | instid1(VALU_DEP_2)
	v_lshlrev_b32_e32 v9, 1, v1
	v_cmp_gt_i64_e64 s5, s[8:9], v[1:2]
	s_delay_alu instid0(VALU_DEP_1)
	s_and_saveexec_b32 s6, s5
	s_cbranch_execz .LBB163_14
; %bb.13:
	global_load_u16 v17, v9, s[10:11]
	s_waitcnt vmcnt(0)
	v_dual_max_f32 v11, v12, v12 :: v_dual_lshlrev_b32 v10, 16, v17
	s_delay_alu instid0(VALU_DEP_1) | instskip(NEXT) | instid1(VALU_DEP_1)
	v_max_f32_e32 v10, v10, v10
	v_max_f32_e32 v12, v11, v10
.LBB163_14:
	s_or_b32 exec_lo, exec_lo, s6
	v_add_nc_u32_e32 v1, s12, v1
                                        ; implicit-def: $vgpr16
	s_delay_alu instid0(VALU_DEP_1) | instskip(SKIP_1) | instid1(VALU_DEP_2)
	v_cmp_gt_i64_e64 s6, s[8:9], v[1:2]
	v_lshlrev_b32_e32 v2, 1, v1
	s_and_saveexec_b32 s7, s6
	s_cbranch_execz .LBB163_16
; %bb.15:
	global_load_u16 v16, v2, s[10:11]
	v_max_f32_e32 v11, v12, v12
	s_waitcnt vmcnt(0)
	v_lshlrev_b32_e32 v10, 16, v16
	s_delay_alu instid0(VALU_DEP_1) | instskip(NEXT) | instid1(VALU_DEP_1)
	v_max_f32_e32 v10, v10, v10
	v_max_f32_e32 v12, v11, v10
.LBB163_16:
	s_or_b32 exec_lo, exec_lo, s7
	v_dual_mov_b32 v11, 0 :: v_dual_add_nc_u32 v10, s12, v1
                                        ; implicit-def: $vgpr15
	s_delay_alu instid0(VALU_DEP_1) | instskip(NEXT) | instid1(VALU_DEP_2)
	v_lshlrev_b32_e32 v1, 1, v10
	v_cmp_gt_i64_e64 s7, s[8:9], v[10:11]
	s_delay_alu instid0(VALU_DEP_1)
	s_and_saveexec_b32 s8, s7
	s_cbranch_execz .LBB163_18
; %bb.17:
	global_load_u16 v15, v1, s[10:11]
	s_waitcnt vmcnt(0)
	v_dual_max_f32 v11, v12, v12 :: v_dual_lshlrev_b32 v10, 16, v15
	s_delay_alu instid0(VALU_DEP_1) | instskip(NEXT) | instid1(VALU_DEP_1)
	v_max_f32_e32 v10, v10, v10
	v_max_f32_e32 v12, v11, v10
.LBB163_18:
	s_or_b32 exec_lo, exec_lo, s8
	v_mbcnt_lo_u32_b32 v14, -1, 0
	s_barrier
	buffer_gl0_inv
	v_cmp_gt_u32_e64 s8, 16, v14
	s_delay_alu instid0(VALU_DEP_1) | instskip(SKIP_1) | instid1(VALU_DEP_2)
	v_cndmask_b32_e64 v10, 0, 1, s8
	v_cmp_gt_u32_e64 s8, 24, v14
	v_lshlrev_b32_e32 v10, 4, v10
	s_delay_alu instid0(VALU_DEP_2) | instskip(NEXT) | instid1(VALU_DEP_2)
	v_cndmask_b32_e64 v11, 0, 1, s8
	v_add_lshl_u32 v10, v10, v14, 2
	s_delay_alu instid0(VALU_DEP_2) | instskip(SKIP_4) | instid1(VALU_DEP_1)
	v_lshlrev_b32_e32 v11, 3, v11
	ds_bpermute_b32 v13, v10, v12
	v_add_lshl_u32 v11, v11, v14, 2
	s_waitcnt lgkmcnt(0)
	v_cmp_lt_f32_e64 s8, v12, v13
	v_cndmask_b32_e64 v13, v12, v13, s8
	v_cmp_gt_u32_e64 s8, 28, v14
	ds_bpermute_b32 v21, v11, v13
	v_cndmask_b32_e64 v12, 0, 1, s8
	s_delay_alu instid0(VALU_DEP_1) | instskip(NEXT) | instid1(VALU_DEP_1)
	v_lshlrev_b32_e32 v12, 2, v12
	v_add_lshl_u32 v12, v12, v14, 2
	s_waitcnt lgkmcnt(0)
	v_cmp_lt_f32_e64 s8, v13, v21
	s_delay_alu instid0(VALU_DEP_1) | instskip(SKIP_3) | instid1(VALU_DEP_1)
	v_cndmask_b32_e64 v21, v13, v21, s8
	v_cmp_gt_u32_e64 s8, 30, v14
	ds_bpermute_b32 v24, v12, v21
	v_cndmask_b32_e64 v13, 0, 1, s8
	v_lshlrev_b32_e32 v13, 1, v13
	s_delay_alu instid0(VALU_DEP_1) | instskip(SKIP_2) | instid1(VALU_DEP_1)
	v_add_lshl_u32 v13, v13, v14, 2
	s_waitcnt lgkmcnt(0)
	v_cmp_lt_f32_e64 s8, v21, v24
	v_cndmask_b32_e64 v21, v21, v24, s8
	v_cmp_ne_u32_e64 s8, 31, v14
	ds_bpermute_b32 v24, v13, v21
	v_add_co_ci_u32_e64 v14, s8, 0, v14, s8
	s_delay_alu instid0(VALU_DEP_1) | instskip(SKIP_2) | instid1(VALU_DEP_1)
	v_lshlrev_b32_e32 v14, 2, v14
	s_waitcnt lgkmcnt(0)
	v_cmp_lt_f32_e64 s8, v21, v24
	v_cndmask_b32_e64 v26, v21, v24, s8
	v_and_b32_e32 v24, 31, v0
	v_lshrrev_b32_e32 v21, 3, v0
	ds_bpermute_b32 v27, v14, v26
	v_cmp_eq_u32_e64 s8, 0, v24
	s_delay_alu instid0(VALU_DEP_1) | instskip(NEXT) | instid1(SALU_CYCLE_1)
	s_and_saveexec_b32 s9, s8
	s_xor_b32 s10, exec_lo, s9
	s_cbranch_execz .LBB163_20
; %bb.19:
	s_waitcnt lgkmcnt(0)
	v_cmp_lt_f32_e64 s9, v26, v27
	v_add_nc_u32_e32 v28, 0, v21
	s_delay_alu instid0(VALU_DEP_2)
	v_cndmask_b32_e64 v26, v26, v27, s9
	ds_store_b32 v28, v26
.LBB163_20:
	s_or_b32 exec_lo, exec_lo, s10
	s_lshr_b32 s9, s12, 5
	v_mov_b32_e32 v26, 0xff7fffff
	v_cmp_gt_u32_e64 s9, s9, v0
	v_lshl_add_u32 v24, v24, 2, 0
	s_waitcnt lgkmcnt(0)
	s_barrier
	buffer_gl0_inv
	s_and_saveexec_b32 s10, s9
	s_cbranch_execnz .LBB163_58
; %bb.21:
	s_or_b32 exec_lo, exec_lo, s10
	v_cmp_gt_u32_e64 s10, 32, v0
	s_delay_alu instid0(VALU_DEP_1)
	s_and_saveexec_b32 s12, s10
	s_cbranch_execnz .LBB163_59
.LBB163_22:
	s_or_b32 exec_lo, exec_lo, s12
	v_cmp_eq_u32_e64 s11, 0, v0
	s_delay_alu instid0(VALU_DEP_1)
	s_and_saveexec_b32 s12, s11
	s_cbranch_execz .LBB163_24
.LBB163_23:
	v_mov_b32_e32 v0, 0
	s_waitcnt lgkmcnt(0)
	ds_store_b32 v0, v26
.LBB163_24:
	s_or_b32 exec_lo, exec_lo, s12
	s_waitcnt lgkmcnt(0)
	v_mov_b32_e32 v26, 0
	s_barrier
	buffer_gl0_inv
	v_lshlrev_b32_e32 v0, 16, v25
	ds_load_b32 v27, v26
	s_waitcnt lgkmcnt(0)
	v_sub_f32_e32 v0, v0, v27
	s_and_saveexec_b32 s13, vcc_lo
	s_cbranch_execz .LBB163_26
; %bb.25:
	s_delay_alu instid0(VALU_DEP_1) | instskip(SKIP_1) | instid1(VALU_DEP_2)
	v_mul_f32_e32 v25, 0x3fb8aa3b, v0
	v_cmp_ngt_f32_e64 s12, 0xc2ce8ed0, v0
	v_fma_f32 v26, 0x3fb8aa3b, v0, -v25
	v_rndne_f32_e32 v28, v25
	s_delay_alu instid0(VALU_DEP_1) | instskip(NEXT) | instid1(VALU_DEP_1)
	v_dual_fmamk_f32 v26, v0, 0x32a5705f, v26 :: v_dual_sub_f32 v25, v25, v28
	v_add_f32_e32 v25, v25, v26
	v_cvt_i32_f32_e32 v26, v28
	s_delay_alu instid0(VALU_DEP_2) | instskip(SKIP_2) | instid1(VALU_DEP_1)
	v_exp_f32_e32 v25, v25
	s_waitcnt_depctr 0xfff
	v_ldexp_f32 v25, v25, v26
	v_cndmask_b32_e64 v25, 0, v25, s12
	v_cmp_nlt_f32_e64 s12, 0x42b17218, v0
	s_delay_alu instid0(VALU_DEP_1)
	v_cndmask_b32_e64 v26, 0x7f800000, v25, s12
.LBB163_26:
	s_or_b32 exec_lo, exec_lo, s13
	v_lshlrev_b32_e32 v23, 16, v23
	s_delay_alu instid0(VALU_DEP_1)
	v_sub_f32_e32 v23, v23, v27
	s_and_saveexec_b32 s13, s0
	s_cbranch_execz .LBB163_28
; %bb.27:
	s_delay_alu instid0(VALU_DEP_1) | instskip(SKIP_1) | instid1(VALU_DEP_2)
	v_mul_f32_e32 v25, 0x3fb8aa3b, v23
	v_cmp_ngt_f32_e64 s12, 0xc2ce8ed0, v23
	v_fma_f32 v28, 0x3fb8aa3b, v23, -v25
	v_rndne_f32_e32 v29, v25
	s_delay_alu instid0(VALU_DEP_1) | instskip(NEXT) | instid1(VALU_DEP_1)
	v_dual_fmamk_f32 v28, v23, 0x32a5705f, v28 :: v_dual_sub_f32 v25, v25, v29
	v_add_f32_e32 v25, v25, v28
	v_cvt_i32_f32_e32 v28, v29
	s_delay_alu instid0(VALU_DEP_2) | instskip(SKIP_2) | instid1(VALU_DEP_1)
	v_exp_f32_e32 v25, v25
	s_waitcnt_depctr 0xfff
	v_ldexp_f32 v25, v25, v28
	v_cndmask_b32_e64 v25, 0, v25, s12
	v_cmp_nlt_f32_e64 s12, 0x42b17218, v23
	s_delay_alu instid0(VALU_DEP_1) | instskip(NEXT) | instid1(VALU_DEP_1)
	v_cndmask_b32_e64 v25, 0x7f800000, v25, s12
	v_add_f32_e32 v26, v26, v25
.LBB163_28:
	s_or_b32 exec_lo, exec_lo, s13
	v_lshlrev_b32_e32 v22, 16, v22
	s_delay_alu instid0(VALU_DEP_1)
	v_sub_f32_e32 v22, v22, v27
	s_and_saveexec_b32 s13, s1
	s_cbranch_execz .LBB163_30
; %bb.29:
	s_delay_alu instid0(VALU_DEP_1) | instskip(SKIP_1) | instid1(VALU_DEP_2)
	v_mul_f32_e32 v25, 0x3fb8aa3b, v22
	v_cmp_ngt_f32_e64 s12, 0xc2ce8ed0, v22
	v_fma_f32 v28, 0x3fb8aa3b, v22, -v25
	v_rndne_f32_e32 v29, v25
	s_delay_alu instid0(VALU_DEP_1) | instskip(NEXT) | instid1(VALU_DEP_1)
	v_dual_fmamk_f32 v28, v22, 0x32a5705f, v28 :: v_dual_sub_f32 v25, v25, v29
	v_add_f32_e32 v25, v25, v28
	v_cvt_i32_f32_e32 v28, v29
	s_delay_alu instid0(VALU_DEP_2) | instskip(SKIP_2) | instid1(VALU_DEP_1)
	v_exp_f32_e32 v25, v25
	s_waitcnt_depctr 0xfff
	v_ldexp_f32 v25, v25, v28
	v_cndmask_b32_e64 v25, 0, v25, s12
	v_cmp_nlt_f32_e64 s12, 0x42b17218, v22
	s_delay_alu instid0(VALU_DEP_1) | instskip(NEXT) | instid1(VALU_DEP_1)
	v_cndmask_b32_e64 v25, 0x7f800000, v25, s12
	v_add_f32_e32 v26, v26, v25
.LBB163_30:
	;; [unrolled: 26-line block ×5, first 2 shown]
	s_or_b32 exec_lo, exec_lo, s13
	v_lshlrev_b32_e32 v17, 16, v17
	s_delay_alu instid0(VALU_DEP_1)
	v_sub_f32_e32 v17, v17, v27
	s_and_saveexec_b32 s13, s5
	s_cbranch_execz .LBB163_38
; %bb.37:
	s_delay_alu instid0(VALU_DEP_1) | instskip(SKIP_1) | instid1(VALU_DEP_2)
	v_mul_f32_e32 v25, 0x3fb8aa3b, v17
	v_cmp_ngt_f32_e64 s12, 0xc2ce8ed0, v17
	v_fma_f32 v28, 0x3fb8aa3b, v17, -v25
	v_rndne_f32_e32 v29, v25
	s_delay_alu instid0(VALU_DEP_2) | instskip(NEXT) | instid1(VALU_DEP_2)
	v_fmamk_f32 v28, v17, 0x32a5705f, v28
	v_sub_f32_e32 v25, v25, v29
	s_delay_alu instid0(VALU_DEP_1) | instskip(SKIP_1) | instid1(VALU_DEP_2)
	v_add_f32_e32 v25, v25, v28
	v_cvt_i32_f32_e32 v28, v29
	v_exp_f32_e32 v25, v25
	s_waitcnt_depctr 0xfff
	v_ldexp_f32 v25, v25, v28
	s_delay_alu instid0(VALU_DEP_1) | instskip(SKIP_1) | instid1(VALU_DEP_1)
	v_cndmask_b32_e64 v25, 0, v25, s12
	v_cmp_nlt_f32_e64 s12, 0x42b17218, v17
	v_cndmask_b32_e64 v25, 0x7f800000, v25, s12
	s_delay_alu instid0(VALU_DEP_1)
	v_add_f32_e32 v26, v26, v25
.LBB163_38:
	s_or_b32 exec_lo, exec_lo, s13
	v_lshlrev_b32_e32 v16, 16, v16
	s_delay_alu instid0(VALU_DEP_1)
	v_sub_f32_e32 v16, v16, v27
	s_and_saveexec_b32 s13, s6
	s_cbranch_execz .LBB163_40
; %bb.39:
	s_delay_alu instid0(VALU_DEP_1) | instskip(SKIP_1) | instid1(VALU_DEP_2)
	v_mul_f32_e32 v25, 0x3fb8aa3b, v16
	v_cmp_ngt_f32_e64 s12, 0xc2ce8ed0, v16
	v_fma_f32 v28, 0x3fb8aa3b, v16, -v25
	v_rndne_f32_e32 v29, v25
	s_delay_alu instid0(VALU_DEP_1) | instskip(NEXT) | instid1(VALU_DEP_1)
	v_dual_fmamk_f32 v28, v16, 0x32a5705f, v28 :: v_dual_sub_f32 v25, v25, v29
	v_add_f32_e32 v25, v25, v28
	v_cvt_i32_f32_e32 v28, v29
	s_delay_alu instid0(VALU_DEP_2) | instskip(SKIP_2) | instid1(VALU_DEP_1)
	v_exp_f32_e32 v25, v25
	s_waitcnt_depctr 0xfff
	v_ldexp_f32 v25, v25, v28
	v_cndmask_b32_e64 v25, 0, v25, s12
	v_cmp_nlt_f32_e64 s12, 0x42b17218, v16
	s_delay_alu instid0(VALU_DEP_1) | instskip(NEXT) | instid1(VALU_DEP_1)
	v_cndmask_b32_e64 v25, 0x7f800000, v25, s12
	v_add_f32_e32 v26, v26, v25
.LBB163_40:
	s_or_b32 exec_lo, exec_lo, s13
	v_lshlrev_b32_e32 v15, 16, v15
	s_delay_alu instid0(VALU_DEP_1)
	v_sub_f32_e32 v15, v15, v27
	s_and_saveexec_b32 s13, s7
	s_cbranch_execz .LBB163_42
; %bb.41:
	s_delay_alu instid0(VALU_DEP_1) | instskip(SKIP_1) | instid1(VALU_DEP_2)
	v_mul_f32_e32 v25, 0x3fb8aa3b, v15
	v_cmp_ngt_f32_e64 s12, 0xc2ce8ed0, v15
	v_fma_f32 v27, 0x3fb8aa3b, v15, -v25
	v_rndne_f32_e32 v28, v25
	s_delay_alu instid0(VALU_DEP_2) | instskip(NEXT) | instid1(VALU_DEP_2)
	v_fmamk_f32 v27, v15, 0x32a5705f, v27
	v_sub_f32_e32 v25, v25, v28
	s_delay_alu instid0(VALU_DEP_1) | instskip(SKIP_1) | instid1(VALU_DEP_2)
	v_add_f32_e32 v25, v25, v27
	v_cvt_i32_f32_e32 v27, v28
	v_exp_f32_e32 v25, v25
	s_waitcnt_depctr 0xfff
	v_ldexp_f32 v25, v25, v27
	s_delay_alu instid0(VALU_DEP_1) | instskip(SKIP_1) | instid1(VALU_DEP_1)
	v_cndmask_b32_e64 v25, 0, v25, s12
	v_cmp_nlt_f32_e64 s12, 0x42b17218, v15
	v_cndmask_b32_e64 v25, 0x7f800000, v25, s12
	s_delay_alu instid0(VALU_DEP_1)
	v_add_f32_e32 v26, v26, v25
.LBB163_42:
	s_or_b32 exec_lo, exec_lo, s13
	ds_bpermute_b32 v25, v10, v26
	s_waitcnt lgkmcnt(0)
	s_barrier
	buffer_gl0_inv
	v_add_f32_e32 v25, v26, v25
	ds_bpermute_b32 v26, v11, v25
	s_waitcnt lgkmcnt(0)
	v_add_f32_e32 v25, v25, v26
	ds_bpermute_b32 v26, v12, v25
	s_waitcnt lgkmcnt(0)
	;; [unrolled: 3-line block ×3, first 2 shown]
	v_add_f32_e32 v25, v25, v26
	ds_bpermute_b32 v26, v14, v25
	s_and_saveexec_b32 s12, s8
	s_delay_alu instid0(SALU_CYCLE_1)
	s_xor_b32 s8, exec_lo, s12
	s_cbranch_execz .LBB163_44
; %bb.43:
	v_add_nc_u32_e32 v21, 0, v21
	s_waitcnt lgkmcnt(0)
	v_add_f32_e32 v25, v25, v26
	ds_store_b32 v21, v25
.LBB163_44:
	s_or_b32 exec_lo, exec_lo, s8
	v_mov_b32_e32 v21, 0
	s_waitcnt lgkmcnt(0)
	s_barrier
	buffer_gl0_inv
	s_and_saveexec_b32 s8, s9
	s_cbranch_execnz .LBB163_60
; %bb.45:
	s_or_b32 exec_lo, exec_lo, s8
	s_and_saveexec_b32 s8, s10
	s_cbranch_execnz .LBB163_61
.LBB163_46:
	s_or_b32 exec_lo, exec_lo, s8
	s_and_saveexec_b32 s8, s11
	s_cbranch_execz .LBB163_48
.LBB163_47:
	v_mov_b32_e32 v10, 0
	s_waitcnt lgkmcnt(0)
	ds_store_b32 v10, v21
.LBB163_48:
	s_or_b32 exec_lo, exec_lo, s8
	v_mov_b32_e32 v10, 0
	s_waitcnt lgkmcnt(0)
	s_barrier
	buffer_gl0_inv
	ds_load_b32 v10, v10
	s_waitcnt lgkmcnt(0)
	v_cmp_gt_f32_e64 s8, 0x800000, v10
	s_delay_alu instid0(VALU_DEP_1) | instskip(NEXT) | instid1(VALU_DEP_1)
	v_cndmask_b32_e64 v11, 1.0, 0x4f800000, s8
	v_mul_f32_e32 v10, v10, v11
	s_delay_alu instid0(VALU_DEP_1) | instskip(SKIP_3) | instid1(VALU_DEP_2)
	v_log_f32_e32 v10, v10
	s_waitcnt_depctr 0xfff
	v_mul_f32_e32 v11, 0x3f317217, v10
	v_cmp_gt_f32_e64 s9, 0x7f800000, |v10|
	v_fma_f32 v12, 0x3f317217, v10, -v11
	s_delay_alu instid0(VALU_DEP_1) | instskip(NEXT) | instid1(VALU_DEP_1)
	v_fmamk_f32 v12, v10, 0x3377d1cf, v12
	v_add_f32_e32 v11, v11, v12
	s_delay_alu instid0(VALU_DEP_1) | instskip(SKIP_3) | instid1(VALU_DEP_1)
	v_cndmask_b32_e64 v10, v10, v11, s9
	v_cndmask_b32_e64 v11, 0, 0x41b17218, s8
	s_add_u32 s8, s16, s14
	s_addc_u32 s9, s17, s15
	v_sub_f32_e32 v10, v10, v11
	s_and_saveexec_b32 s10, vcc_lo
	s_cbranch_execnz .LBB163_62
; %bb.49:
	s_or_b32 exec_lo, exec_lo, s10
	s_and_saveexec_b32 s10, s0
	s_cbranch_execnz .LBB163_63
.LBB163_50:
	s_or_b32 exec_lo, exec_lo, s10
	s_and_saveexec_b32 s0, s1
	s_cbranch_execnz .LBB163_64
.LBB163_51:
	s_or_b32 exec_lo, exec_lo, s0
	s_and_saveexec_b32 s0, s2
	s_cbranch_execnz .LBB163_65
.LBB163_52:
	s_or_b32 exec_lo, exec_lo, s0
	s_and_saveexec_b32 s0, s3
	s_cbranch_execnz .LBB163_66
.LBB163_53:
	s_or_b32 exec_lo, exec_lo, s0
	s_and_saveexec_b32 s0, s4
	s_cbranch_execnz .LBB163_67
.LBB163_54:
	s_or_b32 exec_lo, exec_lo, s0
	s_and_saveexec_b32 s0, s5
	s_cbranch_execnz .LBB163_68
.LBB163_55:
	s_or_b32 exec_lo, exec_lo, s0
	s_and_saveexec_b32 s0, s6
	s_cbranch_execnz .LBB163_69
.LBB163_56:
	s_or_b32 exec_lo, exec_lo, s0
	s_and_saveexec_b32 s0, s7
	s_cbranch_execnz .LBB163_70
.LBB163_57:
	s_nop 0
	s_sendmsg sendmsg(MSG_DEALLOC_VGPRS)
	s_endpgm
.LBB163_58:
	ds_load_b32 v26, v24
	s_or_b32 exec_lo, exec_lo, s10
	v_cmp_gt_u32_e64 s10, 32, v0
	s_delay_alu instid0(VALU_DEP_1)
	s_and_saveexec_b32 s12, s10
	s_cbranch_execz .LBB163_22
.LBB163_59:
	s_waitcnt lgkmcnt(0)
	ds_bpermute_b32 v27, v10, v26
	s_waitcnt lgkmcnt(0)
	v_cmp_lt_f32_e64 s11, v26, v27
	s_delay_alu instid0(VALU_DEP_1) | instskip(SKIP_3) | instid1(VALU_DEP_1)
	v_cndmask_b32_e64 v26, v26, v27, s11
	ds_bpermute_b32 v27, v11, v26
	s_waitcnt lgkmcnt(0)
	v_cmp_lt_f32_e64 s11, v26, v27
	v_cndmask_b32_e64 v26, v26, v27, s11
	ds_bpermute_b32 v27, v12, v26
	s_waitcnt lgkmcnt(0)
	v_cmp_lt_f32_e64 s11, v26, v27
	s_delay_alu instid0(VALU_DEP_1) | instskip(SKIP_3) | instid1(VALU_DEP_1)
	v_cndmask_b32_e64 v26, v26, v27, s11
	ds_bpermute_b32 v27, v13, v26
	s_waitcnt lgkmcnt(0)
	v_cmp_lt_f32_e64 s11, v26, v27
	v_cndmask_b32_e64 v26, v26, v27, s11
	ds_bpermute_b32 v27, v14, v26
	s_waitcnt lgkmcnt(0)
	v_cmp_lt_f32_e64 s11, v26, v27
	s_delay_alu instid0(VALU_DEP_1) | instskip(SKIP_2) | instid1(VALU_DEP_1)
	v_cndmask_b32_e64 v26, v26, v27, s11
	s_or_b32 exec_lo, exec_lo, s12
	v_cmp_eq_u32_e64 s11, 0, v0
	s_and_saveexec_b32 s12, s11
	s_cbranch_execnz .LBB163_23
	s_branch .LBB163_24
.LBB163_60:
	ds_load_b32 v21, v24
	s_or_b32 exec_lo, exec_lo, s8
	s_and_saveexec_b32 s8, s10
	s_cbranch_execz .LBB163_46
.LBB163_61:
	s_waitcnt lgkmcnt(0)
	ds_bpermute_b32 v10, v10, v21
	s_waitcnt lgkmcnt(0)
	v_add_f32_e32 v10, v21, v10
	ds_bpermute_b32 v11, v11, v10
	s_waitcnt lgkmcnt(0)
	v_add_f32_e32 v10, v10, v11
	;; [unrolled: 3-line block ×5, first 2 shown]
	s_or_b32 exec_lo, exec_lo, s8
	s_and_saveexec_b32 s8, s11
	s_cbranch_execnz .LBB163_47
	s_branch .LBB163_48
.LBB163_62:
	s_delay_alu instid0(VALU_DEP_1) | instskip(NEXT) | instid1(VALU_DEP_1)
	v_sub_f32_e32 v0, v0, v10
	v_bfe_u32 v11, v0, 16, 1
	v_cmp_o_f32_e32 vcc_lo, v0, v0
	s_delay_alu instid0(VALU_DEP_2) | instskip(NEXT) | instid1(VALU_DEP_1)
	v_add3_u32 v11, v0, v11, 0x7fff
	v_lshrrev_b32_e32 v11, 16, v11
	s_delay_alu instid0(VALU_DEP_1)
	v_cndmask_b32_e32 v0, 0x7fc0, v11, vcc_lo
	global_store_b16 v3, v0, s[8:9]
	s_or_b32 exec_lo, exec_lo, s10
	s_and_saveexec_b32 s10, s0
	s_cbranch_execz .LBB163_50
.LBB163_63:
	v_sub_f32_e32 v0, v23, v10
	s_delay_alu instid0(VALU_DEP_1) | instskip(SKIP_1) | instid1(VALU_DEP_2)
	v_bfe_u32 v3, v0, 16, 1
	v_cmp_o_f32_e32 vcc_lo, v0, v0
	v_add3_u32 v3, v0, v3, 0x7fff
	s_delay_alu instid0(VALU_DEP_1) | instskip(NEXT) | instid1(VALU_DEP_1)
	v_lshrrev_b32_e32 v3, 16, v3
	v_cndmask_b32_e32 v0, 0x7fc0, v3, vcc_lo
	global_store_b16 v4, v0, s[8:9]
	s_or_b32 exec_lo, exec_lo, s10
	s_and_saveexec_b32 s0, s1
	s_cbranch_execz .LBB163_51
.LBB163_64:
	v_sub_f32_e32 v0, v22, v10
	s_delay_alu instid0(VALU_DEP_1) | instskip(SKIP_1) | instid1(VALU_DEP_2)
	v_bfe_u32 v3, v0, 16, 1
	v_cmp_o_f32_e32 vcc_lo, v0, v0
	v_add3_u32 v3, v0, v3, 0x7fff
	s_delay_alu instid0(VALU_DEP_1) | instskip(NEXT) | instid1(VALU_DEP_1)
	v_lshrrev_b32_e32 v3, 16, v3
	v_cndmask_b32_e32 v0, 0x7fc0, v3, vcc_lo
	global_store_b16 v5, v0, s[8:9]
	s_or_b32 exec_lo, exec_lo, s0
	s_and_saveexec_b32 s0, s2
	s_cbranch_execz .LBB163_52
.LBB163_65:
	v_sub_f32_e32 v0, v20, v10
	s_delay_alu instid0(VALU_DEP_1) | instskip(SKIP_1) | instid1(VALU_DEP_2)
	v_bfe_u32 v3, v0, 16, 1
	v_cmp_o_f32_e32 vcc_lo, v0, v0
	v_add3_u32 v3, v0, v3, 0x7fff
	s_delay_alu instid0(VALU_DEP_1) | instskip(NEXT) | instid1(VALU_DEP_1)
	v_lshrrev_b32_e32 v3, 16, v3
	v_cndmask_b32_e32 v0, 0x7fc0, v3, vcc_lo
	global_store_b16 v6, v0, s[8:9]
	s_or_b32 exec_lo, exec_lo, s0
	s_and_saveexec_b32 s0, s3
	s_cbranch_execz .LBB163_53
.LBB163_66:
	v_sub_f32_e32 v0, v19, v10
	s_delay_alu instid0(VALU_DEP_1) | instskip(SKIP_1) | instid1(VALU_DEP_2)
	v_bfe_u32 v3, v0, 16, 1
	v_cmp_o_f32_e32 vcc_lo, v0, v0
	v_add3_u32 v3, v0, v3, 0x7fff
	s_delay_alu instid0(VALU_DEP_1) | instskip(NEXT) | instid1(VALU_DEP_1)
	v_lshrrev_b32_e32 v3, 16, v3
	v_cndmask_b32_e32 v0, 0x7fc0, v3, vcc_lo
	global_store_b16 v7, v0, s[8:9]
	s_or_b32 exec_lo, exec_lo, s0
	s_and_saveexec_b32 s0, s4
	s_cbranch_execz .LBB163_54
.LBB163_67:
	v_sub_f32_e32 v0, v18, v10
	s_delay_alu instid0(VALU_DEP_1) | instskip(SKIP_1) | instid1(VALU_DEP_2)
	v_bfe_u32 v3, v0, 16, 1
	v_cmp_o_f32_e32 vcc_lo, v0, v0
	v_add3_u32 v3, v0, v3, 0x7fff
	s_delay_alu instid0(VALU_DEP_1) | instskip(NEXT) | instid1(VALU_DEP_1)
	v_lshrrev_b32_e32 v3, 16, v3
	v_cndmask_b32_e32 v0, 0x7fc0, v3, vcc_lo
	global_store_b16 v8, v0, s[8:9]
	s_or_b32 exec_lo, exec_lo, s0
	s_and_saveexec_b32 s0, s5
	s_cbranch_execz .LBB163_55
.LBB163_68:
	v_sub_f32_e32 v0, v17, v10
	s_delay_alu instid0(VALU_DEP_1) | instskip(SKIP_1) | instid1(VALU_DEP_2)
	v_bfe_u32 v3, v0, 16, 1
	v_cmp_o_f32_e32 vcc_lo, v0, v0
	v_add3_u32 v3, v0, v3, 0x7fff
	s_delay_alu instid0(VALU_DEP_1) | instskip(NEXT) | instid1(VALU_DEP_1)
	v_lshrrev_b32_e32 v3, 16, v3
	v_cndmask_b32_e32 v0, 0x7fc0, v3, vcc_lo
	global_store_b16 v9, v0, s[8:9]
	s_or_b32 exec_lo, exec_lo, s0
	s_and_saveexec_b32 s0, s6
	s_cbranch_execz .LBB163_56
.LBB163_69:
	v_sub_f32_e32 v0, v16, v10
	s_delay_alu instid0(VALU_DEP_1) | instskip(SKIP_1) | instid1(VALU_DEP_2)
	v_bfe_u32 v3, v0, 16, 1
	v_cmp_o_f32_e32 vcc_lo, v0, v0
	v_add3_u32 v3, v0, v3, 0x7fff
	s_delay_alu instid0(VALU_DEP_1) | instskip(NEXT) | instid1(VALU_DEP_1)
	v_lshrrev_b32_e32 v3, 16, v3
	v_cndmask_b32_e32 v0, 0x7fc0, v3, vcc_lo
	global_store_b16 v2, v0, s[8:9]
	s_or_b32 exec_lo, exec_lo, s0
	s_and_saveexec_b32 s0, s7
	s_cbranch_execz .LBB163_57
.LBB163_70:
	v_sub_f32_e32 v0, v15, v10
	s_delay_alu instid0(VALU_DEP_1) | instskip(SKIP_1) | instid1(VALU_DEP_2)
	v_bfe_u32 v2, v0, 16, 1
	v_cmp_o_f32_e32 vcc_lo, v0, v0
	v_add3_u32 v2, v0, v2, 0x7fff
	s_delay_alu instid0(VALU_DEP_1) | instskip(NEXT) | instid1(VALU_DEP_1)
	v_lshrrev_b32_e32 v2, 16, v2
	v_cndmask_b32_e32 v0, 0x7fc0, v2, vcc_lo
	global_store_b16 v1, v0, s[8:9]
	s_nop 0
	s_sendmsg sendmsg(MSG_DEALLOC_VGPRS)
	s_endpgm
	.section	.rodata,"a",@progbits
	.p2align	6, 0x0
	.amdhsa_kernel _ZN2at6native12_GLOBAL__N_122cunn_SoftMaxForwardRegIN3c108BFloat16EfS4_NS1_25LogSoftMaxForwardEpilogueElLi9EEEvPT1_PKT_T3_
		.amdhsa_group_segment_fixed_size 0
		.amdhsa_private_segment_fixed_size 0
		.amdhsa_kernarg_size 280
		.amdhsa_user_sgpr_count 15
		.amdhsa_user_sgpr_dispatch_ptr 0
		.amdhsa_user_sgpr_queue_ptr 0
		.amdhsa_user_sgpr_kernarg_segment_ptr 1
		.amdhsa_user_sgpr_dispatch_id 0
		.amdhsa_user_sgpr_private_segment_size 0
		.amdhsa_wavefront_size32 1
		.amdhsa_uses_dynamic_stack 0
		.amdhsa_enable_private_segment 0
		.amdhsa_system_sgpr_workgroup_id_x 1
		.amdhsa_system_sgpr_workgroup_id_y 0
		.amdhsa_system_sgpr_workgroup_id_z 0
		.amdhsa_system_sgpr_workgroup_info 0
		.amdhsa_system_vgpr_workitem_id 0
		.amdhsa_next_free_vgpr 30
		.amdhsa_next_free_sgpr 20
		.amdhsa_reserve_vcc 1
		.amdhsa_float_round_mode_32 0
		.amdhsa_float_round_mode_16_64 0
		.amdhsa_float_denorm_mode_32 3
		.amdhsa_float_denorm_mode_16_64 3
		.amdhsa_dx10_clamp 1
		.amdhsa_ieee_mode 1
		.amdhsa_fp16_overflow 0
		.amdhsa_workgroup_processor_mode 1
		.amdhsa_memory_ordered 1
		.amdhsa_forward_progress 0
		.amdhsa_shared_vgpr_count 0
		.amdhsa_exception_fp_ieee_invalid_op 0
		.amdhsa_exception_fp_denorm_src 0
		.amdhsa_exception_fp_ieee_div_zero 0
		.amdhsa_exception_fp_ieee_overflow 0
		.amdhsa_exception_fp_ieee_underflow 0
		.amdhsa_exception_fp_ieee_inexact 0
		.amdhsa_exception_int_div_zero 0
	.end_amdhsa_kernel
	.section	.text._ZN2at6native12_GLOBAL__N_122cunn_SoftMaxForwardRegIN3c108BFloat16EfS4_NS1_25LogSoftMaxForwardEpilogueElLi9EEEvPT1_PKT_T3_,"axG",@progbits,_ZN2at6native12_GLOBAL__N_122cunn_SoftMaxForwardRegIN3c108BFloat16EfS4_NS1_25LogSoftMaxForwardEpilogueElLi9EEEvPT1_PKT_T3_,comdat
.Lfunc_end163:
	.size	_ZN2at6native12_GLOBAL__N_122cunn_SoftMaxForwardRegIN3c108BFloat16EfS4_NS1_25LogSoftMaxForwardEpilogueElLi9EEEvPT1_PKT_T3_, .Lfunc_end163-_ZN2at6native12_GLOBAL__N_122cunn_SoftMaxForwardRegIN3c108BFloat16EfS4_NS1_25LogSoftMaxForwardEpilogueElLi9EEEvPT1_PKT_T3_
                                        ; -- End function
	.section	.AMDGPU.csdata,"",@progbits
; Kernel info:
; codeLenInByte = 3968
; NumSgprs: 22
; NumVgprs: 30
; ScratchSize: 0
; MemoryBound: 0
; FloatMode: 240
; IeeeMode: 1
; LDSByteSize: 0 bytes/workgroup (compile time only)
; SGPRBlocks: 2
; VGPRBlocks: 3
; NumSGPRsForWavesPerEU: 22
; NumVGPRsForWavesPerEU: 30
; Occupancy: 16
; WaveLimiterHint : 0
; COMPUTE_PGM_RSRC2:SCRATCH_EN: 0
; COMPUTE_PGM_RSRC2:USER_SGPR: 15
; COMPUTE_PGM_RSRC2:TRAP_HANDLER: 0
; COMPUTE_PGM_RSRC2:TGID_X_EN: 1
; COMPUTE_PGM_RSRC2:TGID_Y_EN: 0
; COMPUTE_PGM_RSRC2:TGID_Z_EN: 0
; COMPUTE_PGM_RSRC2:TIDIG_COMP_CNT: 0
	.section	.text._ZN2at6native12_GLOBAL__N_123cunn_SoftMaxForwardSmemILi8EN3c108BFloat16EfS4_NS1_25LogSoftMaxForwardEpilogueElEEvPT2_PKT0_T4_,"axG",@progbits,_ZN2at6native12_GLOBAL__N_123cunn_SoftMaxForwardSmemILi8EN3c108BFloat16EfS4_NS1_25LogSoftMaxForwardEpilogueElEEvPT2_PKT0_T4_,comdat
	.globl	_ZN2at6native12_GLOBAL__N_123cunn_SoftMaxForwardSmemILi8EN3c108BFloat16EfS4_NS1_25LogSoftMaxForwardEpilogueElEEvPT2_PKT0_T4_ ; -- Begin function _ZN2at6native12_GLOBAL__N_123cunn_SoftMaxForwardSmemILi8EN3c108BFloat16EfS4_NS1_25LogSoftMaxForwardEpilogueElEEvPT2_PKT0_T4_
	.p2align	8
	.type	_ZN2at6native12_GLOBAL__N_123cunn_SoftMaxForwardSmemILi8EN3c108BFloat16EfS4_NS1_25LogSoftMaxForwardEpilogueElEEvPT2_PKT0_T4_,@function
_ZN2at6native12_GLOBAL__N_123cunn_SoftMaxForwardSmemILi8EN3c108BFloat16EfS4_NS1_25LogSoftMaxForwardEpilogueElEEvPT2_PKT0_T4_: ; @_ZN2at6native12_GLOBAL__N_123cunn_SoftMaxForwardSmemILi8EN3c108BFloat16EfS4_NS1_25LogSoftMaxForwardEpilogueElEEvPT2_PKT0_T4_
; %bb.0:
	s_clause 0x1
	s_load_b64 s[12:13], s[0:1], 0x10
	s_load_b128 s[8:11], s[0:1], 0x0
	v_dual_mov_b32 v1, 0 :: v_dual_lshlrev_b32 v2, 3, v0
	v_lshlrev_b32_e32 v6, 4, v0
	s_mov_b32 s4, 0
	s_delay_alu instid0(VALU_DEP_2) | instskip(SKIP_1) | instid1(VALU_DEP_1)
	v_dual_mov_b32 v8, 0xff7fffff :: v_dual_mov_b32 v3, v1
	s_waitcnt lgkmcnt(0)
	v_cmp_gt_i64_e32 vcc_lo, s[12:13], v[2:3]
	s_mul_i32 s5, s13, s15
	s_mul_hi_u32 s14, s12, s15
	s_mul_i32 s6, s12, s15
	s_and_saveexec_b32 s15, vcc_lo
	s_cbranch_execz .LBB164_4
; %bb.1:
	s_load_b32 s2, s[0:1], 0x24
	s_add_i32 s7, s14, s5
	v_dual_mov_b32 v8, 0xff7fffff :: v_dual_add_nc_u32 v7, 0, v6
	v_dual_mov_b32 v5, v1 :: v_dual_mov_b32 v4, v0
	s_waitcnt lgkmcnt(0)
	s_and_b32 s16, s2, 0xffff
	s_lshl_b64 s[2:3], s[6:7], 1
	s_lshl_b32 s7, s16, 4
	s_add_u32 s2, s10, s2
	s_addc_u32 s3, s11, s3
	v_add_co_u32 v2, s2, s2, v6
	s_delay_alu instid0(VALU_DEP_1) | instskip(NEXT) | instid1(VALU_DEP_2)
	v_add_co_ci_u32_e64 v3, null, s3, 0, s2
	v_add_co_u32 v2, s2, v2, 8
	s_delay_alu instid0(VALU_DEP_1)
	v_add_co_ci_u32_e64 v3, s2, 0, v3, s2
	s_set_inst_prefetch_distance 0x1
	.p2align	6
.LBB164_2:                              ; =>This Inner Loop Header: Depth=1
	global_load_b128 v[9:12], v[2:3], off offset:-8
	v_add_co_u32 v4, s2, v4, s16
	s_delay_alu instid0(VALU_DEP_1) | instskip(SKIP_1) | instid1(VALU_DEP_1)
	v_add_co_ci_u32_e64 v5, s2, 0, v5, s2
	v_add_co_u32 v2, s2, v2, s7
	v_add_co_ci_u32_e64 v3, s2, 0, v3, s2
	s_waitcnt vmcnt(0)
	v_lshlrev_b32_e32 v13, 16, v9
	v_and_b32_e32 v14, 0xffff0000, v9
	v_lshlrev_b32_e32 v15, 16, v10
	v_and_b32_e32 v16, 0xffff0000, v10
	;; [unrolled: 2-line block ×3, first 2 shown]
	v_max3_f32 v8, v8, v13, v14
	v_lshlrev_b64 v[13:14], 3, v[4:5]
	ds_store_b128 v7, v[9:12]
	v_add_nc_u32_e32 v7, s7, v7
	v_max3_f32 v8, v8, v15, v16
	v_cmp_le_i64_e64 s3, s[12:13], v[13:14]
	v_lshlrev_b32_e32 v13, 16, v12
	v_and_b32_e32 v14, 0xffff0000, v12
	s_delay_alu instid0(VALU_DEP_4) | instskip(NEXT) | instid1(VALU_DEP_4)
	v_max3_f32 v8, v8, v17, v18
	s_or_b32 s4, s3, s4
	s_delay_alu instid0(VALU_DEP_1)
	v_max3_f32 v8, v8, v13, v14
	s_and_not1_b32 exec_lo, exec_lo, s4
	s_cbranch_execnz .LBB164_2
; %bb.3:
	s_set_inst_prefetch_distance 0x2
	s_or_b32 exec_lo, exec_lo, s4
.LBB164_4:
	s_delay_alu instid0(SALU_CYCLE_1)
	s_or_b32 exec_lo, exec_lo, s15
	v_mbcnt_lo_u32_b32 v2, -1, 0
	v_lshrrev_b32_e32 v11, 3, v0
	s_lshl_b32 s3, s12, 1
	s_waitcnt lgkmcnt(0)
	s_add_i32 s7, s3, 0
	v_cmp_gt_u32_e64 s2, 16, v2
	s_barrier
	buffer_gl0_inv
	v_cndmask_b32_e64 v3, 0, 1, s2
	v_cmp_gt_u32_e64 s2, 24, v2
	s_delay_alu instid0(VALU_DEP_2) | instskip(NEXT) | instid1(VALU_DEP_2)
	v_lshlrev_b32_e32 v3, 4, v3
	v_cndmask_b32_e64 v4, 0, 1, s2
	s_delay_alu instid0(VALU_DEP_2) | instskip(NEXT) | instid1(VALU_DEP_2)
	v_add_lshl_u32 v5, v3, v2, 2
	v_lshlrev_b32_e32 v4, 3, v4
	ds_bpermute_b32 v3, v5, v8
	v_add_lshl_u32 v7, v4, v2, 2
	s_waitcnt lgkmcnt(0)
	v_cmp_lt_f32_e64 s2, v8, v3
	s_delay_alu instid0(VALU_DEP_1) | instskip(SKIP_3) | instid1(VALU_DEP_1)
	v_cndmask_b32_e64 v3, v8, v3, s2
	v_cmp_gt_u32_e64 s2, 28, v2
	ds_bpermute_b32 v4, v7, v3
	v_cndmask_b32_e64 v8, 0, 1, s2
	v_lshlrev_b32_e32 v8, 2, v8
	s_delay_alu instid0(VALU_DEP_1) | instskip(SKIP_2) | instid1(VALU_DEP_1)
	v_add_lshl_u32 v8, v8, v2, 2
	s_waitcnt lgkmcnt(0)
	v_cmp_lt_f32_e64 s2, v3, v4
	v_cndmask_b32_e64 v3, v3, v4, s2
	v_cmp_gt_u32_e64 s2, 30, v2
	ds_bpermute_b32 v4, v8, v3
	v_cndmask_b32_e64 v9, 0, 1, s2
	s_delay_alu instid0(VALU_DEP_1) | instskip(NEXT) | instid1(VALU_DEP_1)
	v_lshlrev_b32_e32 v9, 1, v9
	v_add_lshl_u32 v9, v9, v2, 2
	s_waitcnt lgkmcnt(0)
	v_cmp_lt_f32_e64 s2, v3, v4
	s_delay_alu instid0(VALU_DEP_1) | instskip(SKIP_3) | instid1(VALU_DEP_1)
	v_cndmask_b32_e64 v3, v3, v4, s2
	v_cmp_ne_u32_e64 s2, 31, v2
	ds_bpermute_b32 v4, v9, v3
	v_add_co_ci_u32_e64 v10, s2, 0, v2, s2
	v_lshlrev_b32_e32 v10, 2, v10
	s_waitcnt lgkmcnt(0)
	v_cmp_lt_f32_e64 s2, v3, v4
	s_delay_alu instid0(VALU_DEP_1) | instskip(SKIP_3) | instid1(VALU_DEP_1)
	v_cndmask_b32_e64 v2, v3, v4, s2
	v_and_b32_e32 v3, 31, v0
	ds_bpermute_b32 v4, v10, v2
	v_cmp_eq_u32_e64 s2, 0, v3
	s_and_saveexec_b32 s4, s2
	s_cbranch_execz .LBB164_6
; %bb.5:
	s_waitcnt lgkmcnt(0)
	v_cmp_lt_f32_e64 s3, v2, v4
	v_add_nc_u32_e32 v12, s7, v11
	s_delay_alu instid0(VALU_DEP_2)
	v_cndmask_b32_e64 v2, v2, v4, s3
	ds_store_b32 v12, v2
.LBB164_6:
	s_or_b32 exec_lo, exec_lo, s4
	s_waitcnt lgkmcnt(0)
	s_barrier
	buffer_gl0_inv
	s_load_b32 s4, s[0:1], 0x24
	v_mov_b32_e32 v2, 0xff7fffff
	v_lshl_add_u32 v12, v3, 2, s7
	s_waitcnt lgkmcnt(0)
	s_bfe_u32 s0, s4, 0xb0005
	s_delay_alu instid0(SALU_CYCLE_1) | instskip(NEXT) | instid1(VALU_DEP_1)
	v_cmp_gt_u32_e64 s0, s0, v0
	s_and_saveexec_b32 s1, s0
	s_cbranch_execnz .LBB164_24
; %bb.7:
	s_or_b32 exec_lo, exec_lo, s1
	v_cmp_gt_u32_e64 s1, 32, v0
	s_delay_alu instid0(VALU_DEP_1)
	s_and_saveexec_b32 s10, s1
	s_cbranch_execnz .LBB164_25
.LBB164_8:
	s_or_b32 exec_lo, exec_lo, s10
	v_cmp_eq_u32_e64 s3, 0, v0
	s_delay_alu instid0(VALU_DEP_1)
	s_and_saveexec_b32 s10, s3
	s_cbranch_execz .LBB164_10
.LBB164_9:
	v_mov_b32_e32 v3, s7
	s_waitcnt lgkmcnt(0)
	ds_store_b32 v3, v2
.LBB164_10:
	s_or_b32 exec_lo, exec_lo, s10
	s_waitcnt lgkmcnt(0)
	v_mov_b32_e32 v2, s7
	s_barrier
	buffer_gl0_inv
	v_mov_b32_e32 v14, 0
	ds_load_b32 v4, v2
	s_and_b32 s10, s4, 0xffff
	s_and_saveexec_b32 s11, vcc_lo
	s_cbranch_execz .LBB164_14
; %bb.11:
	v_dual_mov_b32 v14, 0 :: v_dual_mov_b32 v3, v1
	v_lshl_add_u32 v13, v0, 4, 0
	v_mov_b32_e32 v2, v0
	s_mov_b32 s15, 0
	s_lshl_b32 s16, s10, 4
.LBB164_12:                             ; =>This Inner Loop Header: Depth=1
	ds_load_b128 v[15:18], v13
	v_add_co_u32 v2, s4, v2, s10
	s_delay_alu instid0(VALU_DEP_1) | instskip(SKIP_1) | instid1(VALU_DEP_2)
	v_add_co_ci_u32_e64 v3, s4, 0, v3, s4
	v_add_nc_u32_e32 v13, s16, v13
	v_lshlrev_b64 v[19:20], 3, v[2:3]
	s_waitcnt lgkmcnt(0)
	v_lshlrev_b32_e32 v22, 16, v16
	s_delay_alu instid0(VALU_DEP_1) | instskip(NEXT) | instid1(VALU_DEP_1)
	v_dual_sub_f32 v22, v22, v4 :: v_dual_lshlrev_b32 v21, 16, v15
	v_dual_sub_f32 v21, v21, v4 :: v_dual_lshlrev_b32 v24, 16, v18
	s_delay_alu instid0(VALU_DEP_1) | instskip(NEXT) | instid1(VALU_DEP_2)
	v_dual_sub_f32 v24, v24, v4 :: v_dual_lshlrev_b32 v23, 16, v17
	v_mul_f32_e32 v25, 0x3fb8aa3b, v21
	v_cmp_ngt_f32_e64 s4, 0xc2ce8ed0, v21
	s_delay_alu instid0(VALU_DEP_2) | instskip(SKIP_2) | instid1(VALU_DEP_3)
	v_rndne_f32_e32 v34, v25
	v_and_b32_e32 v16, 0xffff0000, v16
	v_fma_f32 v33, 0x3fb8aa3b, v21, -v25
	v_sub_f32_e32 v25, v25, v34
	s_delay_alu instid0(VALU_DEP_3) | instskip(SKIP_3) | instid1(VALU_DEP_4)
	v_dual_sub_f32 v16, v16, v4 :: v_dual_and_b32 v15, 0xffff0000, v15
	v_and_b32_e32 v18, 0xffff0000, v18
	v_mul_f32_e32 v27, 0x3fb8aa3b, v22
	v_cvt_i32_f32_e32 v34, v34
	v_sub_f32_e32 v15, v15, v4
	v_mul_f32_e32 v28, 0x3fb8aa3b, v16
	v_sub_f32_e32 v23, v23, v4
	v_dual_sub_f32 v18, v18, v4 :: v_dual_and_b32 v17, 0xffff0000, v17
	s_delay_alu instid0(VALU_DEP_4) | instskip(NEXT) | instid1(VALU_DEP_4)
	v_mul_f32_e32 v26, 0x3fb8aa3b, v15
	v_rndne_f32_e32 v40, v28
	v_fma_f32 v37, 0x3fb8aa3b, v22, -v27
	s_delay_alu instid0(VALU_DEP_4) | instskip(NEXT) | instid1(VALU_DEP_4)
	v_dual_sub_f32 v17, v17, v4 :: v_dual_mul_f32 v32, 0x3fb8aa3b, v18
	v_fma_f32 v35, 0x3fb8aa3b, v15, -v26
	v_rndne_f32_e32 v36, v26
	v_fmac_f32_e32 v33, 0x32a5705f, v21
	s_delay_alu instid0(VALU_DEP_4) | instskip(NEXT) | instid1(VALU_DEP_3)
	v_dual_mul_f32 v29, 0x3fb8aa3b, v23 :: v_dual_mul_f32 v30, 0x3fb8aa3b, v17
	v_dual_fmac_f32 v35, 0x32a5705f, v15 :: v_dual_sub_f32 v26, v26, v36
	s_delay_alu instid0(VALU_DEP_3)
	v_add_f32_e32 v25, v25, v33
	v_rndne_f32_e32 v38, v27
	v_fma_f32 v39, 0x3fb8aa3b, v16, -v28
	v_sub_f32_e32 v28, v28, v40
	v_dual_mul_f32 v31, 0x3fb8aa3b, v24 :: v_dual_add_f32 v26, v26, v35
	v_exp_f32_e32 v25, v25
	v_rndne_f32_e32 v44, v30
	v_fma_f32 v47, 0x3fb8aa3b, v18, -v32
	v_rndne_f32_e32 v48, v32
	v_fmac_f32_e32 v37, 0x32a5705f, v22
	v_sub_f32_e32 v27, v27, v38
	v_exp_f32_e32 v26, v26
	v_fma_f32 v43, 0x3fb8aa3b, v17, -v30
	v_sub_f32_e32 v32, v32, v48
	v_cvt_i32_f32_e32 v36, v36
	v_dual_sub_f32 v30, v30, v44 :: v_dual_fmac_f32 v47, 0x32a5705f, v18
	v_add_f32_e32 v27, v27, v37
	v_ldexp_f32 v25, v25, v34
	v_rndne_f32_e32 v42, v29
	s_delay_alu instid0(VALU_DEP_4) | instskip(SKIP_3) | instid1(VALU_DEP_3)
	v_dual_fmac_f32 v43, 0x32a5705f, v17 :: v_dual_add_f32 v32, v32, v47
	v_fmac_f32_e32 v39, 0x32a5705f, v16
	v_exp_f32_e32 v27, v27
	v_ldexp_f32 v26, v26, v36
	v_add_f32_e32 v30, v30, v43
	v_cndmask_b32_e64 v25, 0, v25, s4
	v_cmp_ngt_f32_e64 s4, 0xc2ce8ed0, v15
	v_fma_f32 v41, 0x3fb8aa3b, v23, -v29
	v_cvt_i32_f32_e32 v38, v38
	v_dual_sub_f32 v29, v29, v42 :: v_dual_add_f32 v28, v28, v39
	s_delay_alu instid0(VALU_DEP_4) | instskip(SKIP_1) | instid1(VALU_DEP_4)
	v_cndmask_b32_e64 v26, 0, v26, s4
	v_cmp_nlt_f32_e64 s4, 0x42b17218, v21
	v_ldexp_f32 v27, v27, v38
	v_cvt_i32_f32_e32 v40, v40
	v_exp_f32_e32 v28, v28
	v_cvt_i32_f32_e32 v42, v42
	v_cndmask_b32_e64 v21, 0x7f800000, v25, s4
	v_fmac_f32_e32 v41, 0x32a5705f, v23
	v_cmp_ngt_f32_e64 s4, 0xc2ce8ed0, v22
	v_fma_f32 v45, 0x3fb8aa3b, v24, -v31
	v_rndne_f32_e32 v46, v31
	v_add_f32_e32 v14, v14, v21
	v_add_f32_e32 v29, v29, v41
	v_cndmask_b32_e64 v25, 0, v27, s4
	v_cmp_nlt_f32_e64 s4, 0x42b17218, v15
	v_ldexp_f32 v28, v28, v40
	v_exp_f32_e32 v30, v30
	v_exp_f32_e32 v29, v29
	v_cvt_i32_f32_e32 v44, v44
	v_cndmask_b32_e64 v15, 0x7f800000, v26, s4
	v_cmp_ngt_f32_e64 s4, 0xc2ce8ed0, v16
	v_fmac_f32_e32 v45, 0x32a5705f, v24
	v_exp_f32_e32 v32, v32
	v_cvt_i32_f32_e32 v48, v48
	v_add_f32_e32 v14, v14, v15
	v_cndmask_b32_e64 v21, 0, v28, s4
	v_cmp_nlt_f32_e64 s4, 0x42b17218, v22
	v_ldexp_f32 v29, v29, v42
	v_ldexp_f32 v30, v30, v44
	s_delay_alu instid0(VALU_DEP_3) | instskip(SKIP_1) | instid1(TRANS32_DEP_1)
	v_cndmask_b32_e64 v22, 0x7f800000, v25, s4
	v_cmp_ngt_f32_e64 s4, 0xc2ce8ed0, v23
	v_ldexp_f32 v32, v32, v48
	s_delay_alu instid0(VALU_DEP_3) | instskip(NEXT) | instid1(VALU_DEP_3)
	v_add_f32_e32 v14, v14, v22
	v_cndmask_b32_e64 v15, 0, v29, s4
	v_cmp_nlt_f32_e64 s4, 0x42b17218, v16
	s_delay_alu instid0(VALU_DEP_1) | instskip(SKIP_3) | instid1(VALU_DEP_3)
	v_cndmask_b32_e64 v16, 0x7f800000, v21, s4
	v_sub_f32_e32 v31, v31, v46
	v_cmp_ngt_f32_e64 s4, 0xc2ce8ed0, v17
	v_cvt_i32_f32_e32 v46, v46
	v_dual_add_f32 v14, v14, v16 :: v_dual_add_f32 v31, v31, v45
	s_delay_alu instid0(VALU_DEP_3) | instskip(SKIP_1) | instid1(VALU_DEP_3)
	v_cndmask_b32_e64 v21, 0, v30, s4
	v_cmp_nlt_f32_e64 s4, 0x42b17218, v23
	v_exp_f32_e32 v31, v31
	s_delay_alu instid0(VALU_DEP_1) | instskip(SKIP_1) | instid1(VALU_DEP_2)
	v_cndmask_b32_e64 v15, 0x7f800000, v15, s4
	v_cmp_ngt_f32_e64 s4, 0xc2ce8ed0, v24
	v_add_f32_e32 v14, v14, v15
	s_waitcnt_depctr 0xfff
	v_ldexp_f32 v31, v31, v46
	s_delay_alu instid0(VALU_DEP_1) | instskip(SKIP_1) | instid1(VALU_DEP_1)
	v_cndmask_b32_e64 v16, 0, v31, s4
	v_cmp_nlt_f32_e64 s4, 0x42b17218, v17
	v_cndmask_b32_e64 v17, 0x7f800000, v21, s4
	v_cmp_ngt_f32_e64 s4, 0xc2ce8ed0, v18
	s_delay_alu instid0(VALU_DEP_2) | instskip(NEXT) | instid1(VALU_DEP_2)
	v_add_f32_e32 v14, v14, v17
	v_cndmask_b32_e64 v15, 0, v32, s4
	v_cmp_nlt_f32_e64 s4, 0x42b17218, v24
	s_delay_alu instid0(VALU_DEP_1) | instskip(SKIP_1) | instid1(VALU_DEP_2)
	v_cndmask_b32_e64 v16, 0x7f800000, v16, s4
	v_cmp_nlt_f32_e64 s4, 0x42b17218, v18
	v_add_f32_e32 v14, v14, v16
	s_delay_alu instid0(VALU_DEP_2) | instskip(SKIP_1) | instid1(VALU_DEP_2)
	v_cndmask_b32_e64 v15, 0x7f800000, v15, s4
	v_cmp_le_i64_e64 s4, s[12:13], v[19:20]
	v_add_f32_e32 v14, v14, v15
	s_delay_alu instid0(VALU_DEP_2) | instskip(NEXT) | instid1(SALU_CYCLE_1)
	s_or_b32 s15, s4, s15
	s_and_not1_b32 exec_lo, exec_lo, s15
	s_cbranch_execnz .LBB164_12
; %bb.13:
	s_or_b32 exec_lo, exec_lo, s15
.LBB164_14:
	s_delay_alu instid0(SALU_CYCLE_1)
	s_or_b32 exec_lo, exec_lo, s11
	ds_bpermute_b32 v2, v5, v14
	s_waitcnt lgkmcnt(0)
	s_barrier
	buffer_gl0_inv
	v_add_f32_e32 v2, v14, v2
	ds_bpermute_b32 v3, v7, v2
	s_waitcnt lgkmcnt(0)
	v_add_f32_e32 v2, v2, v3
	ds_bpermute_b32 v3, v8, v2
	s_waitcnt lgkmcnt(0)
	;; [unrolled: 3-line block ×3, first 2 shown]
	v_add_f32_e32 v2, v2, v3
	ds_bpermute_b32 v3, v10, v2
	s_and_saveexec_b32 s4, s2
	s_cbranch_execz .LBB164_16
; %bb.15:
	v_add_nc_u32_e32 v11, s7, v11
	s_waitcnt lgkmcnt(0)
	v_add_f32_e32 v2, v2, v3
	ds_store_b32 v11, v2
.LBB164_16:
	s_or_b32 exec_lo, exec_lo, s4
	v_mov_b32_e32 v2, 0
	s_waitcnt lgkmcnt(0)
	s_barrier
	buffer_gl0_inv
	s_and_saveexec_b32 s2, s0
	s_cbranch_execnz .LBB164_26
; %bb.17:
	s_or_b32 exec_lo, exec_lo, s2
	s_and_saveexec_b32 s0, s1
	s_cbranch_execnz .LBB164_27
.LBB164_18:
	s_or_b32 exec_lo, exec_lo, s0
	s_and_saveexec_b32 s0, s3
	s_cbranch_execz .LBB164_20
.LBB164_19:
	v_mov_b32_e32 v3, s7
	s_waitcnt lgkmcnt(0)
	ds_store_b32 v3, v2
.LBB164_20:
	s_or_b32 exec_lo, exec_lo, s0
	s_waitcnt lgkmcnt(0)
	s_barrier
	buffer_gl0_inv
	s_and_saveexec_b32 s0, vcc_lo
	s_cbranch_execz .LBB164_23
; %bb.21:
	v_mov_b32_e32 v2, s7
	s_add_i32 s7, s14, s5
	s_lshl_b32 s11, s10, 4
	s_lshl_b64 s[0:1], s[6:7], 1
	s_delay_alu instid0(SALU_CYCLE_1)
	s_add_u32 s0, s8, s0
	ds_load_b32 v2, v2
	s_addc_u32 s1, s9, s1
	s_mov_b32 s8, 0
	s_waitcnt lgkmcnt(0)
	v_cmp_gt_f32_e32 vcc_lo, 0x800000, v2
	v_cndmask_b32_e64 v3, 1.0, 0x4f800000, vcc_lo
	s_delay_alu instid0(VALU_DEP_1) | instskip(NEXT) | instid1(VALU_DEP_1)
	v_mul_f32_e32 v2, v2, v3
	v_log_f32_e32 v2, v2
	s_waitcnt_depctr 0xfff
	v_mul_f32_e32 v3, 0x3f317217, v2
	s_delay_alu instid0(VALU_DEP_1) | instskip(NEXT) | instid1(VALU_DEP_1)
	v_fma_f32 v5, 0x3f317217, v2, -v3
	v_fmamk_f32 v7, v2, 0x3377d1cf, v5
	v_add_nc_u32_e32 v5, 0, v6
	s_delay_alu instid0(VALU_DEP_2) | instskip(SKIP_2) | instid1(VALU_DEP_3)
	v_add_f32_e32 v3, v3, v7
	v_cndmask_b32_e64 v7, 0, 0x41b17218, vcc_lo
	v_cmp_gt_f32_e64 vcc_lo, 0x7f800000, |v2|
	v_cndmask_b32_e32 v2, v2, v3, vcc_lo
	v_add_co_u32 v3, s0, s0, v6
	s_delay_alu instid0(VALU_DEP_1) | instskip(NEXT) | instid1(VALU_DEP_3)
	v_add_co_ci_u32_e64 v8, null, s1, 0, s0
	v_sub_f32_e32 v6, v2, v7
	s_delay_alu instid0(VALU_DEP_3) | instskip(NEXT) | instid1(VALU_DEP_3)
	v_add_co_u32 v2, vcc_lo, v3, 8
	v_add_co_ci_u32_e32 v3, vcc_lo, 0, v8, vcc_lo
.LBB164_22:                             ; =>This Inner Loop Header: Depth=1
	ds_load_b128 v[7:10], v5
	v_add_co_u32 v0, vcc_lo, v0, s10
	v_add_co_ci_u32_e32 v1, vcc_lo, 0, v1, vcc_lo
	s_delay_alu instid0(VALU_DEP_1) | instskip(NEXT) | instid1(VALU_DEP_1)
	v_lshlrev_b64 v[11:12], 3, v[0:1]
	v_cmp_le_i64_e32 vcc_lo, s[12:13], v[11:12]
	s_or_b32 s8, vcc_lo, s8
	s_waitcnt lgkmcnt(0)
	v_and_b32_e32 v12, 0xffff0000, v8
	v_lshlrev_b32_e32 v8, 16, v8
	s_delay_alu instid0(VALU_DEP_1) | instskip(NEXT) | instid1(VALU_DEP_1)
	v_dual_sub_f32 v8, v8, v4 :: v_dual_and_b32 v11, 0xffff0000, v7
	v_dual_sub_f32 v11, v11, v4 :: v_dual_and_b32 v14, 0xffff0000, v10
	s_delay_alu instid0(VALU_DEP_2) | instskip(NEXT) | instid1(VALU_DEP_2)
	v_dual_sub_f32 v8, v8, v6 :: v_dual_lshlrev_b32 v7, 16, v7
	v_sub_f32_e32 v14, v14, v4
	s_delay_alu instid0(VALU_DEP_2) | instskip(SKIP_2) | instid1(VALU_DEP_3)
	v_dual_sub_f32 v7, v7, v4 :: v_dual_lshlrev_b32 v10, 16, v10
	v_and_b32_e32 v13, 0xffff0000, v9
	v_lshlrev_b32_e32 v9, 16, v9
	v_dual_sub_f32 v11, v11, v6 :: v_dual_sub_f32 v10, v10, v4
	s_delay_alu instid0(VALU_DEP_4) | instskip(SKIP_2) | instid1(VALU_DEP_4)
	v_sub_f32_e32 v7, v7, v6
	v_dual_sub_f32 v12, v12, v4 :: v_dual_add_nc_u32 v5, s11, v5
	v_sub_f32_e32 v13, v13, v4
	v_dual_sub_f32 v9, v9, v4 :: v_dual_sub_f32 v10, v10, v6
	v_sub_f32_e32 v14, v14, v6
	s_delay_alu instid0(VALU_DEP_4) | instskip(NEXT) | instid1(VALU_DEP_4)
	v_sub_f32_e32 v12, v12, v6
	v_sub_f32_e32 v13, v13, v6
	s_delay_alu instid0(VALU_DEP_4)
	v_sub_f32_e32 v9, v9, v6
	v_bfe_u32 v15, v11, 16, 1
	v_bfe_u32 v16, v7, 16, 1
	v_bfe_u32 v17, v12, 16, 1
	v_bfe_u32 v18, v8, 16, 1
	v_bfe_u32 v19, v13, 16, 1
	v_bfe_u32 v20, v9, 16, 1
	v_bfe_u32 v21, v14, 16, 1
	v_bfe_u32 v22, v10, 16, 1
	v_add3_u32 v16, v7, v16, 0x7fff
	v_add3_u32 v15, v11, v15, 0x7fff
	;; [unrolled: 1-line block ×8, first 2 shown]
	v_lshrrev_b32_e32 v15, 16, v15
	v_lshrrev_b32_e32 v16, 16, v16
	v_cmp_o_f32_e64 s0, v7, v7
	v_lshrrev_b32_e32 v7, 16, v17
	v_lshrrev_b32_e32 v17, 16, v18
	v_cmp_o_f32_e64 s1, v12, v12
	v_cmp_o_f32_e64 s2, v8, v8
	v_lshrrev_b32_e32 v8, 16, v19
	v_lshrrev_b32_e32 v12, 16, v20
	v_cmp_o_f32_e64 s3, v13, v13
	;; [unrolled: 4-line block ×3, first 2 shown]
	v_cmp_o_f32_e64 s6, v10, v10
	v_cmp_o_f32_e64 s7, v11, v11
	v_cndmask_b32_e64 v7, 0x7fc0, v7, s1
	v_cndmask_b32_e64 v8, 0x7fc0, v8, s3
	;; [unrolled: 1-line block ×8, first 2 shown]
	v_perm_b32 v10, v9, v10, 0x5040100
	s_delay_alu instid0(VALU_DEP_4) | instskip(NEXT) | instid1(VALU_DEP_4)
	v_perm_b32 v9, v8, v12, 0x5040100
	v_perm_b32 v8, v7, v13, 0x5040100
	s_delay_alu instid0(VALU_DEP_4) | instskip(SKIP_2) | instid1(VALU_DEP_1)
	v_perm_b32 v7, v11, v14, 0x5040100
	global_store_b128 v[2:3], v[7:10], off offset:-8
	v_add_co_u32 v2, s0, v2, s11
	v_add_co_ci_u32_e64 v3, s0, 0, v3, s0
	s_and_not1_b32 exec_lo, exec_lo, s8
	s_cbranch_execnz .LBB164_22
.LBB164_23:
	s_nop 0
	s_sendmsg sendmsg(MSG_DEALLOC_VGPRS)
	s_endpgm
.LBB164_24:
	ds_load_b32 v2, v12
	s_or_b32 exec_lo, exec_lo, s1
	v_cmp_gt_u32_e64 s1, 32, v0
	s_delay_alu instid0(VALU_DEP_1)
	s_and_saveexec_b32 s10, s1
	s_cbranch_execz .LBB164_8
.LBB164_25:
	s_waitcnt lgkmcnt(0)
	ds_bpermute_b32 v3, v5, v2
	s_waitcnt lgkmcnt(0)
	v_cmp_lt_f32_e64 s3, v2, v3
	s_delay_alu instid0(VALU_DEP_1) | instskip(SKIP_3) | instid1(VALU_DEP_1)
	v_cndmask_b32_e64 v2, v2, v3, s3
	ds_bpermute_b32 v3, v7, v2
	s_waitcnt lgkmcnt(0)
	v_cmp_lt_f32_e64 s3, v2, v3
	v_cndmask_b32_e64 v2, v2, v3, s3
	ds_bpermute_b32 v3, v8, v2
	s_waitcnt lgkmcnt(0)
	v_cmp_lt_f32_e64 s3, v2, v3
	s_delay_alu instid0(VALU_DEP_1) | instskip(SKIP_3) | instid1(VALU_DEP_1)
	v_cndmask_b32_e64 v2, v2, v3, s3
	ds_bpermute_b32 v3, v9, v2
	s_waitcnt lgkmcnt(0)
	v_cmp_lt_f32_e64 s3, v2, v3
	v_cndmask_b32_e64 v2, v2, v3, s3
	ds_bpermute_b32 v3, v10, v2
	s_waitcnt lgkmcnt(0)
	v_cmp_lt_f32_e64 s3, v2, v3
	s_delay_alu instid0(VALU_DEP_1) | instskip(SKIP_2) | instid1(VALU_DEP_1)
	v_cndmask_b32_e64 v2, v2, v3, s3
	s_or_b32 exec_lo, exec_lo, s10
	v_cmp_eq_u32_e64 s3, 0, v0
	s_and_saveexec_b32 s10, s3
	s_cbranch_execnz .LBB164_9
	s_branch .LBB164_10
.LBB164_26:
	ds_load_b32 v2, v12
	s_or_b32 exec_lo, exec_lo, s2
	s_and_saveexec_b32 s0, s1
	s_cbranch_execz .LBB164_18
.LBB164_27:
	s_waitcnt lgkmcnt(0)
	ds_bpermute_b32 v3, v5, v2
	s_waitcnt lgkmcnt(0)
	v_add_f32_e32 v2, v2, v3
	ds_bpermute_b32 v3, v7, v2
	s_waitcnt lgkmcnt(0)
	v_add_f32_e32 v2, v2, v3
	;; [unrolled: 3-line block ×5, first 2 shown]
	s_or_b32 exec_lo, exec_lo, s0
	s_and_saveexec_b32 s0, s3
	s_cbranch_execnz .LBB164_19
	s_branch .LBB164_20
	.section	.rodata,"a",@progbits
	.p2align	6, 0x0
	.amdhsa_kernel _ZN2at6native12_GLOBAL__N_123cunn_SoftMaxForwardSmemILi8EN3c108BFloat16EfS4_NS1_25LogSoftMaxForwardEpilogueElEEvPT2_PKT0_T4_
		.amdhsa_group_segment_fixed_size 0
		.amdhsa_private_segment_fixed_size 0
		.amdhsa_kernarg_size 280
		.amdhsa_user_sgpr_count 15
		.amdhsa_user_sgpr_dispatch_ptr 0
		.amdhsa_user_sgpr_queue_ptr 0
		.amdhsa_user_sgpr_kernarg_segment_ptr 1
		.amdhsa_user_sgpr_dispatch_id 0
		.amdhsa_user_sgpr_private_segment_size 0
		.amdhsa_wavefront_size32 1
		.amdhsa_uses_dynamic_stack 0
		.amdhsa_enable_private_segment 0
		.amdhsa_system_sgpr_workgroup_id_x 1
		.amdhsa_system_sgpr_workgroup_id_y 0
		.amdhsa_system_sgpr_workgroup_id_z 0
		.amdhsa_system_sgpr_workgroup_info 0
		.amdhsa_system_vgpr_workitem_id 0
		.amdhsa_next_free_vgpr 49
		.amdhsa_next_free_sgpr 17
		.amdhsa_reserve_vcc 1
		.amdhsa_float_round_mode_32 0
		.amdhsa_float_round_mode_16_64 0
		.amdhsa_float_denorm_mode_32 3
		.amdhsa_float_denorm_mode_16_64 3
		.amdhsa_dx10_clamp 1
		.amdhsa_ieee_mode 1
		.amdhsa_fp16_overflow 0
		.amdhsa_workgroup_processor_mode 1
		.amdhsa_memory_ordered 1
		.amdhsa_forward_progress 0
		.amdhsa_shared_vgpr_count 0
		.amdhsa_exception_fp_ieee_invalid_op 0
		.amdhsa_exception_fp_denorm_src 0
		.amdhsa_exception_fp_ieee_div_zero 0
		.amdhsa_exception_fp_ieee_overflow 0
		.amdhsa_exception_fp_ieee_underflow 0
		.amdhsa_exception_fp_ieee_inexact 0
		.amdhsa_exception_int_div_zero 0
	.end_amdhsa_kernel
	.section	.text._ZN2at6native12_GLOBAL__N_123cunn_SoftMaxForwardSmemILi8EN3c108BFloat16EfS4_NS1_25LogSoftMaxForwardEpilogueElEEvPT2_PKT0_T4_,"axG",@progbits,_ZN2at6native12_GLOBAL__N_123cunn_SoftMaxForwardSmemILi8EN3c108BFloat16EfS4_NS1_25LogSoftMaxForwardEpilogueElEEvPT2_PKT0_T4_,comdat
.Lfunc_end164:
	.size	_ZN2at6native12_GLOBAL__N_123cunn_SoftMaxForwardSmemILi8EN3c108BFloat16EfS4_NS1_25LogSoftMaxForwardEpilogueElEEvPT2_PKT0_T4_, .Lfunc_end164-_ZN2at6native12_GLOBAL__N_123cunn_SoftMaxForwardSmemILi8EN3c108BFloat16EfS4_NS1_25LogSoftMaxForwardEpilogueElEEvPT2_PKT0_T4_
                                        ; -- End function
	.section	.AMDGPU.csdata,"",@progbits
; Kernel info:
; codeLenInByte = 3408
; NumSgprs: 19
; NumVgprs: 49
; ScratchSize: 0
; MemoryBound: 0
; FloatMode: 240
; IeeeMode: 1
; LDSByteSize: 0 bytes/workgroup (compile time only)
; SGPRBlocks: 2
; VGPRBlocks: 6
; NumSGPRsForWavesPerEU: 19
; NumVGPRsForWavesPerEU: 49
; Occupancy: 16
; WaveLimiterHint : 0
; COMPUTE_PGM_RSRC2:SCRATCH_EN: 0
; COMPUTE_PGM_RSRC2:USER_SGPR: 15
; COMPUTE_PGM_RSRC2:TRAP_HANDLER: 0
; COMPUTE_PGM_RSRC2:TGID_X_EN: 1
; COMPUTE_PGM_RSRC2:TGID_Y_EN: 0
; COMPUTE_PGM_RSRC2:TGID_Z_EN: 0
; COMPUTE_PGM_RSRC2:TIDIG_COMP_CNT: 0
	.section	.text._ZN2at6native12_GLOBAL__N_119cunn_SoftMaxForwardILi8EN3c108BFloat16EfS4_NS1_25LogSoftMaxForwardEpilogueEEEvPT2_PKT0_i,"axG",@progbits,_ZN2at6native12_GLOBAL__N_119cunn_SoftMaxForwardILi8EN3c108BFloat16EfS4_NS1_25LogSoftMaxForwardEpilogueEEEvPT2_PKT0_i,comdat
	.globl	_ZN2at6native12_GLOBAL__N_119cunn_SoftMaxForwardILi8EN3c108BFloat16EfS4_NS1_25LogSoftMaxForwardEpilogueEEEvPT2_PKT0_i ; -- Begin function _ZN2at6native12_GLOBAL__N_119cunn_SoftMaxForwardILi8EN3c108BFloat16EfS4_NS1_25LogSoftMaxForwardEpilogueEEEvPT2_PKT0_i
	.p2align	8
	.type	_ZN2at6native12_GLOBAL__N_119cunn_SoftMaxForwardILi8EN3c108BFloat16EfS4_NS1_25LogSoftMaxForwardEpilogueEEEvPT2_PKT0_i,@function
_ZN2at6native12_GLOBAL__N_119cunn_SoftMaxForwardILi8EN3c108BFloat16EfS4_NS1_25LogSoftMaxForwardEpilogueEEEvPT2_PKT0_i: ; @_ZN2at6native12_GLOBAL__N_119cunn_SoftMaxForwardILi8EN3c108BFloat16EfS4_NS1_25LogSoftMaxForwardEpilogueEEEvPT2_PKT0_i
; %bb.0:
	s_clause 0x1
	s_load_b32 s14, s[0:1], 0x10
	s_load_b128 s[8:11], s[0:1], 0x0
	s_waitcnt lgkmcnt(0)
	s_ashr_i32 s2, s14, 31
	s_mul_hi_u32 s3, s14, s15
	s_mul_i32 s2, s2, s15
	s_delay_alu instid0(SALU_CYCLE_1) | instskip(SKIP_1) | instid1(SALU_CYCLE_1)
	s_add_i32 s3, s3, s2
	s_mul_i32 s2, s14, s15
	s_lshl_b64 s[12:13], s[2:3], 1
	s_delay_alu instid0(SALU_CYCLE_1)
	s_add_u32 s6, s10, s12
	s_addc_u32 s7, s11, s13
	s_bfe_u32 s10, s6, 0x30001
	s_mov_b32 s11, 0
	s_cmp_lg_u32 s10, 0
	s_cselect_b32 s18, -1, 0
	s_delay_alu instid0(SALU_CYCLE_1)
	s_and_b32 vcc_lo, exec_lo, s18
	s_cbranch_vccz .LBB165_25
; %bb.1:
	s_lshl_b64 s[2:3], s[10:11], 1
	v_cmp_le_u32_e32 vcc_lo, s10, v0
	s_sub_u32 s16, s6, s2
	s_subb_u32 s17, s7, s3
	s_add_i32 s3, s10, s14
	v_mov_b32_e32 v4, 0xff7fffff
	v_cmp_gt_i32_e64 s2, s3, v0
	s_delay_alu instid0(VALU_DEP_1) | instskip(NEXT) | instid1(SALU_CYCLE_1)
	s_and_b32 s4, vcc_lo, s2
	s_and_saveexec_b32 s2, s4
	s_cbranch_execz .LBB165_3
; %bb.2:
	v_lshlrev_b32_e32 v1, 1, v0
	global_load_u16 v1, v1, s[16:17]
	s_waitcnt vmcnt(0)
	v_lshlrev_b32_e32 v1, 16, v1
	s_delay_alu instid0(VALU_DEP_1) | instskip(NEXT) | instid1(VALU_DEP_1)
	v_max_f32_e32 v1, v1, v1
	v_max_f32_e32 v4, 0xff7fffff, v1
.LBB165_3:
	s_or_b32 exec_lo, exec_lo, s2
	s_load_b32 s2, s[0:1], 0x24
	s_add_u32 s4, s0, 24
	s_addc_u32 s5, s1, 0
	s_waitcnt lgkmcnt(0)
	s_and_b32 s2, s2, 0xffff
	s_delay_alu instid0(SALU_CYCLE_1) | instskip(SKIP_1) | instid1(SALU_CYCLE_1)
	v_sub_nc_u32_e64 v1, s3, s2 clamp
	s_lshl_b32 s2, s2, 1
	s_add_u32 s2, s16, s2
	s_addc_u32 s3, s17, 0
	s_delay_alu instid0(VALU_DEP_1)
	v_readfirstlane_b32 s11, v1
	s_branch .LBB165_5
.LBB165_4:
	v_mov_b32_e32 v4, 0xff7fffff
	s_add_u32 s4, s0, 24
	s_addc_u32 s5, s1, 0
	s_mov_b32 s11, s14
	s_mov_b64 s[2:3], s[6:7]
.LBB165_5:
	s_load_b32 s16, s[4:5], 0x0
	v_mov_b32_e32 v1, 0
	v_lshlrev_b32_e32 v3, 3, v0
	s_waitcnt lgkmcnt(0)
	s_cmp_lt_u32 s15, s16
	s_cselect_b32 s16, 12, 18
	s_delay_alu instid0(SALU_CYCLE_1) | instskip(SKIP_4) | instid1(VALU_DEP_1)
	s_add_u32 s4, s4, s16
	s_addc_u32 s5, s5, 0
	global_load_u16 v5, v1, s[4:5]
	s_waitcnt vmcnt(0)
	v_readfirstlane_b32 s4, v5
	s_lshl_b32 s4, s4, 3
	s_delay_alu instid0(SALU_CYCLE_1) | instskip(SKIP_1) | instid1(VALU_DEP_1)
	v_cvt_f32_u32_e32 v1, s4
	s_sub_i32 s16, 0, s4
	v_rcp_iflag_f32_e32 v1, v1
	s_waitcnt_depctr 0xfff
	v_mul_f32_e32 v1, 0x4f7ffffe, v1
	s_delay_alu instid0(VALU_DEP_1) | instskip(NEXT) | instid1(VALU_DEP_1)
	v_cvt_u32_f32_e32 v1, v1
	v_readfirstlane_b32 s5, v1
	s_delay_alu instid0(VALU_DEP_1) | instskip(NEXT) | instid1(SALU_CYCLE_1)
	s_mul_i32 s16, s16, s5
	s_mul_hi_u32 s16, s5, s16
	s_delay_alu instid0(SALU_CYCLE_1) | instskip(NEXT) | instid1(SALU_CYCLE_1)
	s_add_i32 s5, s5, s16
	s_mul_hi_u32 s5, s11, s5
	s_delay_alu instid0(SALU_CYCLE_1) | instskip(NEXT) | instid1(SALU_CYCLE_1)
	s_mul_i32 s5, s5, s4
	s_sub_i32 s5, s11, s5
	s_delay_alu instid0(SALU_CYCLE_1) | instskip(SKIP_2) | instid1(SALU_CYCLE_1)
	s_sub_i32 s16, s5, s4
	s_cmp_ge_u32 s5, s4
	s_cselect_b32 s5, s16, s5
	s_sub_i32 s16, s5, s4
	s_cmp_ge_u32 s5, s4
	s_cselect_b32 s4, s16, s5
	s_mov_b32 s16, 0
	s_sub_i32 s4, s11, s4
	s_mov_b32 s5, exec_lo
	v_cmpx_gt_i32_e64 s4, v3
	s_cbranch_execz .LBB165_9
; %bb.6:
	v_mov_b32_e32 v1, v0
	s_set_inst_prefetch_distance 0x1
	.p2align	6
.LBB165_7:                              ; =>This Inner Loop Header: Depth=1
	s_delay_alu instid0(VALU_DEP_1) | instskip(NEXT) | instid1(VALU_DEP_1)
	v_ashrrev_i32_e32 v2, 31, v1
	v_lshlrev_b64 v[6:7], 4, v[1:2]
	v_add_nc_u32_e32 v1, v1, v5
	s_delay_alu instid0(VALU_DEP_2) | instskip(NEXT) | instid1(VALU_DEP_3)
	v_add_co_u32 v6, vcc_lo, s2, v6
	v_add_co_ci_u32_e32 v7, vcc_lo, s3, v7, vcc_lo
	global_load_b128 v[6:9], v[6:7], off
	s_waitcnt vmcnt(0)
	v_lshlrev_b32_e32 v2, 16, v6
	v_and_b32_e32 v6, 0xffff0000, v6
	v_lshlrev_b32_e32 v10, 16, v7
	v_and_b32_e32 v7, 0xffff0000, v7
	s_delay_alu instid0(VALU_DEP_3)
	v_max3_f32 v2, v4, v2, v6
	v_lshlrev_b32_e32 v4, 16, v8
	v_and_b32_e32 v6, 0xffff0000, v8
	v_lshlrev_b32_e32 v8, 16, v9
	v_and_b32_e32 v9, 0xffff0000, v9
	v_max3_f32 v2, v2, v10, v7
	v_lshlrev_b32_e32 v7, 3, v1
	s_delay_alu instid0(VALU_DEP_2) | instskip(NEXT) | instid1(VALU_DEP_2)
	v_max3_f32 v2, v2, v4, v6
	v_cmp_le_i32_e32 vcc_lo, s4, v7
	s_delay_alu instid0(VALU_DEP_2) | instskip(SKIP_1) | instid1(SALU_CYCLE_1)
	v_max3_f32 v4, v2, v8, v9
	s_or_b32 s16, vcc_lo, s16
	s_and_not1_b32 exec_lo, exec_lo, s16
	s_cbranch_execnz .LBB165_7
; %bb.8:
	s_set_inst_prefetch_distance 0x2
	s_or_b32 exec_lo, exec_lo, s16
.LBB165_9:
	s_delay_alu instid0(SALU_CYCLE_1) | instskip(SKIP_2) | instid1(VALU_DEP_1)
	s_or_b32 exec_lo, exec_lo, s5
	v_add_nc_u32_e32 v1, s4, v0
	s_mov_b32 s4, exec_lo
	v_cmpx_gt_i32_e64 s11, v1
	s_cbranch_execz .LBB165_13
; %bb.10:
	s_mov_b32 s5, 0
	.p2align	6
.LBB165_11:                             ; =>This Inner Loop Header: Depth=1
	v_ashrrev_i32_e32 v2, 31, v1
	s_delay_alu instid0(VALU_DEP_2) | instskip(NEXT) | instid1(VALU_DEP_2)
	v_max_f32_e32 v4, v4, v4
	v_lshlrev_b64 v[6:7], 1, v[1:2]
	v_add_nc_u32_e32 v1, v1, v5
	s_delay_alu instid0(VALU_DEP_2) | instskip(NEXT) | instid1(VALU_DEP_3)
	v_add_co_u32 v6, vcc_lo, s2, v6
	v_add_co_ci_u32_e32 v7, vcc_lo, s3, v7, vcc_lo
	s_delay_alu instid0(VALU_DEP_3) | instskip(SKIP_4) | instid1(VALU_DEP_1)
	v_cmp_le_i32_e32 vcc_lo, s11, v1
	global_load_u16 v2, v[6:7], off
	s_or_b32 s5, vcc_lo, s5
	s_waitcnt vmcnt(0)
	v_lshlrev_b32_e32 v2, 16, v2
	v_max_f32_e32 v2, v2, v2
	s_delay_alu instid0(VALU_DEP_1)
	v_max_f32_e32 v4, v4, v2
	s_and_not1_b32 exec_lo, exec_lo, s5
	s_cbranch_execnz .LBB165_11
; %bb.12:
	s_or_b32 exec_lo, exec_lo, s5
.LBB165_13:
	s_delay_alu instid0(SALU_CYCLE_1)
	s_or_b32 exec_lo, exec_lo, s4
	v_mbcnt_lo_u32_b32 v1, -1, 0
	v_lshrrev_b32_e32 v12, 3, v0
	s_barrier
	buffer_gl0_inv
	v_cmp_gt_u32_e32 vcc_lo, 16, v1
	v_cndmask_b32_e64 v2, 0, 1, vcc_lo
	v_cmp_gt_u32_e32 vcc_lo, 24, v1
	s_delay_alu instid0(VALU_DEP_2) | instskip(SKIP_1) | instid1(VALU_DEP_2)
	v_lshlrev_b32_e32 v2, 4, v2
	v_cndmask_b32_e64 v5, 0, 1, vcc_lo
	v_add_lshl_u32 v6, v2, v1, 2
	ds_bpermute_b32 v2, v6, v4
	s_waitcnt lgkmcnt(0)
	v_cmp_lt_f32_e32 vcc_lo, v4, v2
	v_dual_cndmask_b32 v2, v4, v2 :: v_dual_lshlrev_b32 v5, 3, v5
	s_delay_alu instid0(VALU_DEP_1)
	v_add_lshl_u32 v7, v5, v1, 2
	v_cmp_gt_u32_e32 vcc_lo, 28, v1
	ds_bpermute_b32 v4, v7, v2
	v_cndmask_b32_e64 v5, 0, 1, vcc_lo
	s_waitcnt lgkmcnt(0)
	v_cmp_lt_f32_e32 vcc_lo, v2, v4
	s_delay_alu instid0(VALU_DEP_2) | instskip(NEXT) | instid1(VALU_DEP_1)
	v_dual_cndmask_b32 v2, v2, v4 :: v_dual_lshlrev_b32 v5, 2, v5
	v_add_lshl_u32 v9, v5, v1, 2
	v_cmp_gt_u32_e32 vcc_lo, 30, v1
	ds_bpermute_b32 v4, v9, v2
	v_cndmask_b32_e64 v5, 0, 1, vcc_lo
	s_waitcnt lgkmcnt(0)
	v_cmp_lt_f32_e32 vcc_lo, v2, v4
	s_delay_alu instid0(VALU_DEP_2) | instskip(NEXT) | instid1(VALU_DEP_1)
	v_dual_cndmask_b32 v2, v2, v4 :: v_dual_lshlrev_b32 v5, 1, v5
	v_add_lshl_u32 v10, v5, v1, 2
	v_cmp_ne_u32_e32 vcc_lo, 31, v1
	ds_bpermute_b32 v4, v10, v2
	v_add_co_ci_u32_e32 v5, vcc_lo, 0, v1, vcc_lo
	s_delay_alu instid0(VALU_DEP_1)
	v_lshlrev_b32_e32 v11, 2, v5
	s_waitcnt lgkmcnt(0)
	v_cmp_lt_f32_e32 vcc_lo, v2, v4
	v_cndmask_b32_e32 v1, v2, v4, vcc_lo
	v_and_b32_e32 v2, 31, v0
	ds_bpermute_b32 v4, v11, v1
	v_cmp_eq_u32_e64 s2, 0, v2
	s_delay_alu instid0(VALU_DEP_1)
	s_and_saveexec_b32 s3, s2
	s_cbranch_execz .LBB165_15
; %bb.14:
	s_waitcnt lgkmcnt(0)
	v_cmp_lt_f32_e32 vcc_lo, v1, v4
	v_add_nc_u32_e32 v5, 0, v12
	v_cndmask_b32_e32 v1, v1, v4, vcc_lo
	ds_store_b32 v5, v1
.LBB165_15:
	s_or_b32 exec_lo, exec_lo, s3
	s_waitcnt lgkmcnt(0)
	s_barrier
	buffer_gl0_inv
	s_load_b32 s4, s[0:1], 0x24
	s_add_u32 s16, s0, 24
	s_addc_u32 s17, s1, 0
	v_mov_b32_e32 v1, 0xff7fffff
	v_lshl_add_u32 v13, v2, 2, 0
	s_waitcnt lgkmcnt(0)
	s_bfe_u32 s0, s4, 0xb0005
	s_delay_alu instid0(SALU_CYCLE_1) | instskip(NEXT) | instid1(VALU_DEP_1)
	v_cmp_gt_u32_e64 s0, s0, v0
	s_and_saveexec_b32 s1, s0
	s_cbranch_execnz .LBB165_23
; %bb.16:
	s_or_b32 exec_lo, exec_lo, s1
	v_cmp_gt_u32_e64 s1, 32, v0
	s_delay_alu instid0(VALU_DEP_1)
	s_and_saveexec_b32 s3, s1
	s_cbranch_execnz .LBB165_24
.LBB165_17:
	s_or_b32 exec_lo, exec_lo, s3
	v_cmp_eq_u32_e64 s3, 0, v0
	s_delay_alu instid0(VALU_DEP_1)
	s_and_saveexec_b32 s5, s3
	s_cbranch_execz .LBB165_19
.LBB165_18:
	v_mov_b32_e32 v2, 0
	s_waitcnt lgkmcnt(0)
	ds_store_b32 v2, v1
.LBB165_19:
	s_or_b32 exec_lo, exec_lo, s5
	v_mov_b32_e32 v14, 0
	s_waitcnt lgkmcnt(0)
	s_barrier
	buffer_gl0_inv
	v_cndmask_b32_e64 v8, 0, 1, s18
	ds_load_b32 v4, v14
	s_and_b32 s20, s4, 0xffff
	s_and_not1_b32 vcc_lo, exec_lo, s18
	s_mov_b32 s11, 0
	s_cbranch_vccnz .LBB165_26
; %bb.20:
	s_lshl_b64 s[4:5], s[10:11], 1
	v_cmp_le_u32_e32 vcc_lo, s10, v0
	s_sub_u32 s18, s6, s4
	s_subb_u32 s19, s7, s5
	s_add_i32 s5, s10, s14
	v_mov_b32_e32 v14, 0
	v_cmp_gt_i32_e64 s4, s5, v0
	s_delay_alu instid0(VALU_DEP_1) | instskip(NEXT) | instid1(SALU_CYCLE_1)
	s_and_b32 s11, vcc_lo, s4
	s_and_saveexec_b32 s4, s11
	s_cbranch_execz .LBB165_22
; %bb.21:
	v_lshlrev_b32_e32 v1, 1, v0
	global_load_u16 v1, v1, s[18:19]
	s_waitcnt vmcnt(0)
	v_lshlrev_b32_e32 v1, 16, v1
	s_waitcnt lgkmcnt(0)
	s_delay_alu instid0(VALU_DEP_1) | instskip(NEXT) | instid1(VALU_DEP_1)
	v_sub_f32_e32 v1, v1, v4
	v_mul_f32_e32 v2, 0x3fb8aa3b, v1
	s_delay_alu instid0(VALU_DEP_1) | instskip(SKIP_1) | instid1(VALU_DEP_1)
	v_fma_f32 v5, 0x3fb8aa3b, v1, -v2
	v_rndne_f32_e32 v14, v2
	v_dual_fmamk_f32 v5, v1, 0x32a5705f, v5 :: v_dual_sub_f32 v2, v2, v14
	s_delay_alu instid0(VALU_DEP_1) | instskip(SKIP_2) | instid1(VALU_DEP_3)
	v_add_f32_e32 v2, v2, v5
	v_cvt_i32_f32_e32 v5, v14
	v_cmp_ngt_f32_e32 vcc_lo, 0xc2ce8ed0, v1
	v_exp_f32_e32 v2, v2
	s_waitcnt_depctr 0xfff
	v_ldexp_f32 v2, v2, v5
	s_delay_alu instid0(VALU_DEP_1) | instskip(SKIP_1) | instid1(VALU_DEP_2)
	v_cndmask_b32_e32 v2, 0, v2, vcc_lo
	v_cmp_nlt_f32_e32 vcc_lo, 0x42b17218, v1
	v_cndmask_b32_e32 v14, 0x7f800000, v2, vcc_lo
.LBB165_22:
	s_or_b32 exec_lo, exec_lo, s4
	v_sub_nc_u32_e64 v1, s5, s20 clamp
	s_lshl_b32 s4, s20, 1
	s_delay_alu instid0(SALU_CYCLE_1) | instskip(SKIP_1) | instid1(VALU_DEP_1)
	s_add_u32 s4, s18, s4
	s_addc_u32 s5, s19, 0
	v_readfirstlane_b32 s11, v1
	s_branch .LBB165_27
.LBB165_23:
	ds_load_b32 v1, v13
	s_or_b32 exec_lo, exec_lo, s1
	v_cmp_gt_u32_e64 s1, 32, v0
	s_delay_alu instid0(VALU_DEP_1)
	s_and_saveexec_b32 s3, s1
	s_cbranch_execz .LBB165_17
.LBB165_24:
	s_waitcnt lgkmcnt(0)
	ds_bpermute_b32 v2, v6, v1
	s_waitcnt lgkmcnt(0)
	v_cmp_lt_f32_e32 vcc_lo, v1, v2
	v_cndmask_b32_e32 v1, v1, v2, vcc_lo
	ds_bpermute_b32 v2, v7, v1
	s_waitcnt lgkmcnt(0)
	v_cmp_lt_f32_e32 vcc_lo, v1, v2
	v_cndmask_b32_e32 v1, v1, v2, vcc_lo
	;; [unrolled: 4-line block ×5, first 2 shown]
	s_or_b32 exec_lo, exec_lo, s3
	v_cmp_eq_u32_e64 s3, 0, v0
	s_delay_alu instid0(VALU_DEP_1)
	s_and_saveexec_b32 s5, s3
	s_cbranch_execnz .LBB165_18
	s_branch .LBB165_19
.LBB165_25:
                                        ; implicit-def: $sgpr2_sgpr3
                                        ; implicit-def: $sgpr11
                                        ; implicit-def: $vgpr4
                                        ; implicit-def: $sgpr4_sgpr5
	s_cbranch_execnz .LBB165_4
	s_branch .LBB165_5
.LBB165_26:
	s_mov_b64 s[4:5], s[6:7]
	s_mov_b32 s11, s14
.LBB165_27:
	s_load_b32 s18, s[16:17], 0x0
	v_mov_b32_e32 v1, 0
	s_mov_b32 s19, 0
	s_waitcnt lgkmcnt(0)
	s_cmp_lt_u32 s15, s18
	s_cselect_b32 s15, 12, 18
	s_delay_alu instid0(SALU_CYCLE_1) | instskip(SKIP_4) | instid1(VALU_DEP_1)
	s_add_u32 s16, s16, s15
	s_addc_u32 s17, s17, 0
	global_load_u16 v5, v1, s[16:17]
	s_waitcnt vmcnt(0)
	v_readfirstlane_b32 s15, v5
	s_lshl_b32 s15, s15, 3
	s_delay_alu instid0(SALU_CYCLE_1) | instskip(SKIP_1) | instid1(VALU_DEP_1)
	v_cvt_f32_u32_e32 v1, s15
	s_sub_i32 s17, 0, s15
	v_rcp_iflag_f32_e32 v1, v1
	s_waitcnt_depctr 0xfff
	v_mul_f32_e32 v1, 0x4f7ffffe, v1
	s_delay_alu instid0(VALU_DEP_1) | instskip(NEXT) | instid1(VALU_DEP_1)
	v_cvt_u32_f32_e32 v1, v1
	v_readfirstlane_b32 s16, v1
	s_delay_alu instid0(VALU_DEP_1) | instskip(NEXT) | instid1(SALU_CYCLE_1)
	s_mul_i32 s17, s17, s16
	s_mul_hi_u32 s17, s16, s17
	s_delay_alu instid0(SALU_CYCLE_1) | instskip(NEXT) | instid1(SALU_CYCLE_1)
	s_add_i32 s16, s16, s17
	s_mul_hi_u32 s17, s11, s16
	s_delay_alu instid0(SALU_CYCLE_1) | instskip(NEXT) | instid1(SALU_CYCLE_1)
	s_mul_i32 s17, s17, s15
	s_sub_i32 s17, s11, s17
	s_delay_alu instid0(SALU_CYCLE_1) | instskip(SKIP_2) | instid1(SALU_CYCLE_1)
	s_sub_i32 s18, s17, s15
	s_cmp_ge_u32 s17, s15
	s_cselect_b32 s17, s18, s17
	s_sub_i32 s18, s17, s15
	s_cmp_ge_u32 s17, s15
	s_cselect_b32 s17, s18, s17
	s_mov_b32 s18, exec_lo
	s_sub_i32 s17, s11, s17
	s_delay_alu instid0(SALU_CYCLE_1)
	v_cmpx_gt_i32_e64 s17, v3
	s_cbranch_execz .LBB165_31
; %bb.28:
	v_mov_b32_e32 v1, v0
.LBB165_29:                             ; =>This Inner Loop Header: Depth=1
	s_delay_alu instid0(VALU_DEP_1) | instskip(NEXT) | instid1(VALU_DEP_1)
	v_ashrrev_i32_e32 v2, 31, v1
	v_lshlrev_b64 v[15:16], 4, v[1:2]
	s_delay_alu instid0(VALU_DEP_1) | instskip(NEXT) | instid1(VALU_DEP_2)
	v_add_co_u32 v15, vcc_lo, s4, v15
	v_add_co_ci_u32_e32 v16, vcc_lo, s5, v16, vcc_lo
	global_load_b128 v[15:18], v[15:16], off
	s_waitcnt vmcnt(0)
	v_lshlrev_b32_e32 v2, 16, v15
	v_lshlrev_b32_e32 v19, 16, v16
	v_and_b32_e32 v16, 0xffff0000, v16
	v_and_b32_e32 v15, 0xffff0000, v15
	s_delay_alu instid0(VALU_DEP_2) | instskip(NEXT) | instid1(VALU_DEP_2)
	v_dual_sub_f32 v16, v16, v4 :: v_dual_lshlrev_b32 v21, 16, v18
	v_sub_f32_e32 v15, v15, v4
	v_dual_sub_f32 v2, v2, v4 :: v_dual_add_nc_u32 v1, v1, v5
	s_delay_alu instid0(VALU_DEP_1) | instskip(SKIP_3) | instid1(VALU_DEP_4)
	v_mul_f32_e32 v22, 0x3fb8aa3b, v2
	v_dual_sub_f32 v19, v19, v4 :: v_dual_lshlrev_b32 v20, 16, v17
	v_and_b32_e32 v17, 0xffff0000, v17
	v_cmp_ngt_f32_e32 vcc_lo, 0xc2ce8ed0, v2
	v_fma_f32 v30, 0x3fb8aa3b, v2, -v22
	s_delay_alu instid0(VALU_DEP_4) | instskip(NEXT) | instid1(VALU_DEP_4)
	v_sub_f32_e32 v20, v20, v4
	v_dual_sub_f32 v17, v17, v4 :: v_dual_and_b32 v18, 0xffff0000, v18
	v_mul_f32_e32 v23, 0x3fb8aa3b, v15
	v_mul_f32_e32 v24, 0x3fb8aa3b, v19
	s_delay_alu instid0(VALU_DEP_4) | instskip(NEXT) | instid1(VALU_DEP_4)
	v_mul_f32_e32 v26, 0x3fb8aa3b, v20
	v_sub_f32_e32 v18, v18, v4
	v_sub_f32_e32 v21, v21, v4
	v_mul_f32_e32 v25, 0x3fb8aa3b, v16
	v_rndne_f32_e32 v31, v22
	v_mul_f32_e32 v27, 0x3fb8aa3b, v17
	v_fma_f32 v32, 0x3fb8aa3b, v15, -v23
	v_mul_f32_e32 v28, 0x3fb8aa3b, v21
	v_rndne_f32_e32 v33, v23
	v_sub_f32_e32 v22, v22, v31
	v_rndne_f32_e32 v37, v25
	v_fmac_f32_e32 v30, 0x32a5705f, v2
	v_fma_f32 v36, 0x3fb8aa3b, v16, -v25
	v_rndne_f32_e32 v39, v26
	v_rndne_f32_e32 v41, v27
	v_dual_sub_f32 v25, v25, v37 :: v_dual_fmac_f32 v32, 0x32a5705f, v15
	v_dual_sub_f32 v23, v23, v33 :: v_dual_add_f32 v22, v22, v30
	v_fma_f32 v34, 0x3fb8aa3b, v19, -v24
	v_rndne_f32_e32 v35, v24
	v_mul_f32_e32 v29, 0x3fb8aa3b, v18
	v_fma_f32 v38, 0x3fb8aa3b, v20, -v26
	v_fma_f32 v40, 0x3fb8aa3b, v17, -v27
	s_delay_alu instid0(VALU_DEP_4)
	v_dual_sub_f32 v27, v27, v41 :: v_dual_sub_f32 v24, v24, v35
	v_dual_sub_f32 v26, v26, v39 :: v_dual_add_f32 v23, v23, v32
	v_exp_f32_e32 v22, v22
	v_rndne_f32_e32 v45, v29
	v_cvt_i32_f32_e32 v31, v31
	v_fmac_f32_e32 v34, 0x32a5705f, v19
	v_exp_f32_e32 v23, v23
	v_fma_f32 v44, 0x3fb8aa3b, v18, -v29
	v_sub_f32_e32 v29, v29, v45
	v_cvt_i32_f32_e32 v33, v33
	v_add_f32_e32 v24, v24, v34
	v_cvt_i32_f32_e32 v35, v35
	v_ldexp_f32 v22, v22, v31
	v_cvt_i32_f32_e32 v37, v37
	v_fma_f32 v42, 0x3fb8aa3b, v21, -v28
	v_exp_f32_e32 v24, v24
	v_ldexp_f32 v23, v23, v33
	v_cndmask_b32_e32 v22, 0, v22, vcc_lo
	v_cmp_ngt_f32_e32 vcc_lo, 0xc2ce8ed0, v15
	v_fmac_f32_e32 v36, 0x32a5705f, v16
	v_rndne_f32_e32 v43, v28
	v_cvt_i32_f32_e32 v39, v39
	v_dual_fmac_f32 v44, 0x32a5705f, v18 :: v_dual_cndmask_b32 v23, 0, v23
	s_delay_alu instid0(VALU_DEP_4) | instskip(SKIP_2) | instid1(VALU_DEP_3)
	v_dual_fmac_f32 v40, 0x32a5705f, v17 :: v_dual_add_f32 v25, v25, v36
	v_cmp_nlt_f32_e32 vcc_lo, 0x42b17218, v2
	v_ldexp_f32 v24, v24, v35
	v_dual_fmac_f32 v42, 0x32a5705f, v21 :: v_dual_add_f32 v27, v27, v40
	s_delay_alu instid0(VALU_DEP_4) | instskip(SKIP_4) | instid1(VALU_DEP_3)
	v_exp_f32_e32 v25, v25
	v_cndmask_b32_e32 v2, 0x7f800000, v22, vcc_lo
	v_cmp_ngt_f32_e32 vcc_lo, 0xc2ce8ed0, v19
	v_dual_sub_f32 v28, v28, v43 :: v_dual_add_f32 v29, v29, v44
	v_exp_f32_e32 v27, v27
	v_add_f32_e32 v2, v14, v2
	v_cndmask_b32_e32 v22, 0, v24, vcc_lo
	v_cmp_nlt_f32_e32 vcc_lo, 0x42b17218, v15
	v_cvt_i32_f32_e32 v41, v41
	s_delay_alu instid0(TRANS32_DEP_2)
	v_ldexp_f32 v25, v25, v37
	v_add_f32_e32 v28, v28, v42
	v_cvt_i32_f32_e32 v43, v43
	v_cndmask_b32_e32 v15, 0x7f800000, v23, vcc_lo
	v_cmp_ngt_f32_e32 vcc_lo, 0xc2ce8ed0, v16
	v_ldexp_f32 v27, v27, v41
	v_exp_f32_e32 v28, v28
	v_exp_f32_e32 v29, v29
	v_add_f32_e32 v2, v2, v15
	v_cndmask_b32_e32 v14, 0, v25, vcc_lo
	v_cmp_nlt_f32_e32 vcc_lo, 0x42b17218, v19
	v_cvt_i32_f32_e32 v45, v45
	v_cndmask_b32_e32 v19, 0x7f800000, v22, vcc_lo
	v_cmp_ngt_f32_e32 vcc_lo, 0xc2ce8ed0, v20
	v_fmac_f32_e32 v38, 0x32a5705f, v20
	s_delay_alu instid0(TRANS32_DEP_2) | instskip(NEXT) | instid1(TRANS32_DEP_1)
	v_ldexp_f32 v28, v28, v43
	v_ldexp_f32 v29, v29, v45
	v_add_f32_e32 v2, v2, v19
	s_delay_alu instid0(VALU_DEP_4) | instskip(NEXT) | instid1(VALU_DEP_1)
	v_add_f32_e32 v26, v26, v38
	v_exp_f32_e32 v26, v26
	s_waitcnt_depctr 0xfff
	v_ldexp_f32 v26, v26, v39
	s_delay_alu instid0(VALU_DEP_1) | instskip(SKIP_3) | instid1(VALU_DEP_2)
	v_cndmask_b32_e32 v15, 0, v26, vcc_lo
	v_cmp_nlt_f32_e32 vcc_lo, 0x42b17218, v16
	v_cndmask_b32_e32 v14, 0x7f800000, v14, vcc_lo
	v_cmp_ngt_f32_e32 vcc_lo, 0xc2ce8ed0, v17
	v_add_f32_e32 v2, v2, v14
	v_cndmask_b32_e32 v16, 0, v27, vcc_lo
	v_cmp_nlt_f32_e32 vcc_lo, 0x42b17218, v20
	v_cndmask_b32_e32 v15, 0x7f800000, v15, vcc_lo
	v_cmp_ngt_f32_e32 vcc_lo, 0xc2ce8ed0, v21
	s_delay_alu instid0(VALU_DEP_2) | instskip(SKIP_4) | instid1(VALU_DEP_2)
	v_add_f32_e32 v2, v2, v15
	v_cndmask_b32_e32 v14, 0, v28, vcc_lo
	v_cmp_nlt_f32_e32 vcc_lo, 0x42b17218, v17
	v_cndmask_b32_e32 v16, 0x7f800000, v16, vcc_lo
	v_cmp_ngt_f32_e32 vcc_lo, 0xc2ce8ed0, v18
	v_dual_add_f32 v2, v2, v16 :: v_dual_cndmask_b32 v15, 0, v29
	v_cmp_nlt_f32_e32 vcc_lo, 0x42b17218, v21
	v_lshlrev_b32_e32 v16, 3, v1
	v_cndmask_b32_e32 v14, 0x7f800000, v14, vcc_lo
	v_cmp_nlt_f32_e32 vcc_lo, 0x42b17218, v18
	s_delay_alu instid0(VALU_DEP_2) | instskip(NEXT) | instid1(VALU_DEP_4)
	v_dual_add_f32 v2, v2, v14 :: v_dual_cndmask_b32 v15, 0x7f800000, v15
	v_cmp_le_i32_e32 vcc_lo, s17, v16
	s_delay_alu instid0(VALU_DEP_2) | instskip(SKIP_1) | instid1(SALU_CYCLE_1)
	v_add_f32_e32 v14, v2, v15
	s_or_b32 s19, vcc_lo, s19
	s_and_not1_b32 exec_lo, exec_lo, s19
	s_cbranch_execnz .LBB165_29
; %bb.30:
	s_or_b32 exec_lo, exec_lo, s19
.LBB165_31:
	s_delay_alu instid0(SALU_CYCLE_1) | instskip(SKIP_2) | instid1(VALU_DEP_1)
	s_or_b32 exec_lo, exec_lo, s18
	v_add_nc_u32_e32 v1, s17, v0
	s_mov_b32 s17, exec_lo
	v_cmpx_gt_i32_e64 s11, v1
	s_cbranch_execz .LBB165_35
; %bb.32:
	s_mov_b32 s18, 0
	s_set_inst_prefetch_distance 0x1
	.p2align	6
.LBB165_33:                             ; =>This Inner Loop Header: Depth=1
	v_ashrrev_i32_e32 v2, 31, v1
	s_delay_alu instid0(VALU_DEP_1) | instskip(SKIP_1) | instid1(VALU_DEP_2)
	v_lshlrev_b64 v[15:16], 1, v[1:2]
	v_add_nc_u32_e32 v1, v1, v5
	v_add_co_u32 v15, vcc_lo, s4, v15
	s_delay_alu instid0(VALU_DEP_3) | instskip(SKIP_3) | instid1(VALU_DEP_1)
	v_add_co_ci_u32_e32 v16, vcc_lo, s5, v16, vcc_lo
	global_load_u16 v2, v[15:16], off
	s_waitcnt vmcnt(0)
	v_lshlrev_b32_e32 v2, 16, v2
	v_sub_f32_e32 v2, v2, v4
	s_delay_alu instid0(VALU_DEP_1) | instskip(SKIP_1) | instid1(VALU_DEP_2)
	v_mul_f32_e32 v15, 0x3fb8aa3b, v2
	v_cmp_ngt_f32_e32 vcc_lo, 0xc2ce8ed0, v2
	v_fma_f32 v16, 0x3fb8aa3b, v2, -v15
	v_rndne_f32_e32 v17, v15
	s_delay_alu instid0(VALU_DEP_1) | instskip(NEXT) | instid1(VALU_DEP_1)
	v_dual_fmac_f32 v16, 0x32a5705f, v2 :: v_dual_sub_f32 v15, v15, v17
	v_add_f32_e32 v15, v15, v16
	v_cvt_i32_f32_e32 v16, v17
	s_delay_alu instid0(VALU_DEP_2) | instskip(SKIP_2) | instid1(VALU_DEP_1)
	v_exp_f32_e32 v15, v15
	s_waitcnt_depctr 0xfff
	v_ldexp_f32 v15, v15, v16
	v_cndmask_b32_e32 v15, 0, v15, vcc_lo
	v_cmp_nlt_f32_e32 vcc_lo, 0x42b17218, v2
	s_delay_alu instid0(VALU_DEP_2) | instskip(SKIP_1) | instid1(VALU_DEP_2)
	v_cndmask_b32_e32 v2, 0x7f800000, v15, vcc_lo
	v_cmp_le_i32_e32 vcc_lo, s11, v1
	v_add_f32_e32 v14, v14, v2
	s_or_b32 s18, vcc_lo, s18
	s_delay_alu instid0(SALU_CYCLE_1)
	s_and_not1_b32 exec_lo, exec_lo, s18
	s_cbranch_execnz .LBB165_33
; %bb.34:
	s_set_inst_prefetch_distance 0x2
	s_or_b32 exec_lo, exec_lo, s18
.LBB165_35:
	s_delay_alu instid0(SALU_CYCLE_1)
	s_or_b32 exec_lo, exec_lo, s17
	ds_bpermute_b32 v1, v6, v14
	s_waitcnt lgkmcnt(0)
	s_barrier
	buffer_gl0_inv
	v_add_f32_e32 v1, v14, v1
	ds_bpermute_b32 v2, v7, v1
	s_waitcnt lgkmcnt(0)
	v_add_f32_e32 v1, v1, v2
	ds_bpermute_b32 v2, v9, v1
	s_waitcnt lgkmcnt(0)
	;; [unrolled: 3-line block ×3, first 2 shown]
	v_add_f32_e32 v1, v1, v2
	ds_bpermute_b32 v2, v11, v1
	s_and_saveexec_b32 s4, s2
	s_cbranch_execz .LBB165_37
; %bb.36:
	s_waitcnt lgkmcnt(0)
	v_dual_add_f32 v1, v1, v2 :: v_dual_add_nc_u32 v12, 0, v12
	ds_store_b32 v12, v1
.LBB165_37:
	s_or_b32 exec_lo, exec_lo, s4
	v_mov_b32_e32 v1, 0
	s_waitcnt lgkmcnt(0)
	s_barrier
	buffer_gl0_inv
	s_and_saveexec_b32 s2, s0
	s_cbranch_execnz .LBB165_58
; %bb.38:
	s_or_b32 exec_lo, exec_lo, s2
	s_and_saveexec_b32 s0, s1
	s_cbranch_execnz .LBB165_59
.LBB165_39:
	s_or_b32 exec_lo, exec_lo, s0
	s_and_saveexec_b32 s0, s3
	s_cbranch_execz .LBB165_41
.LBB165_40:
	v_mov_b32_e32 v2, 0
	s_waitcnt lgkmcnt(0)
	ds_store_b32 v2, v1
.LBB165_41:
	s_or_b32 exec_lo, exec_lo, s0
	s_waitcnt lgkmcnt(0)
	v_mov_b32_e32 v1, 0
	s_barrier
	buffer_gl0_inv
	s_add_u32 s1, s8, s12
	ds_load_b32 v1, v1
	s_addc_u32 s5, s9, s13
	s_waitcnt lgkmcnt(0)
	v_cmp_gt_f32_e32 vcc_lo, 0x800000, v1
	v_cndmask_b32_e64 v2, 1.0, 0x4f800000, vcc_lo
	s_delay_alu instid0(VALU_DEP_1) | instskip(NEXT) | instid1(VALU_DEP_1)
	v_mul_f32_e32 v1, v1, v2
	v_log_f32_e32 v1, v1
	s_waitcnt_depctr 0xfff
	v_mul_f32_e32 v2, 0x3f317217, v1
	v_cmp_gt_f32_e64 s0, 0x7f800000, |v1|
	s_delay_alu instid0(VALU_DEP_2) | instskip(NEXT) | instid1(VALU_DEP_1)
	v_fma_f32 v6, 0x3f317217, v1, -v2
	v_fmamk_f32 v6, v1, 0x3377d1cf, v6
	s_delay_alu instid0(VALU_DEP_1) | instskip(NEXT) | instid1(VALU_DEP_1)
	v_add_f32_e32 v2, v2, v6
	v_cndmask_b32_e64 v1, v1, v2, s0
	v_cndmask_b32_e64 v2, 0, 0x41b17218, vcc_lo
	s_bfe_u32 s0, s1, 0x30001
	s_delay_alu instid0(SALU_CYCLE_1) | instskip(SKIP_1) | instid1(VALU_DEP_1)
	s_cmp_lg_u32 s10, s0
	s_mov_b32 s0, -1
	v_sub_f32_e32 v6, v1, v2
	s_cbranch_scc0 .LBB165_46
; %bb.42:
	s_mov_b32 s2, exec_lo
	v_cmpx_gt_i32_e64 s14, v0
	s_cbranch_execz .LBB165_45
; %bb.43:
	v_mov_b32_e32 v1, v0
	s_mov_b32 s3, 0
	s_set_inst_prefetch_distance 0x1
	.p2align	6
.LBB165_44:                             ; =>This Inner Loop Header: Depth=1
	s_delay_alu instid0(VALU_DEP_1) | instskip(NEXT) | instid1(VALU_DEP_1)
	v_ashrrev_i32_e32 v2, 31, v1
	v_lshlrev_b64 v[9:10], 1, v[1:2]
	v_add_nc_u32_e32 v1, s20, v1
	s_delay_alu instid0(VALU_DEP_2) | instskip(NEXT) | instid1(VALU_DEP_3)
	v_add_co_u32 v11, vcc_lo, s6, v9
	v_add_co_ci_u32_e32 v12, vcc_lo, s7, v10, vcc_lo
	s_delay_alu instid0(VALU_DEP_3) | instskip(SKIP_4) | instid1(VALU_DEP_1)
	v_cmp_le_i32_e32 vcc_lo, s14, v1
	global_load_u16 v2, v[11:12], off
	s_or_b32 s3, vcc_lo, s3
	s_waitcnt vmcnt(0)
	v_lshlrev_b32_e32 v2, 16, v2
	v_sub_f32_e32 v2, v2, v4
	s_delay_alu instid0(VALU_DEP_1) | instskip(NEXT) | instid1(VALU_DEP_1)
	v_sub_f32_e32 v2, v2, v6
	v_bfe_u32 v7, v2, 16, 1
	v_cmp_o_f32_e64 s0, v2, v2
	s_delay_alu instid0(VALU_DEP_2) | instskip(NEXT) | instid1(VALU_DEP_1)
	v_add3_u32 v7, v2, v7, 0x7fff
	v_lshrrev_b32_e32 v7, 16, v7
	s_delay_alu instid0(VALU_DEP_1) | instskip(SKIP_1) | instid1(VALU_DEP_1)
	v_cndmask_b32_e64 v2, 0x7fc0, v7, s0
	v_add_co_u32 v9, s0, s1, v9
	v_add_co_ci_u32_e64 v10, s0, s5, v10, s0
	global_store_b16 v[9:10], v2, off
	s_and_not1_b32 exec_lo, exec_lo, s3
	s_cbranch_execnz .LBB165_44
.LBB165_45:
	s_set_inst_prefetch_distance 0x2
	s_or_b32 exec_lo, exec_lo, s2
	s_mov_b32 s0, 0
.LBB165_46:
	s_delay_alu instid0(SALU_CYCLE_1)
	s_and_not1_b32 vcc_lo, exec_lo, s0
	s_cbranch_vccnz .LBB165_57
; %bb.47:
	v_cmp_ne_u32_e32 vcc_lo, 1, v8
	s_cbranch_vccnz .LBB165_51
; %bb.48:
	s_mov_b32 s11, 0
	v_cmp_le_u32_e32 vcc_lo, s10, v0
	s_lshl_b64 s[8:9], s[10:11], 1
	s_delay_alu instid0(SALU_CYCLE_1) | instskip(SKIP_4) | instid1(SALU_CYCLE_1)
	s_sub_u32 s2, s6, s8
	s_subb_u32 s3, s7, s9
	s_sub_u32 s4, s1, s8
	s_subb_u32 s5, s5, s9
	s_add_i32 s1, s10, s14
	v_cmp_gt_i32_e64 s0, s1, v0
	s_delay_alu instid0(VALU_DEP_1) | instskip(NEXT) | instid1(SALU_CYCLE_1)
	s_and_b32 s6, vcc_lo, s0
	s_and_saveexec_b32 s0, s6
	s_cbranch_execz .LBB165_50
; %bb.49:
	v_lshlrev_b32_e32 v1, 1, v0
	global_load_u16 v2, v1, s[2:3]
	s_waitcnt vmcnt(0)
	v_lshlrev_b32_e32 v2, 16, v2
	s_delay_alu instid0(VALU_DEP_1) | instskip(NEXT) | instid1(VALU_DEP_1)
	v_sub_f32_e32 v2, v2, v4
	v_sub_f32_e32 v2, v2, v6
	s_delay_alu instid0(VALU_DEP_1) | instskip(SKIP_1) | instid1(VALU_DEP_2)
	v_bfe_u32 v7, v2, 16, 1
	v_cmp_o_f32_e32 vcc_lo, v2, v2
	v_add3_u32 v7, v2, v7, 0x7fff
	s_delay_alu instid0(VALU_DEP_1) | instskip(NEXT) | instid1(VALU_DEP_1)
	v_lshrrev_b32_e32 v7, 16, v7
	v_cndmask_b32_e32 v2, 0x7fc0, v7, vcc_lo
	global_store_b16 v1, v2, s[4:5]
.LBB165_50:
	s_or_b32 exec_lo, exec_lo, s0
	v_sub_nc_u32_e64 v1, s1, s20 clamp
	s_lshl_b32 s0, s20, 1
	s_delay_alu instid0(SALU_CYCLE_1) | instskip(SKIP_1) | instid1(VALU_DEP_1)
	s_add_u32 s6, s2, s0
	s_addc_u32 s7, s3, 0
	v_readfirstlane_b32 s14, v1
	s_add_u32 s1, s4, s0
	s_addc_u32 s5, s5, 0
.LBB165_51:
	s_delay_alu instid0(VALU_DEP_1) | instskip(NEXT) | instid1(SALU_CYCLE_1)
	s_mul_hi_u32 s0, s14, s16
	s_mul_i32 s0, s0, s15
	s_delay_alu instid0(SALU_CYCLE_1) | instskip(NEXT) | instid1(SALU_CYCLE_1)
	s_sub_i32 s0, s14, s0
	s_sub_i32 s2, s0, s15
	s_cmp_ge_u32 s0, s15
	s_cselect_b32 s0, s2, s0
	s_delay_alu instid0(SALU_CYCLE_1) | instskip(SKIP_4) | instid1(SALU_CYCLE_1)
	s_sub_i32 s2, s0, s15
	s_cmp_ge_u32 s0, s15
	s_cselect_b32 s0, s2, s0
	s_mov_b32 s2, exec_lo
	s_sub_i32 s0, s14, s0
	v_cmpx_gt_i32_e64 s0, v3
	s_cbranch_execz .LBB165_54
; %bb.52:
	v_mov_b32_e32 v1, v0
	s_mov_b32 s3, 0
.LBB165_53:                             ; =>This Inner Loop Header: Depth=1
	s_delay_alu instid0(VALU_DEP_1) | instskip(NEXT) | instid1(VALU_DEP_1)
	v_ashrrev_i32_e32 v2, 31, v1
	v_lshlrev_b64 v[2:3], 4, v[1:2]
	s_delay_alu instid0(VALU_DEP_1) | instskip(NEXT) | instid1(VALU_DEP_2)
	v_add_co_u32 v7, vcc_lo, s6, v2
	v_add_co_ci_u32_e32 v8, vcc_lo, s7, v3, vcc_lo
	v_add_co_u32 v2, vcc_lo, s1, v2
	v_add_co_ci_u32_e32 v3, vcc_lo, s5, v3, vcc_lo
	global_load_b128 v[7:10], v[7:8], off
	s_waitcnt vmcnt(0)
	v_lshlrev_b32_e32 v12, 16, v7
	v_lshlrev_b32_e32 v14, 16, v9
	s_delay_alu instid0(VALU_DEP_1) | instskip(NEXT) | instid1(VALU_DEP_1)
	v_dual_sub_f32 v14, v14, v4 :: v_dual_and_b32 v7, 0xffff0000, v7
	v_sub_f32_e32 v7, v7, v4
	s_delay_alu instid0(VALU_DEP_4) | instskip(SKIP_1) | instid1(VALU_DEP_3)
	v_dual_sub_f32 v12, v12, v4 :: v_dual_add_nc_u32 v1, v1, v5
	v_lshlrev_b32_e32 v13, 16, v8
	v_dual_sub_f32 v7, v7, v6 :: v_dual_and_b32 v8, 0xffff0000, v8
	s_delay_alu instid0(VALU_DEP_3) | instskip(NEXT) | instid1(VALU_DEP_3)
	v_dual_sub_f32 v12, v12, v6 :: v_dual_lshlrev_b32 v11, 3, v1
	v_sub_f32_e32 v13, v13, v4
	s_delay_alu instid0(VALU_DEP_3) | instskip(NEXT) | instid1(VALU_DEP_4)
	v_sub_f32_e32 v8, v8, v4
	v_bfe_u32 v16, v7, 16, 1
	v_cmp_o_f32_e32 vcc_lo, v7, v7
	v_bfe_u32 v17, v12, 16, 1
	s_delay_alu instid0(VALU_DEP_4) | instskip(NEXT) | instid1(VALU_DEP_4)
	v_sub_f32_e32 v8, v8, v6
	v_add3_u32 v16, v7, v16, 0x7fff
	s_delay_alu instid0(VALU_DEP_3) | instskip(NEXT) | instid1(VALU_DEP_3)
	v_add3_u32 v17, v12, v17, 0x7fff
	v_bfe_u32 v18, v8, 16, 1
	s_delay_alu instid0(VALU_DEP_3) | instskip(SKIP_1) | instid1(VALU_DEP_4)
	v_lshrrev_b32_e32 v16, 16, v16
	v_sub_f32_e32 v14, v14, v6
	v_lshrrev_b32_e32 v17, 16, v17
	v_sub_f32_e32 v13, v13, v6
	v_add3_u32 v18, v8, v18, 0x7fff
	v_cndmask_b32_e32 v7, 0x7fc0, v16, vcc_lo
	v_bfe_u32 v21, v14, 16, 1
	v_cmp_o_f32_e32 vcc_lo, v8, v8
	v_bfe_u32 v19, v13, 16, 1
	v_lshrrev_b32_e32 v18, 16, v18
	s_delay_alu instid0(VALU_DEP_4) | instskip(NEXT) | instid1(VALU_DEP_3)
	v_add3_u32 v21, v14, v21, 0x7fff
	v_add3_u32 v19, v13, v19, 0x7fff
	s_delay_alu instid0(VALU_DEP_3) | instskip(SKIP_1) | instid1(VALU_DEP_4)
	v_cndmask_b32_e32 v8, 0x7fc0, v18, vcc_lo
	v_cmp_o_f32_e32 vcc_lo, v13, v13
	v_lshrrev_b32_e32 v21, 16, v21
	v_lshlrev_b32_e32 v15, 16, v10
	v_and_b32_e32 v10, 0xffff0000, v10
	v_and_b32_e32 v9, 0xffff0000, v9
	v_lshrrev_b32_e32 v19, 16, v19
	s_delay_alu instid0(VALU_DEP_4) | instskip(NEXT) | instid1(VALU_DEP_4)
	v_sub_f32_e32 v15, v15, v4
	v_sub_f32_e32 v10, v10, v4
	s_delay_alu instid0(VALU_DEP_4) | instskip(NEXT) | instid1(VALU_DEP_4)
	v_sub_f32_e32 v9, v9, v4
	v_cndmask_b32_e32 v13, 0x7fc0, v19, vcc_lo
	s_delay_alu instid0(VALU_DEP_4) | instskip(NEXT) | instid1(VALU_DEP_4)
	v_sub_f32_e32 v15, v15, v6
	v_sub_f32_e32 v10, v10, v6
	s_delay_alu instid0(VALU_DEP_4) | instskip(NEXT) | instid1(VALU_DEP_4)
	v_sub_f32_e32 v9, v9, v6
	v_perm_b32 v8, v8, v13, 0x5040100
	s_delay_alu instid0(VALU_DEP_4) | instskip(NEXT) | instid1(VALU_DEP_4)
	v_bfe_u32 v23, v15, 16, 1
	v_bfe_u32 v22, v10, 16, 1
	s_delay_alu instid0(VALU_DEP_4) | instskip(SKIP_1) | instid1(VALU_DEP_4)
	v_bfe_u32 v20, v9, 16, 1
	v_cmp_o_f32_e32 vcc_lo, v9, v9
	v_add3_u32 v23, v15, v23, 0x7fff
	s_delay_alu instid0(VALU_DEP_4) | instskip(NEXT) | instid1(VALU_DEP_4)
	v_add3_u32 v22, v10, v22, 0x7fff
	v_add3_u32 v20, v9, v20, 0x7fff
	s_delay_alu instid0(VALU_DEP_3) | instskip(NEXT) | instid1(VALU_DEP_3)
	v_lshrrev_b32_e32 v23, 16, v23
	v_lshrrev_b32_e32 v22, 16, v22
	s_delay_alu instid0(VALU_DEP_3) | instskip(NEXT) | instid1(VALU_DEP_1)
	v_lshrrev_b32_e32 v20, 16, v20
	v_cndmask_b32_e32 v9, 0x7fc0, v20, vcc_lo
	v_cmp_o_f32_e32 vcc_lo, v10, v10
	s_delay_alu instid0(VALU_DEP_4) | instskip(SKIP_3) | instid1(VALU_DEP_2)
	v_cndmask_b32_e32 v10, 0x7fc0, v22, vcc_lo
	v_cmp_o_f32_e32 vcc_lo, v15, v15
	v_cndmask_b32_e32 v15, 0x7fc0, v23, vcc_lo
	v_cmp_o_f32_e32 vcc_lo, v14, v14
	v_perm_b32 v10, v10, v15, 0x5040100
	v_cndmask_b32_e32 v14, 0x7fc0, v21, vcc_lo
	v_cmp_o_f32_e32 vcc_lo, v12, v12
	s_delay_alu instid0(VALU_DEP_2) | instskip(SKIP_2) | instid1(VALU_DEP_2)
	v_perm_b32 v9, v9, v14, 0x5040100
	v_cndmask_b32_e32 v12, 0x7fc0, v17, vcc_lo
	v_cmp_le_i32_e32 vcc_lo, s0, v11
	v_perm_b32 v7, v7, v12, 0x5040100
	s_or_b32 s3, vcc_lo, s3
	global_store_b128 v[2:3], v[7:10], off
	s_and_not1_b32 exec_lo, exec_lo, s3
	s_cbranch_execnz .LBB165_53
.LBB165_54:
	s_or_b32 exec_lo, exec_lo, s2
	v_add_nc_u32_e32 v0, s0, v0
	s_mov_b32 s0, exec_lo
	s_delay_alu instid0(VALU_DEP_1)
	v_cmpx_gt_i32_e64 s14, v0
	s_cbranch_execz .LBB165_57
; %bb.55:
	s_mov_b32 s2, 0
	s_set_inst_prefetch_distance 0x1
	.p2align	6
.LBB165_56:                             ; =>This Inner Loop Header: Depth=1
	v_ashrrev_i32_e32 v1, 31, v0
	s_delay_alu instid0(VALU_DEP_1) | instskip(SKIP_1) | instid1(VALU_DEP_2)
	v_lshlrev_b64 v[1:2], 1, v[0:1]
	v_add_nc_u32_e32 v0, v0, v5
	v_add_co_u32 v7, vcc_lo, s6, v1
	s_delay_alu instid0(VALU_DEP_3) | instskip(NEXT) | instid1(VALU_DEP_3)
	v_add_co_ci_u32_e32 v8, vcc_lo, s7, v2, vcc_lo
	v_cmp_le_i32_e32 vcc_lo, s14, v0
	global_load_u16 v3, v[7:8], off
	s_or_b32 s2, vcc_lo, s2
	s_waitcnt vmcnt(0)
	v_lshlrev_b32_e32 v3, 16, v3
	s_delay_alu instid0(VALU_DEP_1) | instskip(NEXT) | instid1(VALU_DEP_1)
	v_sub_f32_e32 v3, v3, v4
	v_sub_f32_e32 v3, v3, v6
	s_delay_alu instid0(VALU_DEP_1) | instskip(SKIP_1) | instid1(VALU_DEP_2)
	v_bfe_u32 v7, v3, 16, 1
	v_cmp_o_f32_e64 s0, v3, v3
	v_add3_u32 v7, v3, v7, 0x7fff
	s_delay_alu instid0(VALU_DEP_1) | instskip(NEXT) | instid1(VALU_DEP_1)
	v_lshrrev_b32_e32 v7, 16, v7
	v_cndmask_b32_e64 v3, 0x7fc0, v7, s0
	v_add_co_u32 v1, s0, s1, v1
	s_delay_alu instid0(VALU_DEP_1)
	v_add_co_ci_u32_e64 v2, s0, s5, v2, s0
	global_store_b16 v[1:2], v3, off
	s_and_not1_b32 exec_lo, exec_lo, s2
	s_cbranch_execnz .LBB165_56
.LBB165_57:
	s_set_inst_prefetch_distance 0x2
	s_nop 0
	s_sendmsg sendmsg(MSG_DEALLOC_VGPRS)
	s_endpgm
.LBB165_58:
	ds_load_b32 v1, v13
	s_or_b32 exec_lo, exec_lo, s2
	s_and_saveexec_b32 s0, s1
	s_cbranch_execz .LBB165_39
.LBB165_59:
	s_waitcnt lgkmcnt(0)
	ds_bpermute_b32 v2, v6, v1
	s_waitcnt lgkmcnt(0)
	v_add_f32_e32 v1, v1, v2
	ds_bpermute_b32 v2, v7, v1
	s_waitcnt lgkmcnt(0)
	v_add_f32_e32 v1, v1, v2
	;; [unrolled: 3-line block ×5, first 2 shown]
	s_or_b32 exec_lo, exec_lo, s0
	s_and_saveexec_b32 s0, s3
	s_cbranch_execnz .LBB165_40
	s_branch .LBB165_41
	.section	.rodata,"a",@progbits
	.p2align	6, 0x0
	.amdhsa_kernel _ZN2at6native12_GLOBAL__N_119cunn_SoftMaxForwardILi8EN3c108BFloat16EfS4_NS1_25LogSoftMaxForwardEpilogueEEEvPT2_PKT0_i
		.amdhsa_group_segment_fixed_size 0
		.amdhsa_private_segment_fixed_size 0
		.amdhsa_kernarg_size 280
		.amdhsa_user_sgpr_count 15
		.amdhsa_user_sgpr_dispatch_ptr 0
		.amdhsa_user_sgpr_queue_ptr 0
		.amdhsa_user_sgpr_kernarg_segment_ptr 1
		.amdhsa_user_sgpr_dispatch_id 0
		.amdhsa_user_sgpr_private_segment_size 0
		.amdhsa_wavefront_size32 1
		.amdhsa_uses_dynamic_stack 0
		.amdhsa_enable_private_segment 0
		.amdhsa_system_sgpr_workgroup_id_x 1
		.amdhsa_system_sgpr_workgroup_id_y 0
		.amdhsa_system_sgpr_workgroup_id_z 0
		.amdhsa_system_sgpr_workgroup_info 0
		.amdhsa_system_vgpr_workitem_id 0
		.amdhsa_next_free_vgpr 46
		.amdhsa_next_free_sgpr 21
		.amdhsa_reserve_vcc 1
		.amdhsa_float_round_mode_32 0
		.amdhsa_float_round_mode_16_64 0
		.amdhsa_float_denorm_mode_32 3
		.amdhsa_float_denorm_mode_16_64 3
		.amdhsa_dx10_clamp 1
		.amdhsa_ieee_mode 1
		.amdhsa_fp16_overflow 0
		.amdhsa_workgroup_processor_mode 1
		.amdhsa_memory_ordered 1
		.amdhsa_forward_progress 0
		.amdhsa_shared_vgpr_count 0
		.amdhsa_exception_fp_ieee_invalid_op 0
		.amdhsa_exception_fp_denorm_src 0
		.amdhsa_exception_fp_ieee_div_zero 0
		.amdhsa_exception_fp_ieee_overflow 0
		.amdhsa_exception_fp_ieee_underflow 0
		.amdhsa_exception_fp_ieee_inexact 0
		.amdhsa_exception_int_div_zero 0
	.end_amdhsa_kernel
	.section	.text._ZN2at6native12_GLOBAL__N_119cunn_SoftMaxForwardILi8EN3c108BFloat16EfS4_NS1_25LogSoftMaxForwardEpilogueEEEvPT2_PKT0_i,"axG",@progbits,_ZN2at6native12_GLOBAL__N_119cunn_SoftMaxForwardILi8EN3c108BFloat16EfS4_NS1_25LogSoftMaxForwardEpilogueEEEvPT2_PKT0_i,comdat
.Lfunc_end165:
	.size	_ZN2at6native12_GLOBAL__N_119cunn_SoftMaxForwardILi8EN3c108BFloat16EfS4_NS1_25LogSoftMaxForwardEpilogueEEEvPT2_PKT0_i, .Lfunc_end165-_ZN2at6native12_GLOBAL__N_119cunn_SoftMaxForwardILi8EN3c108BFloat16EfS4_NS1_25LogSoftMaxForwardEpilogueEEEvPT2_PKT0_i
                                        ; -- End function
	.section	.AMDGPU.csdata,"",@progbits
; Kernel info:
; codeLenInByte = 4800
; NumSgprs: 23
; NumVgprs: 46
; ScratchSize: 0
; MemoryBound: 0
; FloatMode: 240
; IeeeMode: 1
; LDSByteSize: 0 bytes/workgroup (compile time only)
; SGPRBlocks: 2
; VGPRBlocks: 5
; NumSGPRsForWavesPerEU: 23
; NumVGPRsForWavesPerEU: 46
; Occupancy: 16
; WaveLimiterHint : 0
; COMPUTE_PGM_RSRC2:SCRATCH_EN: 0
; COMPUTE_PGM_RSRC2:USER_SGPR: 15
; COMPUTE_PGM_RSRC2:TRAP_HANDLER: 0
; COMPUTE_PGM_RSRC2:TGID_X_EN: 1
; COMPUTE_PGM_RSRC2:TGID_Y_EN: 0
; COMPUTE_PGM_RSRC2:TGID_Z_EN: 0
; COMPUTE_PGM_RSRC2:TIDIG_COMP_CNT: 0
	.section	.text._ZN12_GLOBAL__N_120softmax_warp_forwardIN3c108BFloat16EffLi0ELb1ELb0ELi64EEEvPT0_PKT_iiiPKbib,"axG",@progbits,_ZN12_GLOBAL__N_120softmax_warp_forwardIN3c108BFloat16EffLi0ELb1ELb0ELi64EEEvPT0_PKT_iiiPKbib,comdat
	.globl	_ZN12_GLOBAL__N_120softmax_warp_forwardIN3c108BFloat16EffLi0ELb1ELb0ELi64EEEvPT0_PKT_iiiPKbib ; -- Begin function _ZN12_GLOBAL__N_120softmax_warp_forwardIN3c108BFloat16EffLi0ELb1ELb0ELi64EEEvPT0_PKT_iiiPKbib
	.p2align	8
	.type	_ZN12_GLOBAL__N_120softmax_warp_forwardIN3c108BFloat16EffLi0ELb1ELb0ELi64EEEvPT0_PKT_iiiPKbib,@function
_ZN12_GLOBAL__N_120softmax_warp_forwardIN3c108BFloat16EffLi0ELb1ELb0ELi64EEEvPT0_PKT_iiiPKbib: ; @_ZN12_GLOBAL__N_120softmax_warp_forwardIN3c108BFloat16EffLi0ELb1ELb0ELi64EEEvPT0_PKT_iiiPKbib
; %bb.0:
	s_clause 0x1
	s_load_b32 s2, s[0:1], 0x3c
	s_load_b256 s[4:11], s[0:1], 0x0
	v_bfe_u32 v1, v0, 10, 10
	v_and_b32_e32 v2, 0x3ff, v0
	v_mov_b32_e32 v5, 0xff800000
	s_waitcnt lgkmcnt(0)
	s_lshr_b32 s0, s2, 16
	s_delay_alu instid0(VALU_DEP_2) | instskip(SKIP_1) | instid1(SALU_CYCLE_1)
	v_cmp_gt_i32_e32 vcc_lo, s10, v2
	s_mul_i32 s15, s15, s0
	v_add_lshl_u32 v3, s15, v1, 1
	s_delay_alu instid0(VALU_DEP_1) | instskip(SKIP_1) | instid1(VALU_DEP_1)
	v_mad_u64_u32 v[0:1], null, v3, s9, v[2:3]
	v_sub_nc_u32_e32 v4, s8, v3
	v_cmp_lt_i32_e64 s0, 0, v4
	s_delay_alu instid0(VALU_DEP_3) | instskip(NEXT) | instid1(VALU_DEP_2)
	v_ashrrev_i32_e32 v1, 31, v0
	s_and_b32 s2, vcc_lo, s0
	s_delay_alu instid0(VALU_DEP_1) | instskip(NEXT) | instid1(VALU_DEP_1)
	v_lshlrev_b64 v[6:7], 1, v[0:1]
	v_add_co_u32 v2, s1, s6, v6
	v_mov_b32_e32 v6, 0xff800000
	s_delay_alu instid0(VALU_DEP_3)
	v_add_co_ci_u32_e64 v3, s1, s7, v7, s1
	s_and_saveexec_b32 s1, s2
	s_cbranch_execz .LBB166_2
; %bb.1:
	global_load_u16 v6, v[2:3], off
	s_waitcnt vmcnt(0)
	v_lshlrev_b32_e32 v6, 16, v6
.LBB166_2:
	s_or_b32 exec_lo, exec_lo, s1
	v_cmp_lt_i32_e64 s1, 1, v4
	s_delay_alu instid0(VALU_DEP_1) | instskip(NEXT) | instid1(SALU_CYCLE_1)
	s_and_b32 s1, vcc_lo, s1
	s_and_saveexec_b32 s2, s1
	s_cbranch_execz .LBB166_4
; %bb.3:
	s_mov_b32 s11, 0
	s_delay_alu instid0(SALU_CYCLE_1) | instskip(NEXT) | instid1(SALU_CYCLE_1)
	s_lshl_b64 s[6:7], s[10:11], 1
	v_add_co_u32 v2, s1, v2, s6
	s_delay_alu instid0(VALU_DEP_1)
	v_add_co_ci_u32_e64 v3, s1, s7, v3, s1
	global_load_u16 v2, v[2:3], off
	s_waitcnt vmcnt(0)
	v_lshlrev_b32_e32 v5, 16, v2
.LBB166_4:
	s_or_b32 exec_lo, exec_lo, s2
	s_and_saveexec_b32 s1, s0
	s_cbranch_execz .LBB166_10
; %bb.5:
	v_lshlrev_b64 v[0:1], 2, v[0:1]
	s_delay_alu instid0(VALU_DEP_1) | instskip(NEXT) | instid1(VALU_DEP_1)
	v_add_co_u32 v0, s0, s4, v0
	v_add_co_ci_u32_e64 v1, s0, s5, v1, s0
	s_and_saveexec_b32 s2, vcc_lo
	s_cbranch_execz .LBB166_7
; %bb.6:
	v_sub_f32_e32 v2, v6, v6
	s_delay_alu instid0(VALU_DEP_1) | instskip(NEXT) | instid1(VALU_DEP_1)
	v_mul_f32_e32 v3, 0x3fb8aa3b, v2
	v_rndne_f32_e32 v6, v3
	v_fma_f32 v7, 0x3fb8aa3b, v2, -v3
	s_delay_alu instid0(VALU_DEP_2) | instskip(NEXT) | instid1(VALU_DEP_2)
	v_sub_f32_e32 v3, v3, v6
	v_fmamk_f32 v7, v2, 0x32a5705f, v7
	v_cvt_i32_f32_e32 v6, v6
	s_delay_alu instid0(VALU_DEP_2) | instskip(SKIP_1) | instid1(VALU_DEP_2)
	v_add_f32_e32 v3, v3, v7
	v_cmp_ngt_f32_e64 s0, 0xc2ce8ed0, v2
	v_exp_f32_e32 v3, v3
	s_waitcnt_depctr 0xfff
	v_ldexp_f32 v3, v3, v6
	s_delay_alu instid0(VALU_DEP_1) | instskip(SKIP_1) | instid1(VALU_DEP_1)
	v_cndmask_b32_e64 v3, 0, v3, s0
	v_cmp_nlt_f32_e64 s0, 0x42b17218, v2
	v_cndmask_b32_e64 v3, 0x7f800000, v3, s0
	s_delay_alu instid0(VALU_DEP_1) | instskip(NEXT) | instid1(VALU_DEP_1)
	v_cmp_gt_f32_e64 s0, 0x800000, v3
	v_cndmask_b32_e64 v6, 1.0, 0x4f800000, s0
	s_delay_alu instid0(VALU_DEP_1) | instskip(NEXT) | instid1(VALU_DEP_1)
	v_mul_f32_e32 v3, v3, v6
	v_log_f32_e32 v3, v3
	s_waitcnt_depctr 0xfff
	v_mul_f32_e32 v6, 0x3f317217, v3
	v_cmp_gt_f32_e64 s1, 0x7f800000, |v3|
	s_delay_alu instid0(VALU_DEP_2) | instskip(NEXT) | instid1(VALU_DEP_1)
	v_fma_f32 v7, 0x3f317217, v3, -v6
	v_fmamk_f32 v7, v3, 0x3377d1cf, v7
	s_delay_alu instid0(VALU_DEP_1) | instskip(NEXT) | instid1(VALU_DEP_1)
	v_add_f32_e32 v6, v6, v7
	v_cndmask_b32_e64 v3, v3, v6, s1
	v_cndmask_b32_e64 v6, 0, 0x41b17218, s0
	s_delay_alu instid0(VALU_DEP_1) | instskip(NEXT) | instid1(VALU_DEP_1)
	v_sub_f32_e32 v3, v3, v6
	v_sub_f32_e32 v2, v2, v3
	global_store_b32 v[0:1], v2, off
.LBB166_7:
	s_or_b32 exec_lo, exec_lo, s2
	v_cmp_ne_u32_e64 s0, 1, v4
	s_delay_alu instid0(VALU_DEP_1)
	s_and_b32 exec_lo, exec_lo, s0
	s_cbranch_execz .LBB166_10
; %bb.8:
	s_and_b32 exec_lo, exec_lo, vcc_lo
	s_cbranch_execz .LBB166_10
; %bb.9:
	v_sub_f32_e32 v2, v5, v5
	s_mov_b32 s11, 0
	s_delay_alu instid0(SALU_CYCLE_1) | instskip(NEXT) | instid1(VALU_DEP_1)
	s_lshl_b64 s[0:1], s[10:11], 2
	v_mul_f32_e32 v3, 0x3fb8aa3b, v2
	s_delay_alu instid0(VALU_DEP_1) | instskip(SKIP_1) | instid1(VALU_DEP_2)
	v_rndne_f32_e32 v4, v3
	v_fma_f32 v5, 0x3fb8aa3b, v2, -v3
	v_sub_f32_e32 v3, v3, v4
	s_delay_alu instid0(VALU_DEP_2) | instskip(SKIP_2) | instid1(VALU_DEP_3)
	v_fmamk_f32 v5, v2, 0x32a5705f, v5
	v_cvt_i32_f32_e32 v4, v4
	v_cmp_ngt_f32_e32 vcc_lo, 0xc2ce8ed0, v2
	v_add_f32_e32 v3, v3, v5
	s_delay_alu instid0(VALU_DEP_1) | instskip(SKIP_2) | instid1(VALU_DEP_1)
	v_exp_f32_e32 v3, v3
	s_waitcnt_depctr 0xfff
	v_ldexp_f32 v3, v3, v4
	v_cndmask_b32_e32 v3, 0, v3, vcc_lo
	v_cmp_nlt_f32_e32 vcc_lo, 0x42b17218, v2
	s_delay_alu instid0(VALU_DEP_2) | instskip(NEXT) | instid1(VALU_DEP_1)
	v_cndmask_b32_e32 v3, 0x7f800000, v3, vcc_lo
	v_cmp_gt_f32_e32 vcc_lo, 0x800000, v3
	v_cndmask_b32_e64 v4, 1.0, 0x4f800000, vcc_lo
	s_delay_alu instid0(VALU_DEP_1) | instskip(NEXT) | instid1(VALU_DEP_1)
	v_mul_f32_e32 v3, v3, v4
	v_log_f32_e32 v3, v3
	s_waitcnt_depctr 0xfff
	v_mul_f32_e32 v4, 0x3f317217, v3
	s_delay_alu instid0(VALU_DEP_1) | instskip(NEXT) | instid1(VALU_DEP_1)
	v_fma_f32 v5, 0x3f317217, v3, -v4
	v_fmamk_f32 v5, v3, 0x3377d1cf, v5
	s_delay_alu instid0(VALU_DEP_1) | instskip(SKIP_2) | instid1(VALU_DEP_3)
	v_add_f32_e32 v4, v4, v5
	v_cndmask_b32_e64 v5, 0, 0x41b17218, vcc_lo
	v_cmp_gt_f32_e64 vcc_lo, 0x7f800000, |v3|
	v_cndmask_b32_e32 v3, v3, v4, vcc_lo
	v_add_co_u32 v0, vcc_lo, v0, s0
	v_add_co_ci_u32_e32 v1, vcc_lo, s1, v1, vcc_lo
	s_delay_alu instid0(VALU_DEP_3) | instskip(NEXT) | instid1(VALU_DEP_1)
	v_sub_f32_e32 v3, v3, v5
	v_sub_f32_e32 v2, v2, v3
	global_store_b32 v[0:1], v2, off
.LBB166_10:
	s_nop 0
	s_sendmsg sendmsg(MSG_DEALLOC_VGPRS)
	s_endpgm
	.section	.rodata,"a",@progbits
	.p2align	6, 0x0
	.amdhsa_kernel _ZN12_GLOBAL__N_120softmax_warp_forwardIN3c108BFloat16EffLi0ELb1ELb0ELi64EEEvPT0_PKT_iiiPKbib
		.amdhsa_group_segment_fixed_size 0
		.amdhsa_private_segment_fixed_size 0
		.amdhsa_kernarg_size 304
		.amdhsa_user_sgpr_count 15
		.amdhsa_user_sgpr_dispatch_ptr 0
		.amdhsa_user_sgpr_queue_ptr 0
		.amdhsa_user_sgpr_kernarg_segment_ptr 1
		.amdhsa_user_sgpr_dispatch_id 0
		.amdhsa_user_sgpr_private_segment_size 0
		.amdhsa_wavefront_size32 1
		.amdhsa_uses_dynamic_stack 0
		.amdhsa_enable_private_segment 0
		.amdhsa_system_sgpr_workgroup_id_x 1
		.amdhsa_system_sgpr_workgroup_id_y 0
		.amdhsa_system_sgpr_workgroup_id_z 0
		.amdhsa_system_sgpr_workgroup_info 0
		.amdhsa_system_vgpr_workitem_id 1
		.amdhsa_next_free_vgpr 8
		.amdhsa_next_free_sgpr 16
		.amdhsa_reserve_vcc 1
		.amdhsa_float_round_mode_32 0
		.amdhsa_float_round_mode_16_64 0
		.amdhsa_float_denorm_mode_32 3
		.amdhsa_float_denorm_mode_16_64 3
		.amdhsa_dx10_clamp 1
		.amdhsa_ieee_mode 1
		.amdhsa_fp16_overflow 0
		.amdhsa_workgroup_processor_mode 1
		.amdhsa_memory_ordered 1
		.amdhsa_forward_progress 0
		.amdhsa_shared_vgpr_count 0
		.amdhsa_exception_fp_ieee_invalid_op 0
		.amdhsa_exception_fp_denorm_src 0
		.amdhsa_exception_fp_ieee_div_zero 0
		.amdhsa_exception_fp_ieee_overflow 0
		.amdhsa_exception_fp_ieee_underflow 0
		.amdhsa_exception_fp_ieee_inexact 0
		.amdhsa_exception_int_div_zero 0
	.end_amdhsa_kernel
	.section	.text._ZN12_GLOBAL__N_120softmax_warp_forwardIN3c108BFloat16EffLi0ELb1ELb0ELi64EEEvPT0_PKT_iiiPKbib,"axG",@progbits,_ZN12_GLOBAL__N_120softmax_warp_forwardIN3c108BFloat16EffLi0ELb1ELb0ELi64EEEvPT0_PKT_iiiPKbib,comdat
.Lfunc_end166:
	.size	_ZN12_GLOBAL__N_120softmax_warp_forwardIN3c108BFloat16EffLi0ELb1ELb0ELi64EEEvPT0_PKT_iiiPKbib, .Lfunc_end166-_ZN12_GLOBAL__N_120softmax_warp_forwardIN3c108BFloat16EffLi0ELb1ELb0ELi64EEEvPT0_PKT_iiiPKbib
                                        ; -- End function
	.section	.AMDGPU.csdata,"",@progbits
; Kernel info:
; codeLenInByte = 856
; NumSgprs: 18
; NumVgprs: 8
; ScratchSize: 0
; MemoryBound: 0
; FloatMode: 240
; IeeeMode: 1
; LDSByteSize: 0 bytes/workgroup (compile time only)
; SGPRBlocks: 2
; VGPRBlocks: 0
; NumSGPRsForWavesPerEU: 18
; NumVGPRsForWavesPerEU: 8
; Occupancy: 16
; WaveLimiterHint : 0
; COMPUTE_PGM_RSRC2:SCRATCH_EN: 0
; COMPUTE_PGM_RSRC2:USER_SGPR: 15
; COMPUTE_PGM_RSRC2:TRAP_HANDLER: 0
; COMPUTE_PGM_RSRC2:TGID_X_EN: 1
; COMPUTE_PGM_RSRC2:TGID_Y_EN: 0
; COMPUTE_PGM_RSRC2:TGID_Z_EN: 0
; COMPUTE_PGM_RSRC2:TIDIG_COMP_CNT: 1
	.section	.text._ZN12_GLOBAL__N_120softmax_warp_forwardIN3c108BFloat16EffLi0ELb1ELb0ELi32EEEvPT0_PKT_iiiPKbib,"axG",@progbits,_ZN12_GLOBAL__N_120softmax_warp_forwardIN3c108BFloat16EffLi0ELb1ELb0ELi32EEEvPT0_PKT_iiiPKbib,comdat
	.globl	_ZN12_GLOBAL__N_120softmax_warp_forwardIN3c108BFloat16EffLi0ELb1ELb0ELi32EEEvPT0_PKT_iiiPKbib ; -- Begin function _ZN12_GLOBAL__N_120softmax_warp_forwardIN3c108BFloat16EffLi0ELb1ELb0ELi32EEEvPT0_PKT_iiiPKbib
	.p2align	8
	.type	_ZN12_GLOBAL__N_120softmax_warp_forwardIN3c108BFloat16EffLi0ELb1ELb0ELi32EEEvPT0_PKT_iiiPKbib,@function
_ZN12_GLOBAL__N_120softmax_warp_forwardIN3c108BFloat16EffLi0ELb1ELb0ELi32EEEvPT0_PKT_iiiPKbib: ; @_ZN12_GLOBAL__N_120softmax_warp_forwardIN3c108BFloat16EffLi0ELb1ELb0ELi32EEEvPT0_PKT_iiiPKbib
; %bb.0:
	s_clause 0x1
	s_load_b32 s2, s[0:1], 0x3c
	s_load_b256 s[4:11], s[0:1], 0x0
	v_bfe_u32 v1, v0, 10, 10
	v_and_b32_e32 v2, 0x3ff, v0
	v_mov_b32_e32 v5, 0xff800000
	s_waitcnt lgkmcnt(0)
	s_lshr_b32 s0, s2, 16
	s_delay_alu instid0(VALU_DEP_2) | instskip(SKIP_1) | instid1(SALU_CYCLE_1)
	v_cmp_gt_i32_e32 vcc_lo, s10, v2
	s_mul_i32 s15, s15, s0
	v_add_lshl_u32 v3, s15, v1, 1
	s_delay_alu instid0(VALU_DEP_1) | instskip(SKIP_1) | instid1(VALU_DEP_1)
	v_mad_u64_u32 v[0:1], null, v3, s9, v[2:3]
	v_sub_nc_u32_e32 v4, s8, v3
	v_cmp_lt_i32_e64 s0, 0, v4
	s_delay_alu instid0(VALU_DEP_3) | instskip(NEXT) | instid1(VALU_DEP_2)
	v_ashrrev_i32_e32 v1, 31, v0
	s_and_b32 s2, vcc_lo, s0
	s_delay_alu instid0(VALU_DEP_1) | instskip(NEXT) | instid1(VALU_DEP_1)
	v_lshlrev_b64 v[6:7], 1, v[0:1]
	v_add_co_u32 v2, s1, s6, v6
	v_mov_b32_e32 v6, 0xff800000
	s_delay_alu instid0(VALU_DEP_3)
	v_add_co_ci_u32_e64 v3, s1, s7, v7, s1
	s_and_saveexec_b32 s1, s2
	s_cbranch_execz .LBB167_2
; %bb.1:
	global_load_u16 v6, v[2:3], off
	s_waitcnt vmcnt(0)
	v_lshlrev_b32_e32 v6, 16, v6
.LBB167_2:
	s_or_b32 exec_lo, exec_lo, s1
	v_cmp_lt_i32_e64 s1, 1, v4
	s_delay_alu instid0(VALU_DEP_1) | instskip(NEXT) | instid1(SALU_CYCLE_1)
	s_and_b32 s1, vcc_lo, s1
	s_and_saveexec_b32 s2, s1
	s_cbranch_execz .LBB167_4
; %bb.3:
	s_mov_b32 s11, 0
	s_delay_alu instid0(SALU_CYCLE_1) | instskip(NEXT) | instid1(SALU_CYCLE_1)
	s_lshl_b64 s[6:7], s[10:11], 1
	v_add_co_u32 v2, s1, v2, s6
	s_delay_alu instid0(VALU_DEP_1)
	v_add_co_ci_u32_e64 v3, s1, s7, v3, s1
	global_load_u16 v2, v[2:3], off
	s_waitcnt vmcnt(0)
	v_lshlrev_b32_e32 v5, 16, v2
.LBB167_4:
	s_or_b32 exec_lo, exec_lo, s2
	s_and_saveexec_b32 s1, s0
	s_cbranch_execz .LBB167_10
; %bb.5:
	v_lshlrev_b64 v[0:1], 2, v[0:1]
	s_delay_alu instid0(VALU_DEP_1) | instskip(NEXT) | instid1(VALU_DEP_1)
	v_add_co_u32 v0, s0, s4, v0
	v_add_co_ci_u32_e64 v1, s0, s5, v1, s0
	s_and_saveexec_b32 s2, vcc_lo
	s_cbranch_execz .LBB167_7
; %bb.6:
	v_sub_f32_e32 v2, v6, v6
	s_delay_alu instid0(VALU_DEP_1) | instskip(NEXT) | instid1(VALU_DEP_1)
	v_mul_f32_e32 v3, 0x3fb8aa3b, v2
	v_rndne_f32_e32 v6, v3
	v_fma_f32 v7, 0x3fb8aa3b, v2, -v3
	s_delay_alu instid0(VALU_DEP_2) | instskip(NEXT) | instid1(VALU_DEP_2)
	v_sub_f32_e32 v3, v3, v6
	v_fmamk_f32 v7, v2, 0x32a5705f, v7
	v_cvt_i32_f32_e32 v6, v6
	s_delay_alu instid0(VALU_DEP_2) | instskip(SKIP_1) | instid1(VALU_DEP_2)
	v_add_f32_e32 v3, v3, v7
	v_cmp_ngt_f32_e64 s0, 0xc2ce8ed0, v2
	v_exp_f32_e32 v3, v3
	s_waitcnt_depctr 0xfff
	v_ldexp_f32 v3, v3, v6
	s_delay_alu instid0(VALU_DEP_1) | instskip(SKIP_1) | instid1(VALU_DEP_1)
	v_cndmask_b32_e64 v3, 0, v3, s0
	v_cmp_nlt_f32_e64 s0, 0x42b17218, v2
	v_cndmask_b32_e64 v3, 0x7f800000, v3, s0
	s_delay_alu instid0(VALU_DEP_1) | instskip(NEXT) | instid1(VALU_DEP_1)
	v_cmp_gt_f32_e64 s0, 0x800000, v3
	v_cndmask_b32_e64 v6, 1.0, 0x4f800000, s0
	s_delay_alu instid0(VALU_DEP_1) | instskip(NEXT) | instid1(VALU_DEP_1)
	v_mul_f32_e32 v3, v3, v6
	v_log_f32_e32 v3, v3
	s_waitcnt_depctr 0xfff
	v_mul_f32_e32 v6, 0x3f317217, v3
	v_cmp_gt_f32_e64 s1, 0x7f800000, |v3|
	s_delay_alu instid0(VALU_DEP_2) | instskip(NEXT) | instid1(VALU_DEP_1)
	v_fma_f32 v7, 0x3f317217, v3, -v6
	v_fmamk_f32 v7, v3, 0x3377d1cf, v7
	s_delay_alu instid0(VALU_DEP_1) | instskip(NEXT) | instid1(VALU_DEP_1)
	v_add_f32_e32 v6, v6, v7
	v_cndmask_b32_e64 v3, v3, v6, s1
	v_cndmask_b32_e64 v6, 0, 0x41b17218, s0
	s_delay_alu instid0(VALU_DEP_1) | instskip(NEXT) | instid1(VALU_DEP_1)
	v_sub_f32_e32 v3, v3, v6
	v_sub_f32_e32 v2, v2, v3
	global_store_b32 v[0:1], v2, off
.LBB167_7:
	s_or_b32 exec_lo, exec_lo, s2
	v_cmp_ne_u32_e64 s0, 1, v4
	s_delay_alu instid0(VALU_DEP_1)
	s_and_b32 exec_lo, exec_lo, s0
	s_cbranch_execz .LBB167_10
; %bb.8:
	s_and_b32 exec_lo, exec_lo, vcc_lo
	s_cbranch_execz .LBB167_10
; %bb.9:
	v_sub_f32_e32 v2, v5, v5
	s_mov_b32 s11, 0
	s_delay_alu instid0(SALU_CYCLE_1) | instskip(NEXT) | instid1(VALU_DEP_1)
	s_lshl_b64 s[0:1], s[10:11], 2
	v_mul_f32_e32 v3, 0x3fb8aa3b, v2
	s_delay_alu instid0(VALU_DEP_1) | instskip(SKIP_1) | instid1(VALU_DEP_2)
	v_rndne_f32_e32 v4, v3
	v_fma_f32 v5, 0x3fb8aa3b, v2, -v3
	v_sub_f32_e32 v3, v3, v4
	s_delay_alu instid0(VALU_DEP_2) | instskip(SKIP_2) | instid1(VALU_DEP_3)
	v_fmamk_f32 v5, v2, 0x32a5705f, v5
	v_cvt_i32_f32_e32 v4, v4
	v_cmp_ngt_f32_e32 vcc_lo, 0xc2ce8ed0, v2
	v_add_f32_e32 v3, v3, v5
	s_delay_alu instid0(VALU_DEP_1) | instskip(SKIP_2) | instid1(VALU_DEP_1)
	v_exp_f32_e32 v3, v3
	s_waitcnt_depctr 0xfff
	v_ldexp_f32 v3, v3, v4
	v_cndmask_b32_e32 v3, 0, v3, vcc_lo
	v_cmp_nlt_f32_e32 vcc_lo, 0x42b17218, v2
	s_delay_alu instid0(VALU_DEP_2) | instskip(NEXT) | instid1(VALU_DEP_1)
	v_cndmask_b32_e32 v3, 0x7f800000, v3, vcc_lo
	v_cmp_gt_f32_e32 vcc_lo, 0x800000, v3
	v_cndmask_b32_e64 v4, 1.0, 0x4f800000, vcc_lo
	s_delay_alu instid0(VALU_DEP_1) | instskip(NEXT) | instid1(VALU_DEP_1)
	v_mul_f32_e32 v3, v3, v4
	v_log_f32_e32 v3, v3
	s_waitcnt_depctr 0xfff
	v_mul_f32_e32 v4, 0x3f317217, v3
	s_delay_alu instid0(VALU_DEP_1) | instskip(NEXT) | instid1(VALU_DEP_1)
	v_fma_f32 v5, 0x3f317217, v3, -v4
	v_fmamk_f32 v5, v3, 0x3377d1cf, v5
	s_delay_alu instid0(VALU_DEP_1) | instskip(SKIP_2) | instid1(VALU_DEP_3)
	v_add_f32_e32 v4, v4, v5
	v_cndmask_b32_e64 v5, 0, 0x41b17218, vcc_lo
	v_cmp_gt_f32_e64 vcc_lo, 0x7f800000, |v3|
	v_cndmask_b32_e32 v3, v3, v4, vcc_lo
	v_add_co_u32 v0, vcc_lo, v0, s0
	v_add_co_ci_u32_e32 v1, vcc_lo, s1, v1, vcc_lo
	s_delay_alu instid0(VALU_DEP_3) | instskip(NEXT) | instid1(VALU_DEP_1)
	v_sub_f32_e32 v3, v3, v5
	v_sub_f32_e32 v2, v2, v3
	global_store_b32 v[0:1], v2, off
.LBB167_10:
	s_nop 0
	s_sendmsg sendmsg(MSG_DEALLOC_VGPRS)
	s_endpgm
	.section	.rodata,"a",@progbits
	.p2align	6, 0x0
	.amdhsa_kernel _ZN12_GLOBAL__N_120softmax_warp_forwardIN3c108BFloat16EffLi0ELb1ELb0ELi32EEEvPT0_PKT_iiiPKbib
		.amdhsa_group_segment_fixed_size 0
		.amdhsa_private_segment_fixed_size 0
		.amdhsa_kernarg_size 304
		.amdhsa_user_sgpr_count 15
		.amdhsa_user_sgpr_dispatch_ptr 0
		.amdhsa_user_sgpr_queue_ptr 0
		.amdhsa_user_sgpr_kernarg_segment_ptr 1
		.amdhsa_user_sgpr_dispatch_id 0
		.amdhsa_user_sgpr_private_segment_size 0
		.amdhsa_wavefront_size32 1
		.amdhsa_uses_dynamic_stack 0
		.amdhsa_enable_private_segment 0
		.amdhsa_system_sgpr_workgroup_id_x 1
		.amdhsa_system_sgpr_workgroup_id_y 0
		.amdhsa_system_sgpr_workgroup_id_z 0
		.amdhsa_system_sgpr_workgroup_info 0
		.amdhsa_system_vgpr_workitem_id 1
		.amdhsa_next_free_vgpr 8
		.amdhsa_next_free_sgpr 16
		.amdhsa_reserve_vcc 1
		.amdhsa_float_round_mode_32 0
		.amdhsa_float_round_mode_16_64 0
		.amdhsa_float_denorm_mode_32 3
		.amdhsa_float_denorm_mode_16_64 3
		.amdhsa_dx10_clamp 1
		.amdhsa_ieee_mode 1
		.amdhsa_fp16_overflow 0
		.amdhsa_workgroup_processor_mode 1
		.amdhsa_memory_ordered 1
		.amdhsa_forward_progress 0
		.amdhsa_shared_vgpr_count 0
		.amdhsa_exception_fp_ieee_invalid_op 0
		.amdhsa_exception_fp_denorm_src 0
		.amdhsa_exception_fp_ieee_div_zero 0
		.amdhsa_exception_fp_ieee_overflow 0
		.amdhsa_exception_fp_ieee_underflow 0
		.amdhsa_exception_fp_ieee_inexact 0
		.amdhsa_exception_int_div_zero 0
	.end_amdhsa_kernel
	.section	.text._ZN12_GLOBAL__N_120softmax_warp_forwardIN3c108BFloat16EffLi0ELb1ELb0ELi32EEEvPT0_PKT_iiiPKbib,"axG",@progbits,_ZN12_GLOBAL__N_120softmax_warp_forwardIN3c108BFloat16EffLi0ELb1ELb0ELi32EEEvPT0_PKT_iiiPKbib,comdat
.Lfunc_end167:
	.size	_ZN12_GLOBAL__N_120softmax_warp_forwardIN3c108BFloat16EffLi0ELb1ELb0ELi32EEEvPT0_PKT_iiiPKbib, .Lfunc_end167-_ZN12_GLOBAL__N_120softmax_warp_forwardIN3c108BFloat16EffLi0ELb1ELb0ELi32EEEvPT0_PKT_iiiPKbib
                                        ; -- End function
	.section	.AMDGPU.csdata,"",@progbits
; Kernel info:
; codeLenInByte = 856
; NumSgprs: 18
; NumVgprs: 8
; ScratchSize: 0
; MemoryBound: 0
; FloatMode: 240
; IeeeMode: 1
; LDSByteSize: 0 bytes/workgroup (compile time only)
; SGPRBlocks: 2
; VGPRBlocks: 0
; NumSGPRsForWavesPerEU: 18
; NumVGPRsForWavesPerEU: 8
; Occupancy: 16
; WaveLimiterHint : 0
; COMPUTE_PGM_RSRC2:SCRATCH_EN: 0
; COMPUTE_PGM_RSRC2:USER_SGPR: 15
; COMPUTE_PGM_RSRC2:TRAP_HANDLER: 0
; COMPUTE_PGM_RSRC2:TGID_X_EN: 1
; COMPUTE_PGM_RSRC2:TGID_Y_EN: 0
; COMPUTE_PGM_RSRC2:TGID_Z_EN: 0
; COMPUTE_PGM_RSRC2:TIDIG_COMP_CNT: 1
	.section	.text._ZN12_GLOBAL__N_120softmax_warp_forwardIN3c108BFloat16EffLi1ELb1ELb0ELi64EEEvPT0_PKT_iiiPKbib,"axG",@progbits,_ZN12_GLOBAL__N_120softmax_warp_forwardIN3c108BFloat16EffLi1ELb1ELb0ELi64EEEvPT0_PKT_iiiPKbib,comdat
	.globl	_ZN12_GLOBAL__N_120softmax_warp_forwardIN3c108BFloat16EffLi1ELb1ELb0ELi64EEEvPT0_PKT_iiiPKbib ; -- Begin function _ZN12_GLOBAL__N_120softmax_warp_forwardIN3c108BFloat16EffLi1ELb1ELb0ELi64EEEvPT0_PKT_iiiPKbib
	.p2align	8
	.type	_ZN12_GLOBAL__N_120softmax_warp_forwardIN3c108BFloat16EffLi1ELb1ELb0ELi64EEEvPT0_PKT_iiiPKbib,@function
_ZN12_GLOBAL__N_120softmax_warp_forwardIN3c108BFloat16EffLi1ELb1ELb0ELi64EEEvPT0_PKT_iiiPKbib: ; @_ZN12_GLOBAL__N_120softmax_warp_forwardIN3c108BFloat16EffLi1ELb1ELb0ELi64EEEvPT0_PKT_iiiPKbib
; %bb.0:
	s_clause 0x1
	s_load_b32 s2, s[0:1], 0x3c
	s_load_b256 s[4:11], s[0:1], 0x0
	v_bfe_u32 v1, v0, 10, 10
	v_and_b32_e32 v2, 0x3ff, v0
	v_mov_b32_e32 v5, 0xff800000
	s_waitcnt lgkmcnt(0)
	s_lshr_b32 s0, s2, 16
	s_delay_alu instid0(VALU_DEP_2) | instskip(SKIP_1) | instid1(SALU_CYCLE_1)
	v_cmp_gt_i32_e32 vcc_lo, s10, v2
	s_mul_i32 s15, s15, s0
	v_add_lshl_u32 v3, s15, v1, 1
	s_delay_alu instid0(VALU_DEP_1) | instskip(SKIP_1) | instid1(VALU_DEP_1)
	v_mad_u64_u32 v[0:1], null, v3, s9, v[2:3]
	v_sub_nc_u32_e32 v4, s8, v3
	v_cmp_lt_i32_e64 s0, 0, v4
	s_delay_alu instid0(VALU_DEP_3) | instskip(NEXT) | instid1(VALU_DEP_2)
	v_ashrrev_i32_e32 v1, 31, v0
	s_and_b32 s2, vcc_lo, s0
	s_delay_alu instid0(VALU_DEP_1) | instskip(NEXT) | instid1(VALU_DEP_1)
	v_lshlrev_b64 v[6:7], 1, v[0:1]
	v_add_co_u32 v2, s1, s6, v6
	v_mov_b32_e32 v6, 0xff800000
	s_delay_alu instid0(VALU_DEP_3)
	v_add_co_ci_u32_e64 v3, s1, s7, v7, s1
	s_and_saveexec_b32 s1, s2
	s_cbranch_execz .LBB168_2
; %bb.1:
	global_load_u16 v6, v[2:3], off
	s_waitcnt vmcnt(0)
	v_lshlrev_b32_e32 v6, 16, v6
.LBB168_2:
	s_or_b32 exec_lo, exec_lo, s1
	v_cmp_lt_i32_e64 s1, 1, v4
	s_delay_alu instid0(VALU_DEP_1) | instskip(NEXT) | instid1(SALU_CYCLE_1)
	s_and_b32 s1, vcc_lo, s1
	s_and_saveexec_b32 s2, s1
	s_cbranch_execz .LBB168_4
; %bb.3:
	s_mov_b32 s11, 0
	s_delay_alu instid0(SALU_CYCLE_1) | instskip(NEXT) | instid1(SALU_CYCLE_1)
	s_lshl_b64 s[6:7], s[10:11], 1
	v_add_co_u32 v2, s1, v2, s6
	s_delay_alu instid0(VALU_DEP_1)
	v_add_co_ci_u32_e64 v3, s1, s7, v3, s1
	global_load_u16 v2, v[2:3], off
	s_waitcnt vmcnt(0)
	v_lshlrev_b32_e32 v5, 16, v2
.LBB168_4:
	s_or_b32 exec_lo, exec_lo, s2
	v_mbcnt_lo_u32_b32 v2, -1, 0
	s_delay_alu instid0(VALU_DEP_1) | instskip(SKIP_1) | instid1(VALU_DEP_2)
	v_and_b32_e32 v3, 30, v2
	v_xor_b32_e32 v7, 1, v2
	v_add_nc_u32_e32 v3, 2, v3
	s_delay_alu instid0(VALU_DEP_1) | instskip(NEXT) | instid1(VALU_DEP_1)
	v_cmp_lt_i32_e64 s1, v7, v3
	v_cndmask_b32_e64 v2, v2, v7, s1
	s_delay_alu instid0(VALU_DEP_1) | instskip(SKIP_4) | instid1(VALU_DEP_1)
	v_lshlrev_b32_e32 v9, 2, v2
	ds_bpermute_b32 v2, v9, v6
	ds_bpermute_b32 v3, v9, v5
	s_waitcnt lgkmcnt(1)
	v_cmp_lt_f32_e64 s1, v6, v2
	v_cndmask_b32_e64 v2, v6, v2, s1
	s_waitcnt lgkmcnt(0)
	v_cmp_lt_f32_e64 s1, v5, v3
	s_delay_alu instid0(VALU_DEP_1) | instskip(NEXT) | instid1(VALU_DEP_1)
	v_cndmask_b32_e64 v7, v5, v3, s1
	v_dual_sub_f32 v3, v6, v2 :: v_dual_sub_f32 v2, v5, v7
	s_delay_alu instid0(VALU_DEP_1) | instskip(NEXT) | instid1(VALU_DEP_2)
	v_cmp_ngt_f32_e64 s1, 0xc2ce8ed0, v3
	v_mul_f32_e32 v6, 0x3fb8aa3b, v2
	s_delay_alu instid0(VALU_DEP_1) | instskip(SKIP_1) | instid1(VALU_DEP_2)
	v_fma_f32 v10, 0x3fb8aa3b, v2, -v6
	v_rndne_f32_e32 v11, v6
	v_fmac_f32_e32 v10, 0x32a5705f, v2
	s_delay_alu instid0(VALU_DEP_2) | instskip(NEXT) | instid1(VALU_DEP_1)
	v_sub_f32_e32 v6, v6, v11
	v_dual_mul_f32 v5, 0x3fb8aa3b, v3 :: v_dual_add_f32 v6, v6, v10
	s_delay_alu instid0(VALU_DEP_1) | instskip(SKIP_1) | instid1(VALU_DEP_3)
	v_fma_f32 v7, 0x3fb8aa3b, v3, -v5
	v_rndne_f32_e32 v8, v5
	v_exp_f32_e32 v6, v6
	s_delay_alu instid0(VALU_DEP_2) | instskip(NEXT) | instid1(VALU_DEP_2)
	v_fmac_f32_e32 v7, 0x32a5705f, v3
	v_sub_f32_e32 v5, v5, v8
	s_delay_alu instid0(VALU_DEP_1) | instskip(SKIP_2) | instid1(VALU_DEP_3)
	v_add_f32_e32 v5, v5, v7
	v_cvt_i32_f32_e32 v7, v8
	v_cvt_i32_f32_e32 v8, v11
	v_exp_f32_e32 v5, v5
	s_delay_alu instid0(TRANS32_DEP_2) | instid1(VALU_DEP_1)
	v_ldexp_f32 v6, v6, v8
	s_waitcnt_depctr 0xfff
	v_ldexp_f32 v5, v5, v7
	s_delay_alu instid0(VALU_DEP_1) | instskip(SKIP_1) | instid1(VALU_DEP_1)
	v_cndmask_b32_e64 v5, 0, v5, s1
	v_cmp_ngt_f32_e64 s1, 0xc2ce8ed0, v2
	v_cndmask_b32_e64 v6, 0, v6, s1
	v_cmp_nlt_f32_e64 s1, 0x42b17218, v3
	s_delay_alu instid0(VALU_DEP_1)
	v_cndmask_b32_e64 v7, 0x7f800000, v5, s1
	v_cmp_nlt_f32_e64 s1, 0x42b17218, v2
	ds_bpermute_b32 v8, v9, v7
	v_cndmask_b32_e64 v5, 0x7f800000, v6, s1
	ds_bpermute_b32 v6, v9, v5
	s_and_saveexec_b32 s1, s0
	s_cbranch_execz .LBB168_10
; %bb.5:
	v_lshlrev_b64 v[0:1], 2, v[0:1]
	s_delay_alu instid0(VALU_DEP_1) | instskip(NEXT) | instid1(VALU_DEP_1)
	v_add_co_u32 v0, s0, s4, v0
	v_add_co_ci_u32_e64 v1, s0, s5, v1, s0
	s_and_saveexec_b32 s2, vcc_lo
	s_cbranch_execz .LBB168_7
; %bb.6:
	s_waitcnt lgkmcnt(1)
	v_add_f32_e32 v7, v7, v8
	s_delay_alu instid0(VALU_DEP_1) | instskip(NEXT) | instid1(VALU_DEP_1)
	v_cmp_gt_f32_e64 s0, 0x800000, v7
	v_cndmask_b32_e64 v8, 1.0, 0x4f800000, s0
	s_delay_alu instid0(VALU_DEP_1) | instskip(NEXT) | instid1(VALU_DEP_1)
	v_mul_f32_e32 v7, v7, v8
	v_log_f32_e32 v7, v7
	s_waitcnt_depctr 0xfff
	v_mul_f32_e32 v8, 0x3f317217, v7
	v_cmp_gt_f32_e64 s1, 0x7f800000, |v7|
	s_delay_alu instid0(VALU_DEP_2) | instskip(NEXT) | instid1(VALU_DEP_1)
	v_fma_f32 v9, 0x3f317217, v7, -v8
	v_fmamk_f32 v9, v7, 0x3377d1cf, v9
	s_delay_alu instid0(VALU_DEP_1) | instskip(NEXT) | instid1(VALU_DEP_1)
	v_add_f32_e32 v8, v8, v9
	v_cndmask_b32_e64 v7, v7, v8, s1
	v_cndmask_b32_e64 v8, 0, 0x41b17218, s0
	s_delay_alu instid0(VALU_DEP_1) | instskip(NEXT) | instid1(VALU_DEP_1)
	v_sub_f32_e32 v7, v7, v8
	v_sub_f32_e32 v3, v3, v7
	global_store_b32 v[0:1], v3, off
.LBB168_7:
	s_or_b32 exec_lo, exec_lo, s2
	v_cmp_ne_u32_e64 s0, 1, v4
	s_delay_alu instid0(VALU_DEP_1)
	s_and_b32 exec_lo, exec_lo, s0
	s_cbranch_execz .LBB168_10
; %bb.8:
	s_and_b32 exec_lo, exec_lo, vcc_lo
	s_cbranch_execz .LBB168_10
; %bb.9:
	s_waitcnt lgkmcnt(0)
	v_add_f32_e32 v3, v5, v6
	s_mov_b32 s11, 0
	s_delay_alu instid0(SALU_CYCLE_1) | instskip(NEXT) | instid1(VALU_DEP_1)
	s_lshl_b64 s[0:1], s[10:11], 2
	v_cmp_gt_f32_e32 vcc_lo, 0x800000, v3
	v_cndmask_b32_e64 v4, 1.0, 0x4f800000, vcc_lo
	s_delay_alu instid0(VALU_DEP_1) | instskip(NEXT) | instid1(VALU_DEP_1)
	v_mul_f32_e32 v3, v3, v4
	v_log_f32_e32 v3, v3
	s_waitcnt_depctr 0xfff
	v_mul_f32_e32 v4, 0x3f317217, v3
	s_delay_alu instid0(VALU_DEP_1) | instskip(NEXT) | instid1(VALU_DEP_1)
	v_fma_f32 v5, 0x3f317217, v3, -v4
	v_fmamk_f32 v5, v3, 0x3377d1cf, v5
	s_delay_alu instid0(VALU_DEP_1) | instskip(SKIP_2) | instid1(VALU_DEP_3)
	v_add_f32_e32 v4, v4, v5
	v_cndmask_b32_e64 v5, 0, 0x41b17218, vcc_lo
	v_cmp_gt_f32_e64 vcc_lo, 0x7f800000, |v3|
	v_cndmask_b32_e32 v3, v3, v4, vcc_lo
	v_add_co_u32 v0, vcc_lo, v0, s0
	v_add_co_ci_u32_e32 v1, vcc_lo, s1, v1, vcc_lo
	s_delay_alu instid0(VALU_DEP_3) | instskip(NEXT) | instid1(VALU_DEP_1)
	v_sub_f32_e32 v3, v3, v5
	v_sub_f32_e32 v2, v2, v3
	global_store_b32 v[0:1], v2, off
.LBB168_10:
	s_nop 0
	s_sendmsg sendmsg(MSG_DEALLOC_VGPRS)
	s_endpgm
	.section	.rodata,"a",@progbits
	.p2align	6, 0x0
	.amdhsa_kernel _ZN12_GLOBAL__N_120softmax_warp_forwardIN3c108BFloat16EffLi1ELb1ELb0ELi64EEEvPT0_PKT_iiiPKbib
		.amdhsa_group_segment_fixed_size 0
		.amdhsa_private_segment_fixed_size 0
		.amdhsa_kernarg_size 304
		.amdhsa_user_sgpr_count 15
		.amdhsa_user_sgpr_dispatch_ptr 0
		.amdhsa_user_sgpr_queue_ptr 0
		.amdhsa_user_sgpr_kernarg_segment_ptr 1
		.amdhsa_user_sgpr_dispatch_id 0
		.amdhsa_user_sgpr_private_segment_size 0
		.amdhsa_wavefront_size32 1
		.amdhsa_uses_dynamic_stack 0
		.amdhsa_enable_private_segment 0
		.amdhsa_system_sgpr_workgroup_id_x 1
		.amdhsa_system_sgpr_workgroup_id_y 0
		.amdhsa_system_sgpr_workgroup_id_z 0
		.amdhsa_system_sgpr_workgroup_info 0
		.amdhsa_system_vgpr_workitem_id 1
		.amdhsa_next_free_vgpr 12
		.amdhsa_next_free_sgpr 16
		.amdhsa_reserve_vcc 1
		.amdhsa_float_round_mode_32 0
		.amdhsa_float_round_mode_16_64 0
		.amdhsa_float_denorm_mode_32 3
		.amdhsa_float_denorm_mode_16_64 3
		.amdhsa_dx10_clamp 1
		.amdhsa_ieee_mode 1
		.amdhsa_fp16_overflow 0
		.amdhsa_workgroup_processor_mode 1
		.amdhsa_memory_ordered 1
		.amdhsa_forward_progress 0
		.amdhsa_shared_vgpr_count 0
		.amdhsa_exception_fp_ieee_invalid_op 0
		.amdhsa_exception_fp_denorm_src 0
		.amdhsa_exception_fp_ieee_div_zero 0
		.amdhsa_exception_fp_ieee_overflow 0
		.amdhsa_exception_fp_ieee_underflow 0
		.amdhsa_exception_fp_ieee_inexact 0
		.amdhsa_exception_int_div_zero 0
	.end_amdhsa_kernel
	.section	.text._ZN12_GLOBAL__N_120softmax_warp_forwardIN3c108BFloat16EffLi1ELb1ELb0ELi64EEEvPT0_PKT_iiiPKbib,"axG",@progbits,_ZN12_GLOBAL__N_120softmax_warp_forwardIN3c108BFloat16EffLi1ELb1ELb0ELi64EEEvPT0_PKT_iiiPKbib,comdat
.Lfunc_end168:
	.size	_ZN12_GLOBAL__N_120softmax_warp_forwardIN3c108BFloat16EffLi1ELb1ELb0ELi64EEEvPT0_PKT_iiiPKbib, .Lfunc_end168-_ZN12_GLOBAL__N_120softmax_warp_forwardIN3c108BFloat16EffLi1ELb1ELb0ELi64EEEvPT0_PKT_iiiPKbib
                                        ; -- End function
	.section	.AMDGPU.csdata,"",@progbits
; Kernel info:
; codeLenInByte = 1016
; NumSgprs: 18
; NumVgprs: 12
; ScratchSize: 0
; MemoryBound: 0
; FloatMode: 240
; IeeeMode: 1
; LDSByteSize: 0 bytes/workgroup (compile time only)
; SGPRBlocks: 2
; VGPRBlocks: 1
; NumSGPRsForWavesPerEU: 18
; NumVGPRsForWavesPerEU: 12
; Occupancy: 16
; WaveLimiterHint : 0
; COMPUTE_PGM_RSRC2:SCRATCH_EN: 0
; COMPUTE_PGM_RSRC2:USER_SGPR: 15
; COMPUTE_PGM_RSRC2:TRAP_HANDLER: 0
; COMPUTE_PGM_RSRC2:TGID_X_EN: 1
; COMPUTE_PGM_RSRC2:TGID_Y_EN: 0
; COMPUTE_PGM_RSRC2:TGID_Z_EN: 0
; COMPUTE_PGM_RSRC2:TIDIG_COMP_CNT: 1
	.section	.text._ZN12_GLOBAL__N_120softmax_warp_forwardIN3c108BFloat16EffLi1ELb1ELb0ELi32EEEvPT0_PKT_iiiPKbib,"axG",@progbits,_ZN12_GLOBAL__N_120softmax_warp_forwardIN3c108BFloat16EffLi1ELb1ELb0ELi32EEEvPT0_PKT_iiiPKbib,comdat
	.globl	_ZN12_GLOBAL__N_120softmax_warp_forwardIN3c108BFloat16EffLi1ELb1ELb0ELi32EEEvPT0_PKT_iiiPKbib ; -- Begin function _ZN12_GLOBAL__N_120softmax_warp_forwardIN3c108BFloat16EffLi1ELb1ELb0ELi32EEEvPT0_PKT_iiiPKbib
	.p2align	8
	.type	_ZN12_GLOBAL__N_120softmax_warp_forwardIN3c108BFloat16EffLi1ELb1ELb0ELi32EEEvPT0_PKT_iiiPKbib,@function
_ZN12_GLOBAL__N_120softmax_warp_forwardIN3c108BFloat16EffLi1ELb1ELb0ELi32EEEvPT0_PKT_iiiPKbib: ; @_ZN12_GLOBAL__N_120softmax_warp_forwardIN3c108BFloat16EffLi1ELb1ELb0ELi32EEEvPT0_PKT_iiiPKbib
; %bb.0:
	s_clause 0x1
	s_load_b32 s2, s[0:1], 0x3c
	s_load_b256 s[4:11], s[0:1], 0x0
	v_bfe_u32 v1, v0, 10, 10
	v_and_b32_e32 v2, 0x3ff, v0
	v_mov_b32_e32 v5, 0xff800000
	s_waitcnt lgkmcnt(0)
	s_lshr_b32 s0, s2, 16
	s_delay_alu instid0(VALU_DEP_2) | instskip(SKIP_1) | instid1(SALU_CYCLE_1)
	v_cmp_gt_i32_e32 vcc_lo, s10, v2
	s_mul_i32 s15, s15, s0
	v_add_lshl_u32 v3, s15, v1, 1
	s_delay_alu instid0(VALU_DEP_1) | instskip(SKIP_1) | instid1(VALU_DEP_1)
	v_mad_u64_u32 v[0:1], null, v3, s9, v[2:3]
	v_sub_nc_u32_e32 v4, s8, v3
	v_cmp_lt_i32_e64 s0, 0, v4
	s_delay_alu instid0(VALU_DEP_3) | instskip(NEXT) | instid1(VALU_DEP_2)
	v_ashrrev_i32_e32 v1, 31, v0
	s_and_b32 s2, vcc_lo, s0
	s_delay_alu instid0(VALU_DEP_1) | instskip(NEXT) | instid1(VALU_DEP_1)
	v_lshlrev_b64 v[6:7], 1, v[0:1]
	v_add_co_u32 v2, s1, s6, v6
	v_mov_b32_e32 v6, 0xff800000
	s_delay_alu instid0(VALU_DEP_3)
	v_add_co_ci_u32_e64 v3, s1, s7, v7, s1
	s_and_saveexec_b32 s1, s2
	s_cbranch_execz .LBB169_2
; %bb.1:
	global_load_u16 v6, v[2:3], off
	s_waitcnt vmcnt(0)
	v_lshlrev_b32_e32 v6, 16, v6
.LBB169_2:
	s_or_b32 exec_lo, exec_lo, s1
	v_cmp_lt_i32_e64 s1, 1, v4
	s_delay_alu instid0(VALU_DEP_1) | instskip(NEXT) | instid1(SALU_CYCLE_1)
	s_and_b32 s1, vcc_lo, s1
	s_and_saveexec_b32 s2, s1
	s_cbranch_execz .LBB169_4
; %bb.3:
	s_mov_b32 s11, 0
	s_delay_alu instid0(SALU_CYCLE_1) | instskip(NEXT) | instid1(SALU_CYCLE_1)
	s_lshl_b64 s[6:7], s[10:11], 1
	v_add_co_u32 v2, s1, v2, s6
	s_delay_alu instid0(VALU_DEP_1)
	v_add_co_ci_u32_e64 v3, s1, s7, v3, s1
	global_load_u16 v2, v[2:3], off
	s_waitcnt vmcnt(0)
	v_lshlrev_b32_e32 v5, 16, v2
.LBB169_4:
	s_or_b32 exec_lo, exec_lo, s2
	v_mbcnt_lo_u32_b32 v2, -1, 0
	s_delay_alu instid0(VALU_DEP_1) | instskip(SKIP_1) | instid1(VALU_DEP_2)
	v_and_b32_e32 v3, 30, v2
	v_xor_b32_e32 v7, 1, v2
	v_add_nc_u32_e32 v3, 2, v3
	s_delay_alu instid0(VALU_DEP_1) | instskip(NEXT) | instid1(VALU_DEP_1)
	v_cmp_lt_i32_e64 s1, v7, v3
	v_cndmask_b32_e64 v2, v2, v7, s1
	s_delay_alu instid0(VALU_DEP_1) | instskip(SKIP_4) | instid1(VALU_DEP_1)
	v_lshlrev_b32_e32 v9, 2, v2
	ds_bpermute_b32 v2, v9, v6
	ds_bpermute_b32 v3, v9, v5
	s_waitcnt lgkmcnt(1)
	v_cmp_lt_f32_e64 s1, v6, v2
	v_cndmask_b32_e64 v2, v6, v2, s1
	s_waitcnt lgkmcnt(0)
	v_cmp_lt_f32_e64 s1, v5, v3
	s_delay_alu instid0(VALU_DEP_1) | instskip(NEXT) | instid1(VALU_DEP_1)
	v_cndmask_b32_e64 v7, v5, v3, s1
	v_dual_sub_f32 v3, v6, v2 :: v_dual_sub_f32 v2, v5, v7
	s_delay_alu instid0(VALU_DEP_1) | instskip(NEXT) | instid1(VALU_DEP_2)
	v_cmp_ngt_f32_e64 s1, 0xc2ce8ed0, v3
	v_mul_f32_e32 v6, 0x3fb8aa3b, v2
	s_delay_alu instid0(VALU_DEP_1) | instskip(SKIP_1) | instid1(VALU_DEP_2)
	v_fma_f32 v10, 0x3fb8aa3b, v2, -v6
	v_rndne_f32_e32 v11, v6
	v_fmac_f32_e32 v10, 0x32a5705f, v2
	s_delay_alu instid0(VALU_DEP_2) | instskip(NEXT) | instid1(VALU_DEP_1)
	v_sub_f32_e32 v6, v6, v11
	v_dual_mul_f32 v5, 0x3fb8aa3b, v3 :: v_dual_add_f32 v6, v6, v10
	s_delay_alu instid0(VALU_DEP_1) | instskip(SKIP_1) | instid1(VALU_DEP_3)
	v_fma_f32 v7, 0x3fb8aa3b, v3, -v5
	v_rndne_f32_e32 v8, v5
	v_exp_f32_e32 v6, v6
	s_delay_alu instid0(VALU_DEP_2) | instskip(NEXT) | instid1(VALU_DEP_2)
	v_fmac_f32_e32 v7, 0x32a5705f, v3
	v_sub_f32_e32 v5, v5, v8
	s_delay_alu instid0(VALU_DEP_1) | instskip(SKIP_2) | instid1(VALU_DEP_3)
	v_add_f32_e32 v5, v5, v7
	v_cvt_i32_f32_e32 v7, v8
	v_cvt_i32_f32_e32 v8, v11
	v_exp_f32_e32 v5, v5
	s_delay_alu instid0(TRANS32_DEP_2) | instid1(VALU_DEP_1)
	v_ldexp_f32 v6, v6, v8
	s_waitcnt_depctr 0xfff
	v_ldexp_f32 v5, v5, v7
	s_delay_alu instid0(VALU_DEP_1) | instskip(SKIP_1) | instid1(VALU_DEP_1)
	v_cndmask_b32_e64 v5, 0, v5, s1
	v_cmp_ngt_f32_e64 s1, 0xc2ce8ed0, v2
	v_cndmask_b32_e64 v6, 0, v6, s1
	v_cmp_nlt_f32_e64 s1, 0x42b17218, v3
	s_delay_alu instid0(VALU_DEP_1)
	v_cndmask_b32_e64 v7, 0x7f800000, v5, s1
	v_cmp_nlt_f32_e64 s1, 0x42b17218, v2
	ds_bpermute_b32 v8, v9, v7
	v_cndmask_b32_e64 v5, 0x7f800000, v6, s1
	ds_bpermute_b32 v6, v9, v5
	s_and_saveexec_b32 s1, s0
	s_cbranch_execz .LBB169_10
; %bb.5:
	v_lshlrev_b64 v[0:1], 2, v[0:1]
	s_delay_alu instid0(VALU_DEP_1) | instskip(NEXT) | instid1(VALU_DEP_1)
	v_add_co_u32 v0, s0, s4, v0
	v_add_co_ci_u32_e64 v1, s0, s5, v1, s0
	s_and_saveexec_b32 s2, vcc_lo
	s_cbranch_execz .LBB169_7
; %bb.6:
	s_waitcnt lgkmcnt(1)
	v_add_f32_e32 v7, v7, v8
	s_delay_alu instid0(VALU_DEP_1) | instskip(NEXT) | instid1(VALU_DEP_1)
	v_cmp_gt_f32_e64 s0, 0x800000, v7
	v_cndmask_b32_e64 v8, 1.0, 0x4f800000, s0
	s_delay_alu instid0(VALU_DEP_1) | instskip(NEXT) | instid1(VALU_DEP_1)
	v_mul_f32_e32 v7, v7, v8
	v_log_f32_e32 v7, v7
	s_waitcnt_depctr 0xfff
	v_mul_f32_e32 v8, 0x3f317217, v7
	v_cmp_gt_f32_e64 s1, 0x7f800000, |v7|
	s_delay_alu instid0(VALU_DEP_2) | instskip(NEXT) | instid1(VALU_DEP_1)
	v_fma_f32 v9, 0x3f317217, v7, -v8
	v_fmamk_f32 v9, v7, 0x3377d1cf, v9
	s_delay_alu instid0(VALU_DEP_1) | instskip(NEXT) | instid1(VALU_DEP_1)
	v_add_f32_e32 v8, v8, v9
	v_cndmask_b32_e64 v7, v7, v8, s1
	v_cndmask_b32_e64 v8, 0, 0x41b17218, s0
	s_delay_alu instid0(VALU_DEP_1) | instskip(NEXT) | instid1(VALU_DEP_1)
	v_sub_f32_e32 v7, v7, v8
	v_sub_f32_e32 v3, v3, v7
	global_store_b32 v[0:1], v3, off
.LBB169_7:
	s_or_b32 exec_lo, exec_lo, s2
	v_cmp_ne_u32_e64 s0, 1, v4
	s_delay_alu instid0(VALU_DEP_1)
	s_and_b32 exec_lo, exec_lo, s0
	s_cbranch_execz .LBB169_10
; %bb.8:
	s_and_b32 exec_lo, exec_lo, vcc_lo
	s_cbranch_execz .LBB169_10
; %bb.9:
	s_waitcnt lgkmcnt(0)
	v_add_f32_e32 v3, v5, v6
	s_mov_b32 s11, 0
	s_delay_alu instid0(SALU_CYCLE_1) | instskip(NEXT) | instid1(VALU_DEP_1)
	s_lshl_b64 s[0:1], s[10:11], 2
	v_cmp_gt_f32_e32 vcc_lo, 0x800000, v3
	v_cndmask_b32_e64 v4, 1.0, 0x4f800000, vcc_lo
	s_delay_alu instid0(VALU_DEP_1) | instskip(NEXT) | instid1(VALU_DEP_1)
	v_mul_f32_e32 v3, v3, v4
	v_log_f32_e32 v3, v3
	s_waitcnt_depctr 0xfff
	v_mul_f32_e32 v4, 0x3f317217, v3
	s_delay_alu instid0(VALU_DEP_1) | instskip(NEXT) | instid1(VALU_DEP_1)
	v_fma_f32 v5, 0x3f317217, v3, -v4
	v_fmamk_f32 v5, v3, 0x3377d1cf, v5
	s_delay_alu instid0(VALU_DEP_1) | instskip(SKIP_2) | instid1(VALU_DEP_3)
	v_add_f32_e32 v4, v4, v5
	v_cndmask_b32_e64 v5, 0, 0x41b17218, vcc_lo
	v_cmp_gt_f32_e64 vcc_lo, 0x7f800000, |v3|
	v_cndmask_b32_e32 v3, v3, v4, vcc_lo
	v_add_co_u32 v0, vcc_lo, v0, s0
	v_add_co_ci_u32_e32 v1, vcc_lo, s1, v1, vcc_lo
	s_delay_alu instid0(VALU_DEP_3) | instskip(NEXT) | instid1(VALU_DEP_1)
	v_sub_f32_e32 v3, v3, v5
	v_sub_f32_e32 v2, v2, v3
	global_store_b32 v[0:1], v2, off
.LBB169_10:
	s_nop 0
	s_sendmsg sendmsg(MSG_DEALLOC_VGPRS)
	s_endpgm
	.section	.rodata,"a",@progbits
	.p2align	6, 0x0
	.amdhsa_kernel _ZN12_GLOBAL__N_120softmax_warp_forwardIN3c108BFloat16EffLi1ELb1ELb0ELi32EEEvPT0_PKT_iiiPKbib
		.amdhsa_group_segment_fixed_size 0
		.amdhsa_private_segment_fixed_size 0
		.amdhsa_kernarg_size 304
		.amdhsa_user_sgpr_count 15
		.amdhsa_user_sgpr_dispatch_ptr 0
		.amdhsa_user_sgpr_queue_ptr 0
		.amdhsa_user_sgpr_kernarg_segment_ptr 1
		.amdhsa_user_sgpr_dispatch_id 0
		.amdhsa_user_sgpr_private_segment_size 0
		.amdhsa_wavefront_size32 1
		.amdhsa_uses_dynamic_stack 0
		.amdhsa_enable_private_segment 0
		.amdhsa_system_sgpr_workgroup_id_x 1
		.amdhsa_system_sgpr_workgroup_id_y 0
		.amdhsa_system_sgpr_workgroup_id_z 0
		.amdhsa_system_sgpr_workgroup_info 0
		.amdhsa_system_vgpr_workitem_id 1
		.amdhsa_next_free_vgpr 12
		.amdhsa_next_free_sgpr 16
		.amdhsa_reserve_vcc 1
		.amdhsa_float_round_mode_32 0
		.amdhsa_float_round_mode_16_64 0
		.amdhsa_float_denorm_mode_32 3
		.amdhsa_float_denorm_mode_16_64 3
		.amdhsa_dx10_clamp 1
		.amdhsa_ieee_mode 1
		.amdhsa_fp16_overflow 0
		.amdhsa_workgroup_processor_mode 1
		.amdhsa_memory_ordered 1
		.amdhsa_forward_progress 0
		.amdhsa_shared_vgpr_count 0
		.amdhsa_exception_fp_ieee_invalid_op 0
		.amdhsa_exception_fp_denorm_src 0
		.amdhsa_exception_fp_ieee_div_zero 0
		.amdhsa_exception_fp_ieee_overflow 0
		.amdhsa_exception_fp_ieee_underflow 0
		.amdhsa_exception_fp_ieee_inexact 0
		.amdhsa_exception_int_div_zero 0
	.end_amdhsa_kernel
	.section	.text._ZN12_GLOBAL__N_120softmax_warp_forwardIN3c108BFloat16EffLi1ELb1ELb0ELi32EEEvPT0_PKT_iiiPKbib,"axG",@progbits,_ZN12_GLOBAL__N_120softmax_warp_forwardIN3c108BFloat16EffLi1ELb1ELb0ELi32EEEvPT0_PKT_iiiPKbib,comdat
.Lfunc_end169:
	.size	_ZN12_GLOBAL__N_120softmax_warp_forwardIN3c108BFloat16EffLi1ELb1ELb0ELi32EEEvPT0_PKT_iiiPKbib, .Lfunc_end169-_ZN12_GLOBAL__N_120softmax_warp_forwardIN3c108BFloat16EffLi1ELb1ELb0ELi32EEEvPT0_PKT_iiiPKbib
                                        ; -- End function
	.section	.AMDGPU.csdata,"",@progbits
; Kernel info:
; codeLenInByte = 1016
; NumSgprs: 18
; NumVgprs: 12
; ScratchSize: 0
; MemoryBound: 0
; FloatMode: 240
; IeeeMode: 1
; LDSByteSize: 0 bytes/workgroup (compile time only)
; SGPRBlocks: 2
; VGPRBlocks: 1
; NumSGPRsForWavesPerEU: 18
; NumVGPRsForWavesPerEU: 12
; Occupancy: 16
; WaveLimiterHint : 0
; COMPUTE_PGM_RSRC2:SCRATCH_EN: 0
; COMPUTE_PGM_RSRC2:USER_SGPR: 15
; COMPUTE_PGM_RSRC2:TRAP_HANDLER: 0
; COMPUTE_PGM_RSRC2:TGID_X_EN: 1
; COMPUTE_PGM_RSRC2:TGID_Y_EN: 0
; COMPUTE_PGM_RSRC2:TGID_Z_EN: 0
; COMPUTE_PGM_RSRC2:TIDIG_COMP_CNT: 1
	.section	.text._ZN12_GLOBAL__N_120softmax_warp_forwardIN3c108BFloat16EffLi2ELb1ELb0ELi64EEEvPT0_PKT_iiiPKbib,"axG",@progbits,_ZN12_GLOBAL__N_120softmax_warp_forwardIN3c108BFloat16EffLi2ELb1ELb0ELi64EEEvPT0_PKT_iiiPKbib,comdat
	.globl	_ZN12_GLOBAL__N_120softmax_warp_forwardIN3c108BFloat16EffLi2ELb1ELb0ELi64EEEvPT0_PKT_iiiPKbib ; -- Begin function _ZN12_GLOBAL__N_120softmax_warp_forwardIN3c108BFloat16EffLi2ELb1ELb0ELi64EEEvPT0_PKT_iiiPKbib
	.p2align	8
	.type	_ZN12_GLOBAL__N_120softmax_warp_forwardIN3c108BFloat16EffLi2ELb1ELb0ELi64EEEvPT0_PKT_iiiPKbib,@function
_ZN12_GLOBAL__N_120softmax_warp_forwardIN3c108BFloat16EffLi2ELb1ELb0ELi64EEEvPT0_PKT_iiiPKbib: ; @_ZN12_GLOBAL__N_120softmax_warp_forwardIN3c108BFloat16EffLi2ELb1ELb0ELi64EEEvPT0_PKT_iiiPKbib
; %bb.0:
	s_clause 0x1
	s_load_b32 s2, s[0:1], 0x3c
	s_load_b256 s[4:11], s[0:1], 0x0
	v_bfe_u32 v1, v0, 10, 10
	v_and_b32_e32 v2, 0x3ff, v0
	v_mov_b32_e32 v5, 0xff800000
	s_waitcnt lgkmcnt(0)
	s_lshr_b32 s0, s2, 16
	s_delay_alu instid0(VALU_DEP_2) | instskip(SKIP_1) | instid1(SALU_CYCLE_1)
	v_cmp_gt_i32_e32 vcc_lo, s10, v2
	s_mul_i32 s15, s15, s0
	v_add_lshl_u32 v3, s15, v1, 1
	s_delay_alu instid0(VALU_DEP_1) | instskip(SKIP_1) | instid1(VALU_DEP_1)
	v_mad_u64_u32 v[0:1], null, v3, s9, v[2:3]
	v_sub_nc_u32_e32 v4, s8, v3
	v_cmp_lt_i32_e64 s0, 0, v4
	s_delay_alu instid0(VALU_DEP_3) | instskip(NEXT) | instid1(VALU_DEP_2)
	v_ashrrev_i32_e32 v1, 31, v0
	s_and_b32 s2, vcc_lo, s0
	s_delay_alu instid0(VALU_DEP_1) | instskip(NEXT) | instid1(VALU_DEP_1)
	v_lshlrev_b64 v[6:7], 1, v[0:1]
	v_add_co_u32 v2, s1, s6, v6
	v_mov_b32_e32 v6, 0xff800000
	s_delay_alu instid0(VALU_DEP_3)
	v_add_co_ci_u32_e64 v3, s1, s7, v7, s1
	s_and_saveexec_b32 s1, s2
	s_cbranch_execz .LBB170_2
; %bb.1:
	global_load_u16 v6, v[2:3], off
	s_waitcnt vmcnt(0)
	v_lshlrev_b32_e32 v6, 16, v6
.LBB170_2:
	s_or_b32 exec_lo, exec_lo, s1
	v_cmp_lt_i32_e64 s1, 1, v4
	s_delay_alu instid0(VALU_DEP_1) | instskip(NEXT) | instid1(SALU_CYCLE_1)
	s_and_b32 s1, vcc_lo, s1
	s_and_saveexec_b32 s2, s1
	s_cbranch_execz .LBB170_4
; %bb.3:
	s_mov_b32 s11, 0
	s_delay_alu instid0(SALU_CYCLE_1) | instskip(NEXT) | instid1(SALU_CYCLE_1)
	s_lshl_b64 s[6:7], s[10:11], 1
	v_add_co_u32 v2, s1, v2, s6
	s_delay_alu instid0(VALU_DEP_1)
	v_add_co_ci_u32_e64 v3, s1, s7, v3, s1
	global_load_u16 v2, v[2:3], off
	s_waitcnt vmcnt(0)
	v_lshlrev_b32_e32 v5, 16, v2
.LBB170_4:
	s_or_b32 exec_lo, exec_lo, s2
	v_mbcnt_lo_u32_b32 v2, -1, 0
	s_delay_alu instid0(VALU_DEP_1) | instskip(SKIP_2) | instid1(VALU_DEP_3)
	v_and_b32_e32 v3, 28, v2
	v_xor_b32_e32 v7, 2, v2
	v_xor_b32_e32 v10, 1, v2
	v_add_nc_u32_e32 v3, 4, v3
	s_delay_alu instid0(VALU_DEP_1) | instskip(NEXT) | instid1(VALU_DEP_1)
	v_cmp_lt_i32_e64 s1, v7, v3
	v_cndmask_b32_e64 v7, v2, v7, s1
	s_delay_alu instid0(VALU_DEP_4) | instskip(NEXT) | instid1(VALU_DEP_2)
	v_cmp_lt_i32_e64 s1, v10, v3
	v_lshlrev_b32_e32 v7, 2, v7
	s_delay_alu instid0(VALU_DEP_2)
	v_cndmask_b32_e64 v2, v2, v10, s1
	ds_bpermute_b32 v8, v7, v6
	ds_bpermute_b32 v9, v7, v5
	v_lshlrev_b32_e32 v10, 2, v2
	s_waitcnt lgkmcnt(1)
	v_cmp_lt_f32_e64 s1, v6, v8
	s_delay_alu instid0(VALU_DEP_1)
	v_cndmask_b32_e64 v2, v6, v8, s1
	s_waitcnt lgkmcnt(0)
	v_cmp_lt_f32_e64 s1, v5, v9
	ds_bpermute_b32 v8, v10, v2
	v_cndmask_b32_e64 v3, v5, v9, s1
	ds_bpermute_b32 v9, v10, v3
	s_waitcnt lgkmcnt(1)
	v_cmp_lt_f32_e64 s1, v2, v8
	s_delay_alu instid0(VALU_DEP_1) | instskip(SKIP_2) | instid1(VALU_DEP_1)
	v_cndmask_b32_e64 v2, v2, v8, s1
	s_waitcnt lgkmcnt(0)
	v_cmp_lt_f32_e64 s1, v3, v9
	v_cndmask_b32_e64 v8, v3, v9, s1
	s_delay_alu instid0(VALU_DEP_1) | instskip(NEXT) | instid1(VALU_DEP_1)
	v_dual_sub_f32 v3, v6, v2 :: v_dual_sub_f32 v2, v5, v8
	v_mul_f32_e32 v5, 0x3fb8aa3b, v3
	v_cmp_ngt_f32_e64 s1, 0xc2ce8ed0, v3
	s_delay_alu instid0(VALU_DEP_3) | instskip(NEXT) | instid1(VALU_DEP_3)
	v_mul_f32_e32 v6, 0x3fb8aa3b, v2
	v_fma_f32 v8, 0x3fb8aa3b, v3, -v5
	v_rndne_f32_e32 v9, v5
	s_delay_alu instid0(VALU_DEP_3) | instskip(SKIP_1) | instid1(VALU_DEP_3)
	v_fma_f32 v11, 0x3fb8aa3b, v2, -v6
	v_rndne_f32_e32 v12, v6
	v_dual_fmac_f32 v8, 0x32a5705f, v3 :: v_dual_sub_f32 v5, v5, v9
	s_delay_alu instid0(VALU_DEP_2) | instskip(NEXT) | instid1(VALU_DEP_2)
	v_dual_fmac_f32 v11, 0x32a5705f, v2 :: v_dual_sub_f32 v6, v6, v12
	v_add_f32_e32 v5, v5, v8
	v_cvt_i32_f32_e32 v8, v9
	v_cvt_i32_f32_e32 v9, v12
	s_delay_alu instid0(VALU_DEP_4) | instskip(NEXT) | instid1(VALU_DEP_4)
	v_add_f32_e32 v6, v6, v11
	v_exp_f32_e32 v5, v5
	s_delay_alu instid0(VALU_DEP_1) | instskip(SKIP_3) | instid1(VALU_DEP_2)
	v_exp_f32_e32 v6, v6
	s_waitcnt_depctr 0xfff
	v_ldexp_f32 v5, v5, v8
	v_ldexp_f32 v6, v6, v9
	v_cndmask_b32_e64 v5, 0, v5, s1
	v_cmp_ngt_f32_e64 s1, 0xc2ce8ed0, v2
	s_delay_alu instid0(VALU_DEP_1) | instskip(SKIP_1) | instid1(VALU_DEP_1)
	v_cndmask_b32_e64 v6, 0, v6, s1
	v_cmp_nlt_f32_e64 s1, 0x42b17218, v3
	v_cndmask_b32_e64 v5, 0x7f800000, v5, s1
	v_cmp_nlt_f32_e64 s1, 0x42b17218, v2
	ds_bpermute_b32 v8, v7, v5
	v_cndmask_b32_e64 v6, 0x7f800000, v6, s1
	ds_bpermute_b32 v9, v7, v6
	s_waitcnt lgkmcnt(1)
	v_add_f32_e32 v7, v5, v8
	ds_bpermute_b32 v8, v10, v7
	s_waitcnt lgkmcnt(1)
	v_add_f32_e32 v5, v6, v9
	ds_bpermute_b32 v6, v10, v5
	s_and_saveexec_b32 s1, s0
	s_cbranch_execz .LBB170_10
; %bb.5:
	v_lshlrev_b64 v[0:1], 2, v[0:1]
	s_delay_alu instid0(VALU_DEP_1) | instskip(NEXT) | instid1(VALU_DEP_1)
	v_add_co_u32 v0, s0, s4, v0
	v_add_co_ci_u32_e64 v1, s0, s5, v1, s0
	s_and_saveexec_b32 s2, vcc_lo
	s_cbranch_execz .LBB170_7
; %bb.6:
	s_waitcnt lgkmcnt(1)
	v_add_f32_e32 v7, v7, v8
	s_delay_alu instid0(VALU_DEP_1) | instskip(NEXT) | instid1(VALU_DEP_1)
	v_cmp_gt_f32_e64 s0, 0x800000, v7
	v_cndmask_b32_e64 v8, 1.0, 0x4f800000, s0
	s_delay_alu instid0(VALU_DEP_1) | instskip(NEXT) | instid1(VALU_DEP_1)
	v_mul_f32_e32 v7, v7, v8
	v_log_f32_e32 v7, v7
	s_waitcnt_depctr 0xfff
	v_mul_f32_e32 v8, 0x3f317217, v7
	v_cmp_gt_f32_e64 s1, 0x7f800000, |v7|
	s_delay_alu instid0(VALU_DEP_2) | instskip(NEXT) | instid1(VALU_DEP_1)
	v_fma_f32 v9, 0x3f317217, v7, -v8
	v_fmamk_f32 v9, v7, 0x3377d1cf, v9
	s_delay_alu instid0(VALU_DEP_1) | instskip(NEXT) | instid1(VALU_DEP_1)
	v_add_f32_e32 v8, v8, v9
	v_cndmask_b32_e64 v7, v7, v8, s1
	v_cndmask_b32_e64 v8, 0, 0x41b17218, s0
	s_delay_alu instid0(VALU_DEP_1) | instskip(NEXT) | instid1(VALU_DEP_1)
	v_sub_f32_e32 v7, v7, v8
	v_sub_f32_e32 v3, v3, v7
	global_store_b32 v[0:1], v3, off
.LBB170_7:
	s_or_b32 exec_lo, exec_lo, s2
	v_cmp_ne_u32_e64 s0, 1, v4
	s_delay_alu instid0(VALU_DEP_1)
	s_and_b32 exec_lo, exec_lo, s0
	s_cbranch_execz .LBB170_10
; %bb.8:
	s_and_b32 exec_lo, exec_lo, vcc_lo
	s_cbranch_execz .LBB170_10
; %bb.9:
	s_waitcnt lgkmcnt(0)
	v_add_f32_e32 v3, v5, v6
	s_mov_b32 s11, 0
	s_delay_alu instid0(SALU_CYCLE_1) | instskip(NEXT) | instid1(VALU_DEP_1)
	s_lshl_b64 s[0:1], s[10:11], 2
	v_cmp_gt_f32_e32 vcc_lo, 0x800000, v3
	v_cndmask_b32_e64 v4, 1.0, 0x4f800000, vcc_lo
	s_delay_alu instid0(VALU_DEP_1) | instskip(NEXT) | instid1(VALU_DEP_1)
	v_mul_f32_e32 v3, v3, v4
	v_log_f32_e32 v3, v3
	s_waitcnt_depctr 0xfff
	v_mul_f32_e32 v4, 0x3f317217, v3
	s_delay_alu instid0(VALU_DEP_1) | instskip(NEXT) | instid1(VALU_DEP_1)
	v_fma_f32 v5, 0x3f317217, v3, -v4
	v_fmamk_f32 v5, v3, 0x3377d1cf, v5
	s_delay_alu instid0(VALU_DEP_1) | instskip(SKIP_2) | instid1(VALU_DEP_3)
	v_add_f32_e32 v4, v4, v5
	v_cndmask_b32_e64 v5, 0, 0x41b17218, vcc_lo
	v_cmp_gt_f32_e64 vcc_lo, 0x7f800000, |v3|
	v_cndmask_b32_e32 v3, v3, v4, vcc_lo
	v_add_co_u32 v0, vcc_lo, v0, s0
	v_add_co_ci_u32_e32 v1, vcc_lo, s1, v1, vcc_lo
	s_delay_alu instid0(VALU_DEP_3) | instskip(NEXT) | instid1(VALU_DEP_1)
	v_sub_f32_e32 v3, v3, v5
	v_sub_f32_e32 v2, v2, v3
	global_store_b32 v[0:1], v2, off
.LBB170_10:
	s_nop 0
	s_sendmsg sendmsg(MSG_DEALLOC_VGPRS)
	s_endpgm
	.section	.rodata,"a",@progbits
	.p2align	6, 0x0
	.amdhsa_kernel _ZN12_GLOBAL__N_120softmax_warp_forwardIN3c108BFloat16EffLi2ELb1ELb0ELi64EEEvPT0_PKT_iiiPKbib
		.amdhsa_group_segment_fixed_size 0
		.amdhsa_private_segment_fixed_size 0
		.amdhsa_kernarg_size 304
		.amdhsa_user_sgpr_count 15
		.amdhsa_user_sgpr_dispatch_ptr 0
		.amdhsa_user_sgpr_queue_ptr 0
		.amdhsa_user_sgpr_kernarg_segment_ptr 1
		.amdhsa_user_sgpr_dispatch_id 0
		.amdhsa_user_sgpr_private_segment_size 0
		.amdhsa_wavefront_size32 1
		.amdhsa_uses_dynamic_stack 0
		.amdhsa_enable_private_segment 0
		.amdhsa_system_sgpr_workgroup_id_x 1
		.amdhsa_system_sgpr_workgroup_id_y 0
		.amdhsa_system_sgpr_workgroup_id_z 0
		.amdhsa_system_sgpr_workgroup_info 0
		.amdhsa_system_vgpr_workitem_id 1
		.amdhsa_next_free_vgpr 13
		.amdhsa_next_free_sgpr 16
		.amdhsa_reserve_vcc 1
		.amdhsa_float_round_mode_32 0
		.amdhsa_float_round_mode_16_64 0
		.amdhsa_float_denorm_mode_32 3
		.amdhsa_float_denorm_mode_16_64 3
		.amdhsa_dx10_clamp 1
		.amdhsa_ieee_mode 1
		.amdhsa_fp16_overflow 0
		.amdhsa_workgroup_processor_mode 1
		.amdhsa_memory_ordered 1
		.amdhsa_forward_progress 0
		.amdhsa_shared_vgpr_count 0
		.amdhsa_exception_fp_ieee_invalid_op 0
		.amdhsa_exception_fp_denorm_src 0
		.amdhsa_exception_fp_ieee_div_zero 0
		.amdhsa_exception_fp_ieee_overflow 0
		.amdhsa_exception_fp_ieee_underflow 0
		.amdhsa_exception_fp_ieee_inexact 0
		.amdhsa_exception_int_div_zero 0
	.end_amdhsa_kernel
	.section	.text._ZN12_GLOBAL__N_120softmax_warp_forwardIN3c108BFloat16EffLi2ELb1ELb0ELi64EEEvPT0_PKT_iiiPKbib,"axG",@progbits,_ZN12_GLOBAL__N_120softmax_warp_forwardIN3c108BFloat16EffLi2ELb1ELb0ELi64EEEvPT0_PKT_iiiPKbib,comdat
.Lfunc_end170:
	.size	_ZN12_GLOBAL__N_120softmax_warp_forwardIN3c108BFloat16EffLi2ELb1ELb0ELi64EEEvPT0_PKT_iiiPKbib, .Lfunc_end170-_ZN12_GLOBAL__N_120softmax_warp_forwardIN3c108BFloat16EffLi2ELb1ELb0ELi64EEEvPT0_PKT_iiiPKbib
                                        ; -- End function
	.section	.AMDGPU.csdata,"",@progbits
; Kernel info:
; codeLenInByte = 1128
; NumSgprs: 18
; NumVgprs: 13
; ScratchSize: 0
; MemoryBound: 0
; FloatMode: 240
; IeeeMode: 1
; LDSByteSize: 0 bytes/workgroup (compile time only)
; SGPRBlocks: 2
; VGPRBlocks: 1
; NumSGPRsForWavesPerEU: 18
; NumVGPRsForWavesPerEU: 13
; Occupancy: 16
; WaveLimiterHint : 0
; COMPUTE_PGM_RSRC2:SCRATCH_EN: 0
; COMPUTE_PGM_RSRC2:USER_SGPR: 15
; COMPUTE_PGM_RSRC2:TRAP_HANDLER: 0
; COMPUTE_PGM_RSRC2:TGID_X_EN: 1
; COMPUTE_PGM_RSRC2:TGID_Y_EN: 0
; COMPUTE_PGM_RSRC2:TGID_Z_EN: 0
; COMPUTE_PGM_RSRC2:TIDIG_COMP_CNT: 1
	.section	.text._ZN12_GLOBAL__N_120softmax_warp_forwardIN3c108BFloat16EffLi2ELb1ELb0ELi32EEEvPT0_PKT_iiiPKbib,"axG",@progbits,_ZN12_GLOBAL__N_120softmax_warp_forwardIN3c108BFloat16EffLi2ELb1ELb0ELi32EEEvPT0_PKT_iiiPKbib,comdat
	.globl	_ZN12_GLOBAL__N_120softmax_warp_forwardIN3c108BFloat16EffLi2ELb1ELb0ELi32EEEvPT0_PKT_iiiPKbib ; -- Begin function _ZN12_GLOBAL__N_120softmax_warp_forwardIN3c108BFloat16EffLi2ELb1ELb0ELi32EEEvPT0_PKT_iiiPKbib
	.p2align	8
	.type	_ZN12_GLOBAL__N_120softmax_warp_forwardIN3c108BFloat16EffLi2ELb1ELb0ELi32EEEvPT0_PKT_iiiPKbib,@function
_ZN12_GLOBAL__N_120softmax_warp_forwardIN3c108BFloat16EffLi2ELb1ELb0ELi32EEEvPT0_PKT_iiiPKbib: ; @_ZN12_GLOBAL__N_120softmax_warp_forwardIN3c108BFloat16EffLi2ELb1ELb0ELi32EEEvPT0_PKT_iiiPKbib
; %bb.0:
	s_clause 0x1
	s_load_b32 s2, s[0:1], 0x3c
	s_load_b256 s[4:11], s[0:1], 0x0
	v_bfe_u32 v1, v0, 10, 10
	v_and_b32_e32 v2, 0x3ff, v0
	v_mov_b32_e32 v5, 0xff800000
	s_waitcnt lgkmcnt(0)
	s_lshr_b32 s0, s2, 16
	s_delay_alu instid0(VALU_DEP_2) | instskip(SKIP_1) | instid1(SALU_CYCLE_1)
	v_cmp_gt_i32_e32 vcc_lo, s10, v2
	s_mul_i32 s15, s15, s0
	v_add_lshl_u32 v3, s15, v1, 1
	s_delay_alu instid0(VALU_DEP_1) | instskip(SKIP_1) | instid1(VALU_DEP_1)
	v_mad_u64_u32 v[0:1], null, v3, s9, v[2:3]
	v_sub_nc_u32_e32 v4, s8, v3
	v_cmp_lt_i32_e64 s0, 0, v4
	s_delay_alu instid0(VALU_DEP_3) | instskip(NEXT) | instid1(VALU_DEP_2)
	v_ashrrev_i32_e32 v1, 31, v0
	s_and_b32 s2, vcc_lo, s0
	s_delay_alu instid0(VALU_DEP_1) | instskip(NEXT) | instid1(VALU_DEP_1)
	v_lshlrev_b64 v[6:7], 1, v[0:1]
	v_add_co_u32 v2, s1, s6, v6
	v_mov_b32_e32 v6, 0xff800000
	s_delay_alu instid0(VALU_DEP_3)
	v_add_co_ci_u32_e64 v3, s1, s7, v7, s1
	s_and_saveexec_b32 s1, s2
	s_cbranch_execz .LBB171_2
; %bb.1:
	global_load_u16 v6, v[2:3], off
	s_waitcnt vmcnt(0)
	v_lshlrev_b32_e32 v6, 16, v6
.LBB171_2:
	s_or_b32 exec_lo, exec_lo, s1
	v_cmp_lt_i32_e64 s1, 1, v4
	s_delay_alu instid0(VALU_DEP_1) | instskip(NEXT) | instid1(SALU_CYCLE_1)
	s_and_b32 s1, vcc_lo, s1
	s_and_saveexec_b32 s2, s1
	s_cbranch_execz .LBB171_4
; %bb.3:
	s_mov_b32 s11, 0
	s_delay_alu instid0(SALU_CYCLE_1) | instskip(NEXT) | instid1(SALU_CYCLE_1)
	s_lshl_b64 s[6:7], s[10:11], 1
	v_add_co_u32 v2, s1, v2, s6
	s_delay_alu instid0(VALU_DEP_1)
	v_add_co_ci_u32_e64 v3, s1, s7, v3, s1
	global_load_u16 v2, v[2:3], off
	s_waitcnt vmcnt(0)
	v_lshlrev_b32_e32 v5, 16, v2
.LBB171_4:
	s_or_b32 exec_lo, exec_lo, s2
	v_mbcnt_lo_u32_b32 v2, -1, 0
	s_delay_alu instid0(VALU_DEP_1) | instskip(SKIP_2) | instid1(VALU_DEP_3)
	v_and_b32_e32 v3, 28, v2
	v_xor_b32_e32 v7, 2, v2
	v_xor_b32_e32 v10, 1, v2
	v_add_nc_u32_e32 v3, 4, v3
	s_delay_alu instid0(VALU_DEP_1) | instskip(NEXT) | instid1(VALU_DEP_1)
	v_cmp_lt_i32_e64 s1, v7, v3
	v_cndmask_b32_e64 v7, v2, v7, s1
	s_delay_alu instid0(VALU_DEP_4) | instskip(NEXT) | instid1(VALU_DEP_2)
	v_cmp_lt_i32_e64 s1, v10, v3
	v_lshlrev_b32_e32 v7, 2, v7
	s_delay_alu instid0(VALU_DEP_2)
	v_cndmask_b32_e64 v2, v2, v10, s1
	ds_bpermute_b32 v8, v7, v6
	ds_bpermute_b32 v9, v7, v5
	v_lshlrev_b32_e32 v10, 2, v2
	s_waitcnt lgkmcnt(1)
	v_cmp_lt_f32_e64 s1, v6, v8
	s_delay_alu instid0(VALU_DEP_1)
	v_cndmask_b32_e64 v2, v6, v8, s1
	s_waitcnt lgkmcnt(0)
	v_cmp_lt_f32_e64 s1, v5, v9
	ds_bpermute_b32 v8, v10, v2
	v_cndmask_b32_e64 v3, v5, v9, s1
	ds_bpermute_b32 v9, v10, v3
	s_waitcnt lgkmcnt(1)
	v_cmp_lt_f32_e64 s1, v2, v8
	s_delay_alu instid0(VALU_DEP_1) | instskip(SKIP_2) | instid1(VALU_DEP_1)
	v_cndmask_b32_e64 v2, v2, v8, s1
	s_waitcnt lgkmcnt(0)
	v_cmp_lt_f32_e64 s1, v3, v9
	v_cndmask_b32_e64 v8, v3, v9, s1
	s_delay_alu instid0(VALU_DEP_1) | instskip(NEXT) | instid1(VALU_DEP_1)
	v_dual_sub_f32 v3, v6, v2 :: v_dual_sub_f32 v2, v5, v8
	v_mul_f32_e32 v5, 0x3fb8aa3b, v3
	v_cmp_ngt_f32_e64 s1, 0xc2ce8ed0, v3
	s_delay_alu instid0(VALU_DEP_3) | instskip(NEXT) | instid1(VALU_DEP_3)
	v_mul_f32_e32 v6, 0x3fb8aa3b, v2
	v_fma_f32 v8, 0x3fb8aa3b, v3, -v5
	v_rndne_f32_e32 v9, v5
	s_delay_alu instid0(VALU_DEP_3) | instskip(SKIP_1) | instid1(VALU_DEP_3)
	v_fma_f32 v11, 0x3fb8aa3b, v2, -v6
	v_rndne_f32_e32 v12, v6
	v_dual_fmac_f32 v8, 0x32a5705f, v3 :: v_dual_sub_f32 v5, v5, v9
	s_delay_alu instid0(VALU_DEP_2) | instskip(NEXT) | instid1(VALU_DEP_2)
	v_dual_fmac_f32 v11, 0x32a5705f, v2 :: v_dual_sub_f32 v6, v6, v12
	v_add_f32_e32 v5, v5, v8
	v_cvt_i32_f32_e32 v8, v9
	v_cvt_i32_f32_e32 v9, v12
	s_delay_alu instid0(VALU_DEP_4) | instskip(NEXT) | instid1(VALU_DEP_4)
	v_add_f32_e32 v6, v6, v11
	v_exp_f32_e32 v5, v5
	s_delay_alu instid0(VALU_DEP_1) | instskip(SKIP_3) | instid1(VALU_DEP_2)
	v_exp_f32_e32 v6, v6
	s_waitcnt_depctr 0xfff
	v_ldexp_f32 v5, v5, v8
	v_ldexp_f32 v6, v6, v9
	v_cndmask_b32_e64 v5, 0, v5, s1
	v_cmp_ngt_f32_e64 s1, 0xc2ce8ed0, v2
	s_delay_alu instid0(VALU_DEP_1) | instskip(SKIP_1) | instid1(VALU_DEP_1)
	v_cndmask_b32_e64 v6, 0, v6, s1
	v_cmp_nlt_f32_e64 s1, 0x42b17218, v3
	v_cndmask_b32_e64 v5, 0x7f800000, v5, s1
	v_cmp_nlt_f32_e64 s1, 0x42b17218, v2
	ds_bpermute_b32 v8, v7, v5
	v_cndmask_b32_e64 v6, 0x7f800000, v6, s1
	ds_bpermute_b32 v9, v7, v6
	s_waitcnt lgkmcnt(1)
	v_add_f32_e32 v7, v5, v8
	ds_bpermute_b32 v8, v10, v7
	s_waitcnt lgkmcnt(1)
	v_add_f32_e32 v5, v6, v9
	ds_bpermute_b32 v6, v10, v5
	s_and_saveexec_b32 s1, s0
	s_cbranch_execz .LBB171_10
; %bb.5:
	v_lshlrev_b64 v[0:1], 2, v[0:1]
	s_delay_alu instid0(VALU_DEP_1) | instskip(NEXT) | instid1(VALU_DEP_1)
	v_add_co_u32 v0, s0, s4, v0
	v_add_co_ci_u32_e64 v1, s0, s5, v1, s0
	s_and_saveexec_b32 s2, vcc_lo
	s_cbranch_execz .LBB171_7
; %bb.6:
	s_waitcnt lgkmcnt(1)
	v_add_f32_e32 v7, v7, v8
	s_delay_alu instid0(VALU_DEP_1) | instskip(NEXT) | instid1(VALU_DEP_1)
	v_cmp_gt_f32_e64 s0, 0x800000, v7
	v_cndmask_b32_e64 v8, 1.0, 0x4f800000, s0
	s_delay_alu instid0(VALU_DEP_1) | instskip(NEXT) | instid1(VALU_DEP_1)
	v_mul_f32_e32 v7, v7, v8
	v_log_f32_e32 v7, v7
	s_waitcnt_depctr 0xfff
	v_mul_f32_e32 v8, 0x3f317217, v7
	v_cmp_gt_f32_e64 s1, 0x7f800000, |v7|
	s_delay_alu instid0(VALU_DEP_2) | instskip(NEXT) | instid1(VALU_DEP_1)
	v_fma_f32 v9, 0x3f317217, v7, -v8
	v_fmamk_f32 v9, v7, 0x3377d1cf, v9
	s_delay_alu instid0(VALU_DEP_1) | instskip(NEXT) | instid1(VALU_DEP_1)
	v_add_f32_e32 v8, v8, v9
	v_cndmask_b32_e64 v7, v7, v8, s1
	v_cndmask_b32_e64 v8, 0, 0x41b17218, s0
	s_delay_alu instid0(VALU_DEP_1) | instskip(NEXT) | instid1(VALU_DEP_1)
	v_sub_f32_e32 v7, v7, v8
	v_sub_f32_e32 v3, v3, v7
	global_store_b32 v[0:1], v3, off
.LBB171_7:
	s_or_b32 exec_lo, exec_lo, s2
	v_cmp_ne_u32_e64 s0, 1, v4
	s_delay_alu instid0(VALU_DEP_1)
	s_and_b32 exec_lo, exec_lo, s0
	s_cbranch_execz .LBB171_10
; %bb.8:
	s_and_b32 exec_lo, exec_lo, vcc_lo
	s_cbranch_execz .LBB171_10
; %bb.9:
	s_waitcnt lgkmcnt(0)
	v_add_f32_e32 v3, v5, v6
	s_mov_b32 s11, 0
	s_delay_alu instid0(SALU_CYCLE_1) | instskip(NEXT) | instid1(VALU_DEP_1)
	s_lshl_b64 s[0:1], s[10:11], 2
	v_cmp_gt_f32_e32 vcc_lo, 0x800000, v3
	v_cndmask_b32_e64 v4, 1.0, 0x4f800000, vcc_lo
	s_delay_alu instid0(VALU_DEP_1) | instskip(NEXT) | instid1(VALU_DEP_1)
	v_mul_f32_e32 v3, v3, v4
	v_log_f32_e32 v3, v3
	s_waitcnt_depctr 0xfff
	v_mul_f32_e32 v4, 0x3f317217, v3
	s_delay_alu instid0(VALU_DEP_1) | instskip(NEXT) | instid1(VALU_DEP_1)
	v_fma_f32 v5, 0x3f317217, v3, -v4
	v_fmamk_f32 v5, v3, 0x3377d1cf, v5
	s_delay_alu instid0(VALU_DEP_1) | instskip(SKIP_2) | instid1(VALU_DEP_3)
	v_add_f32_e32 v4, v4, v5
	v_cndmask_b32_e64 v5, 0, 0x41b17218, vcc_lo
	v_cmp_gt_f32_e64 vcc_lo, 0x7f800000, |v3|
	v_cndmask_b32_e32 v3, v3, v4, vcc_lo
	v_add_co_u32 v0, vcc_lo, v0, s0
	v_add_co_ci_u32_e32 v1, vcc_lo, s1, v1, vcc_lo
	s_delay_alu instid0(VALU_DEP_3) | instskip(NEXT) | instid1(VALU_DEP_1)
	v_sub_f32_e32 v3, v3, v5
	v_sub_f32_e32 v2, v2, v3
	global_store_b32 v[0:1], v2, off
.LBB171_10:
	s_nop 0
	s_sendmsg sendmsg(MSG_DEALLOC_VGPRS)
	s_endpgm
	.section	.rodata,"a",@progbits
	.p2align	6, 0x0
	.amdhsa_kernel _ZN12_GLOBAL__N_120softmax_warp_forwardIN3c108BFloat16EffLi2ELb1ELb0ELi32EEEvPT0_PKT_iiiPKbib
		.amdhsa_group_segment_fixed_size 0
		.amdhsa_private_segment_fixed_size 0
		.amdhsa_kernarg_size 304
		.amdhsa_user_sgpr_count 15
		.amdhsa_user_sgpr_dispatch_ptr 0
		.amdhsa_user_sgpr_queue_ptr 0
		.amdhsa_user_sgpr_kernarg_segment_ptr 1
		.amdhsa_user_sgpr_dispatch_id 0
		.amdhsa_user_sgpr_private_segment_size 0
		.amdhsa_wavefront_size32 1
		.amdhsa_uses_dynamic_stack 0
		.amdhsa_enable_private_segment 0
		.amdhsa_system_sgpr_workgroup_id_x 1
		.amdhsa_system_sgpr_workgroup_id_y 0
		.amdhsa_system_sgpr_workgroup_id_z 0
		.amdhsa_system_sgpr_workgroup_info 0
		.amdhsa_system_vgpr_workitem_id 1
		.amdhsa_next_free_vgpr 13
		.amdhsa_next_free_sgpr 16
		.amdhsa_reserve_vcc 1
		.amdhsa_float_round_mode_32 0
		.amdhsa_float_round_mode_16_64 0
		.amdhsa_float_denorm_mode_32 3
		.amdhsa_float_denorm_mode_16_64 3
		.amdhsa_dx10_clamp 1
		.amdhsa_ieee_mode 1
		.amdhsa_fp16_overflow 0
		.amdhsa_workgroup_processor_mode 1
		.amdhsa_memory_ordered 1
		.amdhsa_forward_progress 0
		.amdhsa_shared_vgpr_count 0
		.amdhsa_exception_fp_ieee_invalid_op 0
		.amdhsa_exception_fp_denorm_src 0
		.amdhsa_exception_fp_ieee_div_zero 0
		.amdhsa_exception_fp_ieee_overflow 0
		.amdhsa_exception_fp_ieee_underflow 0
		.amdhsa_exception_fp_ieee_inexact 0
		.amdhsa_exception_int_div_zero 0
	.end_amdhsa_kernel
	.section	.text._ZN12_GLOBAL__N_120softmax_warp_forwardIN3c108BFloat16EffLi2ELb1ELb0ELi32EEEvPT0_PKT_iiiPKbib,"axG",@progbits,_ZN12_GLOBAL__N_120softmax_warp_forwardIN3c108BFloat16EffLi2ELb1ELb0ELi32EEEvPT0_PKT_iiiPKbib,comdat
.Lfunc_end171:
	.size	_ZN12_GLOBAL__N_120softmax_warp_forwardIN3c108BFloat16EffLi2ELb1ELb0ELi32EEEvPT0_PKT_iiiPKbib, .Lfunc_end171-_ZN12_GLOBAL__N_120softmax_warp_forwardIN3c108BFloat16EffLi2ELb1ELb0ELi32EEEvPT0_PKT_iiiPKbib
                                        ; -- End function
	.section	.AMDGPU.csdata,"",@progbits
; Kernel info:
; codeLenInByte = 1128
; NumSgprs: 18
; NumVgprs: 13
; ScratchSize: 0
; MemoryBound: 0
; FloatMode: 240
; IeeeMode: 1
; LDSByteSize: 0 bytes/workgroup (compile time only)
; SGPRBlocks: 2
; VGPRBlocks: 1
; NumSGPRsForWavesPerEU: 18
; NumVGPRsForWavesPerEU: 13
; Occupancy: 16
; WaveLimiterHint : 0
; COMPUTE_PGM_RSRC2:SCRATCH_EN: 0
; COMPUTE_PGM_RSRC2:USER_SGPR: 15
; COMPUTE_PGM_RSRC2:TRAP_HANDLER: 0
; COMPUTE_PGM_RSRC2:TGID_X_EN: 1
; COMPUTE_PGM_RSRC2:TGID_Y_EN: 0
; COMPUTE_PGM_RSRC2:TGID_Z_EN: 0
; COMPUTE_PGM_RSRC2:TIDIG_COMP_CNT: 1
	.section	.text._ZN12_GLOBAL__N_120softmax_warp_forwardIN3c108BFloat16EffLi3ELb1ELb0ELi64EEEvPT0_PKT_iiiPKbib,"axG",@progbits,_ZN12_GLOBAL__N_120softmax_warp_forwardIN3c108BFloat16EffLi3ELb1ELb0ELi64EEEvPT0_PKT_iiiPKbib,comdat
	.globl	_ZN12_GLOBAL__N_120softmax_warp_forwardIN3c108BFloat16EffLi3ELb1ELb0ELi64EEEvPT0_PKT_iiiPKbib ; -- Begin function _ZN12_GLOBAL__N_120softmax_warp_forwardIN3c108BFloat16EffLi3ELb1ELb0ELi64EEEvPT0_PKT_iiiPKbib
	.p2align	8
	.type	_ZN12_GLOBAL__N_120softmax_warp_forwardIN3c108BFloat16EffLi3ELb1ELb0ELi64EEEvPT0_PKT_iiiPKbib,@function
_ZN12_GLOBAL__N_120softmax_warp_forwardIN3c108BFloat16EffLi3ELb1ELb0ELi64EEEvPT0_PKT_iiiPKbib: ; @_ZN12_GLOBAL__N_120softmax_warp_forwardIN3c108BFloat16EffLi3ELb1ELb0ELi64EEEvPT0_PKT_iiiPKbib
; %bb.0:
	s_clause 0x1
	s_load_b32 s2, s[0:1], 0x3c
	s_load_b256 s[4:11], s[0:1], 0x0
	v_bfe_u32 v1, v0, 10, 10
	v_and_b32_e32 v2, 0x3ff, v0
	v_mov_b32_e32 v5, 0xff800000
	s_waitcnt lgkmcnt(0)
	s_lshr_b32 s0, s2, 16
	s_delay_alu instid0(VALU_DEP_2) | instskip(SKIP_1) | instid1(SALU_CYCLE_1)
	v_cmp_gt_i32_e32 vcc_lo, s10, v2
	s_mul_i32 s15, s15, s0
	v_add_lshl_u32 v3, s15, v1, 1
	s_delay_alu instid0(VALU_DEP_1) | instskip(SKIP_1) | instid1(VALU_DEP_1)
	v_mad_u64_u32 v[0:1], null, v3, s9, v[2:3]
	v_sub_nc_u32_e32 v4, s8, v3
	v_cmp_lt_i32_e64 s0, 0, v4
	s_delay_alu instid0(VALU_DEP_3) | instskip(NEXT) | instid1(VALU_DEP_2)
	v_ashrrev_i32_e32 v1, 31, v0
	s_and_b32 s2, vcc_lo, s0
	s_delay_alu instid0(VALU_DEP_1) | instskip(NEXT) | instid1(VALU_DEP_1)
	v_lshlrev_b64 v[6:7], 1, v[0:1]
	v_add_co_u32 v2, s1, s6, v6
	v_mov_b32_e32 v6, 0xff800000
	s_delay_alu instid0(VALU_DEP_3)
	v_add_co_ci_u32_e64 v3, s1, s7, v7, s1
	s_and_saveexec_b32 s1, s2
	s_cbranch_execz .LBB172_2
; %bb.1:
	global_load_u16 v6, v[2:3], off
	s_waitcnt vmcnt(0)
	v_lshlrev_b32_e32 v6, 16, v6
.LBB172_2:
	s_or_b32 exec_lo, exec_lo, s1
	v_cmp_lt_i32_e64 s1, 1, v4
	s_delay_alu instid0(VALU_DEP_1) | instskip(NEXT) | instid1(SALU_CYCLE_1)
	s_and_b32 s1, vcc_lo, s1
	s_and_saveexec_b32 s2, s1
	s_cbranch_execz .LBB172_4
; %bb.3:
	s_mov_b32 s11, 0
	s_delay_alu instid0(SALU_CYCLE_1) | instskip(NEXT) | instid1(SALU_CYCLE_1)
	s_lshl_b64 s[6:7], s[10:11], 1
	v_add_co_u32 v2, s1, v2, s6
	s_delay_alu instid0(VALU_DEP_1)
	v_add_co_ci_u32_e64 v3, s1, s7, v3, s1
	global_load_u16 v2, v[2:3], off
	s_waitcnt vmcnt(0)
	v_lshlrev_b32_e32 v5, 16, v2
.LBB172_4:
	s_or_b32 exec_lo, exec_lo, s2
	v_mbcnt_lo_u32_b32 v2, -1, 0
	s_delay_alu instid0(VALU_DEP_1) | instskip(SKIP_3) | instid1(VALU_DEP_4)
	v_and_b32_e32 v3, 24, v2
	v_xor_b32_e32 v7, 4, v2
	v_xor_b32_e32 v10, 2, v2
	;; [unrolled: 1-line block ×3, first 2 shown]
	v_add_nc_u32_e32 v3, 8, v3
	s_delay_alu instid0(VALU_DEP_1) | instskip(NEXT) | instid1(VALU_DEP_1)
	v_cmp_lt_i32_e64 s1, v7, v3
	v_cndmask_b32_e64 v7, v2, v7, s1
	v_cmp_lt_i32_e64 s1, v10, v3
	s_delay_alu instid0(VALU_DEP_2) | instskip(NEXT) | instid1(VALU_DEP_2)
	v_lshlrev_b32_e32 v7, 2, v7
	v_cndmask_b32_e64 v10, v2, v10, s1
	ds_bpermute_b32 v8, v7, v6
	ds_bpermute_b32 v9, v7, v5
	v_lshlrev_b32_e32 v10, 2, v10
	s_waitcnt lgkmcnt(1)
	v_cmp_lt_f32_e64 s1, v6, v8
	s_delay_alu instid0(VALU_DEP_1)
	v_cndmask_b32_e64 v8, v6, v8, s1
	s_waitcnt lgkmcnt(0)
	v_cmp_lt_f32_e64 s1, v5, v9
	ds_bpermute_b32 v11, v10, v8
	v_cndmask_b32_e64 v9, v5, v9, s1
	v_cmp_lt_i32_e64 s1, v13, v3
	ds_bpermute_b32 v12, v10, v9
	v_cndmask_b32_e64 v2, v2, v13, s1
	s_delay_alu instid0(VALU_DEP_1) | instskip(SKIP_2) | instid1(VALU_DEP_1)
	v_lshlrev_b32_e32 v13, 2, v2
	s_waitcnt lgkmcnt(1)
	v_cmp_lt_f32_e64 s1, v8, v11
	v_cndmask_b32_e64 v2, v8, v11, s1
	s_waitcnt lgkmcnt(0)
	v_cmp_lt_f32_e64 s1, v9, v12
	ds_bpermute_b32 v8, v13, v2
	v_cndmask_b32_e64 v3, v9, v12, s1
	ds_bpermute_b32 v9, v13, v3
	s_waitcnt lgkmcnt(1)
	v_cmp_lt_f32_e64 s1, v2, v8
	s_delay_alu instid0(VALU_DEP_1) | instskip(SKIP_2) | instid1(VALU_DEP_1)
	v_cndmask_b32_e64 v2, v2, v8, s1
	s_waitcnt lgkmcnt(0)
	v_cmp_lt_f32_e64 s1, v3, v9
	v_cndmask_b32_e64 v8, v3, v9, s1
	s_delay_alu instid0(VALU_DEP_1) | instskip(NEXT) | instid1(VALU_DEP_1)
	v_dual_sub_f32 v3, v6, v2 :: v_dual_sub_f32 v2, v5, v8
	v_mul_f32_e32 v5, 0x3fb8aa3b, v3
	v_cmp_ngt_f32_e64 s1, 0xc2ce8ed0, v3
	s_delay_alu instid0(VALU_DEP_3) | instskip(NEXT) | instid1(VALU_DEP_3)
	v_mul_f32_e32 v6, 0x3fb8aa3b, v2
	v_fma_f32 v8, 0x3fb8aa3b, v3, -v5
	v_rndne_f32_e32 v9, v5
	s_delay_alu instid0(VALU_DEP_3) | instskip(NEXT) | instid1(VALU_DEP_3)
	v_fma_f32 v11, 0x3fb8aa3b, v2, -v6
	v_fmac_f32_e32 v8, 0x32a5705f, v3
	v_rndne_f32_e32 v12, v6
	s_delay_alu instid0(VALU_DEP_1) | instskip(NEXT) | instid1(VALU_DEP_1)
	v_dual_fmac_f32 v11, 0x32a5705f, v2 :: v_dual_sub_f32 v6, v6, v12
	v_dual_sub_f32 v5, v5, v9 :: v_dual_add_f32 v6, v6, v11
	s_delay_alu instid0(VALU_DEP_1) | instskip(SKIP_2) | instid1(VALU_DEP_4)
	v_add_f32_e32 v5, v5, v8
	v_cvt_i32_f32_e32 v8, v9
	v_cvt_i32_f32_e32 v9, v12
	v_exp_f32_e32 v6, v6
	s_delay_alu instid0(VALU_DEP_3) | instskip(SKIP_3) | instid1(VALU_DEP_1)
	v_exp_f32_e32 v5, v5
	s_waitcnt_depctr 0xfff
	v_ldexp_f32 v6, v6, v9
	v_ldexp_f32 v5, v5, v8
	v_cndmask_b32_e64 v5, 0, v5, s1
	v_cmp_ngt_f32_e64 s1, 0xc2ce8ed0, v2
	s_delay_alu instid0(VALU_DEP_1) | instskip(SKIP_1) | instid1(VALU_DEP_1)
	v_cndmask_b32_e64 v6, 0, v6, s1
	v_cmp_nlt_f32_e64 s1, 0x42b17218, v3
	v_cndmask_b32_e64 v5, 0x7f800000, v5, s1
	v_cmp_nlt_f32_e64 s1, 0x42b17218, v2
	ds_bpermute_b32 v8, v7, v5
	v_cndmask_b32_e64 v6, 0x7f800000, v6, s1
	ds_bpermute_b32 v7, v7, v6
	s_waitcnt lgkmcnt(0)
	v_dual_add_f32 v5, v5, v8 :: v_dual_add_f32 v6, v6, v7
	ds_bpermute_b32 v7, v10, v5
	ds_bpermute_b32 v8, v10, v6
	s_waitcnt lgkmcnt(1)
	v_add_f32_e32 v7, v5, v7
	s_waitcnt lgkmcnt(0)
	v_add_f32_e32 v5, v6, v8
	ds_bpermute_b32 v8, v13, v7
	ds_bpermute_b32 v6, v13, v5
	s_and_saveexec_b32 s1, s0
	s_cbranch_execz .LBB172_10
; %bb.5:
	v_lshlrev_b64 v[0:1], 2, v[0:1]
	s_delay_alu instid0(VALU_DEP_1) | instskip(NEXT) | instid1(VALU_DEP_1)
	v_add_co_u32 v0, s0, s4, v0
	v_add_co_ci_u32_e64 v1, s0, s5, v1, s0
	s_and_saveexec_b32 s2, vcc_lo
	s_cbranch_execz .LBB172_7
; %bb.6:
	s_waitcnt lgkmcnt(1)
	v_add_f32_e32 v7, v7, v8
	s_delay_alu instid0(VALU_DEP_1) | instskip(NEXT) | instid1(VALU_DEP_1)
	v_cmp_gt_f32_e64 s0, 0x800000, v7
	v_cndmask_b32_e64 v8, 1.0, 0x4f800000, s0
	s_delay_alu instid0(VALU_DEP_1) | instskip(NEXT) | instid1(VALU_DEP_1)
	v_mul_f32_e32 v7, v7, v8
	v_log_f32_e32 v7, v7
	s_waitcnt_depctr 0xfff
	v_mul_f32_e32 v8, 0x3f317217, v7
	v_cmp_gt_f32_e64 s1, 0x7f800000, |v7|
	s_delay_alu instid0(VALU_DEP_2) | instskip(NEXT) | instid1(VALU_DEP_1)
	v_fma_f32 v9, 0x3f317217, v7, -v8
	v_fmamk_f32 v9, v7, 0x3377d1cf, v9
	s_delay_alu instid0(VALU_DEP_1) | instskip(NEXT) | instid1(VALU_DEP_1)
	v_add_f32_e32 v8, v8, v9
	v_cndmask_b32_e64 v7, v7, v8, s1
	v_cndmask_b32_e64 v8, 0, 0x41b17218, s0
	s_delay_alu instid0(VALU_DEP_1) | instskip(NEXT) | instid1(VALU_DEP_1)
	v_sub_f32_e32 v7, v7, v8
	v_sub_f32_e32 v3, v3, v7
	global_store_b32 v[0:1], v3, off
.LBB172_7:
	s_or_b32 exec_lo, exec_lo, s2
	v_cmp_ne_u32_e64 s0, 1, v4
	s_delay_alu instid0(VALU_DEP_1)
	s_and_b32 exec_lo, exec_lo, s0
	s_cbranch_execz .LBB172_10
; %bb.8:
	s_and_b32 exec_lo, exec_lo, vcc_lo
	s_cbranch_execz .LBB172_10
; %bb.9:
	s_waitcnt lgkmcnt(0)
	v_add_f32_e32 v3, v5, v6
	s_mov_b32 s11, 0
	s_delay_alu instid0(SALU_CYCLE_1) | instskip(NEXT) | instid1(VALU_DEP_1)
	s_lshl_b64 s[0:1], s[10:11], 2
	v_cmp_gt_f32_e32 vcc_lo, 0x800000, v3
	v_cndmask_b32_e64 v4, 1.0, 0x4f800000, vcc_lo
	s_delay_alu instid0(VALU_DEP_1) | instskip(NEXT) | instid1(VALU_DEP_1)
	v_mul_f32_e32 v3, v3, v4
	v_log_f32_e32 v3, v3
	s_waitcnt_depctr 0xfff
	v_mul_f32_e32 v4, 0x3f317217, v3
	s_delay_alu instid0(VALU_DEP_1) | instskip(NEXT) | instid1(VALU_DEP_1)
	v_fma_f32 v5, 0x3f317217, v3, -v4
	v_fmamk_f32 v5, v3, 0x3377d1cf, v5
	s_delay_alu instid0(VALU_DEP_1) | instskip(SKIP_2) | instid1(VALU_DEP_3)
	v_add_f32_e32 v4, v4, v5
	v_cndmask_b32_e64 v5, 0, 0x41b17218, vcc_lo
	v_cmp_gt_f32_e64 vcc_lo, 0x7f800000, |v3|
	v_cndmask_b32_e32 v3, v3, v4, vcc_lo
	v_add_co_u32 v0, vcc_lo, v0, s0
	v_add_co_ci_u32_e32 v1, vcc_lo, s1, v1, vcc_lo
	s_delay_alu instid0(VALU_DEP_3) | instskip(NEXT) | instid1(VALU_DEP_1)
	v_sub_f32_e32 v3, v3, v5
	v_sub_f32_e32 v2, v2, v3
	global_store_b32 v[0:1], v2, off
.LBB172_10:
	s_nop 0
	s_sendmsg sendmsg(MSG_DEALLOC_VGPRS)
	s_endpgm
	.section	.rodata,"a",@progbits
	.p2align	6, 0x0
	.amdhsa_kernel _ZN12_GLOBAL__N_120softmax_warp_forwardIN3c108BFloat16EffLi3ELb1ELb0ELi64EEEvPT0_PKT_iiiPKbib
		.amdhsa_group_segment_fixed_size 0
		.amdhsa_private_segment_fixed_size 0
		.amdhsa_kernarg_size 304
		.amdhsa_user_sgpr_count 15
		.amdhsa_user_sgpr_dispatch_ptr 0
		.amdhsa_user_sgpr_queue_ptr 0
		.amdhsa_user_sgpr_kernarg_segment_ptr 1
		.amdhsa_user_sgpr_dispatch_id 0
		.amdhsa_user_sgpr_private_segment_size 0
		.amdhsa_wavefront_size32 1
		.amdhsa_uses_dynamic_stack 0
		.amdhsa_enable_private_segment 0
		.amdhsa_system_sgpr_workgroup_id_x 1
		.amdhsa_system_sgpr_workgroup_id_y 0
		.amdhsa_system_sgpr_workgroup_id_z 0
		.amdhsa_system_sgpr_workgroup_info 0
		.amdhsa_system_vgpr_workitem_id 1
		.amdhsa_next_free_vgpr 14
		.amdhsa_next_free_sgpr 16
		.amdhsa_reserve_vcc 1
		.amdhsa_float_round_mode_32 0
		.amdhsa_float_round_mode_16_64 0
		.amdhsa_float_denorm_mode_32 3
		.amdhsa_float_denorm_mode_16_64 3
		.amdhsa_dx10_clamp 1
		.amdhsa_ieee_mode 1
		.amdhsa_fp16_overflow 0
		.amdhsa_workgroup_processor_mode 1
		.amdhsa_memory_ordered 1
		.amdhsa_forward_progress 0
		.amdhsa_shared_vgpr_count 0
		.amdhsa_exception_fp_ieee_invalid_op 0
		.amdhsa_exception_fp_denorm_src 0
		.amdhsa_exception_fp_ieee_div_zero 0
		.amdhsa_exception_fp_ieee_overflow 0
		.amdhsa_exception_fp_ieee_underflow 0
		.amdhsa_exception_fp_ieee_inexact 0
		.amdhsa_exception_int_div_zero 0
	.end_amdhsa_kernel
	.section	.text._ZN12_GLOBAL__N_120softmax_warp_forwardIN3c108BFloat16EffLi3ELb1ELb0ELi64EEEvPT0_PKT_iiiPKbib,"axG",@progbits,_ZN12_GLOBAL__N_120softmax_warp_forwardIN3c108BFloat16EffLi3ELb1ELb0ELi64EEEvPT0_PKT_iiiPKbib,comdat
.Lfunc_end172:
	.size	_ZN12_GLOBAL__N_120softmax_warp_forwardIN3c108BFloat16EffLi3ELb1ELb0ELi64EEEvPT0_PKT_iiiPKbib, .Lfunc_end172-_ZN12_GLOBAL__N_120softmax_warp_forwardIN3c108BFloat16EffLi3ELb1ELb0ELi64EEEvPT0_PKT_iiiPKbib
                                        ; -- End function
	.section	.AMDGPU.csdata,"",@progbits
; Kernel info:
; codeLenInByte = 1236
; NumSgprs: 18
; NumVgprs: 14
; ScratchSize: 0
; MemoryBound: 0
; FloatMode: 240
; IeeeMode: 1
; LDSByteSize: 0 bytes/workgroup (compile time only)
; SGPRBlocks: 2
; VGPRBlocks: 1
; NumSGPRsForWavesPerEU: 18
; NumVGPRsForWavesPerEU: 14
; Occupancy: 16
; WaveLimiterHint : 0
; COMPUTE_PGM_RSRC2:SCRATCH_EN: 0
; COMPUTE_PGM_RSRC2:USER_SGPR: 15
; COMPUTE_PGM_RSRC2:TRAP_HANDLER: 0
; COMPUTE_PGM_RSRC2:TGID_X_EN: 1
; COMPUTE_PGM_RSRC2:TGID_Y_EN: 0
; COMPUTE_PGM_RSRC2:TGID_Z_EN: 0
; COMPUTE_PGM_RSRC2:TIDIG_COMP_CNT: 1
	.section	.text._ZN12_GLOBAL__N_120softmax_warp_forwardIN3c108BFloat16EffLi3ELb1ELb0ELi32EEEvPT0_PKT_iiiPKbib,"axG",@progbits,_ZN12_GLOBAL__N_120softmax_warp_forwardIN3c108BFloat16EffLi3ELb1ELb0ELi32EEEvPT0_PKT_iiiPKbib,comdat
	.globl	_ZN12_GLOBAL__N_120softmax_warp_forwardIN3c108BFloat16EffLi3ELb1ELb0ELi32EEEvPT0_PKT_iiiPKbib ; -- Begin function _ZN12_GLOBAL__N_120softmax_warp_forwardIN3c108BFloat16EffLi3ELb1ELb0ELi32EEEvPT0_PKT_iiiPKbib
	.p2align	8
	.type	_ZN12_GLOBAL__N_120softmax_warp_forwardIN3c108BFloat16EffLi3ELb1ELb0ELi32EEEvPT0_PKT_iiiPKbib,@function
_ZN12_GLOBAL__N_120softmax_warp_forwardIN3c108BFloat16EffLi3ELb1ELb0ELi32EEEvPT0_PKT_iiiPKbib: ; @_ZN12_GLOBAL__N_120softmax_warp_forwardIN3c108BFloat16EffLi3ELb1ELb0ELi32EEEvPT0_PKT_iiiPKbib
; %bb.0:
	s_clause 0x1
	s_load_b32 s2, s[0:1], 0x3c
	s_load_b256 s[4:11], s[0:1], 0x0
	v_bfe_u32 v1, v0, 10, 10
	v_and_b32_e32 v2, 0x3ff, v0
	v_mov_b32_e32 v5, 0xff800000
	s_waitcnt lgkmcnt(0)
	s_lshr_b32 s0, s2, 16
	s_delay_alu instid0(VALU_DEP_2) | instskip(SKIP_1) | instid1(SALU_CYCLE_1)
	v_cmp_gt_i32_e32 vcc_lo, s10, v2
	s_mul_i32 s15, s15, s0
	v_add_lshl_u32 v3, s15, v1, 1
	s_delay_alu instid0(VALU_DEP_1) | instskip(SKIP_1) | instid1(VALU_DEP_1)
	v_mad_u64_u32 v[0:1], null, v3, s9, v[2:3]
	v_sub_nc_u32_e32 v4, s8, v3
	v_cmp_lt_i32_e64 s0, 0, v4
	s_delay_alu instid0(VALU_DEP_3) | instskip(NEXT) | instid1(VALU_DEP_2)
	v_ashrrev_i32_e32 v1, 31, v0
	s_and_b32 s2, vcc_lo, s0
	s_delay_alu instid0(VALU_DEP_1) | instskip(NEXT) | instid1(VALU_DEP_1)
	v_lshlrev_b64 v[6:7], 1, v[0:1]
	v_add_co_u32 v2, s1, s6, v6
	v_mov_b32_e32 v6, 0xff800000
	s_delay_alu instid0(VALU_DEP_3)
	v_add_co_ci_u32_e64 v3, s1, s7, v7, s1
	s_and_saveexec_b32 s1, s2
	s_cbranch_execz .LBB173_2
; %bb.1:
	global_load_u16 v6, v[2:3], off
	s_waitcnt vmcnt(0)
	v_lshlrev_b32_e32 v6, 16, v6
.LBB173_2:
	s_or_b32 exec_lo, exec_lo, s1
	v_cmp_lt_i32_e64 s1, 1, v4
	s_delay_alu instid0(VALU_DEP_1) | instskip(NEXT) | instid1(SALU_CYCLE_1)
	s_and_b32 s1, vcc_lo, s1
	s_and_saveexec_b32 s2, s1
	s_cbranch_execz .LBB173_4
; %bb.3:
	s_mov_b32 s11, 0
	s_delay_alu instid0(SALU_CYCLE_1) | instskip(NEXT) | instid1(SALU_CYCLE_1)
	s_lshl_b64 s[6:7], s[10:11], 1
	v_add_co_u32 v2, s1, v2, s6
	s_delay_alu instid0(VALU_DEP_1)
	v_add_co_ci_u32_e64 v3, s1, s7, v3, s1
	global_load_u16 v2, v[2:3], off
	s_waitcnt vmcnt(0)
	v_lshlrev_b32_e32 v5, 16, v2
.LBB173_4:
	s_or_b32 exec_lo, exec_lo, s2
	v_mbcnt_lo_u32_b32 v2, -1, 0
	s_delay_alu instid0(VALU_DEP_1) | instskip(SKIP_3) | instid1(VALU_DEP_4)
	v_and_b32_e32 v3, 24, v2
	v_xor_b32_e32 v7, 4, v2
	v_xor_b32_e32 v10, 2, v2
	;; [unrolled: 1-line block ×3, first 2 shown]
	v_add_nc_u32_e32 v3, 8, v3
	s_delay_alu instid0(VALU_DEP_1) | instskip(NEXT) | instid1(VALU_DEP_1)
	v_cmp_lt_i32_e64 s1, v7, v3
	v_cndmask_b32_e64 v7, v2, v7, s1
	v_cmp_lt_i32_e64 s1, v10, v3
	s_delay_alu instid0(VALU_DEP_2) | instskip(NEXT) | instid1(VALU_DEP_2)
	v_lshlrev_b32_e32 v7, 2, v7
	v_cndmask_b32_e64 v10, v2, v10, s1
	ds_bpermute_b32 v8, v7, v6
	ds_bpermute_b32 v9, v7, v5
	v_lshlrev_b32_e32 v10, 2, v10
	s_waitcnt lgkmcnt(1)
	v_cmp_lt_f32_e64 s1, v6, v8
	s_delay_alu instid0(VALU_DEP_1)
	v_cndmask_b32_e64 v8, v6, v8, s1
	s_waitcnt lgkmcnt(0)
	v_cmp_lt_f32_e64 s1, v5, v9
	ds_bpermute_b32 v11, v10, v8
	v_cndmask_b32_e64 v9, v5, v9, s1
	v_cmp_lt_i32_e64 s1, v13, v3
	ds_bpermute_b32 v12, v10, v9
	v_cndmask_b32_e64 v2, v2, v13, s1
	s_delay_alu instid0(VALU_DEP_1) | instskip(SKIP_2) | instid1(VALU_DEP_1)
	v_lshlrev_b32_e32 v13, 2, v2
	s_waitcnt lgkmcnt(1)
	v_cmp_lt_f32_e64 s1, v8, v11
	v_cndmask_b32_e64 v2, v8, v11, s1
	s_waitcnt lgkmcnt(0)
	v_cmp_lt_f32_e64 s1, v9, v12
	ds_bpermute_b32 v8, v13, v2
	v_cndmask_b32_e64 v3, v9, v12, s1
	ds_bpermute_b32 v9, v13, v3
	s_waitcnt lgkmcnt(1)
	v_cmp_lt_f32_e64 s1, v2, v8
	s_delay_alu instid0(VALU_DEP_1) | instskip(SKIP_2) | instid1(VALU_DEP_1)
	v_cndmask_b32_e64 v2, v2, v8, s1
	s_waitcnt lgkmcnt(0)
	v_cmp_lt_f32_e64 s1, v3, v9
	v_cndmask_b32_e64 v8, v3, v9, s1
	s_delay_alu instid0(VALU_DEP_1) | instskip(NEXT) | instid1(VALU_DEP_1)
	v_dual_sub_f32 v3, v6, v2 :: v_dual_sub_f32 v2, v5, v8
	v_mul_f32_e32 v5, 0x3fb8aa3b, v3
	v_cmp_ngt_f32_e64 s1, 0xc2ce8ed0, v3
	s_delay_alu instid0(VALU_DEP_3) | instskip(NEXT) | instid1(VALU_DEP_3)
	v_mul_f32_e32 v6, 0x3fb8aa3b, v2
	v_fma_f32 v8, 0x3fb8aa3b, v3, -v5
	v_rndne_f32_e32 v9, v5
	s_delay_alu instid0(VALU_DEP_3) | instskip(NEXT) | instid1(VALU_DEP_3)
	v_fma_f32 v11, 0x3fb8aa3b, v2, -v6
	v_fmac_f32_e32 v8, 0x32a5705f, v3
	v_rndne_f32_e32 v12, v6
	s_delay_alu instid0(VALU_DEP_1) | instskip(NEXT) | instid1(VALU_DEP_1)
	v_dual_fmac_f32 v11, 0x32a5705f, v2 :: v_dual_sub_f32 v6, v6, v12
	v_dual_sub_f32 v5, v5, v9 :: v_dual_add_f32 v6, v6, v11
	s_delay_alu instid0(VALU_DEP_1) | instskip(SKIP_2) | instid1(VALU_DEP_4)
	v_add_f32_e32 v5, v5, v8
	v_cvt_i32_f32_e32 v8, v9
	v_cvt_i32_f32_e32 v9, v12
	v_exp_f32_e32 v6, v6
	s_delay_alu instid0(VALU_DEP_3) | instskip(SKIP_3) | instid1(VALU_DEP_1)
	v_exp_f32_e32 v5, v5
	s_waitcnt_depctr 0xfff
	v_ldexp_f32 v6, v6, v9
	v_ldexp_f32 v5, v5, v8
	v_cndmask_b32_e64 v5, 0, v5, s1
	v_cmp_ngt_f32_e64 s1, 0xc2ce8ed0, v2
	s_delay_alu instid0(VALU_DEP_1) | instskip(SKIP_1) | instid1(VALU_DEP_1)
	v_cndmask_b32_e64 v6, 0, v6, s1
	v_cmp_nlt_f32_e64 s1, 0x42b17218, v3
	v_cndmask_b32_e64 v5, 0x7f800000, v5, s1
	v_cmp_nlt_f32_e64 s1, 0x42b17218, v2
	ds_bpermute_b32 v8, v7, v5
	v_cndmask_b32_e64 v6, 0x7f800000, v6, s1
	ds_bpermute_b32 v7, v7, v6
	s_waitcnt lgkmcnt(0)
	v_dual_add_f32 v5, v5, v8 :: v_dual_add_f32 v6, v6, v7
	ds_bpermute_b32 v7, v10, v5
	ds_bpermute_b32 v8, v10, v6
	s_waitcnt lgkmcnt(1)
	v_add_f32_e32 v7, v5, v7
	s_waitcnt lgkmcnt(0)
	v_add_f32_e32 v5, v6, v8
	ds_bpermute_b32 v8, v13, v7
	ds_bpermute_b32 v6, v13, v5
	s_and_saveexec_b32 s1, s0
	s_cbranch_execz .LBB173_10
; %bb.5:
	v_lshlrev_b64 v[0:1], 2, v[0:1]
	s_delay_alu instid0(VALU_DEP_1) | instskip(NEXT) | instid1(VALU_DEP_1)
	v_add_co_u32 v0, s0, s4, v0
	v_add_co_ci_u32_e64 v1, s0, s5, v1, s0
	s_and_saveexec_b32 s2, vcc_lo
	s_cbranch_execz .LBB173_7
; %bb.6:
	s_waitcnt lgkmcnt(1)
	v_add_f32_e32 v7, v7, v8
	s_delay_alu instid0(VALU_DEP_1) | instskip(NEXT) | instid1(VALU_DEP_1)
	v_cmp_gt_f32_e64 s0, 0x800000, v7
	v_cndmask_b32_e64 v8, 1.0, 0x4f800000, s0
	s_delay_alu instid0(VALU_DEP_1) | instskip(NEXT) | instid1(VALU_DEP_1)
	v_mul_f32_e32 v7, v7, v8
	v_log_f32_e32 v7, v7
	s_waitcnt_depctr 0xfff
	v_mul_f32_e32 v8, 0x3f317217, v7
	v_cmp_gt_f32_e64 s1, 0x7f800000, |v7|
	s_delay_alu instid0(VALU_DEP_2) | instskip(NEXT) | instid1(VALU_DEP_1)
	v_fma_f32 v9, 0x3f317217, v7, -v8
	v_fmamk_f32 v9, v7, 0x3377d1cf, v9
	s_delay_alu instid0(VALU_DEP_1) | instskip(NEXT) | instid1(VALU_DEP_1)
	v_add_f32_e32 v8, v8, v9
	v_cndmask_b32_e64 v7, v7, v8, s1
	v_cndmask_b32_e64 v8, 0, 0x41b17218, s0
	s_delay_alu instid0(VALU_DEP_1) | instskip(NEXT) | instid1(VALU_DEP_1)
	v_sub_f32_e32 v7, v7, v8
	v_sub_f32_e32 v3, v3, v7
	global_store_b32 v[0:1], v3, off
.LBB173_7:
	s_or_b32 exec_lo, exec_lo, s2
	v_cmp_ne_u32_e64 s0, 1, v4
	s_delay_alu instid0(VALU_DEP_1)
	s_and_b32 exec_lo, exec_lo, s0
	s_cbranch_execz .LBB173_10
; %bb.8:
	s_and_b32 exec_lo, exec_lo, vcc_lo
	s_cbranch_execz .LBB173_10
; %bb.9:
	s_waitcnt lgkmcnt(0)
	v_add_f32_e32 v3, v5, v6
	s_mov_b32 s11, 0
	s_delay_alu instid0(SALU_CYCLE_1) | instskip(NEXT) | instid1(VALU_DEP_1)
	s_lshl_b64 s[0:1], s[10:11], 2
	v_cmp_gt_f32_e32 vcc_lo, 0x800000, v3
	v_cndmask_b32_e64 v4, 1.0, 0x4f800000, vcc_lo
	s_delay_alu instid0(VALU_DEP_1) | instskip(NEXT) | instid1(VALU_DEP_1)
	v_mul_f32_e32 v3, v3, v4
	v_log_f32_e32 v3, v3
	s_waitcnt_depctr 0xfff
	v_mul_f32_e32 v4, 0x3f317217, v3
	s_delay_alu instid0(VALU_DEP_1) | instskip(NEXT) | instid1(VALU_DEP_1)
	v_fma_f32 v5, 0x3f317217, v3, -v4
	v_fmamk_f32 v5, v3, 0x3377d1cf, v5
	s_delay_alu instid0(VALU_DEP_1) | instskip(SKIP_2) | instid1(VALU_DEP_3)
	v_add_f32_e32 v4, v4, v5
	v_cndmask_b32_e64 v5, 0, 0x41b17218, vcc_lo
	v_cmp_gt_f32_e64 vcc_lo, 0x7f800000, |v3|
	v_cndmask_b32_e32 v3, v3, v4, vcc_lo
	v_add_co_u32 v0, vcc_lo, v0, s0
	v_add_co_ci_u32_e32 v1, vcc_lo, s1, v1, vcc_lo
	s_delay_alu instid0(VALU_DEP_3) | instskip(NEXT) | instid1(VALU_DEP_1)
	v_sub_f32_e32 v3, v3, v5
	v_sub_f32_e32 v2, v2, v3
	global_store_b32 v[0:1], v2, off
.LBB173_10:
	s_nop 0
	s_sendmsg sendmsg(MSG_DEALLOC_VGPRS)
	s_endpgm
	.section	.rodata,"a",@progbits
	.p2align	6, 0x0
	.amdhsa_kernel _ZN12_GLOBAL__N_120softmax_warp_forwardIN3c108BFloat16EffLi3ELb1ELb0ELi32EEEvPT0_PKT_iiiPKbib
		.amdhsa_group_segment_fixed_size 0
		.amdhsa_private_segment_fixed_size 0
		.amdhsa_kernarg_size 304
		.amdhsa_user_sgpr_count 15
		.amdhsa_user_sgpr_dispatch_ptr 0
		.amdhsa_user_sgpr_queue_ptr 0
		.amdhsa_user_sgpr_kernarg_segment_ptr 1
		.amdhsa_user_sgpr_dispatch_id 0
		.amdhsa_user_sgpr_private_segment_size 0
		.amdhsa_wavefront_size32 1
		.amdhsa_uses_dynamic_stack 0
		.amdhsa_enable_private_segment 0
		.amdhsa_system_sgpr_workgroup_id_x 1
		.amdhsa_system_sgpr_workgroup_id_y 0
		.amdhsa_system_sgpr_workgroup_id_z 0
		.amdhsa_system_sgpr_workgroup_info 0
		.amdhsa_system_vgpr_workitem_id 1
		.amdhsa_next_free_vgpr 14
		.amdhsa_next_free_sgpr 16
		.amdhsa_reserve_vcc 1
		.amdhsa_float_round_mode_32 0
		.amdhsa_float_round_mode_16_64 0
		.amdhsa_float_denorm_mode_32 3
		.amdhsa_float_denorm_mode_16_64 3
		.amdhsa_dx10_clamp 1
		.amdhsa_ieee_mode 1
		.amdhsa_fp16_overflow 0
		.amdhsa_workgroup_processor_mode 1
		.amdhsa_memory_ordered 1
		.amdhsa_forward_progress 0
		.amdhsa_shared_vgpr_count 0
		.amdhsa_exception_fp_ieee_invalid_op 0
		.amdhsa_exception_fp_denorm_src 0
		.amdhsa_exception_fp_ieee_div_zero 0
		.amdhsa_exception_fp_ieee_overflow 0
		.amdhsa_exception_fp_ieee_underflow 0
		.amdhsa_exception_fp_ieee_inexact 0
		.amdhsa_exception_int_div_zero 0
	.end_amdhsa_kernel
	.section	.text._ZN12_GLOBAL__N_120softmax_warp_forwardIN3c108BFloat16EffLi3ELb1ELb0ELi32EEEvPT0_PKT_iiiPKbib,"axG",@progbits,_ZN12_GLOBAL__N_120softmax_warp_forwardIN3c108BFloat16EffLi3ELb1ELb0ELi32EEEvPT0_PKT_iiiPKbib,comdat
.Lfunc_end173:
	.size	_ZN12_GLOBAL__N_120softmax_warp_forwardIN3c108BFloat16EffLi3ELb1ELb0ELi32EEEvPT0_PKT_iiiPKbib, .Lfunc_end173-_ZN12_GLOBAL__N_120softmax_warp_forwardIN3c108BFloat16EffLi3ELb1ELb0ELi32EEEvPT0_PKT_iiiPKbib
                                        ; -- End function
	.section	.AMDGPU.csdata,"",@progbits
; Kernel info:
; codeLenInByte = 1236
; NumSgprs: 18
; NumVgprs: 14
; ScratchSize: 0
; MemoryBound: 0
; FloatMode: 240
; IeeeMode: 1
; LDSByteSize: 0 bytes/workgroup (compile time only)
; SGPRBlocks: 2
; VGPRBlocks: 1
; NumSGPRsForWavesPerEU: 18
; NumVGPRsForWavesPerEU: 14
; Occupancy: 16
; WaveLimiterHint : 0
; COMPUTE_PGM_RSRC2:SCRATCH_EN: 0
; COMPUTE_PGM_RSRC2:USER_SGPR: 15
; COMPUTE_PGM_RSRC2:TRAP_HANDLER: 0
; COMPUTE_PGM_RSRC2:TGID_X_EN: 1
; COMPUTE_PGM_RSRC2:TGID_Y_EN: 0
; COMPUTE_PGM_RSRC2:TGID_Z_EN: 0
; COMPUTE_PGM_RSRC2:TIDIG_COMP_CNT: 1
	.section	.text._ZN12_GLOBAL__N_120softmax_warp_forwardIN3c108BFloat16EffLi4ELb1ELb0ELi64EEEvPT0_PKT_iiiPKbib,"axG",@progbits,_ZN12_GLOBAL__N_120softmax_warp_forwardIN3c108BFloat16EffLi4ELb1ELb0ELi64EEEvPT0_PKT_iiiPKbib,comdat
	.globl	_ZN12_GLOBAL__N_120softmax_warp_forwardIN3c108BFloat16EffLi4ELb1ELb0ELi64EEEvPT0_PKT_iiiPKbib ; -- Begin function _ZN12_GLOBAL__N_120softmax_warp_forwardIN3c108BFloat16EffLi4ELb1ELb0ELi64EEEvPT0_PKT_iiiPKbib
	.p2align	8
	.type	_ZN12_GLOBAL__N_120softmax_warp_forwardIN3c108BFloat16EffLi4ELb1ELb0ELi64EEEvPT0_PKT_iiiPKbib,@function
_ZN12_GLOBAL__N_120softmax_warp_forwardIN3c108BFloat16EffLi4ELb1ELb0ELi64EEEvPT0_PKT_iiiPKbib: ; @_ZN12_GLOBAL__N_120softmax_warp_forwardIN3c108BFloat16EffLi4ELb1ELb0ELi64EEEvPT0_PKT_iiiPKbib
; %bb.0:
	s_clause 0x1
	s_load_b32 s2, s[0:1], 0x3c
	s_load_b256 s[4:11], s[0:1], 0x0
	v_bfe_u32 v1, v0, 10, 10
	v_and_b32_e32 v2, 0x3ff, v0
	v_mov_b32_e32 v5, 0xff800000
	s_waitcnt lgkmcnt(0)
	s_lshr_b32 s0, s2, 16
	s_delay_alu instid0(VALU_DEP_2) | instskip(SKIP_1) | instid1(SALU_CYCLE_1)
	v_cmp_gt_i32_e32 vcc_lo, s10, v2
	s_mul_i32 s15, s15, s0
	v_add_lshl_u32 v3, s15, v1, 1
	s_delay_alu instid0(VALU_DEP_1) | instskip(SKIP_1) | instid1(VALU_DEP_1)
	v_mad_u64_u32 v[0:1], null, v3, s9, v[2:3]
	v_sub_nc_u32_e32 v4, s8, v3
	v_cmp_lt_i32_e64 s0, 0, v4
	s_delay_alu instid0(VALU_DEP_3) | instskip(NEXT) | instid1(VALU_DEP_2)
	v_ashrrev_i32_e32 v1, 31, v0
	s_and_b32 s2, vcc_lo, s0
	s_delay_alu instid0(VALU_DEP_1) | instskip(NEXT) | instid1(VALU_DEP_1)
	v_lshlrev_b64 v[6:7], 1, v[0:1]
	v_add_co_u32 v2, s1, s6, v6
	v_mov_b32_e32 v6, 0xff800000
	s_delay_alu instid0(VALU_DEP_3)
	v_add_co_ci_u32_e64 v3, s1, s7, v7, s1
	s_and_saveexec_b32 s1, s2
	s_cbranch_execz .LBB174_2
; %bb.1:
	global_load_u16 v6, v[2:3], off
	s_waitcnt vmcnt(0)
	v_lshlrev_b32_e32 v6, 16, v6
.LBB174_2:
	s_or_b32 exec_lo, exec_lo, s1
	v_cmp_lt_i32_e64 s1, 1, v4
	s_delay_alu instid0(VALU_DEP_1) | instskip(NEXT) | instid1(SALU_CYCLE_1)
	s_and_b32 s1, vcc_lo, s1
	s_and_saveexec_b32 s2, s1
	s_cbranch_execz .LBB174_4
; %bb.3:
	s_mov_b32 s11, 0
	s_delay_alu instid0(SALU_CYCLE_1) | instskip(NEXT) | instid1(SALU_CYCLE_1)
	s_lshl_b64 s[6:7], s[10:11], 1
	v_add_co_u32 v2, s1, v2, s6
	s_delay_alu instid0(VALU_DEP_1)
	v_add_co_ci_u32_e64 v3, s1, s7, v3, s1
	global_load_u16 v2, v[2:3], off
	s_waitcnt vmcnt(0)
	v_lshlrev_b32_e32 v5, 16, v2
.LBB174_4:
	s_or_b32 exec_lo, exec_lo, s2
	v_mbcnt_lo_u32_b32 v2, -1, 0
	s_delay_alu instid0(VALU_DEP_1)
	v_and_b32_e32 v3, 16, v2
	v_xor_b32_e32 v7, 8, v2
	v_xor_b32_e32 v10, 4, v2
	;; [unrolled: 1-line block ×4, first 2 shown]
	v_add_nc_u32_e32 v3, 16, v3
	s_delay_alu instid0(VALU_DEP_1) | instskip(NEXT) | instid1(VALU_DEP_1)
	v_cmp_lt_i32_e64 s1, v7, v3
	v_cndmask_b32_e64 v7, v2, v7, s1
	v_cmp_lt_i32_e64 s1, v10, v3
	s_delay_alu instid0(VALU_DEP_2) | instskip(NEXT) | instid1(VALU_DEP_2)
	v_lshlrev_b32_e32 v7, 2, v7
	v_cndmask_b32_e64 v10, v2, v10, s1
	ds_bpermute_b32 v8, v7, v6
	ds_bpermute_b32 v9, v7, v5
	v_lshlrev_b32_e32 v10, 2, v10
	s_waitcnt lgkmcnt(1)
	v_cmp_lt_f32_e64 s1, v6, v8
	s_delay_alu instid0(VALU_DEP_1)
	v_cndmask_b32_e64 v8, v6, v8, s1
	s_waitcnt lgkmcnt(0)
	v_cmp_lt_f32_e64 s1, v5, v9
	ds_bpermute_b32 v11, v10, v8
	v_cndmask_b32_e64 v9, v5, v9, s1
	v_cmp_lt_i32_e64 s1, v13, v3
	ds_bpermute_b32 v12, v10, v9
	v_cndmask_b32_e64 v13, v2, v13, s1
	s_delay_alu instid0(VALU_DEP_1) | instskip(SKIP_2) | instid1(VALU_DEP_1)
	v_lshlrev_b32_e32 v13, 2, v13
	s_waitcnt lgkmcnt(1)
	v_cmp_lt_f32_e64 s1, v8, v11
	v_cndmask_b32_e64 v8, v8, v11, s1
	s_waitcnt lgkmcnt(0)
	v_cmp_lt_f32_e64 s1, v9, v12
	ds_bpermute_b32 v11, v13, v8
	v_cndmask_b32_e64 v9, v9, v12, s1
	v_cmp_lt_i32_e64 s1, v14, v3
	ds_bpermute_b32 v12, v13, v9
	v_cndmask_b32_e64 v2, v2, v14, s1
	s_delay_alu instid0(VALU_DEP_1) | instskip(SKIP_2) | instid1(VALU_DEP_1)
	v_lshlrev_b32_e32 v14, 2, v2
	s_waitcnt lgkmcnt(1)
	v_cmp_lt_f32_e64 s1, v8, v11
	v_cndmask_b32_e64 v2, v8, v11, s1
	s_waitcnt lgkmcnt(0)
	v_cmp_lt_f32_e64 s1, v9, v12
	ds_bpermute_b32 v8, v14, v2
	v_cndmask_b32_e64 v3, v9, v12, s1
	ds_bpermute_b32 v9, v14, v3
	s_waitcnt lgkmcnt(1)
	v_cmp_lt_f32_e64 s1, v2, v8
	s_delay_alu instid0(VALU_DEP_1) | instskip(SKIP_2) | instid1(VALU_DEP_1)
	v_cndmask_b32_e64 v2, v2, v8, s1
	s_waitcnt lgkmcnt(0)
	v_cmp_lt_f32_e64 s1, v3, v9
	v_cndmask_b32_e64 v8, v3, v9, s1
	s_delay_alu instid0(VALU_DEP_1) | instskip(NEXT) | instid1(VALU_DEP_1)
	v_dual_sub_f32 v3, v6, v2 :: v_dual_sub_f32 v2, v5, v8
	v_mul_f32_e32 v5, 0x3fb8aa3b, v3
	v_cmp_ngt_f32_e64 s1, 0xc2ce8ed0, v3
	s_delay_alu instid0(VALU_DEP_3) | instskip(NEXT) | instid1(VALU_DEP_3)
	v_mul_f32_e32 v6, 0x3fb8aa3b, v2
	v_fma_f32 v8, 0x3fb8aa3b, v3, -v5
	v_rndne_f32_e32 v9, v5
	s_delay_alu instid0(VALU_DEP_3) | instskip(SKIP_1) | instid1(VALU_DEP_3)
	v_fma_f32 v11, 0x3fb8aa3b, v2, -v6
	v_rndne_f32_e32 v12, v6
	v_dual_sub_f32 v5, v5, v9 :: v_dual_fmac_f32 v8, 0x32a5705f, v3
	s_delay_alu instid0(VALU_DEP_2) | instskip(NEXT) | instid1(VALU_DEP_2)
	v_dual_fmac_f32 v11, 0x32a5705f, v2 :: v_dual_sub_f32 v6, v6, v12
	v_add_f32_e32 v5, v5, v8
	v_cvt_i32_f32_e32 v8, v9
	v_cvt_i32_f32_e32 v9, v12
	s_delay_alu instid0(VALU_DEP_4) | instskip(NEXT) | instid1(VALU_DEP_4)
	v_add_f32_e32 v6, v6, v11
	v_exp_f32_e32 v5, v5
	s_delay_alu instid0(VALU_DEP_1) | instskip(SKIP_3) | instid1(VALU_DEP_2)
	v_exp_f32_e32 v6, v6
	s_waitcnt_depctr 0xfff
	v_ldexp_f32 v5, v5, v8
	v_ldexp_f32 v6, v6, v9
	v_cndmask_b32_e64 v5, 0, v5, s1
	v_cmp_ngt_f32_e64 s1, 0xc2ce8ed0, v2
	s_delay_alu instid0(VALU_DEP_1) | instskip(SKIP_1) | instid1(VALU_DEP_1)
	v_cndmask_b32_e64 v6, 0, v6, s1
	v_cmp_nlt_f32_e64 s1, 0x42b17218, v3
	v_cndmask_b32_e64 v5, 0x7f800000, v5, s1
	v_cmp_nlt_f32_e64 s1, 0x42b17218, v2
	ds_bpermute_b32 v8, v7, v5
	v_cndmask_b32_e64 v6, 0x7f800000, v6, s1
	ds_bpermute_b32 v7, v7, v6
	s_waitcnt lgkmcnt(0)
	v_dual_add_f32 v5, v5, v8 :: v_dual_add_f32 v6, v6, v7
	ds_bpermute_b32 v7, v10, v5
	ds_bpermute_b32 v8, v10, v6
	s_waitcnt lgkmcnt(0)
	v_dual_add_f32 v5, v5, v7 :: v_dual_add_f32 v6, v6, v8
	ds_bpermute_b32 v7, v13, v5
	ds_bpermute_b32 v8, v13, v6
	s_waitcnt lgkmcnt(1)
	v_add_f32_e32 v7, v5, v7
	s_waitcnt lgkmcnt(0)
	v_add_f32_e32 v5, v6, v8
	ds_bpermute_b32 v8, v14, v7
	ds_bpermute_b32 v6, v14, v5
	s_and_saveexec_b32 s1, s0
	s_cbranch_execz .LBB174_10
; %bb.5:
	v_lshlrev_b64 v[0:1], 2, v[0:1]
	s_delay_alu instid0(VALU_DEP_1) | instskip(NEXT) | instid1(VALU_DEP_1)
	v_add_co_u32 v0, s0, s4, v0
	v_add_co_ci_u32_e64 v1, s0, s5, v1, s0
	s_and_saveexec_b32 s2, vcc_lo
	s_cbranch_execz .LBB174_7
; %bb.6:
	s_waitcnt lgkmcnt(1)
	v_add_f32_e32 v7, v7, v8
	s_delay_alu instid0(VALU_DEP_1) | instskip(NEXT) | instid1(VALU_DEP_1)
	v_cmp_gt_f32_e64 s0, 0x800000, v7
	v_cndmask_b32_e64 v8, 1.0, 0x4f800000, s0
	s_delay_alu instid0(VALU_DEP_1) | instskip(NEXT) | instid1(VALU_DEP_1)
	v_mul_f32_e32 v7, v7, v8
	v_log_f32_e32 v7, v7
	s_waitcnt_depctr 0xfff
	v_mul_f32_e32 v8, 0x3f317217, v7
	v_cmp_gt_f32_e64 s1, 0x7f800000, |v7|
	s_delay_alu instid0(VALU_DEP_2) | instskip(NEXT) | instid1(VALU_DEP_1)
	v_fma_f32 v9, 0x3f317217, v7, -v8
	v_fmamk_f32 v9, v7, 0x3377d1cf, v9
	s_delay_alu instid0(VALU_DEP_1) | instskip(NEXT) | instid1(VALU_DEP_1)
	v_add_f32_e32 v8, v8, v9
	v_cndmask_b32_e64 v7, v7, v8, s1
	v_cndmask_b32_e64 v8, 0, 0x41b17218, s0
	s_delay_alu instid0(VALU_DEP_1) | instskip(NEXT) | instid1(VALU_DEP_1)
	v_sub_f32_e32 v7, v7, v8
	v_sub_f32_e32 v3, v3, v7
	global_store_b32 v[0:1], v3, off
.LBB174_7:
	s_or_b32 exec_lo, exec_lo, s2
	v_cmp_ne_u32_e64 s0, 1, v4
	s_delay_alu instid0(VALU_DEP_1)
	s_and_b32 exec_lo, exec_lo, s0
	s_cbranch_execz .LBB174_10
; %bb.8:
	s_and_b32 exec_lo, exec_lo, vcc_lo
	s_cbranch_execz .LBB174_10
; %bb.9:
	s_waitcnt lgkmcnt(0)
	v_add_f32_e32 v3, v5, v6
	s_mov_b32 s11, 0
	s_delay_alu instid0(SALU_CYCLE_1) | instskip(NEXT) | instid1(VALU_DEP_1)
	s_lshl_b64 s[0:1], s[10:11], 2
	v_cmp_gt_f32_e32 vcc_lo, 0x800000, v3
	v_cndmask_b32_e64 v4, 1.0, 0x4f800000, vcc_lo
	s_delay_alu instid0(VALU_DEP_1) | instskip(NEXT) | instid1(VALU_DEP_1)
	v_mul_f32_e32 v3, v3, v4
	v_log_f32_e32 v3, v3
	s_waitcnt_depctr 0xfff
	v_mul_f32_e32 v4, 0x3f317217, v3
	s_delay_alu instid0(VALU_DEP_1) | instskip(NEXT) | instid1(VALU_DEP_1)
	v_fma_f32 v5, 0x3f317217, v3, -v4
	v_fmamk_f32 v5, v3, 0x3377d1cf, v5
	s_delay_alu instid0(VALU_DEP_1) | instskip(SKIP_2) | instid1(VALU_DEP_3)
	v_add_f32_e32 v4, v4, v5
	v_cndmask_b32_e64 v5, 0, 0x41b17218, vcc_lo
	v_cmp_gt_f32_e64 vcc_lo, 0x7f800000, |v3|
	v_cndmask_b32_e32 v3, v3, v4, vcc_lo
	v_add_co_u32 v0, vcc_lo, v0, s0
	v_add_co_ci_u32_e32 v1, vcc_lo, s1, v1, vcc_lo
	s_delay_alu instid0(VALU_DEP_3) | instskip(NEXT) | instid1(VALU_DEP_1)
	v_sub_f32_e32 v3, v3, v5
	v_sub_f32_e32 v2, v2, v3
	global_store_b32 v[0:1], v2, off
.LBB174_10:
	s_nop 0
	s_sendmsg sendmsg(MSG_DEALLOC_VGPRS)
	s_endpgm
	.section	.rodata,"a",@progbits
	.p2align	6, 0x0
	.amdhsa_kernel _ZN12_GLOBAL__N_120softmax_warp_forwardIN3c108BFloat16EffLi4ELb1ELb0ELi64EEEvPT0_PKT_iiiPKbib
		.amdhsa_group_segment_fixed_size 0
		.amdhsa_private_segment_fixed_size 0
		.amdhsa_kernarg_size 304
		.amdhsa_user_sgpr_count 15
		.amdhsa_user_sgpr_dispatch_ptr 0
		.amdhsa_user_sgpr_queue_ptr 0
		.amdhsa_user_sgpr_kernarg_segment_ptr 1
		.amdhsa_user_sgpr_dispatch_id 0
		.amdhsa_user_sgpr_private_segment_size 0
		.amdhsa_wavefront_size32 1
		.amdhsa_uses_dynamic_stack 0
		.amdhsa_enable_private_segment 0
		.amdhsa_system_sgpr_workgroup_id_x 1
		.amdhsa_system_sgpr_workgroup_id_y 0
		.amdhsa_system_sgpr_workgroup_id_z 0
		.amdhsa_system_sgpr_workgroup_info 0
		.amdhsa_system_vgpr_workitem_id 1
		.amdhsa_next_free_vgpr 15
		.amdhsa_next_free_sgpr 16
		.amdhsa_reserve_vcc 1
		.amdhsa_float_round_mode_32 0
		.amdhsa_float_round_mode_16_64 0
		.amdhsa_float_denorm_mode_32 3
		.amdhsa_float_denorm_mode_16_64 3
		.amdhsa_dx10_clamp 1
		.amdhsa_ieee_mode 1
		.amdhsa_fp16_overflow 0
		.amdhsa_workgroup_processor_mode 1
		.amdhsa_memory_ordered 1
		.amdhsa_forward_progress 0
		.amdhsa_shared_vgpr_count 0
		.amdhsa_exception_fp_ieee_invalid_op 0
		.amdhsa_exception_fp_denorm_src 0
		.amdhsa_exception_fp_ieee_div_zero 0
		.amdhsa_exception_fp_ieee_overflow 0
		.amdhsa_exception_fp_ieee_underflow 0
		.amdhsa_exception_fp_ieee_inexact 0
		.amdhsa_exception_int_div_zero 0
	.end_amdhsa_kernel
	.section	.text._ZN12_GLOBAL__N_120softmax_warp_forwardIN3c108BFloat16EffLi4ELb1ELb0ELi64EEEvPT0_PKT_iiiPKbib,"axG",@progbits,_ZN12_GLOBAL__N_120softmax_warp_forwardIN3c108BFloat16EffLi4ELb1ELb0ELi64EEEvPT0_PKT_iiiPKbib,comdat
.Lfunc_end174:
	.size	_ZN12_GLOBAL__N_120softmax_warp_forwardIN3c108BFloat16EffLi4ELb1ELb0ELi64EEEvPT0_PKT_iiiPKbib, .Lfunc_end174-_ZN12_GLOBAL__N_120softmax_warp_forwardIN3c108BFloat16EffLi4ELb1ELb0ELi64EEEvPT0_PKT_iiiPKbib
                                        ; -- End function
	.section	.AMDGPU.csdata,"",@progbits
; Kernel info:
; codeLenInByte = 1348
; NumSgprs: 18
; NumVgprs: 15
; ScratchSize: 0
; MemoryBound: 0
; FloatMode: 240
; IeeeMode: 1
; LDSByteSize: 0 bytes/workgroup (compile time only)
; SGPRBlocks: 2
; VGPRBlocks: 1
; NumSGPRsForWavesPerEU: 18
; NumVGPRsForWavesPerEU: 15
; Occupancy: 16
; WaveLimiterHint : 0
; COMPUTE_PGM_RSRC2:SCRATCH_EN: 0
; COMPUTE_PGM_RSRC2:USER_SGPR: 15
; COMPUTE_PGM_RSRC2:TRAP_HANDLER: 0
; COMPUTE_PGM_RSRC2:TGID_X_EN: 1
; COMPUTE_PGM_RSRC2:TGID_Y_EN: 0
; COMPUTE_PGM_RSRC2:TGID_Z_EN: 0
; COMPUTE_PGM_RSRC2:TIDIG_COMP_CNT: 1
	.section	.text._ZN12_GLOBAL__N_120softmax_warp_forwardIN3c108BFloat16EffLi4ELb1ELb0ELi32EEEvPT0_PKT_iiiPKbib,"axG",@progbits,_ZN12_GLOBAL__N_120softmax_warp_forwardIN3c108BFloat16EffLi4ELb1ELb0ELi32EEEvPT0_PKT_iiiPKbib,comdat
	.globl	_ZN12_GLOBAL__N_120softmax_warp_forwardIN3c108BFloat16EffLi4ELb1ELb0ELi32EEEvPT0_PKT_iiiPKbib ; -- Begin function _ZN12_GLOBAL__N_120softmax_warp_forwardIN3c108BFloat16EffLi4ELb1ELb0ELi32EEEvPT0_PKT_iiiPKbib
	.p2align	8
	.type	_ZN12_GLOBAL__N_120softmax_warp_forwardIN3c108BFloat16EffLi4ELb1ELb0ELi32EEEvPT0_PKT_iiiPKbib,@function
_ZN12_GLOBAL__N_120softmax_warp_forwardIN3c108BFloat16EffLi4ELb1ELb0ELi32EEEvPT0_PKT_iiiPKbib: ; @_ZN12_GLOBAL__N_120softmax_warp_forwardIN3c108BFloat16EffLi4ELb1ELb0ELi32EEEvPT0_PKT_iiiPKbib
; %bb.0:
	s_clause 0x1
	s_load_b32 s2, s[0:1], 0x3c
	s_load_b256 s[4:11], s[0:1], 0x0
	v_bfe_u32 v1, v0, 10, 10
	v_and_b32_e32 v2, 0x3ff, v0
	v_mov_b32_e32 v5, 0xff800000
	s_waitcnt lgkmcnt(0)
	s_lshr_b32 s0, s2, 16
	s_delay_alu instid0(VALU_DEP_2) | instskip(SKIP_1) | instid1(SALU_CYCLE_1)
	v_cmp_gt_i32_e32 vcc_lo, s10, v2
	s_mul_i32 s15, s15, s0
	v_add_lshl_u32 v3, s15, v1, 1
	s_delay_alu instid0(VALU_DEP_1) | instskip(SKIP_1) | instid1(VALU_DEP_1)
	v_mad_u64_u32 v[0:1], null, v3, s9, v[2:3]
	v_sub_nc_u32_e32 v4, s8, v3
	v_cmp_lt_i32_e64 s0, 0, v4
	s_delay_alu instid0(VALU_DEP_3) | instskip(NEXT) | instid1(VALU_DEP_2)
	v_ashrrev_i32_e32 v1, 31, v0
	s_and_b32 s2, vcc_lo, s0
	s_delay_alu instid0(VALU_DEP_1) | instskip(NEXT) | instid1(VALU_DEP_1)
	v_lshlrev_b64 v[6:7], 1, v[0:1]
	v_add_co_u32 v2, s1, s6, v6
	v_mov_b32_e32 v6, 0xff800000
	s_delay_alu instid0(VALU_DEP_3)
	v_add_co_ci_u32_e64 v3, s1, s7, v7, s1
	s_and_saveexec_b32 s1, s2
	s_cbranch_execz .LBB175_2
; %bb.1:
	global_load_u16 v6, v[2:3], off
	s_waitcnt vmcnt(0)
	v_lshlrev_b32_e32 v6, 16, v6
.LBB175_2:
	s_or_b32 exec_lo, exec_lo, s1
	v_cmp_lt_i32_e64 s1, 1, v4
	s_delay_alu instid0(VALU_DEP_1) | instskip(NEXT) | instid1(SALU_CYCLE_1)
	s_and_b32 s1, vcc_lo, s1
	s_and_saveexec_b32 s2, s1
	s_cbranch_execz .LBB175_4
; %bb.3:
	s_mov_b32 s11, 0
	s_delay_alu instid0(SALU_CYCLE_1) | instskip(NEXT) | instid1(SALU_CYCLE_1)
	s_lshl_b64 s[6:7], s[10:11], 1
	v_add_co_u32 v2, s1, v2, s6
	s_delay_alu instid0(VALU_DEP_1)
	v_add_co_ci_u32_e64 v3, s1, s7, v3, s1
	global_load_u16 v2, v[2:3], off
	s_waitcnt vmcnt(0)
	v_lshlrev_b32_e32 v5, 16, v2
.LBB175_4:
	s_or_b32 exec_lo, exec_lo, s2
	v_mbcnt_lo_u32_b32 v2, -1, 0
	s_delay_alu instid0(VALU_DEP_1)
	v_and_b32_e32 v3, 16, v2
	v_xor_b32_e32 v7, 8, v2
	v_xor_b32_e32 v10, 4, v2
	;; [unrolled: 1-line block ×4, first 2 shown]
	v_add_nc_u32_e32 v3, 16, v3
	s_delay_alu instid0(VALU_DEP_1) | instskip(NEXT) | instid1(VALU_DEP_1)
	v_cmp_lt_i32_e64 s1, v7, v3
	v_cndmask_b32_e64 v7, v2, v7, s1
	v_cmp_lt_i32_e64 s1, v10, v3
	s_delay_alu instid0(VALU_DEP_2) | instskip(NEXT) | instid1(VALU_DEP_2)
	v_lshlrev_b32_e32 v7, 2, v7
	v_cndmask_b32_e64 v10, v2, v10, s1
	ds_bpermute_b32 v8, v7, v6
	ds_bpermute_b32 v9, v7, v5
	v_lshlrev_b32_e32 v10, 2, v10
	s_waitcnt lgkmcnt(1)
	v_cmp_lt_f32_e64 s1, v6, v8
	s_delay_alu instid0(VALU_DEP_1)
	v_cndmask_b32_e64 v8, v6, v8, s1
	s_waitcnt lgkmcnt(0)
	v_cmp_lt_f32_e64 s1, v5, v9
	ds_bpermute_b32 v11, v10, v8
	v_cndmask_b32_e64 v9, v5, v9, s1
	v_cmp_lt_i32_e64 s1, v13, v3
	ds_bpermute_b32 v12, v10, v9
	v_cndmask_b32_e64 v13, v2, v13, s1
	s_delay_alu instid0(VALU_DEP_1) | instskip(SKIP_2) | instid1(VALU_DEP_1)
	v_lshlrev_b32_e32 v13, 2, v13
	s_waitcnt lgkmcnt(1)
	v_cmp_lt_f32_e64 s1, v8, v11
	v_cndmask_b32_e64 v8, v8, v11, s1
	s_waitcnt lgkmcnt(0)
	v_cmp_lt_f32_e64 s1, v9, v12
	ds_bpermute_b32 v11, v13, v8
	v_cndmask_b32_e64 v9, v9, v12, s1
	v_cmp_lt_i32_e64 s1, v14, v3
	ds_bpermute_b32 v12, v13, v9
	v_cndmask_b32_e64 v2, v2, v14, s1
	s_delay_alu instid0(VALU_DEP_1) | instskip(SKIP_2) | instid1(VALU_DEP_1)
	v_lshlrev_b32_e32 v14, 2, v2
	s_waitcnt lgkmcnt(1)
	v_cmp_lt_f32_e64 s1, v8, v11
	v_cndmask_b32_e64 v2, v8, v11, s1
	s_waitcnt lgkmcnt(0)
	v_cmp_lt_f32_e64 s1, v9, v12
	ds_bpermute_b32 v8, v14, v2
	v_cndmask_b32_e64 v3, v9, v12, s1
	ds_bpermute_b32 v9, v14, v3
	s_waitcnt lgkmcnt(1)
	v_cmp_lt_f32_e64 s1, v2, v8
	s_delay_alu instid0(VALU_DEP_1) | instskip(SKIP_2) | instid1(VALU_DEP_1)
	v_cndmask_b32_e64 v2, v2, v8, s1
	s_waitcnt lgkmcnt(0)
	v_cmp_lt_f32_e64 s1, v3, v9
	v_cndmask_b32_e64 v8, v3, v9, s1
	s_delay_alu instid0(VALU_DEP_1) | instskip(NEXT) | instid1(VALU_DEP_1)
	v_dual_sub_f32 v3, v6, v2 :: v_dual_sub_f32 v2, v5, v8
	v_mul_f32_e32 v5, 0x3fb8aa3b, v3
	v_cmp_ngt_f32_e64 s1, 0xc2ce8ed0, v3
	s_delay_alu instid0(VALU_DEP_3) | instskip(NEXT) | instid1(VALU_DEP_3)
	v_mul_f32_e32 v6, 0x3fb8aa3b, v2
	v_fma_f32 v8, 0x3fb8aa3b, v3, -v5
	v_rndne_f32_e32 v9, v5
	s_delay_alu instid0(VALU_DEP_3) | instskip(SKIP_1) | instid1(VALU_DEP_3)
	v_fma_f32 v11, 0x3fb8aa3b, v2, -v6
	v_rndne_f32_e32 v12, v6
	v_dual_sub_f32 v5, v5, v9 :: v_dual_fmac_f32 v8, 0x32a5705f, v3
	s_delay_alu instid0(VALU_DEP_2) | instskip(NEXT) | instid1(VALU_DEP_2)
	v_dual_fmac_f32 v11, 0x32a5705f, v2 :: v_dual_sub_f32 v6, v6, v12
	v_add_f32_e32 v5, v5, v8
	v_cvt_i32_f32_e32 v8, v9
	v_cvt_i32_f32_e32 v9, v12
	s_delay_alu instid0(VALU_DEP_4) | instskip(NEXT) | instid1(VALU_DEP_4)
	v_add_f32_e32 v6, v6, v11
	v_exp_f32_e32 v5, v5
	s_delay_alu instid0(VALU_DEP_1) | instskip(SKIP_3) | instid1(VALU_DEP_2)
	v_exp_f32_e32 v6, v6
	s_waitcnt_depctr 0xfff
	v_ldexp_f32 v5, v5, v8
	v_ldexp_f32 v6, v6, v9
	v_cndmask_b32_e64 v5, 0, v5, s1
	v_cmp_ngt_f32_e64 s1, 0xc2ce8ed0, v2
	s_delay_alu instid0(VALU_DEP_1) | instskip(SKIP_1) | instid1(VALU_DEP_1)
	v_cndmask_b32_e64 v6, 0, v6, s1
	v_cmp_nlt_f32_e64 s1, 0x42b17218, v3
	v_cndmask_b32_e64 v5, 0x7f800000, v5, s1
	v_cmp_nlt_f32_e64 s1, 0x42b17218, v2
	ds_bpermute_b32 v8, v7, v5
	v_cndmask_b32_e64 v6, 0x7f800000, v6, s1
	ds_bpermute_b32 v7, v7, v6
	s_waitcnt lgkmcnt(0)
	v_dual_add_f32 v5, v5, v8 :: v_dual_add_f32 v6, v6, v7
	ds_bpermute_b32 v7, v10, v5
	ds_bpermute_b32 v8, v10, v6
	s_waitcnt lgkmcnt(0)
	v_dual_add_f32 v5, v5, v7 :: v_dual_add_f32 v6, v6, v8
	ds_bpermute_b32 v7, v13, v5
	ds_bpermute_b32 v8, v13, v6
	s_waitcnt lgkmcnt(1)
	v_add_f32_e32 v7, v5, v7
	s_waitcnt lgkmcnt(0)
	v_add_f32_e32 v5, v6, v8
	ds_bpermute_b32 v8, v14, v7
	ds_bpermute_b32 v6, v14, v5
	s_and_saveexec_b32 s1, s0
	s_cbranch_execz .LBB175_10
; %bb.5:
	v_lshlrev_b64 v[0:1], 2, v[0:1]
	s_delay_alu instid0(VALU_DEP_1) | instskip(NEXT) | instid1(VALU_DEP_1)
	v_add_co_u32 v0, s0, s4, v0
	v_add_co_ci_u32_e64 v1, s0, s5, v1, s0
	s_and_saveexec_b32 s2, vcc_lo
	s_cbranch_execz .LBB175_7
; %bb.6:
	s_waitcnt lgkmcnt(1)
	v_add_f32_e32 v7, v7, v8
	s_delay_alu instid0(VALU_DEP_1) | instskip(NEXT) | instid1(VALU_DEP_1)
	v_cmp_gt_f32_e64 s0, 0x800000, v7
	v_cndmask_b32_e64 v8, 1.0, 0x4f800000, s0
	s_delay_alu instid0(VALU_DEP_1) | instskip(NEXT) | instid1(VALU_DEP_1)
	v_mul_f32_e32 v7, v7, v8
	v_log_f32_e32 v7, v7
	s_waitcnt_depctr 0xfff
	v_mul_f32_e32 v8, 0x3f317217, v7
	v_cmp_gt_f32_e64 s1, 0x7f800000, |v7|
	s_delay_alu instid0(VALU_DEP_2) | instskip(NEXT) | instid1(VALU_DEP_1)
	v_fma_f32 v9, 0x3f317217, v7, -v8
	v_fmamk_f32 v9, v7, 0x3377d1cf, v9
	s_delay_alu instid0(VALU_DEP_1) | instskip(NEXT) | instid1(VALU_DEP_1)
	v_add_f32_e32 v8, v8, v9
	v_cndmask_b32_e64 v7, v7, v8, s1
	v_cndmask_b32_e64 v8, 0, 0x41b17218, s0
	s_delay_alu instid0(VALU_DEP_1) | instskip(NEXT) | instid1(VALU_DEP_1)
	v_sub_f32_e32 v7, v7, v8
	v_sub_f32_e32 v3, v3, v7
	global_store_b32 v[0:1], v3, off
.LBB175_7:
	s_or_b32 exec_lo, exec_lo, s2
	v_cmp_ne_u32_e64 s0, 1, v4
	s_delay_alu instid0(VALU_DEP_1)
	s_and_b32 exec_lo, exec_lo, s0
	s_cbranch_execz .LBB175_10
; %bb.8:
	s_and_b32 exec_lo, exec_lo, vcc_lo
	s_cbranch_execz .LBB175_10
; %bb.9:
	s_waitcnt lgkmcnt(0)
	v_add_f32_e32 v3, v5, v6
	s_mov_b32 s11, 0
	s_delay_alu instid0(SALU_CYCLE_1) | instskip(NEXT) | instid1(VALU_DEP_1)
	s_lshl_b64 s[0:1], s[10:11], 2
	v_cmp_gt_f32_e32 vcc_lo, 0x800000, v3
	v_cndmask_b32_e64 v4, 1.0, 0x4f800000, vcc_lo
	s_delay_alu instid0(VALU_DEP_1) | instskip(NEXT) | instid1(VALU_DEP_1)
	v_mul_f32_e32 v3, v3, v4
	v_log_f32_e32 v3, v3
	s_waitcnt_depctr 0xfff
	v_mul_f32_e32 v4, 0x3f317217, v3
	s_delay_alu instid0(VALU_DEP_1) | instskip(NEXT) | instid1(VALU_DEP_1)
	v_fma_f32 v5, 0x3f317217, v3, -v4
	v_fmamk_f32 v5, v3, 0x3377d1cf, v5
	s_delay_alu instid0(VALU_DEP_1) | instskip(SKIP_2) | instid1(VALU_DEP_3)
	v_add_f32_e32 v4, v4, v5
	v_cndmask_b32_e64 v5, 0, 0x41b17218, vcc_lo
	v_cmp_gt_f32_e64 vcc_lo, 0x7f800000, |v3|
	v_cndmask_b32_e32 v3, v3, v4, vcc_lo
	v_add_co_u32 v0, vcc_lo, v0, s0
	v_add_co_ci_u32_e32 v1, vcc_lo, s1, v1, vcc_lo
	s_delay_alu instid0(VALU_DEP_3) | instskip(NEXT) | instid1(VALU_DEP_1)
	v_sub_f32_e32 v3, v3, v5
	v_sub_f32_e32 v2, v2, v3
	global_store_b32 v[0:1], v2, off
.LBB175_10:
	s_nop 0
	s_sendmsg sendmsg(MSG_DEALLOC_VGPRS)
	s_endpgm
	.section	.rodata,"a",@progbits
	.p2align	6, 0x0
	.amdhsa_kernel _ZN12_GLOBAL__N_120softmax_warp_forwardIN3c108BFloat16EffLi4ELb1ELb0ELi32EEEvPT0_PKT_iiiPKbib
		.amdhsa_group_segment_fixed_size 0
		.amdhsa_private_segment_fixed_size 0
		.amdhsa_kernarg_size 304
		.amdhsa_user_sgpr_count 15
		.amdhsa_user_sgpr_dispatch_ptr 0
		.amdhsa_user_sgpr_queue_ptr 0
		.amdhsa_user_sgpr_kernarg_segment_ptr 1
		.amdhsa_user_sgpr_dispatch_id 0
		.amdhsa_user_sgpr_private_segment_size 0
		.amdhsa_wavefront_size32 1
		.amdhsa_uses_dynamic_stack 0
		.amdhsa_enable_private_segment 0
		.amdhsa_system_sgpr_workgroup_id_x 1
		.amdhsa_system_sgpr_workgroup_id_y 0
		.amdhsa_system_sgpr_workgroup_id_z 0
		.amdhsa_system_sgpr_workgroup_info 0
		.amdhsa_system_vgpr_workitem_id 1
		.amdhsa_next_free_vgpr 15
		.amdhsa_next_free_sgpr 16
		.amdhsa_reserve_vcc 1
		.amdhsa_float_round_mode_32 0
		.amdhsa_float_round_mode_16_64 0
		.amdhsa_float_denorm_mode_32 3
		.amdhsa_float_denorm_mode_16_64 3
		.amdhsa_dx10_clamp 1
		.amdhsa_ieee_mode 1
		.amdhsa_fp16_overflow 0
		.amdhsa_workgroup_processor_mode 1
		.amdhsa_memory_ordered 1
		.amdhsa_forward_progress 0
		.amdhsa_shared_vgpr_count 0
		.amdhsa_exception_fp_ieee_invalid_op 0
		.amdhsa_exception_fp_denorm_src 0
		.amdhsa_exception_fp_ieee_div_zero 0
		.amdhsa_exception_fp_ieee_overflow 0
		.amdhsa_exception_fp_ieee_underflow 0
		.amdhsa_exception_fp_ieee_inexact 0
		.amdhsa_exception_int_div_zero 0
	.end_amdhsa_kernel
	.section	.text._ZN12_GLOBAL__N_120softmax_warp_forwardIN3c108BFloat16EffLi4ELb1ELb0ELi32EEEvPT0_PKT_iiiPKbib,"axG",@progbits,_ZN12_GLOBAL__N_120softmax_warp_forwardIN3c108BFloat16EffLi4ELb1ELb0ELi32EEEvPT0_PKT_iiiPKbib,comdat
.Lfunc_end175:
	.size	_ZN12_GLOBAL__N_120softmax_warp_forwardIN3c108BFloat16EffLi4ELb1ELb0ELi32EEEvPT0_PKT_iiiPKbib, .Lfunc_end175-_ZN12_GLOBAL__N_120softmax_warp_forwardIN3c108BFloat16EffLi4ELb1ELb0ELi32EEEvPT0_PKT_iiiPKbib
                                        ; -- End function
	.section	.AMDGPU.csdata,"",@progbits
; Kernel info:
; codeLenInByte = 1348
; NumSgprs: 18
; NumVgprs: 15
; ScratchSize: 0
; MemoryBound: 0
; FloatMode: 240
; IeeeMode: 1
; LDSByteSize: 0 bytes/workgroup (compile time only)
; SGPRBlocks: 2
; VGPRBlocks: 1
; NumSGPRsForWavesPerEU: 18
; NumVGPRsForWavesPerEU: 15
; Occupancy: 16
; WaveLimiterHint : 0
; COMPUTE_PGM_RSRC2:SCRATCH_EN: 0
; COMPUTE_PGM_RSRC2:USER_SGPR: 15
; COMPUTE_PGM_RSRC2:TRAP_HANDLER: 0
; COMPUTE_PGM_RSRC2:TGID_X_EN: 1
; COMPUTE_PGM_RSRC2:TGID_Y_EN: 0
; COMPUTE_PGM_RSRC2:TGID_Z_EN: 0
; COMPUTE_PGM_RSRC2:TIDIG_COMP_CNT: 1
	.section	.text._ZN12_GLOBAL__N_120softmax_warp_forwardIN3c108BFloat16EffLi5ELb1ELb0ELi64EEEvPT0_PKT_iiiPKbib,"axG",@progbits,_ZN12_GLOBAL__N_120softmax_warp_forwardIN3c108BFloat16EffLi5ELb1ELb0ELi64EEEvPT0_PKT_iiiPKbib,comdat
	.globl	_ZN12_GLOBAL__N_120softmax_warp_forwardIN3c108BFloat16EffLi5ELb1ELb0ELi64EEEvPT0_PKT_iiiPKbib ; -- Begin function _ZN12_GLOBAL__N_120softmax_warp_forwardIN3c108BFloat16EffLi5ELb1ELb0ELi64EEEvPT0_PKT_iiiPKbib
	.p2align	8
	.type	_ZN12_GLOBAL__N_120softmax_warp_forwardIN3c108BFloat16EffLi5ELb1ELb0ELi64EEEvPT0_PKT_iiiPKbib,@function
_ZN12_GLOBAL__N_120softmax_warp_forwardIN3c108BFloat16EffLi5ELb1ELb0ELi64EEEvPT0_PKT_iiiPKbib: ; @_ZN12_GLOBAL__N_120softmax_warp_forwardIN3c108BFloat16EffLi5ELb1ELb0ELi64EEEvPT0_PKT_iiiPKbib
; %bb.0:
	s_clause 0x1
	s_load_b32 s2, s[0:1], 0x3c
	s_load_b256 s[4:11], s[0:1], 0x0
	v_bfe_u32 v1, v0, 10, 10
	v_and_b32_e32 v2, 0x3ff, v0
	v_mov_b32_e32 v5, 0xff800000
	s_waitcnt lgkmcnt(0)
	s_lshr_b32 s0, s2, 16
	s_delay_alu instid0(VALU_DEP_2) | instskip(SKIP_1) | instid1(SALU_CYCLE_1)
	v_cmp_gt_i32_e32 vcc_lo, s10, v2
	s_mul_i32 s15, s15, s0
	v_add_lshl_u32 v3, s15, v1, 1
	s_delay_alu instid0(VALU_DEP_1) | instskip(SKIP_1) | instid1(VALU_DEP_1)
	v_mad_u64_u32 v[0:1], null, v3, s9, v[2:3]
	v_sub_nc_u32_e32 v4, s8, v3
	v_cmp_lt_i32_e64 s0, 0, v4
	s_delay_alu instid0(VALU_DEP_3) | instskip(NEXT) | instid1(VALU_DEP_2)
	v_ashrrev_i32_e32 v1, 31, v0
	s_and_b32 s2, vcc_lo, s0
	s_delay_alu instid0(VALU_DEP_1) | instskip(NEXT) | instid1(VALU_DEP_1)
	v_lshlrev_b64 v[6:7], 1, v[0:1]
	v_add_co_u32 v2, s1, s6, v6
	v_mov_b32_e32 v6, 0xff800000
	s_delay_alu instid0(VALU_DEP_3)
	v_add_co_ci_u32_e64 v3, s1, s7, v7, s1
	s_and_saveexec_b32 s1, s2
	s_cbranch_execz .LBB176_2
; %bb.1:
	global_load_u16 v6, v[2:3], off
	s_waitcnt vmcnt(0)
	v_lshlrev_b32_e32 v6, 16, v6
.LBB176_2:
	s_or_b32 exec_lo, exec_lo, s1
	v_cmp_lt_i32_e64 s1, 1, v4
	s_delay_alu instid0(VALU_DEP_1) | instskip(NEXT) | instid1(SALU_CYCLE_1)
	s_and_b32 s1, vcc_lo, s1
	s_and_saveexec_b32 s2, s1
	s_cbranch_execz .LBB176_4
; %bb.3:
	s_mov_b32 s11, 0
	s_delay_alu instid0(SALU_CYCLE_1) | instskip(NEXT) | instid1(SALU_CYCLE_1)
	s_lshl_b64 s[6:7], s[10:11], 1
	v_add_co_u32 v2, s1, v2, s6
	s_delay_alu instid0(VALU_DEP_1)
	v_add_co_ci_u32_e64 v3, s1, s7, v3, s1
	global_load_u16 v2, v[2:3], off
	s_waitcnt vmcnt(0)
	v_lshlrev_b32_e32 v5, 16, v2
.LBB176_4:
	s_or_b32 exec_lo, exec_lo, s2
	v_mbcnt_lo_u32_b32 v2, -1, 0
	s_delay_alu instid0(VALU_DEP_1)
	v_xor_b32_e32 v3, 16, v2
	v_xor_b32_e32 v9, 8, v2
	;; [unrolled: 1-line block ×5, first 2 shown]
	v_cmp_gt_i32_e64 s1, 32, v3
	s_delay_alu instid0(VALU_DEP_1) | instskip(SKIP_1) | instid1(VALU_DEP_2)
	v_cndmask_b32_e64 v3, v2, v3, s1
	v_cmp_gt_i32_e64 s1, 32, v9
	v_lshlrev_b32_e32 v7, 2, v3
	s_delay_alu instid0(VALU_DEP_2)
	v_cndmask_b32_e64 v9, v2, v9, s1
	ds_bpermute_b32 v3, v7, v6
	ds_bpermute_b32 v8, v7, v5
	v_lshlrev_b32_e32 v9, 2, v9
	s_waitcnt lgkmcnt(1)
	v_cmp_lt_f32_e64 s1, v6, v3
	s_delay_alu instid0(VALU_DEP_1)
	v_cndmask_b32_e64 v3, v6, v3, s1
	s_waitcnt lgkmcnt(0)
	v_cmp_lt_f32_e64 s1, v5, v8
	ds_bpermute_b32 v10, v9, v3
	v_cndmask_b32_e64 v8, v5, v8, s1
	v_cmp_gt_i32_e64 s1, 32, v12
	ds_bpermute_b32 v11, v9, v8
	v_cndmask_b32_e64 v12, v2, v12, s1
	s_delay_alu instid0(VALU_DEP_1) | instskip(SKIP_2) | instid1(VALU_DEP_1)
	v_lshlrev_b32_e32 v12, 2, v12
	s_waitcnt lgkmcnt(1)
	v_cmp_lt_f32_e64 s1, v3, v10
	v_cndmask_b32_e64 v3, v3, v10, s1
	s_waitcnt lgkmcnt(0)
	v_cmp_lt_f32_e64 s1, v8, v11
	ds_bpermute_b32 v10, v12, v3
	v_cndmask_b32_e64 v8, v8, v11, s1
	v_cmp_gt_i32_e64 s1, 32, v13
	ds_bpermute_b32 v11, v12, v8
	v_cndmask_b32_e64 v13, v2, v13, s1
	s_delay_alu instid0(VALU_DEP_1) | instskip(SKIP_2) | instid1(VALU_DEP_1)
	v_lshlrev_b32_e32 v13, 2, v13
	s_waitcnt lgkmcnt(1)
	v_cmp_lt_f32_e64 s1, v3, v10
	;; [unrolled: 12-line block ×3, first 2 shown]
	v_cndmask_b32_e64 v2, v3, v10, s1
	s_waitcnt lgkmcnt(0)
	v_cmp_lt_f32_e64 s1, v8, v11
	s_delay_alu instid0(VALU_DEP_1) | instskip(SKIP_4) | instid1(VALU_DEP_1)
	v_cndmask_b32_e64 v3, v8, v11, s1
	ds_bpermute_b32 v8, v14, v2
	ds_bpermute_b32 v10, v14, v3
	s_waitcnt lgkmcnt(1)
	v_cmp_lt_f32_e64 s1, v2, v8
	v_cndmask_b32_e64 v2, v2, v8, s1
	s_waitcnt lgkmcnt(0)
	v_cmp_lt_f32_e64 s1, v3, v10
	s_delay_alu instid0(VALU_DEP_1) | instskip(NEXT) | instid1(VALU_DEP_1)
	v_cndmask_b32_e64 v8, v3, v10, s1
	v_dual_sub_f32 v3, v6, v2 :: v_dual_sub_f32 v2, v5, v8
	s_delay_alu instid0(VALU_DEP_1) | instskip(SKIP_1) | instid1(VALU_DEP_3)
	v_mul_f32_e32 v5, 0x3fb8aa3b, v3
	v_cmp_ngt_f32_e64 s1, 0xc2ce8ed0, v3
	v_mul_f32_e32 v6, 0x3fb8aa3b, v2
	s_delay_alu instid0(VALU_DEP_3) | instskip(SKIP_1) | instid1(VALU_DEP_3)
	v_fma_f32 v8, 0x3fb8aa3b, v3, -v5
	v_rndne_f32_e32 v10, v5
	v_fma_f32 v11, 0x3fb8aa3b, v2, -v6
	v_rndne_f32_e32 v15, v6
	s_delay_alu instid0(VALU_DEP_3) | instskip(NEXT) | instid1(VALU_DEP_2)
	v_dual_fmac_f32 v8, 0x32a5705f, v3 :: v_dual_sub_f32 v5, v5, v10
	v_dual_fmac_f32 v11, 0x32a5705f, v2 :: v_dual_sub_f32 v6, v6, v15
	s_delay_alu instid0(VALU_DEP_2) | instskip(SKIP_2) | instid1(VALU_DEP_4)
	v_add_f32_e32 v5, v5, v8
	v_cvt_i32_f32_e32 v8, v10
	v_cvt_i32_f32_e32 v10, v15
	v_add_f32_e32 v6, v6, v11
	s_delay_alu instid0(VALU_DEP_4) | instskip(NEXT) | instid1(VALU_DEP_1)
	v_exp_f32_e32 v5, v5
	v_exp_f32_e32 v6, v6
	s_waitcnt_depctr 0xfff
	v_ldexp_f32 v5, v5, v8
	v_ldexp_f32 v6, v6, v10
	s_delay_alu instid0(VALU_DEP_2) | instskip(SKIP_1) | instid1(VALU_DEP_1)
	v_cndmask_b32_e64 v5, 0, v5, s1
	v_cmp_ngt_f32_e64 s1, 0xc2ce8ed0, v2
	v_cndmask_b32_e64 v6, 0, v6, s1
	v_cmp_nlt_f32_e64 s1, 0x42b17218, v3
	s_delay_alu instid0(VALU_DEP_1)
	v_cndmask_b32_e64 v5, 0x7f800000, v5, s1
	v_cmp_nlt_f32_e64 s1, 0x42b17218, v2
	ds_bpermute_b32 v8, v7, v5
	v_cndmask_b32_e64 v6, 0x7f800000, v6, s1
	ds_bpermute_b32 v7, v7, v6
	s_waitcnt lgkmcnt(0)
	v_dual_add_f32 v5, v5, v8 :: v_dual_add_f32 v6, v6, v7
	ds_bpermute_b32 v7, v9, v5
	ds_bpermute_b32 v8, v9, v6
	s_waitcnt lgkmcnt(0)
	v_dual_add_f32 v5, v5, v7 :: v_dual_add_f32 v6, v6, v8
	ds_bpermute_b32 v7, v12, v5
	;; [unrolled: 4-line block ×3, first 2 shown]
	ds_bpermute_b32 v8, v13, v6
	s_waitcnt lgkmcnt(1)
	v_add_f32_e32 v7, v5, v7
	s_waitcnt lgkmcnt(0)
	v_add_f32_e32 v5, v6, v8
	ds_bpermute_b32 v8, v14, v7
	ds_bpermute_b32 v6, v14, v5
	s_and_saveexec_b32 s1, s0
	s_cbranch_execz .LBB176_10
; %bb.5:
	v_lshlrev_b64 v[0:1], 2, v[0:1]
	s_delay_alu instid0(VALU_DEP_1) | instskip(NEXT) | instid1(VALU_DEP_1)
	v_add_co_u32 v0, s0, s4, v0
	v_add_co_ci_u32_e64 v1, s0, s5, v1, s0
	s_and_saveexec_b32 s2, vcc_lo
	s_cbranch_execz .LBB176_7
; %bb.6:
	s_waitcnt lgkmcnt(1)
	v_add_f32_e32 v7, v7, v8
	s_delay_alu instid0(VALU_DEP_1) | instskip(NEXT) | instid1(VALU_DEP_1)
	v_cmp_gt_f32_e64 s0, 0x800000, v7
	v_cndmask_b32_e64 v8, 1.0, 0x4f800000, s0
	s_delay_alu instid0(VALU_DEP_1) | instskip(NEXT) | instid1(VALU_DEP_1)
	v_mul_f32_e32 v7, v7, v8
	v_log_f32_e32 v7, v7
	s_waitcnt_depctr 0xfff
	v_mul_f32_e32 v8, 0x3f317217, v7
	v_cmp_gt_f32_e64 s1, 0x7f800000, |v7|
	s_delay_alu instid0(VALU_DEP_2) | instskip(NEXT) | instid1(VALU_DEP_1)
	v_fma_f32 v9, 0x3f317217, v7, -v8
	v_fmamk_f32 v9, v7, 0x3377d1cf, v9
	s_delay_alu instid0(VALU_DEP_1) | instskip(NEXT) | instid1(VALU_DEP_1)
	v_add_f32_e32 v8, v8, v9
	v_cndmask_b32_e64 v7, v7, v8, s1
	v_cndmask_b32_e64 v8, 0, 0x41b17218, s0
	s_delay_alu instid0(VALU_DEP_1) | instskip(NEXT) | instid1(VALU_DEP_1)
	v_sub_f32_e32 v7, v7, v8
	v_sub_f32_e32 v3, v3, v7
	global_store_b32 v[0:1], v3, off
.LBB176_7:
	s_or_b32 exec_lo, exec_lo, s2
	v_cmp_ne_u32_e64 s0, 1, v4
	s_delay_alu instid0(VALU_DEP_1)
	s_and_b32 exec_lo, exec_lo, s0
	s_cbranch_execz .LBB176_10
; %bb.8:
	s_and_b32 exec_lo, exec_lo, vcc_lo
	s_cbranch_execz .LBB176_10
; %bb.9:
	s_waitcnt lgkmcnt(0)
	v_add_f32_e32 v3, v5, v6
	s_mov_b32 s11, 0
	s_delay_alu instid0(SALU_CYCLE_1) | instskip(NEXT) | instid1(VALU_DEP_1)
	s_lshl_b64 s[0:1], s[10:11], 2
	v_cmp_gt_f32_e32 vcc_lo, 0x800000, v3
	v_cndmask_b32_e64 v4, 1.0, 0x4f800000, vcc_lo
	s_delay_alu instid0(VALU_DEP_1) | instskip(NEXT) | instid1(VALU_DEP_1)
	v_mul_f32_e32 v3, v3, v4
	v_log_f32_e32 v3, v3
	s_waitcnt_depctr 0xfff
	v_mul_f32_e32 v4, 0x3f317217, v3
	s_delay_alu instid0(VALU_DEP_1) | instskip(NEXT) | instid1(VALU_DEP_1)
	v_fma_f32 v5, 0x3f317217, v3, -v4
	v_fmamk_f32 v5, v3, 0x3377d1cf, v5
	s_delay_alu instid0(VALU_DEP_1) | instskip(SKIP_2) | instid1(VALU_DEP_3)
	v_add_f32_e32 v4, v4, v5
	v_cndmask_b32_e64 v5, 0, 0x41b17218, vcc_lo
	v_cmp_gt_f32_e64 vcc_lo, 0x7f800000, |v3|
	v_cndmask_b32_e32 v3, v3, v4, vcc_lo
	v_add_co_u32 v0, vcc_lo, v0, s0
	v_add_co_ci_u32_e32 v1, vcc_lo, s1, v1, vcc_lo
	s_delay_alu instid0(VALU_DEP_3) | instskip(NEXT) | instid1(VALU_DEP_1)
	v_sub_f32_e32 v3, v3, v5
	v_sub_f32_e32 v2, v2, v3
	global_store_b32 v[0:1], v2, off
.LBB176_10:
	s_nop 0
	s_sendmsg sendmsg(MSG_DEALLOC_VGPRS)
	s_endpgm
	.section	.rodata,"a",@progbits
	.p2align	6, 0x0
	.amdhsa_kernel _ZN12_GLOBAL__N_120softmax_warp_forwardIN3c108BFloat16EffLi5ELb1ELb0ELi64EEEvPT0_PKT_iiiPKbib
		.amdhsa_group_segment_fixed_size 0
		.amdhsa_private_segment_fixed_size 0
		.amdhsa_kernarg_size 304
		.amdhsa_user_sgpr_count 15
		.amdhsa_user_sgpr_dispatch_ptr 0
		.amdhsa_user_sgpr_queue_ptr 0
		.amdhsa_user_sgpr_kernarg_segment_ptr 1
		.amdhsa_user_sgpr_dispatch_id 0
		.amdhsa_user_sgpr_private_segment_size 0
		.amdhsa_wavefront_size32 1
		.amdhsa_uses_dynamic_stack 0
		.amdhsa_enable_private_segment 0
		.amdhsa_system_sgpr_workgroup_id_x 1
		.amdhsa_system_sgpr_workgroup_id_y 0
		.amdhsa_system_sgpr_workgroup_id_z 0
		.amdhsa_system_sgpr_workgroup_info 0
		.amdhsa_system_vgpr_workitem_id 1
		.amdhsa_next_free_vgpr 16
		.amdhsa_next_free_sgpr 16
		.amdhsa_reserve_vcc 1
		.amdhsa_float_round_mode_32 0
		.amdhsa_float_round_mode_16_64 0
		.amdhsa_float_denorm_mode_32 3
		.amdhsa_float_denorm_mode_16_64 3
		.amdhsa_dx10_clamp 1
		.amdhsa_ieee_mode 1
		.amdhsa_fp16_overflow 0
		.amdhsa_workgroup_processor_mode 1
		.amdhsa_memory_ordered 1
		.amdhsa_forward_progress 0
		.amdhsa_shared_vgpr_count 0
		.amdhsa_exception_fp_ieee_invalid_op 0
		.amdhsa_exception_fp_denorm_src 0
		.amdhsa_exception_fp_ieee_div_zero 0
		.amdhsa_exception_fp_ieee_overflow 0
		.amdhsa_exception_fp_ieee_underflow 0
		.amdhsa_exception_fp_ieee_inexact 0
		.amdhsa_exception_int_div_zero 0
	.end_amdhsa_kernel
	.section	.text._ZN12_GLOBAL__N_120softmax_warp_forwardIN3c108BFloat16EffLi5ELb1ELb0ELi64EEEvPT0_PKT_iiiPKbib,"axG",@progbits,_ZN12_GLOBAL__N_120softmax_warp_forwardIN3c108BFloat16EffLi5ELb1ELb0ELi64EEEvPT0_PKT_iiiPKbib,comdat
.Lfunc_end176:
	.size	_ZN12_GLOBAL__N_120softmax_warp_forwardIN3c108BFloat16EffLi5ELb1ELb0ELi64EEEvPT0_PKT_iiiPKbib, .Lfunc_end176-_ZN12_GLOBAL__N_120softmax_warp_forwardIN3c108BFloat16EffLi5ELb1ELb0ELi64EEEvPT0_PKT_iiiPKbib
                                        ; -- End function
	.section	.AMDGPU.csdata,"",@progbits
; Kernel info:
; codeLenInByte = 1456
; NumSgprs: 18
; NumVgprs: 16
; ScratchSize: 0
; MemoryBound: 0
; FloatMode: 240
; IeeeMode: 1
; LDSByteSize: 0 bytes/workgroup (compile time only)
; SGPRBlocks: 2
; VGPRBlocks: 1
; NumSGPRsForWavesPerEU: 18
; NumVGPRsForWavesPerEU: 16
; Occupancy: 16
; WaveLimiterHint : 0
; COMPUTE_PGM_RSRC2:SCRATCH_EN: 0
; COMPUTE_PGM_RSRC2:USER_SGPR: 15
; COMPUTE_PGM_RSRC2:TRAP_HANDLER: 0
; COMPUTE_PGM_RSRC2:TGID_X_EN: 1
; COMPUTE_PGM_RSRC2:TGID_Y_EN: 0
; COMPUTE_PGM_RSRC2:TGID_Z_EN: 0
; COMPUTE_PGM_RSRC2:TIDIG_COMP_CNT: 1
	.section	.text._ZN12_GLOBAL__N_120softmax_warp_forwardIN3c108BFloat16EffLi5ELb1ELb0ELi32EEEvPT0_PKT_iiiPKbib,"axG",@progbits,_ZN12_GLOBAL__N_120softmax_warp_forwardIN3c108BFloat16EffLi5ELb1ELb0ELi32EEEvPT0_PKT_iiiPKbib,comdat
	.globl	_ZN12_GLOBAL__N_120softmax_warp_forwardIN3c108BFloat16EffLi5ELb1ELb0ELi32EEEvPT0_PKT_iiiPKbib ; -- Begin function _ZN12_GLOBAL__N_120softmax_warp_forwardIN3c108BFloat16EffLi5ELb1ELb0ELi32EEEvPT0_PKT_iiiPKbib
	.p2align	8
	.type	_ZN12_GLOBAL__N_120softmax_warp_forwardIN3c108BFloat16EffLi5ELb1ELb0ELi32EEEvPT0_PKT_iiiPKbib,@function
_ZN12_GLOBAL__N_120softmax_warp_forwardIN3c108BFloat16EffLi5ELb1ELb0ELi32EEEvPT0_PKT_iiiPKbib: ; @_ZN12_GLOBAL__N_120softmax_warp_forwardIN3c108BFloat16EffLi5ELb1ELb0ELi32EEEvPT0_PKT_iiiPKbib
; %bb.0:
	s_clause 0x1
	s_load_b32 s2, s[0:1], 0x3c
	s_load_b256 s[4:11], s[0:1], 0x0
	v_bfe_u32 v1, v0, 10, 10
	v_and_b32_e32 v2, 0x3ff, v0
	v_mov_b32_e32 v5, 0xff800000
	s_waitcnt lgkmcnt(0)
	s_lshr_b32 s0, s2, 16
	s_delay_alu instid0(VALU_DEP_2) | instskip(SKIP_1) | instid1(SALU_CYCLE_1)
	v_cmp_gt_i32_e32 vcc_lo, s10, v2
	s_mul_i32 s15, s15, s0
	v_add_lshl_u32 v3, s15, v1, 1
	s_delay_alu instid0(VALU_DEP_1) | instskip(SKIP_1) | instid1(VALU_DEP_1)
	v_mad_u64_u32 v[0:1], null, v3, s9, v[2:3]
	v_sub_nc_u32_e32 v4, s8, v3
	v_cmp_lt_i32_e64 s0, 0, v4
	s_delay_alu instid0(VALU_DEP_3) | instskip(NEXT) | instid1(VALU_DEP_2)
	v_ashrrev_i32_e32 v1, 31, v0
	s_and_b32 s2, vcc_lo, s0
	s_delay_alu instid0(VALU_DEP_1) | instskip(NEXT) | instid1(VALU_DEP_1)
	v_lshlrev_b64 v[6:7], 1, v[0:1]
	v_add_co_u32 v2, s1, s6, v6
	v_mov_b32_e32 v6, 0xff800000
	s_delay_alu instid0(VALU_DEP_3)
	v_add_co_ci_u32_e64 v3, s1, s7, v7, s1
	s_and_saveexec_b32 s1, s2
	s_cbranch_execz .LBB177_2
; %bb.1:
	global_load_u16 v6, v[2:3], off
	s_waitcnt vmcnt(0)
	v_lshlrev_b32_e32 v6, 16, v6
.LBB177_2:
	s_or_b32 exec_lo, exec_lo, s1
	v_cmp_lt_i32_e64 s1, 1, v4
	s_delay_alu instid0(VALU_DEP_1) | instskip(NEXT) | instid1(SALU_CYCLE_1)
	s_and_b32 s1, vcc_lo, s1
	s_and_saveexec_b32 s2, s1
	s_cbranch_execz .LBB177_4
; %bb.3:
	s_mov_b32 s11, 0
	s_delay_alu instid0(SALU_CYCLE_1) | instskip(NEXT) | instid1(SALU_CYCLE_1)
	s_lshl_b64 s[6:7], s[10:11], 1
	v_add_co_u32 v2, s1, v2, s6
	s_delay_alu instid0(VALU_DEP_1)
	v_add_co_ci_u32_e64 v3, s1, s7, v3, s1
	global_load_u16 v2, v[2:3], off
	s_waitcnt vmcnt(0)
	v_lshlrev_b32_e32 v5, 16, v2
.LBB177_4:
	s_or_b32 exec_lo, exec_lo, s2
	v_mbcnt_lo_u32_b32 v2, -1, 0
	s_delay_alu instid0(VALU_DEP_1)
	v_xor_b32_e32 v3, 16, v2
	v_xor_b32_e32 v9, 8, v2
	;; [unrolled: 1-line block ×5, first 2 shown]
	v_cmp_gt_i32_e64 s1, 32, v3
	s_delay_alu instid0(VALU_DEP_1) | instskip(SKIP_1) | instid1(VALU_DEP_2)
	v_cndmask_b32_e64 v3, v2, v3, s1
	v_cmp_gt_i32_e64 s1, 32, v9
	v_lshlrev_b32_e32 v7, 2, v3
	s_delay_alu instid0(VALU_DEP_2)
	v_cndmask_b32_e64 v9, v2, v9, s1
	ds_bpermute_b32 v3, v7, v6
	ds_bpermute_b32 v8, v7, v5
	v_lshlrev_b32_e32 v9, 2, v9
	s_waitcnt lgkmcnt(1)
	v_cmp_lt_f32_e64 s1, v6, v3
	s_delay_alu instid0(VALU_DEP_1)
	v_cndmask_b32_e64 v3, v6, v3, s1
	s_waitcnt lgkmcnt(0)
	v_cmp_lt_f32_e64 s1, v5, v8
	ds_bpermute_b32 v10, v9, v3
	v_cndmask_b32_e64 v8, v5, v8, s1
	v_cmp_gt_i32_e64 s1, 32, v12
	ds_bpermute_b32 v11, v9, v8
	v_cndmask_b32_e64 v12, v2, v12, s1
	s_delay_alu instid0(VALU_DEP_1) | instskip(SKIP_2) | instid1(VALU_DEP_1)
	v_lshlrev_b32_e32 v12, 2, v12
	s_waitcnt lgkmcnt(1)
	v_cmp_lt_f32_e64 s1, v3, v10
	v_cndmask_b32_e64 v3, v3, v10, s1
	s_waitcnt lgkmcnt(0)
	v_cmp_lt_f32_e64 s1, v8, v11
	ds_bpermute_b32 v10, v12, v3
	v_cndmask_b32_e64 v8, v8, v11, s1
	v_cmp_gt_i32_e64 s1, 32, v13
	ds_bpermute_b32 v11, v12, v8
	v_cndmask_b32_e64 v13, v2, v13, s1
	s_delay_alu instid0(VALU_DEP_1) | instskip(SKIP_2) | instid1(VALU_DEP_1)
	v_lshlrev_b32_e32 v13, 2, v13
	s_waitcnt lgkmcnt(1)
	v_cmp_lt_f32_e64 s1, v3, v10
	;; [unrolled: 12-line block ×3, first 2 shown]
	v_cndmask_b32_e64 v2, v3, v10, s1
	s_waitcnt lgkmcnt(0)
	v_cmp_lt_f32_e64 s1, v8, v11
	s_delay_alu instid0(VALU_DEP_1) | instskip(SKIP_4) | instid1(VALU_DEP_1)
	v_cndmask_b32_e64 v3, v8, v11, s1
	ds_bpermute_b32 v8, v14, v2
	ds_bpermute_b32 v10, v14, v3
	s_waitcnt lgkmcnt(1)
	v_cmp_lt_f32_e64 s1, v2, v8
	v_cndmask_b32_e64 v2, v2, v8, s1
	s_waitcnt lgkmcnt(0)
	v_cmp_lt_f32_e64 s1, v3, v10
	s_delay_alu instid0(VALU_DEP_1) | instskip(NEXT) | instid1(VALU_DEP_1)
	v_cndmask_b32_e64 v8, v3, v10, s1
	v_dual_sub_f32 v3, v6, v2 :: v_dual_sub_f32 v2, v5, v8
	s_delay_alu instid0(VALU_DEP_1) | instskip(SKIP_1) | instid1(VALU_DEP_3)
	v_mul_f32_e32 v5, 0x3fb8aa3b, v3
	v_cmp_ngt_f32_e64 s1, 0xc2ce8ed0, v3
	v_mul_f32_e32 v6, 0x3fb8aa3b, v2
	s_delay_alu instid0(VALU_DEP_3) | instskip(SKIP_1) | instid1(VALU_DEP_3)
	v_fma_f32 v8, 0x3fb8aa3b, v3, -v5
	v_rndne_f32_e32 v10, v5
	v_fma_f32 v11, 0x3fb8aa3b, v2, -v6
	v_rndne_f32_e32 v15, v6
	s_delay_alu instid0(VALU_DEP_3) | instskip(NEXT) | instid1(VALU_DEP_2)
	v_dual_fmac_f32 v8, 0x32a5705f, v3 :: v_dual_sub_f32 v5, v5, v10
	v_dual_fmac_f32 v11, 0x32a5705f, v2 :: v_dual_sub_f32 v6, v6, v15
	s_delay_alu instid0(VALU_DEP_2) | instskip(SKIP_2) | instid1(VALU_DEP_4)
	v_add_f32_e32 v5, v5, v8
	v_cvt_i32_f32_e32 v8, v10
	v_cvt_i32_f32_e32 v10, v15
	v_add_f32_e32 v6, v6, v11
	s_delay_alu instid0(VALU_DEP_4) | instskip(NEXT) | instid1(VALU_DEP_1)
	v_exp_f32_e32 v5, v5
	v_exp_f32_e32 v6, v6
	s_waitcnt_depctr 0xfff
	v_ldexp_f32 v5, v5, v8
	v_ldexp_f32 v6, v6, v10
	s_delay_alu instid0(VALU_DEP_2) | instskip(SKIP_1) | instid1(VALU_DEP_1)
	v_cndmask_b32_e64 v5, 0, v5, s1
	v_cmp_ngt_f32_e64 s1, 0xc2ce8ed0, v2
	v_cndmask_b32_e64 v6, 0, v6, s1
	v_cmp_nlt_f32_e64 s1, 0x42b17218, v3
	s_delay_alu instid0(VALU_DEP_1)
	v_cndmask_b32_e64 v5, 0x7f800000, v5, s1
	v_cmp_nlt_f32_e64 s1, 0x42b17218, v2
	ds_bpermute_b32 v8, v7, v5
	v_cndmask_b32_e64 v6, 0x7f800000, v6, s1
	ds_bpermute_b32 v7, v7, v6
	s_waitcnt lgkmcnt(0)
	v_dual_add_f32 v5, v5, v8 :: v_dual_add_f32 v6, v6, v7
	ds_bpermute_b32 v7, v9, v5
	ds_bpermute_b32 v8, v9, v6
	s_waitcnt lgkmcnt(0)
	v_dual_add_f32 v5, v5, v7 :: v_dual_add_f32 v6, v6, v8
	ds_bpermute_b32 v7, v12, v5
	;; [unrolled: 4-line block ×3, first 2 shown]
	ds_bpermute_b32 v8, v13, v6
	s_waitcnt lgkmcnt(1)
	v_add_f32_e32 v7, v5, v7
	s_waitcnt lgkmcnt(0)
	v_add_f32_e32 v5, v6, v8
	ds_bpermute_b32 v8, v14, v7
	ds_bpermute_b32 v6, v14, v5
	s_and_saveexec_b32 s1, s0
	s_cbranch_execz .LBB177_10
; %bb.5:
	v_lshlrev_b64 v[0:1], 2, v[0:1]
	s_delay_alu instid0(VALU_DEP_1) | instskip(NEXT) | instid1(VALU_DEP_1)
	v_add_co_u32 v0, s0, s4, v0
	v_add_co_ci_u32_e64 v1, s0, s5, v1, s0
	s_and_saveexec_b32 s2, vcc_lo
	s_cbranch_execz .LBB177_7
; %bb.6:
	s_waitcnt lgkmcnt(1)
	v_add_f32_e32 v7, v7, v8
	s_delay_alu instid0(VALU_DEP_1) | instskip(NEXT) | instid1(VALU_DEP_1)
	v_cmp_gt_f32_e64 s0, 0x800000, v7
	v_cndmask_b32_e64 v8, 1.0, 0x4f800000, s0
	s_delay_alu instid0(VALU_DEP_1) | instskip(NEXT) | instid1(VALU_DEP_1)
	v_mul_f32_e32 v7, v7, v8
	v_log_f32_e32 v7, v7
	s_waitcnt_depctr 0xfff
	v_mul_f32_e32 v8, 0x3f317217, v7
	v_cmp_gt_f32_e64 s1, 0x7f800000, |v7|
	s_delay_alu instid0(VALU_DEP_2) | instskip(NEXT) | instid1(VALU_DEP_1)
	v_fma_f32 v9, 0x3f317217, v7, -v8
	v_fmamk_f32 v9, v7, 0x3377d1cf, v9
	s_delay_alu instid0(VALU_DEP_1) | instskip(NEXT) | instid1(VALU_DEP_1)
	v_add_f32_e32 v8, v8, v9
	v_cndmask_b32_e64 v7, v7, v8, s1
	v_cndmask_b32_e64 v8, 0, 0x41b17218, s0
	s_delay_alu instid0(VALU_DEP_1) | instskip(NEXT) | instid1(VALU_DEP_1)
	v_sub_f32_e32 v7, v7, v8
	v_sub_f32_e32 v3, v3, v7
	global_store_b32 v[0:1], v3, off
.LBB177_7:
	s_or_b32 exec_lo, exec_lo, s2
	v_cmp_ne_u32_e64 s0, 1, v4
	s_delay_alu instid0(VALU_DEP_1)
	s_and_b32 exec_lo, exec_lo, s0
	s_cbranch_execz .LBB177_10
; %bb.8:
	s_and_b32 exec_lo, exec_lo, vcc_lo
	s_cbranch_execz .LBB177_10
; %bb.9:
	s_waitcnt lgkmcnt(0)
	v_add_f32_e32 v3, v5, v6
	s_mov_b32 s11, 0
	s_delay_alu instid0(SALU_CYCLE_1) | instskip(NEXT) | instid1(VALU_DEP_1)
	s_lshl_b64 s[0:1], s[10:11], 2
	v_cmp_gt_f32_e32 vcc_lo, 0x800000, v3
	v_cndmask_b32_e64 v4, 1.0, 0x4f800000, vcc_lo
	s_delay_alu instid0(VALU_DEP_1) | instskip(NEXT) | instid1(VALU_DEP_1)
	v_mul_f32_e32 v3, v3, v4
	v_log_f32_e32 v3, v3
	s_waitcnt_depctr 0xfff
	v_mul_f32_e32 v4, 0x3f317217, v3
	s_delay_alu instid0(VALU_DEP_1) | instskip(NEXT) | instid1(VALU_DEP_1)
	v_fma_f32 v5, 0x3f317217, v3, -v4
	v_fmamk_f32 v5, v3, 0x3377d1cf, v5
	s_delay_alu instid0(VALU_DEP_1) | instskip(SKIP_2) | instid1(VALU_DEP_3)
	v_add_f32_e32 v4, v4, v5
	v_cndmask_b32_e64 v5, 0, 0x41b17218, vcc_lo
	v_cmp_gt_f32_e64 vcc_lo, 0x7f800000, |v3|
	v_cndmask_b32_e32 v3, v3, v4, vcc_lo
	v_add_co_u32 v0, vcc_lo, v0, s0
	v_add_co_ci_u32_e32 v1, vcc_lo, s1, v1, vcc_lo
	s_delay_alu instid0(VALU_DEP_3) | instskip(NEXT) | instid1(VALU_DEP_1)
	v_sub_f32_e32 v3, v3, v5
	v_sub_f32_e32 v2, v2, v3
	global_store_b32 v[0:1], v2, off
.LBB177_10:
	s_nop 0
	s_sendmsg sendmsg(MSG_DEALLOC_VGPRS)
	s_endpgm
	.section	.rodata,"a",@progbits
	.p2align	6, 0x0
	.amdhsa_kernel _ZN12_GLOBAL__N_120softmax_warp_forwardIN3c108BFloat16EffLi5ELb1ELb0ELi32EEEvPT0_PKT_iiiPKbib
		.amdhsa_group_segment_fixed_size 0
		.amdhsa_private_segment_fixed_size 0
		.amdhsa_kernarg_size 304
		.amdhsa_user_sgpr_count 15
		.amdhsa_user_sgpr_dispatch_ptr 0
		.amdhsa_user_sgpr_queue_ptr 0
		.amdhsa_user_sgpr_kernarg_segment_ptr 1
		.amdhsa_user_sgpr_dispatch_id 0
		.amdhsa_user_sgpr_private_segment_size 0
		.amdhsa_wavefront_size32 1
		.amdhsa_uses_dynamic_stack 0
		.amdhsa_enable_private_segment 0
		.amdhsa_system_sgpr_workgroup_id_x 1
		.amdhsa_system_sgpr_workgroup_id_y 0
		.amdhsa_system_sgpr_workgroup_id_z 0
		.amdhsa_system_sgpr_workgroup_info 0
		.amdhsa_system_vgpr_workitem_id 1
		.amdhsa_next_free_vgpr 16
		.amdhsa_next_free_sgpr 16
		.amdhsa_reserve_vcc 1
		.amdhsa_float_round_mode_32 0
		.amdhsa_float_round_mode_16_64 0
		.amdhsa_float_denorm_mode_32 3
		.amdhsa_float_denorm_mode_16_64 3
		.amdhsa_dx10_clamp 1
		.amdhsa_ieee_mode 1
		.amdhsa_fp16_overflow 0
		.amdhsa_workgroup_processor_mode 1
		.amdhsa_memory_ordered 1
		.amdhsa_forward_progress 0
		.amdhsa_shared_vgpr_count 0
		.amdhsa_exception_fp_ieee_invalid_op 0
		.amdhsa_exception_fp_denorm_src 0
		.amdhsa_exception_fp_ieee_div_zero 0
		.amdhsa_exception_fp_ieee_overflow 0
		.amdhsa_exception_fp_ieee_underflow 0
		.amdhsa_exception_fp_ieee_inexact 0
		.amdhsa_exception_int_div_zero 0
	.end_amdhsa_kernel
	.section	.text._ZN12_GLOBAL__N_120softmax_warp_forwardIN3c108BFloat16EffLi5ELb1ELb0ELi32EEEvPT0_PKT_iiiPKbib,"axG",@progbits,_ZN12_GLOBAL__N_120softmax_warp_forwardIN3c108BFloat16EffLi5ELb1ELb0ELi32EEEvPT0_PKT_iiiPKbib,comdat
.Lfunc_end177:
	.size	_ZN12_GLOBAL__N_120softmax_warp_forwardIN3c108BFloat16EffLi5ELb1ELb0ELi32EEEvPT0_PKT_iiiPKbib, .Lfunc_end177-_ZN12_GLOBAL__N_120softmax_warp_forwardIN3c108BFloat16EffLi5ELb1ELb0ELi32EEEvPT0_PKT_iiiPKbib
                                        ; -- End function
	.section	.AMDGPU.csdata,"",@progbits
; Kernel info:
; codeLenInByte = 1456
; NumSgprs: 18
; NumVgprs: 16
; ScratchSize: 0
; MemoryBound: 0
; FloatMode: 240
; IeeeMode: 1
; LDSByteSize: 0 bytes/workgroup (compile time only)
; SGPRBlocks: 2
; VGPRBlocks: 1
; NumSGPRsForWavesPerEU: 18
; NumVGPRsForWavesPerEU: 16
; Occupancy: 16
; WaveLimiterHint : 0
; COMPUTE_PGM_RSRC2:SCRATCH_EN: 0
; COMPUTE_PGM_RSRC2:USER_SGPR: 15
; COMPUTE_PGM_RSRC2:TRAP_HANDLER: 0
; COMPUTE_PGM_RSRC2:TGID_X_EN: 1
; COMPUTE_PGM_RSRC2:TGID_Y_EN: 0
; COMPUTE_PGM_RSRC2:TGID_Z_EN: 0
; COMPUTE_PGM_RSRC2:TIDIG_COMP_CNT: 1
	.section	.text._ZN12_GLOBAL__N_120softmax_warp_forwardIN3c108BFloat16EffLi6ELb1ELb0ELi64EEEvPT0_PKT_iiiPKbib,"axG",@progbits,_ZN12_GLOBAL__N_120softmax_warp_forwardIN3c108BFloat16EffLi6ELb1ELb0ELi64EEEvPT0_PKT_iiiPKbib,comdat
	.globl	_ZN12_GLOBAL__N_120softmax_warp_forwardIN3c108BFloat16EffLi6ELb1ELb0ELi64EEEvPT0_PKT_iiiPKbib ; -- Begin function _ZN12_GLOBAL__N_120softmax_warp_forwardIN3c108BFloat16EffLi6ELb1ELb0ELi64EEEvPT0_PKT_iiiPKbib
	.p2align	8
	.type	_ZN12_GLOBAL__N_120softmax_warp_forwardIN3c108BFloat16EffLi6ELb1ELb0ELi64EEEvPT0_PKT_iiiPKbib,@function
_ZN12_GLOBAL__N_120softmax_warp_forwardIN3c108BFloat16EffLi6ELb1ELb0ELi64EEEvPT0_PKT_iiiPKbib: ; @_ZN12_GLOBAL__N_120softmax_warp_forwardIN3c108BFloat16EffLi6ELb1ELb0ELi64EEEvPT0_PKT_iiiPKbib
; %bb.0:
	s_clause 0x1
	s_load_b32 s2, s[0:1], 0x3c
	s_load_b256 s[4:11], s[0:1], 0x0
	v_bfe_u32 v1, v0, 10, 10
	v_and_b32_e32 v2, 0x3ff, v0
	v_mov_b32_e32 v5, 0xff800000
	s_waitcnt lgkmcnt(0)
	s_lshr_b32 s0, s2, 16
	s_delay_alu instid0(VALU_DEP_2) | instskip(SKIP_1) | instid1(SALU_CYCLE_1)
	v_cmp_gt_i32_e32 vcc_lo, s10, v2
	s_mul_i32 s15, s15, s0
	v_add_lshl_u32 v3, s15, v1, 1
	s_delay_alu instid0(VALU_DEP_1) | instskip(SKIP_1) | instid1(VALU_DEP_1)
	v_mad_u64_u32 v[0:1], null, v3, s9, v[2:3]
	v_sub_nc_u32_e32 v4, s8, v3
	v_cmp_lt_i32_e64 s0, 0, v4
	s_delay_alu instid0(VALU_DEP_3) | instskip(NEXT) | instid1(VALU_DEP_2)
	v_ashrrev_i32_e32 v1, 31, v0
	s_and_b32 s2, vcc_lo, s0
	s_delay_alu instid0(VALU_DEP_1) | instskip(NEXT) | instid1(VALU_DEP_1)
	v_lshlrev_b64 v[6:7], 1, v[0:1]
	v_add_co_u32 v2, s1, s6, v6
	v_mov_b32_e32 v6, 0xff800000
	s_delay_alu instid0(VALU_DEP_3)
	v_add_co_ci_u32_e64 v3, s1, s7, v7, s1
	s_and_saveexec_b32 s1, s2
	s_cbranch_execz .LBB178_2
; %bb.1:
	global_load_u16 v6, v[2:3], off
	s_waitcnt vmcnt(0)
	v_lshlrev_b32_e32 v6, 16, v6
.LBB178_2:
	s_or_b32 exec_lo, exec_lo, s1
	v_cmp_lt_i32_e64 s1, 1, v4
	s_delay_alu instid0(VALU_DEP_1) | instskip(NEXT) | instid1(SALU_CYCLE_1)
	s_and_b32 s1, vcc_lo, s1
	s_and_saveexec_b32 s2, s1
	s_cbranch_execz .LBB178_4
; %bb.3:
	s_mov_b32 s11, 0
	s_delay_alu instid0(SALU_CYCLE_1) | instskip(NEXT) | instid1(SALU_CYCLE_1)
	s_lshl_b64 s[6:7], s[10:11], 1
	v_add_co_u32 v2, s1, v2, s6
	s_delay_alu instid0(VALU_DEP_1)
	v_add_co_ci_u32_e64 v3, s1, s7, v3, s1
	global_load_u16 v2, v[2:3], off
	s_waitcnt vmcnt(0)
	v_lshlrev_b32_e32 v5, 16, v2
.LBB178_4:
	s_or_b32 exec_lo, exec_lo, s2
	v_mbcnt_lo_u32_b32 v2, -1, 0
	s_delay_alu instid0(VALU_DEP_1)
	v_or_b32_e32 v3, 32, v2
	v_xor_b32_e32 v9, 16, v2
	v_xor_b32_e32 v12, 8, v2
	;; [unrolled: 1-line block ×4, first 2 shown]
	v_cmp_gt_i32_e64 s1, 64, v3
	v_xor_b32_e32 v15, 1, v2
	s_delay_alu instid0(VALU_DEP_2) | instskip(SKIP_1) | instid1(VALU_DEP_2)
	v_cndmask_b32_e64 v3, v2, v3, s1
	v_cmp_gt_i32_e64 s1, 64, v9
	v_lshlrev_b32_e32 v7, 2, v3
	s_delay_alu instid0(VALU_DEP_2)
	v_cndmask_b32_e64 v9, v2, v9, s1
	ds_bpermute_b32 v3, v7, v6
	ds_bpermute_b32 v8, v7, v5
	v_lshlrev_b32_e32 v9, 2, v9
	s_waitcnt lgkmcnt(1)
	v_cmp_lt_f32_e64 s1, v6, v3
	s_delay_alu instid0(VALU_DEP_1)
	v_cndmask_b32_e64 v3, v6, v3, s1
	s_waitcnt lgkmcnt(0)
	v_cmp_lt_f32_e64 s1, v5, v8
	ds_bpermute_b32 v10, v9, v3
	v_cndmask_b32_e64 v8, v5, v8, s1
	v_cmp_gt_i32_e64 s1, 64, v12
	ds_bpermute_b32 v11, v9, v8
	v_cndmask_b32_e64 v12, v2, v12, s1
	s_delay_alu instid0(VALU_DEP_1) | instskip(SKIP_2) | instid1(VALU_DEP_1)
	v_lshlrev_b32_e32 v12, 2, v12
	s_waitcnt lgkmcnt(1)
	v_cmp_lt_f32_e64 s1, v3, v10
	v_cndmask_b32_e64 v3, v3, v10, s1
	s_waitcnt lgkmcnt(0)
	v_cmp_lt_f32_e64 s1, v8, v11
	ds_bpermute_b32 v10, v12, v3
	v_cndmask_b32_e64 v8, v8, v11, s1
	v_cmp_gt_i32_e64 s1, 64, v13
	ds_bpermute_b32 v11, v12, v8
	v_cndmask_b32_e64 v13, v2, v13, s1
	s_delay_alu instid0(VALU_DEP_1) | instskip(SKIP_2) | instid1(VALU_DEP_1)
	v_lshlrev_b32_e32 v13, 2, v13
	s_waitcnt lgkmcnt(1)
	v_cmp_lt_f32_e64 s1, v3, v10
	;; [unrolled: 12-line block ×4, first 2 shown]
	v_cndmask_b32_e64 v2, v3, v10, s1
	s_waitcnt lgkmcnt(0)
	v_cmp_lt_f32_e64 s1, v8, v11
	s_delay_alu instid0(VALU_DEP_1) | instskip(SKIP_4) | instid1(VALU_DEP_1)
	v_cndmask_b32_e64 v3, v8, v11, s1
	ds_bpermute_b32 v8, v15, v2
	ds_bpermute_b32 v10, v15, v3
	s_waitcnt lgkmcnt(1)
	v_cmp_lt_f32_e64 s1, v2, v8
	v_cndmask_b32_e64 v2, v2, v8, s1
	s_waitcnt lgkmcnt(0)
	v_cmp_lt_f32_e64 s1, v3, v10
	s_delay_alu instid0(VALU_DEP_1) | instskip(NEXT) | instid1(VALU_DEP_1)
	v_cndmask_b32_e64 v8, v3, v10, s1
	v_dual_sub_f32 v3, v6, v2 :: v_dual_sub_f32 v2, v5, v8
	s_delay_alu instid0(VALU_DEP_1) | instskip(SKIP_1) | instid1(VALU_DEP_3)
	v_mul_f32_e32 v5, 0x3fb8aa3b, v3
	v_cmp_ngt_f32_e64 s1, 0xc2ce8ed0, v3
	v_mul_f32_e32 v6, 0x3fb8aa3b, v2
	s_delay_alu instid0(VALU_DEP_3) | instskip(SKIP_1) | instid1(VALU_DEP_3)
	v_fma_f32 v8, 0x3fb8aa3b, v3, -v5
	v_rndne_f32_e32 v10, v5
	v_fma_f32 v11, 0x3fb8aa3b, v2, -v6
	v_rndne_f32_e32 v16, v6
	s_delay_alu instid0(VALU_DEP_2) | instskip(NEXT) | instid1(VALU_DEP_2)
	v_dual_fmac_f32 v8, 0x32a5705f, v3 :: v_dual_fmac_f32 v11, 0x32a5705f, v2
	v_dual_sub_f32 v6, v6, v16 :: v_dual_sub_f32 v5, v5, v10
	s_delay_alu instid0(VALU_DEP_1) | instskip(SKIP_2) | instid1(VALU_DEP_3)
	v_dual_add_f32 v6, v6, v11 :: v_dual_add_f32 v5, v5, v8
	v_cvt_i32_f32_e32 v8, v10
	v_cvt_i32_f32_e32 v10, v16
	v_exp_f32_e32 v6, v6
	s_delay_alu instid0(VALU_DEP_3) | instskip(SKIP_3) | instid1(VALU_DEP_1)
	v_exp_f32_e32 v5, v5
	s_waitcnt_depctr 0xfff
	v_ldexp_f32 v6, v6, v10
	v_ldexp_f32 v5, v5, v8
	v_cndmask_b32_e64 v5, 0, v5, s1
	v_cmp_ngt_f32_e64 s1, 0xc2ce8ed0, v2
	s_delay_alu instid0(VALU_DEP_1) | instskip(SKIP_1) | instid1(VALU_DEP_1)
	v_cndmask_b32_e64 v6, 0, v6, s1
	v_cmp_nlt_f32_e64 s1, 0x42b17218, v3
	v_cndmask_b32_e64 v5, 0x7f800000, v5, s1
	v_cmp_nlt_f32_e64 s1, 0x42b17218, v2
	ds_bpermute_b32 v8, v7, v5
	v_cndmask_b32_e64 v6, 0x7f800000, v6, s1
	ds_bpermute_b32 v7, v7, v6
	s_waitcnt lgkmcnt(0)
	v_dual_add_f32 v5, v5, v8 :: v_dual_add_f32 v6, v6, v7
	ds_bpermute_b32 v7, v9, v5
	ds_bpermute_b32 v8, v9, v6
	s_waitcnt lgkmcnt(0)
	v_dual_add_f32 v5, v5, v7 :: v_dual_add_f32 v6, v6, v8
	ds_bpermute_b32 v7, v12, v5
	;; [unrolled: 4-line block ×4, first 2 shown]
	ds_bpermute_b32 v8, v14, v6
	s_waitcnt lgkmcnt(1)
	v_add_f32_e32 v7, v5, v7
	s_waitcnt lgkmcnt(0)
	v_add_f32_e32 v5, v6, v8
	ds_bpermute_b32 v8, v15, v7
	ds_bpermute_b32 v6, v15, v5
	s_and_saveexec_b32 s1, s0
	s_cbranch_execz .LBB178_10
; %bb.5:
	v_lshlrev_b64 v[0:1], 2, v[0:1]
	s_delay_alu instid0(VALU_DEP_1) | instskip(NEXT) | instid1(VALU_DEP_1)
	v_add_co_u32 v0, s0, s4, v0
	v_add_co_ci_u32_e64 v1, s0, s5, v1, s0
	s_and_saveexec_b32 s2, vcc_lo
	s_cbranch_execz .LBB178_7
; %bb.6:
	s_waitcnt lgkmcnt(1)
	v_add_f32_e32 v7, v7, v8
	s_delay_alu instid0(VALU_DEP_1) | instskip(NEXT) | instid1(VALU_DEP_1)
	v_cmp_gt_f32_e64 s0, 0x800000, v7
	v_cndmask_b32_e64 v8, 1.0, 0x4f800000, s0
	s_delay_alu instid0(VALU_DEP_1) | instskip(NEXT) | instid1(VALU_DEP_1)
	v_mul_f32_e32 v7, v7, v8
	v_log_f32_e32 v7, v7
	s_waitcnt_depctr 0xfff
	v_mul_f32_e32 v8, 0x3f317217, v7
	v_cmp_gt_f32_e64 s1, 0x7f800000, |v7|
	s_delay_alu instid0(VALU_DEP_2) | instskip(NEXT) | instid1(VALU_DEP_1)
	v_fma_f32 v9, 0x3f317217, v7, -v8
	v_fmamk_f32 v9, v7, 0x3377d1cf, v9
	s_delay_alu instid0(VALU_DEP_1) | instskip(NEXT) | instid1(VALU_DEP_1)
	v_add_f32_e32 v8, v8, v9
	v_cndmask_b32_e64 v7, v7, v8, s1
	v_cndmask_b32_e64 v8, 0, 0x41b17218, s0
	s_delay_alu instid0(VALU_DEP_1) | instskip(NEXT) | instid1(VALU_DEP_1)
	v_sub_f32_e32 v7, v7, v8
	v_sub_f32_e32 v3, v3, v7
	global_store_b32 v[0:1], v3, off
.LBB178_7:
	s_or_b32 exec_lo, exec_lo, s2
	v_cmp_ne_u32_e64 s0, 1, v4
	s_delay_alu instid0(VALU_DEP_1)
	s_and_b32 exec_lo, exec_lo, s0
	s_cbranch_execz .LBB178_10
; %bb.8:
	s_and_b32 exec_lo, exec_lo, vcc_lo
	s_cbranch_execz .LBB178_10
; %bb.9:
	s_waitcnt lgkmcnt(0)
	v_add_f32_e32 v3, v5, v6
	s_mov_b32 s11, 0
	s_delay_alu instid0(SALU_CYCLE_1) | instskip(NEXT) | instid1(VALU_DEP_1)
	s_lshl_b64 s[0:1], s[10:11], 2
	v_cmp_gt_f32_e32 vcc_lo, 0x800000, v3
	v_cndmask_b32_e64 v4, 1.0, 0x4f800000, vcc_lo
	s_delay_alu instid0(VALU_DEP_1) | instskip(NEXT) | instid1(VALU_DEP_1)
	v_mul_f32_e32 v3, v3, v4
	v_log_f32_e32 v3, v3
	s_waitcnt_depctr 0xfff
	v_mul_f32_e32 v4, 0x3f317217, v3
	s_delay_alu instid0(VALU_DEP_1) | instskip(NEXT) | instid1(VALU_DEP_1)
	v_fma_f32 v5, 0x3f317217, v3, -v4
	v_fmamk_f32 v5, v3, 0x3377d1cf, v5
	s_delay_alu instid0(VALU_DEP_1) | instskip(SKIP_2) | instid1(VALU_DEP_3)
	v_add_f32_e32 v4, v4, v5
	v_cndmask_b32_e64 v5, 0, 0x41b17218, vcc_lo
	v_cmp_gt_f32_e64 vcc_lo, 0x7f800000, |v3|
	v_cndmask_b32_e32 v3, v3, v4, vcc_lo
	v_add_co_u32 v0, vcc_lo, v0, s0
	v_add_co_ci_u32_e32 v1, vcc_lo, s1, v1, vcc_lo
	s_delay_alu instid0(VALU_DEP_3) | instskip(NEXT) | instid1(VALU_DEP_1)
	v_sub_f32_e32 v3, v3, v5
	v_sub_f32_e32 v2, v2, v3
	global_store_b32 v[0:1], v2, off
.LBB178_10:
	s_nop 0
	s_sendmsg sendmsg(MSG_DEALLOC_VGPRS)
	s_endpgm
	.section	.rodata,"a",@progbits
	.p2align	6, 0x0
	.amdhsa_kernel _ZN12_GLOBAL__N_120softmax_warp_forwardIN3c108BFloat16EffLi6ELb1ELb0ELi64EEEvPT0_PKT_iiiPKbib
		.amdhsa_group_segment_fixed_size 0
		.amdhsa_private_segment_fixed_size 0
		.amdhsa_kernarg_size 304
		.amdhsa_user_sgpr_count 15
		.amdhsa_user_sgpr_dispatch_ptr 0
		.amdhsa_user_sgpr_queue_ptr 0
		.amdhsa_user_sgpr_kernarg_segment_ptr 1
		.amdhsa_user_sgpr_dispatch_id 0
		.amdhsa_user_sgpr_private_segment_size 0
		.amdhsa_wavefront_size32 1
		.amdhsa_uses_dynamic_stack 0
		.amdhsa_enable_private_segment 0
		.amdhsa_system_sgpr_workgroup_id_x 1
		.amdhsa_system_sgpr_workgroup_id_y 0
		.amdhsa_system_sgpr_workgroup_id_z 0
		.amdhsa_system_sgpr_workgroup_info 0
		.amdhsa_system_vgpr_workitem_id 1
		.amdhsa_next_free_vgpr 17
		.amdhsa_next_free_sgpr 16
		.amdhsa_reserve_vcc 1
		.amdhsa_float_round_mode_32 0
		.amdhsa_float_round_mode_16_64 0
		.amdhsa_float_denorm_mode_32 3
		.amdhsa_float_denorm_mode_16_64 3
		.amdhsa_dx10_clamp 1
		.amdhsa_ieee_mode 1
		.amdhsa_fp16_overflow 0
		.amdhsa_workgroup_processor_mode 1
		.amdhsa_memory_ordered 1
		.amdhsa_forward_progress 0
		.amdhsa_shared_vgpr_count 0
		.amdhsa_exception_fp_ieee_invalid_op 0
		.amdhsa_exception_fp_denorm_src 0
		.amdhsa_exception_fp_ieee_div_zero 0
		.amdhsa_exception_fp_ieee_overflow 0
		.amdhsa_exception_fp_ieee_underflow 0
		.amdhsa_exception_fp_ieee_inexact 0
		.amdhsa_exception_int_div_zero 0
	.end_amdhsa_kernel
	.section	.text._ZN12_GLOBAL__N_120softmax_warp_forwardIN3c108BFloat16EffLi6ELb1ELb0ELi64EEEvPT0_PKT_iiiPKbib,"axG",@progbits,_ZN12_GLOBAL__N_120softmax_warp_forwardIN3c108BFloat16EffLi6ELb1ELb0ELi64EEEvPT0_PKT_iiiPKbib,comdat
.Lfunc_end178:
	.size	_ZN12_GLOBAL__N_120softmax_warp_forwardIN3c108BFloat16EffLi6ELb1ELb0ELi64EEEvPT0_PKT_iiiPKbib, .Lfunc_end178-_ZN12_GLOBAL__N_120softmax_warp_forwardIN3c108BFloat16EffLi6ELb1ELb0ELi64EEEvPT0_PKT_iiiPKbib
                                        ; -- End function
	.section	.AMDGPU.csdata,"",@progbits
; Kernel info:
; codeLenInByte = 1560
; NumSgprs: 18
; NumVgprs: 17
; ScratchSize: 0
; MemoryBound: 0
; FloatMode: 240
; IeeeMode: 1
; LDSByteSize: 0 bytes/workgroup (compile time only)
; SGPRBlocks: 2
; VGPRBlocks: 2
; NumSGPRsForWavesPerEU: 18
; NumVGPRsForWavesPerEU: 17
; Occupancy: 16
; WaveLimiterHint : 0
; COMPUTE_PGM_RSRC2:SCRATCH_EN: 0
; COMPUTE_PGM_RSRC2:USER_SGPR: 15
; COMPUTE_PGM_RSRC2:TRAP_HANDLER: 0
; COMPUTE_PGM_RSRC2:TGID_X_EN: 1
; COMPUTE_PGM_RSRC2:TGID_Y_EN: 0
; COMPUTE_PGM_RSRC2:TGID_Z_EN: 0
; COMPUTE_PGM_RSRC2:TIDIG_COMP_CNT: 1
	.section	.text._ZN12_GLOBAL__N_120softmax_warp_forwardIN3c108BFloat16EffLi6ELb1ELb0ELi32EEEvPT0_PKT_iiiPKbib,"axG",@progbits,_ZN12_GLOBAL__N_120softmax_warp_forwardIN3c108BFloat16EffLi6ELb1ELb0ELi32EEEvPT0_PKT_iiiPKbib,comdat
	.globl	_ZN12_GLOBAL__N_120softmax_warp_forwardIN3c108BFloat16EffLi6ELb1ELb0ELi32EEEvPT0_PKT_iiiPKbib ; -- Begin function _ZN12_GLOBAL__N_120softmax_warp_forwardIN3c108BFloat16EffLi6ELb1ELb0ELi32EEEvPT0_PKT_iiiPKbib
	.p2align	8
	.type	_ZN12_GLOBAL__N_120softmax_warp_forwardIN3c108BFloat16EffLi6ELb1ELb0ELi32EEEvPT0_PKT_iiiPKbib,@function
_ZN12_GLOBAL__N_120softmax_warp_forwardIN3c108BFloat16EffLi6ELb1ELb0ELi32EEEvPT0_PKT_iiiPKbib: ; @_ZN12_GLOBAL__N_120softmax_warp_forwardIN3c108BFloat16EffLi6ELb1ELb0ELi32EEEvPT0_PKT_iiiPKbib
; %bb.0:
	s_clause 0x1
	s_load_b32 s2, s[0:1], 0x3c
	s_load_b256 s[4:11], s[0:1], 0x0
	v_bfe_u32 v1, v0, 10, 10
	v_and_b32_e32 v4, 0x3ff, v0
	v_dual_mov_b32 v6, 0xff800000 :: v_dual_mov_b32 v7, 0xff800000
	s_waitcnt lgkmcnt(0)
	s_lshr_b32 s0, s2, 16
	s_delay_alu instid0(SALU_CYCLE_1) | instskip(SKIP_2) | instid1(VALU_DEP_1)
	s_mul_i32 s15, s15, s0
	v_cmp_gt_i32_e64 s0, s10, v4
	v_add_lshl_u32 v2, s15, v1, 1
	v_mad_u64_u32 v[0:1], null, v2, s9, v[4:5]
	v_sub_nc_u32_e32 v5, s8, v2
	s_delay_alu instid0(VALU_DEP_1) | instskip(NEXT) | instid1(VALU_DEP_3)
	v_cmp_lt_i32_e64 s1, 0, v5
	v_ashrrev_i32_e32 v1, 31, v0
	s_delay_alu instid0(VALU_DEP_2) | instskip(NEXT) | instid1(VALU_DEP_1)
	s_and_b32 s3, s1, s0
	v_lshlrev_b64 v[2:3], 1, v[0:1]
	s_delay_alu instid0(VALU_DEP_1) | instskip(NEXT) | instid1(VALU_DEP_2)
	v_add_co_u32 v2, vcc_lo, s6, v2
	v_add_co_ci_u32_e32 v3, vcc_lo, s7, v3, vcc_lo
	s_and_saveexec_b32 s2, s3
	s_cbranch_execz .LBB179_2
; %bb.1:
	global_load_u16 v7, v[2:3], off
	s_waitcnt vmcnt(0)
	v_lshlrev_b32_e32 v7, 16, v7
.LBB179_2:
	s_or_b32 exec_lo, exec_lo, s2
	v_add_nc_u32_e32 v4, 32, v4
	s_delay_alu instid0(VALU_DEP_1) | instskip(SKIP_1) | instid1(SALU_CYCLE_1)
	v_cmp_gt_i32_e32 vcc_lo, s10, v4
	s_and_b32 s3, s1, vcc_lo
	s_and_saveexec_b32 s2, s3
	s_cbranch_execz .LBB179_4
; %bb.3:
	global_load_u16 v4, v[2:3], off offset:64
	s_waitcnt vmcnt(0)
	v_lshlrev_b32_e32 v6, 16, v4
.LBB179_4:
	s_or_b32 exec_lo, exec_lo, s2
	v_cmp_lt_i32_e64 s2, 1, v5
	v_mov_b32_e32 v4, 0xff800000
	v_mov_b32_e32 v8, 0xff800000
	s_delay_alu instid0(VALU_DEP_3) | instskip(NEXT) | instid1(SALU_CYCLE_1)
	s_and_b32 s3, s2, s0
	s_and_saveexec_b32 s6, s3
	s_cbranch_execz .LBB179_6
; %bb.5:
	s_mov_b32 s11, 0
	s_delay_alu instid0(SALU_CYCLE_1) | instskip(NEXT) | instid1(SALU_CYCLE_1)
	s_lshl_b64 s[8:9], s[10:11], 1
	v_add_co_u32 v8, s3, v2, s8
	s_delay_alu instid0(VALU_DEP_1)
	v_add_co_ci_u32_e64 v9, s3, s9, v3, s3
	global_load_u16 v8, v[8:9], off
	s_waitcnt vmcnt(0)
	v_lshlrev_b32_e32 v8, 16, v8
.LBB179_6:
	s_or_b32 exec_lo, exec_lo, s6
	s_and_b32 s2, s2, vcc_lo
	s_delay_alu instid0(SALU_CYCLE_1)
	s_and_saveexec_b32 s3, s2
	s_cbranch_execz .LBB179_8
; %bb.7:
	s_mov_b32 s11, 0
	s_delay_alu instid0(SALU_CYCLE_1) | instskip(NEXT) | instid1(SALU_CYCLE_1)
	s_lshl_b64 s[6:7], s[10:11], 1
	v_add_co_u32 v2, s2, v2, s6
	s_delay_alu instid0(VALU_DEP_1)
	v_add_co_ci_u32_e64 v3, s2, s7, v3, s2
	global_load_u16 v2, v[2:3], off offset:64
	s_waitcnt vmcnt(0)
	v_lshlrev_b32_e32 v4, 16, v2
.LBB179_8:
	s_or_b32 exec_lo, exec_lo, s3
	v_mbcnt_lo_u32_b32 v2, -1, 0
	s_delay_alu instid0(VALU_DEP_1)
	v_xor_b32_e32 v3, 16, v2
	v_xor_b32_e32 v13, 8, v2
	v_xor_b32_e32 v14, 4, v2
	v_xor_b32_e32 v15, 2, v2
	v_xor_b32_e32 v16, 1, v2
	v_cmp_gt_i32_e64 s2, 32, v3
	s_delay_alu instid0(VALU_DEP_1) | instskip(SKIP_1) | instid1(VALU_DEP_2)
	v_cndmask_b32_e64 v3, v2, v3, s2
	v_cmp_gt_f32_e64 s2, v7, v6
	v_lshlrev_b32_e32 v10, 2, v3
	s_delay_alu instid0(VALU_DEP_2)
	v_cndmask_b32_e64 v9, v6, v7, s2
	v_cmp_gt_f32_e64 s2, v8, v4
	ds_bpermute_b32 v11, v10, v9
	v_cndmask_b32_e64 v3, v4, v8, s2
	v_cmp_gt_i32_e64 s2, 32, v13
	ds_bpermute_b32 v12, v10, v3
	v_cndmask_b32_e64 v13, v2, v13, s2
	s_delay_alu instid0(VALU_DEP_1) | instskip(SKIP_2) | instid1(VALU_DEP_1)
	v_lshlrev_b32_e32 v13, 2, v13
	s_waitcnt lgkmcnt(1)
	v_cmp_lt_f32_e64 s2, v9, v11
	v_cndmask_b32_e64 v9, v9, v11, s2
	s_waitcnt lgkmcnt(0)
	v_cmp_lt_f32_e64 s2, v3, v12
	ds_bpermute_b32 v11, v13, v9
	v_cndmask_b32_e64 v3, v3, v12, s2
	v_cmp_gt_i32_e64 s2, 32, v14
	ds_bpermute_b32 v12, v13, v3
	v_cndmask_b32_e64 v14, v2, v14, s2
	s_delay_alu instid0(VALU_DEP_1) | instskip(SKIP_2) | instid1(VALU_DEP_1)
	v_lshlrev_b32_e32 v14, 2, v14
	s_waitcnt lgkmcnt(1)
	v_cmp_lt_f32_e64 s2, v9, v11
	v_cndmask_b32_e64 v9, v9, v11, s2
	s_waitcnt lgkmcnt(0)
	v_cmp_lt_f32_e64 s2, v3, v12
	;; [unrolled: 12-line block ×4, first 2 shown]
	ds_bpermute_b32 v9, v16, v2
	v_cndmask_b32_e64 v3, v3, v12, s2
	ds_bpermute_b32 v11, v16, v3
	s_waitcnt lgkmcnt(1)
	v_cmp_lt_f32_e64 s2, v2, v9
	s_delay_alu instid0(VALU_DEP_1) | instskip(SKIP_2) | instid1(VALU_DEP_2)
	v_cndmask_b32_e64 v2, v2, v9, s2
	s_waitcnt lgkmcnt(0)
	v_cmp_lt_f32_e64 s2, v3, v11
	v_sub_f32_e32 v7, v7, v2
	s_delay_alu instid0(VALU_DEP_2) | instskip(SKIP_1) | instid1(VALU_DEP_3)
	v_cndmask_b32_e64 v3, v3, v11, s2
	v_sub_f32_e32 v6, v6, v2
	v_cmp_ngt_f32_e64 s2, 0xc2ce8ed0, v7
	s_delay_alu instid0(VALU_DEP_3) | instskip(SKIP_3) | instid1(VALU_DEP_4)
	v_sub_f32_e32 v2, v8, v3
	v_sub_f32_e32 v3, v4, v3
	v_mul_f32_e32 v4, 0x3fb8aa3b, v7
	v_mul_f32_e32 v8, 0x3fb8aa3b, v6
	;; [unrolled: 1-line block ×3, first 2 shown]
	s_delay_alu instid0(VALU_DEP_4) | instskip(NEXT) | instid1(VALU_DEP_4)
	v_mul_f32_e32 v11, 0x3fb8aa3b, v3
	v_fma_f32 v12, 0x3fb8aa3b, v7, -v4
	v_rndne_f32_e32 v17, v4
	v_fma_f32 v18, 0x3fb8aa3b, v6, -v8
	v_fma_f32 v20, 0x3fb8aa3b, v2, -v9
	v_rndne_f32_e32 v21, v9
	v_rndne_f32_e32 v19, v8
	v_fma_f32 v22, 0x3fb8aa3b, v3, -v11
	v_rndne_f32_e32 v23, v11
	v_sub_f32_e32 v4, v4, v17
	v_dual_sub_f32 v9, v9, v21 :: v_dual_fmac_f32 v20, 0x32a5705f, v2
	v_fmac_f32_e32 v12, 0x32a5705f, v7
	v_fmac_f32_e32 v18, 0x32a5705f, v6
	;; [unrolled: 1-line block ×3, first 2 shown]
	v_sub_f32_e32 v11, v11, v23
	v_dual_sub_f32 v8, v8, v19 :: v_dual_add_f32 v9, v9, v20
	v_add_f32_e32 v4, v4, v12
	v_cvt_i32_f32_e32 v12, v17
	s_delay_alu instid0(VALU_DEP_4) | instskip(NEXT) | instid1(VALU_DEP_4)
	v_add_f32_e32 v11, v11, v22
	v_add_f32_e32 v8, v8, v18
	v_exp_f32_e32 v9, v9
	v_exp_f32_e32 v4, v4
	v_cvt_i32_f32_e32 v17, v19
	v_exp_f32_e32 v11, v11
	v_exp_f32_e32 v8, v8
	v_cvt_i32_f32_e32 v18, v21
	v_cvt_i32_f32_e32 v19, v23
	s_delay_alu instid0(VALU_DEP_2) | instskip(NEXT) | instid1(TRANS32_DEP_3)
	v_ldexp_f32 v9, v9, v18
	v_ldexp_f32 v4, v4, v12
	s_waitcnt_depctr 0xfff
	v_ldexp_f32 v11, v11, v19
	v_ldexp_f32 v8, v8, v17
	v_cndmask_b32_e64 v4, 0, v4, s2
	v_cmp_ngt_f32_e64 s2, 0xc2ce8ed0, v6
	s_delay_alu instid0(VALU_DEP_1) | instskip(SKIP_1) | instid1(VALU_DEP_1)
	v_cndmask_b32_e64 v8, 0, v8, s2
	v_cmp_ngt_f32_e64 s2, 0xc2ce8ed0, v2
	v_cndmask_b32_e64 v9, 0, v9, s2
	v_cmp_ngt_f32_e64 s2, 0xc2ce8ed0, v3
	s_delay_alu instid0(VALU_DEP_1) | instskip(SKIP_1) | instid1(VALU_DEP_1)
	v_cndmask_b32_e64 v11, 0, v11, s2
	v_cmp_nlt_f32_e64 s2, 0x42b17218, v7
	v_cndmask_b32_e64 v4, 0x7f800000, v4, s2
	v_cmp_nlt_f32_e64 s2, 0x42b17218, v6
	s_delay_alu instid0(VALU_DEP_1) | instskip(SKIP_1) | instid1(VALU_DEP_2)
	v_cndmask_b32_e64 v8, 0x7f800000, v8, s2
	v_cmp_nlt_f32_e64 s2, 0x42b17218, v2
	v_add_f32_e32 v4, v4, v8
	s_delay_alu instid0(VALU_DEP_2) | instskip(SKIP_1) | instid1(VALU_DEP_1)
	v_cndmask_b32_e64 v9, 0x7f800000, v9, s2
	v_cmp_nlt_f32_e64 s2, 0x42b17218, v3
	v_cndmask_b32_e64 v11, 0x7f800000, v11, s2
	s_delay_alu instid0(VALU_DEP_1)
	v_add_f32_e32 v8, v9, v11
	ds_bpermute_b32 v9, v10, v4
	ds_bpermute_b32 v10, v10, v8
	s_waitcnt lgkmcnt(1)
	v_add_f32_e32 v4, v4, v9
	s_waitcnt lgkmcnt(0)
	v_add_f32_e32 v8, v8, v10
	ds_bpermute_b32 v9, v13, v4
	ds_bpermute_b32 v10, v13, v8
	s_waitcnt lgkmcnt(1)
	v_add_f32_e32 v4, v4, v9
	s_waitcnt lgkmcnt(0)
	;; [unrolled: 6-line block ×4, first 2 shown]
	v_add_f32_e32 v4, v8, v10
	ds_bpermute_b32 v10, v16, v9
	ds_bpermute_b32 v8, v16, v4
	s_and_saveexec_b32 s2, s1
	s_cbranch_execz .LBB179_16
; %bb.9:
	v_lshlrev_b64 v[0:1], 2, v[0:1]
	s_delay_alu instid0(VALU_DEP_1) | instskip(NEXT) | instid1(VALU_DEP_1)
	v_add_co_u32 v0, s1, s4, v0
	v_add_co_ci_u32_e64 v1, s1, s5, v1, s1
	s_and_saveexec_b32 s3, s0
	s_cbranch_execz .LBB179_12
; %bb.10:
	s_waitcnt lgkmcnt(1)
	v_add_f32_e32 v9, v9, v10
	s_delay_alu instid0(VALU_DEP_1) | instskip(NEXT) | instid1(VALU_DEP_1)
	v_cmp_gt_f32_e64 s1, 0x800000, v9
	v_cndmask_b32_e64 v10, 1.0, 0x4f800000, s1
	s_delay_alu instid0(VALU_DEP_1) | instskip(NEXT) | instid1(VALU_DEP_1)
	v_mul_f32_e32 v9, v9, v10
	v_log_f32_e32 v9, v9
	s_waitcnt_depctr 0xfff
	v_mul_f32_e32 v10, 0x3f317217, v9
	v_cmp_gt_f32_e64 s2, 0x7f800000, |v9|
	s_delay_alu instid0(VALU_DEP_2) | instskip(NEXT) | instid1(VALU_DEP_1)
	v_fma_f32 v11, 0x3f317217, v9, -v10
	v_fmamk_f32 v11, v9, 0x3377d1cf, v11
	s_delay_alu instid0(VALU_DEP_1) | instskip(NEXT) | instid1(VALU_DEP_1)
	v_add_f32_e32 v10, v10, v11
	v_cndmask_b32_e64 v9, v9, v10, s2
	v_cndmask_b32_e64 v10, 0, 0x41b17218, s1
	s_delay_alu instid0(VALU_DEP_1) | instskip(NEXT) | instid1(VALU_DEP_1)
	v_sub_f32_e32 v9, v9, v10
	v_sub_f32_e32 v7, v7, v9
	global_store_b32 v[0:1], v7, off
	s_and_b32 exec_lo, exec_lo, vcc_lo
	s_cbranch_execz .LBB179_12
; %bb.11:
	v_sub_f32_e32 v6, v6, v9
	global_store_b32 v[0:1], v6, off offset:128
.LBB179_12:
	s_or_b32 exec_lo, exec_lo, s3
	v_cmp_ne_u32_e64 s1, 1, v5
	s_delay_alu instid0(VALU_DEP_1)
	s_and_b32 exec_lo, exec_lo, s1
	s_cbranch_execz .LBB179_16
; %bb.13:
	s_and_b32 exec_lo, exec_lo, s0
	s_cbranch_execz .LBB179_16
; %bb.14:
	s_waitcnt lgkmcnt(0)
	v_add_f32_e32 v4, v4, v8
	s_mov_b32 s11, 0
	s_delay_alu instid0(VALU_DEP_1) | instskip(NEXT) | instid1(VALU_DEP_1)
	v_cmp_gt_f32_e64 s0, 0x800000, v4
	v_cndmask_b32_e64 v5, 1.0, 0x4f800000, s0
	s_delay_alu instid0(VALU_DEP_1) | instskip(NEXT) | instid1(VALU_DEP_1)
	v_mul_f32_e32 v4, v4, v5
	v_log_f32_e32 v4, v4
	s_waitcnt_depctr 0xfff
	v_mul_f32_e32 v5, 0x3f317217, v4
	s_delay_alu instid0(VALU_DEP_1) | instskip(NEXT) | instid1(VALU_DEP_1)
	v_fma_f32 v6, 0x3f317217, v4, -v5
	v_fmamk_f32 v6, v4, 0x3377d1cf, v6
	s_delay_alu instid0(VALU_DEP_1) | instskip(SKIP_2) | instid1(VALU_DEP_1)
	v_add_f32_e32 v5, v5, v6
	v_cndmask_b32_e64 v6, 0, 0x41b17218, s0
	v_cmp_gt_f32_e64 s0, 0x7f800000, |v4|
	v_cndmask_b32_e64 v4, v4, v5, s0
	s_lshl_b64 s[0:1], s[10:11], 2
	s_delay_alu instid0(SALU_CYCLE_1) | instskip(NEXT) | instid1(VALU_DEP_2)
	v_add_co_u32 v5, s0, v0, s0
	v_sub_f32_e32 v4, v4, v6
	v_add_co_ci_u32_e64 v6, s0, s1, v1, s0
	s_delay_alu instid0(VALU_DEP_2)
	v_sub_f32_e32 v2, v2, v4
	global_store_b32 v[5:6], v2, off
	s_and_b32 exec_lo, exec_lo, vcc_lo
	s_cbranch_execz .LBB179_16
; %bb.15:
	s_ashr_i32 s11, s10, 31
	v_sub_f32_e32 v2, v3, v4
	s_lshl_b64 s[0:1], s[10:11], 2
	s_delay_alu instid0(SALU_CYCLE_1)
	v_add_co_u32 v0, vcc_lo, v0, s0
	v_add_co_ci_u32_e32 v1, vcc_lo, s1, v1, vcc_lo
	global_store_b32 v[0:1], v2, off offset:128
.LBB179_16:
	s_nop 0
	s_sendmsg sendmsg(MSG_DEALLOC_VGPRS)
	s_endpgm
	.section	.rodata,"a",@progbits
	.p2align	6, 0x0
	.amdhsa_kernel _ZN12_GLOBAL__N_120softmax_warp_forwardIN3c108BFloat16EffLi6ELb1ELb0ELi32EEEvPT0_PKT_iiiPKbib
		.amdhsa_group_segment_fixed_size 0
		.amdhsa_private_segment_fixed_size 0
		.amdhsa_kernarg_size 304
		.amdhsa_user_sgpr_count 15
		.amdhsa_user_sgpr_dispatch_ptr 0
		.amdhsa_user_sgpr_queue_ptr 0
		.amdhsa_user_sgpr_kernarg_segment_ptr 1
		.amdhsa_user_sgpr_dispatch_id 0
		.amdhsa_user_sgpr_private_segment_size 0
		.amdhsa_wavefront_size32 1
		.amdhsa_uses_dynamic_stack 0
		.amdhsa_enable_private_segment 0
		.amdhsa_system_sgpr_workgroup_id_x 1
		.amdhsa_system_sgpr_workgroup_id_y 0
		.amdhsa_system_sgpr_workgroup_id_z 0
		.amdhsa_system_sgpr_workgroup_info 0
		.amdhsa_system_vgpr_workitem_id 1
		.amdhsa_next_free_vgpr 24
		.amdhsa_next_free_sgpr 16
		.amdhsa_reserve_vcc 1
		.amdhsa_float_round_mode_32 0
		.amdhsa_float_round_mode_16_64 0
		.amdhsa_float_denorm_mode_32 3
		.amdhsa_float_denorm_mode_16_64 3
		.amdhsa_dx10_clamp 1
		.amdhsa_ieee_mode 1
		.amdhsa_fp16_overflow 0
		.amdhsa_workgroup_processor_mode 1
		.amdhsa_memory_ordered 1
		.amdhsa_forward_progress 0
		.amdhsa_shared_vgpr_count 0
		.amdhsa_exception_fp_ieee_invalid_op 0
		.amdhsa_exception_fp_denorm_src 0
		.amdhsa_exception_fp_ieee_div_zero 0
		.amdhsa_exception_fp_ieee_overflow 0
		.amdhsa_exception_fp_ieee_underflow 0
		.amdhsa_exception_fp_ieee_inexact 0
		.amdhsa_exception_int_div_zero 0
	.end_amdhsa_kernel
	.section	.text._ZN12_GLOBAL__N_120softmax_warp_forwardIN3c108BFloat16EffLi6ELb1ELb0ELi32EEEvPT0_PKT_iiiPKbib,"axG",@progbits,_ZN12_GLOBAL__N_120softmax_warp_forwardIN3c108BFloat16EffLi6ELb1ELb0ELi32EEEvPT0_PKT_iiiPKbib,comdat
.Lfunc_end179:
	.size	_ZN12_GLOBAL__N_120softmax_warp_forwardIN3c108BFloat16EffLi6ELb1ELb0ELi32EEEvPT0_PKT_iiiPKbib, .Lfunc_end179-_ZN12_GLOBAL__N_120softmax_warp_forwardIN3c108BFloat16EffLi6ELb1ELb0ELi32EEEvPT0_PKT_iiiPKbib
                                        ; -- End function
	.section	.AMDGPU.csdata,"",@progbits
; Kernel info:
; codeLenInByte = 1924
; NumSgprs: 18
; NumVgprs: 24
; ScratchSize: 0
; MemoryBound: 0
; FloatMode: 240
; IeeeMode: 1
; LDSByteSize: 0 bytes/workgroup (compile time only)
; SGPRBlocks: 2
; VGPRBlocks: 2
; NumSGPRsForWavesPerEU: 18
; NumVGPRsForWavesPerEU: 24
; Occupancy: 16
; WaveLimiterHint : 0
; COMPUTE_PGM_RSRC2:SCRATCH_EN: 0
; COMPUTE_PGM_RSRC2:USER_SGPR: 15
; COMPUTE_PGM_RSRC2:TRAP_HANDLER: 0
; COMPUTE_PGM_RSRC2:TGID_X_EN: 1
; COMPUTE_PGM_RSRC2:TGID_Y_EN: 0
; COMPUTE_PGM_RSRC2:TGID_Z_EN: 0
; COMPUTE_PGM_RSRC2:TIDIG_COMP_CNT: 1
	.section	.text._ZN12_GLOBAL__N_120softmax_warp_forwardIN3c108BFloat16EffLi7ELb1ELb0ELi64EEEvPT0_PKT_iiiPKbib,"axG",@progbits,_ZN12_GLOBAL__N_120softmax_warp_forwardIN3c108BFloat16EffLi7ELb1ELb0ELi64EEEvPT0_PKT_iiiPKbib,comdat
	.globl	_ZN12_GLOBAL__N_120softmax_warp_forwardIN3c108BFloat16EffLi7ELb1ELb0ELi64EEEvPT0_PKT_iiiPKbib ; -- Begin function _ZN12_GLOBAL__N_120softmax_warp_forwardIN3c108BFloat16EffLi7ELb1ELb0ELi64EEEvPT0_PKT_iiiPKbib
	.p2align	8
	.type	_ZN12_GLOBAL__N_120softmax_warp_forwardIN3c108BFloat16EffLi7ELb1ELb0ELi64EEEvPT0_PKT_iiiPKbib,@function
_ZN12_GLOBAL__N_120softmax_warp_forwardIN3c108BFloat16EffLi7ELb1ELb0ELi64EEEvPT0_PKT_iiiPKbib: ; @_ZN12_GLOBAL__N_120softmax_warp_forwardIN3c108BFloat16EffLi7ELb1ELb0ELi64EEEvPT0_PKT_iiiPKbib
; %bb.0:
	s_clause 0x1
	s_load_b32 s2, s[0:1], 0x3c
	s_load_b256 s[4:11], s[0:1], 0x0
	v_bfe_u32 v1, v0, 10, 10
	v_and_b32_e32 v4, 0x3ff, v0
	v_dual_mov_b32 v6, 0xff800000 :: v_dual_mov_b32 v7, 0xff800000
	s_waitcnt lgkmcnt(0)
	s_lshr_b32 s0, s2, 16
	s_delay_alu instid0(SALU_CYCLE_1) | instskip(SKIP_2) | instid1(VALU_DEP_1)
	s_mul_i32 s15, s15, s0
	v_cmp_gt_i32_e64 s0, s10, v4
	v_add_lshl_u32 v2, s15, v1, 1
	v_mad_u64_u32 v[0:1], null, v2, s9, v[4:5]
	v_sub_nc_u32_e32 v5, s8, v2
	s_delay_alu instid0(VALU_DEP_1) | instskip(NEXT) | instid1(VALU_DEP_3)
	v_cmp_lt_i32_e64 s1, 0, v5
	v_ashrrev_i32_e32 v1, 31, v0
	s_delay_alu instid0(VALU_DEP_2) | instskip(NEXT) | instid1(VALU_DEP_1)
	s_and_b32 s3, s1, s0
	v_lshlrev_b64 v[2:3], 1, v[0:1]
	s_delay_alu instid0(VALU_DEP_1) | instskip(NEXT) | instid1(VALU_DEP_2)
	v_add_co_u32 v2, vcc_lo, s6, v2
	v_add_co_ci_u32_e32 v3, vcc_lo, s7, v3, vcc_lo
	s_and_saveexec_b32 s2, s3
	s_cbranch_execz .LBB180_2
; %bb.1:
	global_load_u16 v7, v[2:3], off
	s_waitcnt vmcnt(0)
	v_lshlrev_b32_e32 v7, 16, v7
.LBB180_2:
	s_or_b32 exec_lo, exec_lo, s2
	v_add_nc_u32_e32 v4, 64, v4
	s_delay_alu instid0(VALU_DEP_1) | instskip(SKIP_1) | instid1(SALU_CYCLE_1)
	v_cmp_gt_i32_e32 vcc_lo, s10, v4
	s_and_b32 s3, s1, vcc_lo
	s_and_saveexec_b32 s2, s3
	s_cbranch_execz .LBB180_4
; %bb.3:
	global_load_u16 v4, v[2:3], off offset:128
	s_waitcnt vmcnt(0)
	v_lshlrev_b32_e32 v6, 16, v4
.LBB180_4:
	s_or_b32 exec_lo, exec_lo, s2
	v_cmp_lt_i32_e64 s2, 1, v5
	v_mov_b32_e32 v4, 0xff800000
	v_mov_b32_e32 v8, 0xff800000
	s_delay_alu instid0(VALU_DEP_3) | instskip(NEXT) | instid1(SALU_CYCLE_1)
	s_and_b32 s3, s2, s0
	s_and_saveexec_b32 s6, s3
	s_cbranch_execz .LBB180_6
; %bb.5:
	s_mov_b32 s11, 0
	s_delay_alu instid0(SALU_CYCLE_1) | instskip(NEXT) | instid1(SALU_CYCLE_1)
	s_lshl_b64 s[8:9], s[10:11], 1
	v_add_co_u32 v8, s3, v2, s8
	s_delay_alu instid0(VALU_DEP_1)
	v_add_co_ci_u32_e64 v9, s3, s9, v3, s3
	global_load_u16 v8, v[8:9], off
	s_waitcnt vmcnt(0)
	v_lshlrev_b32_e32 v8, 16, v8
.LBB180_6:
	s_or_b32 exec_lo, exec_lo, s6
	s_and_b32 s2, s2, vcc_lo
	s_delay_alu instid0(SALU_CYCLE_1)
	s_and_saveexec_b32 s3, s2
	s_cbranch_execz .LBB180_8
; %bb.7:
	s_mov_b32 s11, 0
	s_delay_alu instid0(SALU_CYCLE_1) | instskip(NEXT) | instid1(SALU_CYCLE_1)
	s_lshl_b64 s[6:7], s[10:11], 1
	v_add_co_u32 v2, s2, v2, s6
	s_delay_alu instid0(VALU_DEP_1)
	v_add_co_ci_u32_e64 v3, s2, s7, v3, s2
	global_load_u16 v2, v[2:3], off offset:128
	s_waitcnt vmcnt(0)
	v_lshlrev_b32_e32 v4, 16, v2
.LBB180_8:
	s_or_b32 exec_lo, exec_lo, s3
	v_mbcnt_lo_u32_b32 v2, -1, 0
	s_delay_alu instid0(VALU_DEP_1)
	v_or_b32_e32 v3, 32, v2
	v_xor_b32_e32 v13, 16, v2
	v_xor_b32_e32 v14, 8, v2
	;; [unrolled: 1-line block ×4, first 2 shown]
	v_cmp_gt_i32_e64 s2, 64, v3
	v_xor_b32_e32 v17, 1, v2
	s_delay_alu instid0(VALU_DEP_2) | instskip(SKIP_1) | instid1(VALU_DEP_2)
	v_cndmask_b32_e64 v3, v2, v3, s2
	v_cmp_gt_f32_e64 s2, v7, v6
	v_lshlrev_b32_e32 v10, 2, v3
	s_delay_alu instid0(VALU_DEP_2)
	v_cndmask_b32_e64 v9, v6, v7, s2
	v_cmp_gt_f32_e64 s2, v8, v4
	ds_bpermute_b32 v11, v10, v9
	v_cndmask_b32_e64 v3, v4, v8, s2
	v_cmp_gt_i32_e64 s2, 64, v13
	ds_bpermute_b32 v12, v10, v3
	v_cndmask_b32_e64 v13, v2, v13, s2
	s_delay_alu instid0(VALU_DEP_1) | instskip(SKIP_2) | instid1(VALU_DEP_1)
	v_lshlrev_b32_e32 v13, 2, v13
	s_waitcnt lgkmcnt(1)
	v_cmp_lt_f32_e64 s2, v9, v11
	v_cndmask_b32_e64 v9, v9, v11, s2
	s_waitcnt lgkmcnt(0)
	v_cmp_lt_f32_e64 s2, v3, v12
	ds_bpermute_b32 v11, v13, v9
	v_cndmask_b32_e64 v3, v3, v12, s2
	v_cmp_gt_i32_e64 s2, 64, v14
	ds_bpermute_b32 v12, v13, v3
	v_cndmask_b32_e64 v14, v2, v14, s2
	s_delay_alu instid0(VALU_DEP_1) | instskip(SKIP_2) | instid1(VALU_DEP_1)
	v_lshlrev_b32_e32 v14, 2, v14
	s_waitcnt lgkmcnt(1)
	v_cmp_lt_f32_e64 s2, v9, v11
	v_cndmask_b32_e64 v9, v9, v11, s2
	s_waitcnt lgkmcnt(0)
	v_cmp_lt_f32_e64 s2, v3, v12
	;; [unrolled: 12-line block ×5, first 2 shown]
	ds_bpermute_b32 v9, v17, v2
	v_cndmask_b32_e64 v3, v3, v12, s2
	ds_bpermute_b32 v11, v17, v3
	s_waitcnt lgkmcnt(1)
	v_cmp_lt_f32_e64 s2, v2, v9
	s_delay_alu instid0(VALU_DEP_1) | instskip(SKIP_2) | instid1(VALU_DEP_2)
	v_cndmask_b32_e64 v2, v2, v9, s2
	s_waitcnt lgkmcnt(0)
	v_cmp_lt_f32_e64 s2, v3, v11
	v_sub_f32_e32 v7, v7, v2
	s_delay_alu instid0(VALU_DEP_2) | instskip(SKIP_1) | instid1(VALU_DEP_3)
	v_cndmask_b32_e64 v3, v3, v11, s2
	v_sub_f32_e32 v6, v6, v2
	v_cmp_ngt_f32_e64 s2, 0xc2ce8ed0, v7
	s_delay_alu instid0(VALU_DEP_3) | instskip(NEXT) | instid1(VALU_DEP_3)
	v_sub_f32_e32 v2, v8, v3
	v_dual_sub_f32 v3, v4, v3 :: v_dual_mul_f32 v8, 0x3fb8aa3b, v6
	s_delay_alu instid0(VALU_DEP_2) | instskip(NEXT) | instid1(VALU_DEP_2)
	v_mul_f32_e32 v9, 0x3fb8aa3b, v2
	v_fma_f32 v19, 0x3fb8aa3b, v6, -v8
	v_rndne_f32_e32 v20, v8
	s_delay_alu instid0(VALU_DEP_3) | instskip(SKIP_2) | instid1(VALU_DEP_4)
	v_rndne_f32_e32 v22, v9
	v_mul_f32_e32 v4, 0x3fb8aa3b, v7
	v_fma_f32 v21, 0x3fb8aa3b, v2, -v9
	v_dual_sub_f32 v8, v8, v20 :: v_dual_fmac_f32 v19, 0x32a5705f, v6
	s_delay_alu instid0(VALU_DEP_4) | instskip(NEXT) | instid1(VALU_DEP_4)
	v_sub_f32_e32 v9, v9, v22
	v_fma_f32 v12, 0x3fb8aa3b, v7, -v4
	s_delay_alu instid0(VALU_DEP_4) | instskip(SKIP_3) | instid1(VALU_DEP_4)
	v_fmac_f32_e32 v21, 0x32a5705f, v2
	v_rndne_f32_e32 v18, v4
	v_mul_f32_e32 v11, 0x3fb8aa3b, v3
	v_add_f32_e32 v8, v8, v19
	v_dual_fmac_f32 v12, 0x32a5705f, v7 :: v_dual_add_f32 v9, v9, v21
	s_delay_alu instid0(VALU_DEP_4) | instskip(NEXT) | instid1(VALU_DEP_4)
	v_sub_f32_e32 v4, v4, v18
	v_fma_f32 v23, 0x3fb8aa3b, v3, -v11
	v_rndne_f32_e32 v24, v11
	v_cvt_i32_f32_e32 v19, v22
	v_exp_f32_e32 v9, v9
	s_delay_alu instid0(VALU_DEP_3) | instskip(NEXT) | instid1(VALU_DEP_3)
	v_dual_add_f32 v4, v4, v12 :: v_dual_fmac_f32 v23, 0x32a5705f, v3
	v_sub_f32_e32 v11, v11, v24
	v_exp_f32_e32 v8, v8
	v_cvt_i32_f32_e32 v12, v18
	s_delay_alu instid0(VALU_DEP_3) | instskip(SKIP_3) | instid1(TRANS32_DEP_3)
	v_exp_f32_e32 v4, v4
	v_cvt_i32_f32_e32 v18, v20
	v_add_f32_e32 v11, v11, v23
	v_cvt_i32_f32_e32 v20, v24
	v_ldexp_f32 v9, v9, v19
	s_delay_alu instid0(VALU_DEP_3) | instskip(NEXT) | instid1(TRANS32_DEP_3)
	v_exp_f32_e32 v11, v11
	v_ldexp_f32 v8, v8, v18
	s_delay_alu instid0(TRANS32_DEP_2) | instskip(NEXT) | instid1(VALU_DEP_1)
	v_ldexp_f32 v4, v4, v12
	v_cndmask_b32_e64 v4, 0, v4, s2
	v_cmp_ngt_f32_e64 s2, 0xc2ce8ed0, v6
	s_waitcnt_depctr 0xfff
	v_ldexp_f32 v11, v11, v20
	v_cndmask_b32_e64 v8, 0, v8, s2
	v_cmp_ngt_f32_e64 s2, 0xc2ce8ed0, v2
	s_delay_alu instid0(VALU_DEP_1) | instskip(SKIP_1) | instid1(VALU_DEP_1)
	v_cndmask_b32_e64 v9, 0, v9, s2
	v_cmp_ngt_f32_e64 s2, 0xc2ce8ed0, v3
	v_cndmask_b32_e64 v11, 0, v11, s2
	v_cmp_nlt_f32_e64 s2, 0x42b17218, v7
	s_delay_alu instid0(VALU_DEP_1) | instskip(SKIP_1) | instid1(VALU_DEP_1)
	v_cndmask_b32_e64 v4, 0x7f800000, v4, s2
	v_cmp_nlt_f32_e64 s2, 0x42b17218, v6
	v_cndmask_b32_e64 v8, 0x7f800000, v8, s2
	v_cmp_nlt_f32_e64 s2, 0x42b17218, v2
	s_delay_alu instid0(VALU_DEP_2) | instskip(NEXT) | instid1(VALU_DEP_2)
	v_add_f32_e32 v4, v4, v8
	v_cndmask_b32_e64 v9, 0x7f800000, v9, s2
	v_cmp_nlt_f32_e64 s2, 0x42b17218, v3
	s_delay_alu instid0(VALU_DEP_1) | instskip(NEXT) | instid1(VALU_DEP_1)
	v_cndmask_b32_e64 v11, 0x7f800000, v11, s2
	v_add_f32_e32 v8, v9, v11
	ds_bpermute_b32 v9, v10, v4
	s_waitcnt lgkmcnt(0)
	v_add_f32_e32 v4, v4, v9
	ds_bpermute_b32 v9, v13, v4
	s_waitcnt lgkmcnt(0)
	v_add_f32_e32 v4, v4, v9
	ds_bpermute_b32 v9, v14, v4
	s_waitcnt lgkmcnt(0)
	v_add_f32_e32 v4, v4, v9
	ds_bpermute_b32 v9, v15, v4
	s_waitcnt lgkmcnt(0)
	v_add_f32_e32 v4, v4, v9
	ds_bpermute_b32 v9, v16, v4
	s_waitcnt lgkmcnt(0)
	v_add_f32_e32 v9, v4, v9
	ds_bpermute_b32 v10, v10, v8
	s_waitcnt lgkmcnt(0)
	v_add_f32_e32 v8, v8, v10
	ds_bpermute_b32 v10, v13, v8
	s_waitcnt lgkmcnt(0)
	v_add_f32_e32 v8, v8, v10
	ds_bpermute_b32 v10, v14, v8
	s_waitcnt lgkmcnt(0)
	v_add_f32_e32 v8, v8, v10
	ds_bpermute_b32 v10, v15, v8
	s_waitcnt lgkmcnt(0)
	v_add_f32_e32 v8, v8, v10
	ds_bpermute_b32 v10, v16, v8
	s_waitcnt lgkmcnt(0)
	v_add_f32_e32 v4, v8, v10
	ds_bpermute_b32 v10, v17, v9
	ds_bpermute_b32 v8, v17, v4
	s_and_saveexec_b32 s2, s1
	s_cbranch_execz .LBB180_16
; %bb.9:
	v_lshlrev_b64 v[0:1], 2, v[0:1]
	s_delay_alu instid0(VALU_DEP_1) | instskip(NEXT) | instid1(VALU_DEP_1)
	v_add_co_u32 v0, s1, s4, v0
	v_add_co_ci_u32_e64 v1, s1, s5, v1, s1
	s_and_saveexec_b32 s3, s0
	s_cbranch_execz .LBB180_12
; %bb.10:
	s_waitcnt lgkmcnt(1)
	v_add_f32_e32 v9, v9, v10
	s_delay_alu instid0(VALU_DEP_1) | instskip(NEXT) | instid1(VALU_DEP_1)
	v_cmp_gt_f32_e64 s1, 0x800000, v9
	v_cndmask_b32_e64 v10, 1.0, 0x4f800000, s1
	s_delay_alu instid0(VALU_DEP_1) | instskip(NEXT) | instid1(VALU_DEP_1)
	v_mul_f32_e32 v9, v9, v10
	v_log_f32_e32 v9, v9
	s_waitcnt_depctr 0xfff
	v_mul_f32_e32 v10, 0x3f317217, v9
	v_cmp_gt_f32_e64 s2, 0x7f800000, |v9|
	s_delay_alu instid0(VALU_DEP_2) | instskip(NEXT) | instid1(VALU_DEP_1)
	v_fma_f32 v11, 0x3f317217, v9, -v10
	v_fmamk_f32 v11, v9, 0x3377d1cf, v11
	s_delay_alu instid0(VALU_DEP_1) | instskip(NEXT) | instid1(VALU_DEP_1)
	v_add_f32_e32 v10, v10, v11
	v_cndmask_b32_e64 v9, v9, v10, s2
	v_cndmask_b32_e64 v10, 0, 0x41b17218, s1
	s_delay_alu instid0(VALU_DEP_1) | instskip(NEXT) | instid1(VALU_DEP_1)
	v_sub_f32_e32 v9, v9, v10
	v_sub_f32_e32 v7, v7, v9
	global_store_b32 v[0:1], v7, off
	s_and_b32 exec_lo, exec_lo, vcc_lo
	s_cbranch_execz .LBB180_12
; %bb.11:
	v_sub_f32_e32 v6, v6, v9
	global_store_b32 v[0:1], v6, off offset:256
.LBB180_12:
	s_or_b32 exec_lo, exec_lo, s3
	v_cmp_ne_u32_e64 s1, 1, v5
	s_delay_alu instid0(VALU_DEP_1)
	s_and_b32 exec_lo, exec_lo, s1
	s_cbranch_execz .LBB180_16
; %bb.13:
	s_and_b32 exec_lo, exec_lo, s0
	s_cbranch_execz .LBB180_16
; %bb.14:
	s_waitcnt lgkmcnt(0)
	v_add_f32_e32 v4, v4, v8
	s_mov_b32 s11, 0
	s_delay_alu instid0(VALU_DEP_1) | instskip(NEXT) | instid1(VALU_DEP_1)
	v_cmp_gt_f32_e64 s0, 0x800000, v4
	v_cndmask_b32_e64 v5, 1.0, 0x4f800000, s0
	s_delay_alu instid0(VALU_DEP_1) | instskip(NEXT) | instid1(VALU_DEP_1)
	v_mul_f32_e32 v4, v4, v5
	v_log_f32_e32 v4, v4
	s_waitcnt_depctr 0xfff
	v_mul_f32_e32 v5, 0x3f317217, v4
	s_delay_alu instid0(VALU_DEP_1) | instskip(NEXT) | instid1(VALU_DEP_1)
	v_fma_f32 v6, 0x3f317217, v4, -v5
	v_fmamk_f32 v6, v4, 0x3377d1cf, v6
	s_delay_alu instid0(VALU_DEP_1) | instskip(SKIP_2) | instid1(VALU_DEP_1)
	v_add_f32_e32 v5, v5, v6
	v_cndmask_b32_e64 v6, 0, 0x41b17218, s0
	v_cmp_gt_f32_e64 s0, 0x7f800000, |v4|
	v_cndmask_b32_e64 v4, v4, v5, s0
	s_lshl_b64 s[0:1], s[10:11], 2
	s_delay_alu instid0(SALU_CYCLE_1) | instskip(NEXT) | instid1(VALU_DEP_2)
	v_add_co_u32 v5, s0, v0, s0
	v_sub_f32_e32 v4, v4, v6
	v_add_co_ci_u32_e64 v6, s0, s1, v1, s0
	s_delay_alu instid0(VALU_DEP_2)
	v_sub_f32_e32 v2, v2, v4
	global_store_b32 v[5:6], v2, off
	s_and_b32 exec_lo, exec_lo, vcc_lo
	s_cbranch_execz .LBB180_16
; %bb.15:
	s_ashr_i32 s11, s10, 31
	v_sub_f32_e32 v2, v3, v4
	s_lshl_b64 s[0:1], s[10:11], 2
	s_delay_alu instid0(SALU_CYCLE_1)
	v_add_co_u32 v0, vcc_lo, v0, s0
	v_add_co_ci_u32_e32 v1, vcc_lo, s1, v1, vcc_lo
	global_store_b32 v[0:1], v2, off offset:256
.LBB180_16:
	s_nop 0
	s_sendmsg sendmsg(MSG_DEALLOC_VGPRS)
	s_endpgm
	.section	.rodata,"a",@progbits
	.p2align	6, 0x0
	.amdhsa_kernel _ZN12_GLOBAL__N_120softmax_warp_forwardIN3c108BFloat16EffLi7ELb1ELb0ELi64EEEvPT0_PKT_iiiPKbib
		.amdhsa_group_segment_fixed_size 0
		.amdhsa_private_segment_fixed_size 0
		.amdhsa_kernarg_size 304
		.amdhsa_user_sgpr_count 15
		.amdhsa_user_sgpr_dispatch_ptr 0
		.amdhsa_user_sgpr_queue_ptr 0
		.amdhsa_user_sgpr_kernarg_segment_ptr 1
		.amdhsa_user_sgpr_dispatch_id 0
		.amdhsa_user_sgpr_private_segment_size 0
		.amdhsa_wavefront_size32 1
		.amdhsa_uses_dynamic_stack 0
		.amdhsa_enable_private_segment 0
		.amdhsa_system_sgpr_workgroup_id_x 1
		.amdhsa_system_sgpr_workgroup_id_y 0
		.amdhsa_system_sgpr_workgroup_id_z 0
		.amdhsa_system_sgpr_workgroup_info 0
		.amdhsa_system_vgpr_workitem_id 1
		.amdhsa_next_free_vgpr 25
		.amdhsa_next_free_sgpr 16
		.amdhsa_reserve_vcc 1
		.amdhsa_float_round_mode_32 0
		.amdhsa_float_round_mode_16_64 0
		.amdhsa_float_denorm_mode_32 3
		.amdhsa_float_denorm_mode_16_64 3
		.amdhsa_dx10_clamp 1
		.amdhsa_ieee_mode 1
		.amdhsa_fp16_overflow 0
		.amdhsa_workgroup_processor_mode 1
		.amdhsa_memory_ordered 1
		.amdhsa_forward_progress 0
		.amdhsa_shared_vgpr_count 0
		.amdhsa_exception_fp_ieee_invalid_op 0
		.amdhsa_exception_fp_denorm_src 0
		.amdhsa_exception_fp_ieee_div_zero 0
		.amdhsa_exception_fp_ieee_overflow 0
		.amdhsa_exception_fp_ieee_underflow 0
		.amdhsa_exception_fp_ieee_inexact 0
		.amdhsa_exception_int_div_zero 0
	.end_amdhsa_kernel
	.section	.text._ZN12_GLOBAL__N_120softmax_warp_forwardIN3c108BFloat16EffLi7ELb1ELb0ELi64EEEvPT0_PKT_iiiPKbib,"axG",@progbits,_ZN12_GLOBAL__N_120softmax_warp_forwardIN3c108BFloat16EffLi7ELb1ELb0ELi64EEEvPT0_PKT_iiiPKbib,comdat
.Lfunc_end180:
	.size	_ZN12_GLOBAL__N_120softmax_warp_forwardIN3c108BFloat16EffLi7ELb1ELb0ELi64EEEvPT0_PKT_iiiPKbib, .Lfunc_end180-_ZN12_GLOBAL__N_120softmax_warp_forwardIN3c108BFloat16EffLi7ELb1ELb0ELi64EEEvPT0_PKT_iiiPKbib
                                        ; -- End function
	.section	.AMDGPU.csdata,"",@progbits
; Kernel info:
; codeLenInByte = 2060
; NumSgprs: 18
; NumVgprs: 25
; ScratchSize: 0
; MemoryBound: 0
; FloatMode: 240
; IeeeMode: 1
; LDSByteSize: 0 bytes/workgroup (compile time only)
; SGPRBlocks: 2
; VGPRBlocks: 3
; NumSGPRsForWavesPerEU: 18
; NumVGPRsForWavesPerEU: 25
; Occupancy: 16
; WaveLimiterHint : 0
; COMPUTE_PGM_RSRC2:SCRATCH_EN: 0
; COMPUTE_PGM_RSRC2:USER_SGPR: 15
; COMPUTE_PGM_RSRC2:TRAP_HANDLER: 0
; COMPUTE_PGM_RSRC2:TGID_X_EN: 1
; COMPUTE_PGM_RSRC2:TGID_Y_EN: 0
; COMPUTE_PGM_RSRC2:TGID_Z_EN: 0
; COMPUTE_PGM_RSRC2:TIDIG_COMP_CNT: 1
	.section	.text._ZN12_GLOBAL__N_120softmax_warp_forwardIN3c108BFloat16EffLi7ELb1ELb0ELi32EEEvPT0_PKT_iiiPKbib,"axG",@progbits,_ZN12_GLOBAL__N_120softmax_warp_forwardIN3c108BFloat16EffLi7ELb1ELb0ELi32EEEvPT0_PKT_iiiPKbib,comdat
	.globl	_ZN12_GLOBAL__N_120softmax_warp_forwardIN3c108BFloat16EffLi7ELb1ELb0ELi32EEEvPT0_PKT_iiiPKbib ; -- Begin function _ZN12_GLOBAL__N_120softmax_warp_forwardIN3c108BFloat16EffLi7ELb1ELb0ELi32EEEvPT0_PKT_iiiPKbib
	.p2align	8
	.type	_ZN12_GLOBAL__N_120softmax_warp_forwardIN3c108BFloat16EffLi7ELb1ELb0ELi32EEEvPT0_PKT_iiiPKbib,@function
_ZN12_GLOBAL__N_120softmax_warp_forwardIN3c108BFloat16EffLi7ELb1ELb0ELi32EEEvPT0_PKT_iiiPKbib: ; @_ZN12_GLOBAL__N_120softmax_warp_forwardIN3c108BFloat16EffLi7ELb1ELb0ELi32EEEvPT0_PKT_iiiPKbib
; %bb.0:
	s_clause 0x1
	s_load_b32 s2, s[0:1], 0x3c
	s_load_b256 s[16:23], s[0:1], 0x0
	v_bfe_u32 v1, v0, 10, 10
	v_and_b32_e32 v4, 0x3ff, v0
	v_mov_b32_e32 v6, 0xff800000
	v_mov_b32_e32 v8, 0xff800000
	s_waitcnt lgkmcnt(0)
	s_lshr_b32 s0, s2, 16
	v_cmp_gt_i32_e64 s1, s22, v4
	s_mul_i32 s15, s15, s0
	s_delay_alu instid0(SALU_CYCLE_1) | instskip(NEXT) | instid1(VALU_DEP_1)
	v_add_lshl_u32 v2, s15, v1, 1
	v_mad_u64_u32 v[0:1], null, v2, s21, v[4:5]
	v_sub_nc_u32_e32 v5, s20, v2
	s_delay_alu instid0(VALU_DEP_1) | instskip(NEXT) | instid1(VALU_DEP_3)
	v_cmp_lt_i32_e64 s3, 0, v5
	v_ashrrev_i32_e32 v1, 31, v0
	s_delay_alu instid0(VALU_DEP_2) | instskip(NEXT) | instid1(VALU_DEP_1)
	s_and_b32 s2, s3, s1
	v_lshlrev_b64 v[2:3], 1, v[0:1]
	s_delay_alu instid0(VALU_DEP_1) | instskip(NEXT) | instid1(VALU_DEP_2)
	v_add_co_u32 v2, vcc_lo, s18, v2
	v_add_co_ci_u32_e32 v3, vcc_lo, s19, v3, vcc_lo
	s_and_saveexec_b32 s0, s2
	s_cbranch_execz .LBB181_2
; %bb.1:
	global_load_u16 v7, v[2:3], off
	s_waitcnt vmcnt(0)
	v_lshlrev_b32_e32 v8, 16, v7
.LBB181_2:
	s_or_b32 exec_lo, exec_lo, s0
	v_add_nc_u32_e32 v7, 32, v4
	s_delay_alu instid0(VALU_DEP_1) | instskip(SKIP_1) | instid1(SALU_CYCLE_1)
	v_cmp_gt_i32_e32 vcc_lo, s22, v7
	s_and_b32 s2, s3, vcc_lo
	s_and_saveexec_b32 s0, s2
	s_cbranch_execz .LBB181_4
; %bb.3:
	global_load_u16 v6, v[2:3], off offset:64
	s_waitcnt vmcnt(0)
	v_lshlrev_b32_e32 v6, 16, v6
.LBB181_4:
	s_or_b32 exec_lo, exec_lo, s0
	v_add_nc_u32_e32 v7, 64, v4
	v_mov_b32_e32 v9, 0xff800000
	s_delay_alu instid0(VALU_DEP_2) | instskip(SKIP_1) | instid1(VALU_DEP_2)
	v_cmp_gt_i32_e64 s0, s22, v7
	v_mov_b32_e32 v7, 0xff800000
	s_and_b32 s4, s3, s0
	s_delay_alu instid0(SALU_CYCLE_1)
	s_and_saveexec_b32 s2, s4
	s_cbranch_execz .LBB181_6
; %bb.5:
	global_load_u16 v9, v[2:3], off offset:128
	s_waitcnt vmcnt(0)
	v_lshlrev_b32_e32 v9, 16, v9
.LBB181_6:
	s_or_b32 exec_lo, exec_lo, s2
	v_add_nc_u32_e32 v4, 0x60, v4
	s_delay_alu instid0(VALU_DEP_1) | instskip(NEXT) | instid1(VALU_DEP_1)
	v_cmp_gt_i32_e64 s2, s22, v4
	s_and_b32 s5, s3, s2
	s_delay_alu instid0(SALU_CYCLE_1)
	s_and_saveexec_b32 s4, s5
	s_cbranch_execz .LBB181_8
; %bb.7:
	global_load_u16 v4, v[2:3], off offset:192
	s_waitcnt vmcnt(0)
	v_lshlrev_b32_e32 v7, 16, v4
.LBB181_8:
	s_or_b32 exec_lo, exec_lo, s4
	v_cmp_lt_i32_e64 s4, 1, v5
	v_mov_b32_e32 v4, 0xff800000
	v_mov_b32_e32 v12, 0xff800000
	s_delay_alu instid0(VALU_DEP_3) | instskip(NEXT) | instid1(SALU_CYCLE_1)
	s_and_b32 s5, s4, s1
	s_and_saveexec_b32 s6, s5
	s_cbranch_execz .LBB181_10
; %bb.9:
	s_mov_b32 s23, 0
	s_delay_alu instid0(SALU_CYCLE_1) | instskip(NEXT) | instid1(SALU_CYCLE_1)
	s_lshl_b64 s[8:9], s[22:23], 1
	v_add_co_u32 v10, s5, v2, s8
	s_delay_alu instid0(VALU_DEP_1)
	v_add_co_ci_u32_e64 v11, s5, s9, v3, s5
	global_load_u16 v10, v[10:11], off
	s_waitcnt vmcnt(0)
	v_lshlrev_b32_e32 v12, 16, v10
.LBB181_10:
	s_or_b32 exec_lo, exec_lo, s6
	s_and_b32 s5, s4, vcc_lo
	s_delay_alu instid0(SALU_CYCLE_1)
	s_and_saveexec_b32 s6, s5
	s_cbranch_execz .LBB181_12
; %bb.11:
	s_mov_b32 s23, 0
	s_delay_alu instid0(SALU_CYCLE_1) | instskip(NEXT) | instid1(SALU_CYCLE_1)
	s_lshl_b64 s[8:9], s[22:23], 1
	v_add_co_u32 v10, s5, v2, s8
	s_delay_alu instid0(VALU_DEP_1)
	v_add_co_ci_u32_e64 v11, s5, s9, v3, s5
	global_load_u16 v4, v[10:11], off offset:64
	s_waitcnt vmcnt(0)
	v_lshlrev_b32_e32 v4, 16, v4
.LBB181_12:
	s_or_b32 exec_lo, exec_lo, s6
	v_mov_b32_e32 v11, 0xff800000
	v_mov_b32_e32 v13, 0xff800000
	s_and_b32 s5, s4, s0
	s_delay_alu instid0(SALU_CYCLE_1)
	s_and_saveexec_b32 s6, s5
	s_cbranch_execz .LBB181_14
; %bb.13:
	s_mov_b32 s23, 0
	s_delay_alu instid0(SALU_CYCLE_1) | instskip(NEXT) | instid1(SALU_CYCLE_1)
	s_lshl_b64 s[8:9], s[22:23], 1
	v_add_co_u32 v13, s5, v2, s8
	s_delay_alu instid0(VALU_DEP_1)
	v_add_co_ci_u32_e64 v14, s5, s9, v3, s5
	global_load_u16 v10, v[13:14], off offset:128
	s_waitcnt vmcnt(0)
	v_lshlrev_b32_e32 v13, 16, v10
.LBB181_14:
	s_or_b32 exec_lo, exec_lo, s6
	s_and_b32 s4, s4, s2
	s_delay_alu instid0(SALU_CYCLE_1)
	s_and_saveexec_b32 s5, s4
	s_cbranch_execz .LBB181_16
; %bb.15:
	s_mov_b32 s23, 0
	s_delay_alu instid0(SALU_CYCLE_1) | instskip(NEXT) | instid1(SALU_CYCLE_1)
	s_lshl_b64 s[6:7], s[22:23], 1
	v_add_co_u32 v2, s4, v2, s6
	s_delay_alu instid0(VALU_DEP_1)
	v_add_co_ci_u32_e64 v3, s4, s7, v3, s4
	global_load_u16 v2, v[2:3], off offset:192
	s_waitcnt vmcnt(0)
	v_lshlrev_b32_e32 v11, 16, v2
.LBB181_16:
	s_or_b32 exec_lo, exec_lo, s5
	v_cmp_gt_f32_e64 s4, v8, v6
	v_mbcnt_lo_u32_b32 v2, -1, 0
	s_delay_alu instid0(VALU_DEP_2) | instskip(SKIP_1) | instid1(VALU_DEP_3)
	v_cndmask_b32_e64 v3, v6, v8, s4
	v_cmp_gt_f32_e64 s4, v12, v4
	v_xor_b32_e32 v10, 16, v2
	v_xor_b32_e32 v17, 8, v2
	;; [unrolled: 1-line block ×4, first 2 shown]
	v_cndmask_b32_e64 v14, v4, v12, s4
	v_cmp_gt_f32_e64 s4, v3, v9
	v_xor_b32_e32 v20, 1, v2
	s_delay_alu instid0(VALU_DEP_2) | instskip(SKIP_1) | instid1(VALU_DEP_1)
	v_cndmask_b32_e64 v3, v9, v3, s4
	v_cmp_gt_i32_e64 s4, 32, v10
	v_cndmask_b32_e64 v10, v2, v10, s4
	v_cmp_gt_f32_e64 s4, v14, v13
	s_delay_alu instid0(VALU_DEP_2) | instskip(NEXT) | instid1(VALU_DEP_2)
	v_lshlrev_b32_e32 v15, 2, v10
	v_cndmask_b32_e64 v14, v13, v14, s4
	v_cmp_gt_f32_e64 s4, v3, v7
	s_delay_alu instid0(VALU_DEP_1) | instskip(NEXT) | instid1(VALU_DEP_3)
	v_cndmask_b32_e64 v3, v7, v3, s4
	v_cmp_gt_f32_e64 s4, v14, v11
	s_delay_alu instid0(VALU_DEP_1) | instskip(SKIP_4) | instid1(VALU_DEP_1)
	v_cndmask_b32_e64 v10, v11, v14, s4
	ds_bpermute_b32 v14, v15, v3
	v_cmp_gt_i32_e64 s4, 32, v17
	ds_bpermute_b32 v16, v15, v10
	v_cndmask_b32_e64 v17, v2, v17, s4
	v_lshlrev_b32_e32 v17, 2, v17
	s_waitcnt lgkmcnt(1)
	v_cmp_lt_f32_e64 s4, v3, v14
	s_delay_alu instid0(VALU_DEP_1)
	v_cndmask_b32_e64 v3, v3, v14, s4
	s_waitcnt lgkmcnt(0)
	v_cmp_lt_f32_e64 s4, v10, v16
	ds_bpermute_b32 v14, v17, v3
	v_cndmask_b32_e64 v10, v10, v16, s4
	v_cmp_gt_i32_e64 s4, 32, v18
	ds_bpermute_b32 v16, v17, v10
	v_cndmask_b32_e64 v18, v2, v18, s4
	s_delay_alu instid0(VALU_DEP_1) | instskip(SKIP_2) | instid1(VALU_DEP_1)
	v_lshlrev_b32_e32 v18, 2, v18
	s_waitcnt lgkmcnt(1)
	v_cmp_lt_f32_e64 s4, v3, v14
	v_cndmask_b32_e64 v3, v3, v14, s4
	s_waitcnt lgkmcnt(0)
	v_cmp_lt_f32_e64 s4, v10, v16
	ds_bpermute_b32 v14, v18, v3
	v_cndmask_b32_e64 v10, v10, v16, s4
	v_cmp_gt_i32_e64 s4, 32, v19
	ds_bpermute_b32 v16, v18, v10
	v_cndmask_b32_e64 v19, v2, v19, s4
	s_delay_alu instid0(VALU_DEP_1) | instskip(SKIP_2) | instid1(VALU_DEP_1)
	v_lshlrev_b32_e32 v19, 2, v19
	s_waitcnt lgkmcnt(1)
	v_cmp_lt_f32_e64 s4, v3, v14
	;; [unrolled: 12-line block ×3, first 2 shown]
	v_cndmask_b32_e64 v2, v3, v14, s4
	s_waitcnt lgkmcnt(0)
	v_cmp_lt_f32_e64 s4, v10, v16
	s_delay_alu instid0(VALU_DEP_1) | instskip(SKIP_4) | instid1(VALU_DEP_1)
	v_cndmask_b32_e64 v3, v10, v16, s4
	ds_bpermute_b32 v10, v20, v2
	ds_bpermute_b32 v14, v20, v3
	s_waitcnt lgkmcnt(1)
	v_cmp_lt_f32_e64 s4, v2, v10
	v_cndmask_b32_e64 v10, v2, v10, s4
	s_waitcnt lgkmcnt(0)
	v_cmp_lt_f32_e64 s4, v3, v14
	s_delay_alu instid0(VALU_DEP_2) | instskip(NEXT) | instid1(VALU_DEP_2)
	v_sub_f32_e32 v2, v8, v10
	v_cndmask_b32_e64 v14, v3, v14, s4
	v_sub_f32_e32 v8, v9, v10
	v_sub_f32_e32 v6, v6, v10
	v_sub_f32_e32 v10, v7, v10
	v_cmp_ngt_f32_e64 s4, 0xc2ce8ed0, v2
	v_sub_f32_e32 v9, v11, v14
	v_sub_f32_e32 v7, v13, v14
	v_mul_f32_e32 v11, 0x3fb8aa3b, v2
	v_sub_f32_e32 v3, v12, v14
	s_delay_alu instid0(VALU_DEP_4) | instskip(SKIP_1) | instid1(VALU_DEP_4)
	v_mul_f32_e32 v23, 0x3fb8aa3b, v9
	v_mul_f32_e32 v13, 0x3fb8aa3b, v8
	v_rndne_f32_e32 v25, v11
	v_sub_f32_e32 v4, v4, v14
	s_delay_alu instid0(VALU_DEP_4) | instskip(NEXT) | instid1(VALU_DEP_4)
	v_rndne_f32_e32 v39, v23
	v_rndne_f32_e32 v29, v13
	v_fma_f32 v28, 0x3fb8aa3b, v8, -v13
	s_delay_alu instid0(VALU_DEP_2) | instskip(NEXT) | instid1(VALU_DEP_2)
	v_dual_sub_f32 v13, v13, v29 :: v_dual_mul_f32 v14, 0x3fb8aa3b, v10
	v_fmac_f32_e32 v28, 0x32a5705f, v8
	v_fma_f32 v38, 0x3fb8aa3b, v9, -v23
	v_sub_f32_e32 v23, v23, v39
	v_cvt_i32_f32_e32 v29, v29
	v_rndne_f32_e32 v31, v14
	v_fma_f32 v30, 0x3fb8aa3b, v10, -v14
	v_dual_add_f32 v13, v13, v28 :: v_dual_fmac_f32 v38, 0x32a5705f, v9
	s_delay_alu instid0(VALU_DEP_3)
	v_sub_f32_e32 v14, v14, v31
	v_fma_f32 v24, 0x3fb8aa3b, v2, -v11
	v_sub_f32_e32 v11, v11, v25
	v_mul_f32_e32 v21, 0x3fb8aa3b, v4
	v_cvt_i32_f32_e32 v25, v25
	v_fmac_f32_e32 v30, 0x32a5705f, v10
	v_fmac_f32_e32 v24, 0x32a5705f, v2
	v_exp_f32_e32 v13, v13
	v_rndne_f32_e32 v35, v21
	v_mul_f32_e32 v12, 0x3fb8aa3b, v6
	v_fma_f32 v34, 0x3fb8aa3b, v4, -v21
	v_dual_add_f32 v11, v11, v24 :: v_dual_add_f32 v14, v14, v30
	s_delay_alu instid0(VALU_DEP_4) | instskip(NEXT) | instid1(VALU_DEP_4)
	v_sub_f32_e32 v21, v21, v35
	v_fma_f32 v26, 0x3fb8aa3b, v6, -v12
	v_rndne_f32_e32 v27, v12
	s_delay_alu instid0(VALU_DEP_4) | instskip(SKIP_1) | instid1(VALU_DEP_3)
	v_exp_f32_e32 v11, v11
	v_dual_fmac_f32 v34, 0x32a5705f, v4 :: v_dual_add_f32 v23, v23, v38
	v_fmac_f32_e32 v26, 0x32a5705f, v6
	s_delay_alu instid0(VALU_DEP_3)
	v_sub_f32_e32 v12, v12, v27
	v_mul_f32_e32 v22, 0x3fb8aa3b, v7
	v_mul_f32_e32 v16, 0x3fb8aa3b, v3
	v_cvt_i32_f32_e32 v27, v27
	v_add_f32_e32 v21, v21, v34
	v_add_f32_e32 v12, v12, v26
	s_delay_alu instid0(TRANS32_DEP_1)
	v_ldexp_f32 v11, v11, v25
	v_fma_f32 v32, 0x3fb8aa3b, v3, -v16
	v_rndne_f32_e32 v33, v16
	v_fma_f32 v36, 0x3fb8aa3b, v7, -v22
	v_exp_f32_e32 v12, v12
	v_rndne_f32_e32 v37, v22
	v_fmac_f32_e32 v32, 0x32a5705f, v3
	v_sub_f32_e32 v16, v16, v33
	v_exp_f32_e32 v14, v14
	v_cndmask_b32_e64 v11, 0, v11, s4
	v_cmp_ngt_f32_e64 s4, 0xc2ce8ed0, v6
	v_cvt_i32_f32_e32 v31, v31
	v_add_f32_e32 v16, v16, v32
	v_fmac_f32_e32 v36, 0x32a5705f, v7
	v_ldexp_f32 v12, v12, v27
	v_sub_f32_e32 v22, v22, v37
	v_ldexp_f32 v13, v13, v29
	v_exp_f32_e32 v16, v16
	v_cvt_i32_f32_e32 v33, v33
	v_cndmask_b32_e64 v12, 0, v12, s4
	v_cmp_ngt_f32_e64 s4, 0xc2ce8ed0, v8
	v_add_f32_e32 v22, v22, v36
	v_exp_f32_e32 v21, v21
	v_ldexp_f32 v14, v14, v31
	v_cvt_i32_f32_e32 v35, v35
	v_cndmask_b32_e64 v13, 0, v13, s4
	v_cmp_ngt_f32_e64 s4, 0xc2ce8ed0, v10
	v_exp_f32_e32 v22, v22
	v_ldexp_f32 v16, v16, v33
	v_exp_f32_e32 v23, v23
	v_cvt_i32_f32_e32 v24, v37
	v_cndmask_b32_e64 v14, 0, v14, s4
	v_cmp_ngt_f32_e64 s4, 0xc2ce8ed0, v3
	v_ldexp_f32 v21, v21, v35
	v_cvt_i32_f32_e32 v26, v39
	s_delay_alu instid0(VALU_DEP_3)
	v_cndmask_b32_e64 v16, 0, v16, s4
	v_cmp_ngt_f32_e64 s4, 0xc2ce8ed0, v4
	v_ldexp_f32 v22, v22, v24
	s_delay_alu instid0(TRANS32_DEP_1) | instid1(VALU_DEP_4)
	v_ldexp_f32 v23, v23, v26
	s_delay_alu instid0(VALU_DEP_3) | instskip(SKIP_1) | instid1(VALU_DEP_1)
	v_cndmask_b32_e64 v21, 0, v21, s4
	v_cmp_ngt_f32_e64 s4, 0xc2ce8ed0, v7
	v_cndmask_b32_e64 v22, 0, v22, s4
	v_cmp_ngt_f32_e64 s4, 0xc2ce8ed0, v9
	s_delay_alu instid0(VALU_DEP_1) | instskip(SKIP_1) | instid1(VALU_DEP_1)
	v_cndmask_b32_e64 v23, 0, v23, s4
	v_cmp_nlt_f32_e64 s4, 0x42b17218, v2
	v_cndmask_b32_e64 v11, 0x7f800000, v11, s4
	v_cmp_nlt_f32_e64 s4, 0x42b17218, v6
	s_delay_alu instid0(VALU_DEP_1) | instskip(SKIP_1) | instid1(VALU_DEP_2)
	v_cndmask_b32_e64 v12, 0x7f800000, v12, s4
	v_cmp_nlt_f32_e64 s4, 0x42b17218, v3
	v_add_f32_e32 v11, v11, v12
	s_delay_alu instid0(VALU_DEP_2) | instskip(SKIP_1) | instid1(VALU_DEP_1)
	v_cndmask_b32_e64 v16, 0x7f800000, v16, s4
	v_cmp_nlt_f32_e64 s4, 0x42b17218, v4
	v_cndmask_b32_e64 v21, 0x7f800000, v21, s4
	v_cmp_nlt_f32_e64 s4, 0x42b17218, v8
	s_delay_alu instid0(VALU_DEP_2) | instskip(NEXT) | instid1(VALU_DEP_2)
	v_add_f32_e32 v12, v16, v21
	v_cndmask_b32_e64 v13, 0x7f800000, v13, s4
	v_cmp_nlt_f32_e64 s4, 0x42b17218, v7
	s_delay_alu instid0(VALU_DEP_2) | instskip(NEXT) | instid1(VALU_DEP_2)
	v_add_f32_e32 v11, v11, v13
	;; [unrolled: 4-line block ×4, first 2 shown]
	v_cndmask_b32_e64 v16, 0x7f800000, v23, s4
	ds_bpermute_b32 v13, v15, v11
	v_add_f32_e32 v12, v12, v16
	ds_bpermute_b32 v14, v15, v12
	s_waitcnt lgkmcnt(1)
	v_add_f32_e32 v11, v11, v13
	ds_bpermute_b32 v13, v17, v11
	s_waitcnt lgkmcnt(1)
	v_add_f32_e32 v12, v12, v14
	ds_bpermute_b32 v14, v17, v12
	s_waitcnt lgkmcnt(1)
	v_add_f32_e32 v11, v11, v13
	ds_bpermute_b32 v13, v18, v11
	s_waitcnt lgkmcnt(1)
	v_add_f32_e32 v12, v12, v14
	ds_bpermute_b32 v14, v18, v12
	s_waitcnt lgkmcnt(1)
	v_add_f32_e32 v11, v11, v13
	ds_bpermute_b32 v13, v19, v11
	s_waitcnt lgkmcnt(1)
	v_add_f32_e32 v12, v12, v14
	ds_bpermute_b32 v14, v19, v12
	s_waitcnt lgkmcnt(1)
	v_add_f32_e32 v13, v11, v13
	s_waitcnt lgkmcnt(0)
	v_add_f32_e32 v11, v12, v14
	ds_bpermute_b32 v14, v20, v13
	ds_bpermute_b32 v12, v20, v11
	s_and_saveexec_b32 s4, s3
	s_cbranch_execz .LBB181_28
; %bb.17:
	v_lshlrev_b64 v[0:1], 2, v[0:1]
	s_delay_alu instid0(VALU_DEP_1) | instskip(NEXT) | instid1(VALU_DEP_1)
	v_add_co_u32 v0, s3, s16, v0
	v_add_co_ci_u32_e64 v1, s3, s17, v1, s3
	s_and_saveexec_b32 s5, s1
	s_cbranch_execz .LBB181_22
; %bb.18:
	s_waitcnt lgkmcnt(1)
	v_add_f32_e32 v13, v13, v14
	s_delay_alu instid0(VALU_DEP_1) | instskip(NEXT) | instid1(VALU_DEP_1)
	v_cmp_gt_f32_e64 s3, 0x800000, v13
	v_cndmask_b32_e64 v14, 1.0, 0x4f800000, s3
	s_delay_alu instid0(VALU_DEP_1) | instskip(NEXT) | instid1(VALU_DEP_1)
	v_mul_f32_e32 v13, v13, v14
	v_log_f32_e32 v13, v13
	s_waitcnt_depctr 0xfff
	v_mul_f32_e32 v14, 0x3f317217, v13
	v_cmp_gt_f32_e64 s4, 0x7f800000, |v13|
	s_delay_alu instid0(VALU_DEP_2) | instskip(NEXT) | instid1(VALU_DEP_1)
	v_fma_f32 v15, 0x3f317217, v13, -v14
	v_fmamk_f32 v15, v13, 0x3377d1cf, v15
	s_delay_alu instid0(VALU_DEP_1) | instskip(NEXT) | instid1(VALU_DEP_1)
	v_add_f32_e32 v14, v14, v15
	v_cndmask_b32_e64 v13, v13, v14, s4
	v_cndmask_b32_e64 v14, 0, 0x41b17218, s3
	s_delay_alu instid0(VALU_DEP_1) | instskip(NEXT) | instid1(VALU_DEP_1)
	v_sub_f32_e32 v13, v13, v14
	v_sub_f32_e32 v2, v2, v13
	global_store_b32 v[0:1], v2, off
	s_and_b32 exec_lo, exec_lo, vcc_lo
	s_cbranch_execz .LBB181_22
; %bb.19:
	v_sub_f32_e32 v2, v6, v13
	global_store_b32 v[0:1], v2, off offset:128
	s_and_b32 exec_lo, exec_lo, s0
	s_cbranch_execz .LBB181_22
; %bb.20:
	v_sub_f32_e32 v2, v8, v13
	global_store_b32 v[0:1], v2, off offset:256
	s_and_b32 exec_lo, exec_lo, s2
	s_cbranch_execz .LBB181_22
; %bb.21:
	v_sub_f32_e32 v2, v10, v13
	global_store_b32 v[0:1], v2, off offset:384
.LBB181_22:
	s_or_b32 exec_lo, exec_lo, s5
	v_cmp_ne_u32_e64 s3, 1, v5
	s_delay_alu instid0(VALU_DEP_1)
	s_and_b32 exec_lo, exec_lo, s3
	s_cbranch_execz .LBB181_28
; %bb.23:
	s_and_b32 exec_lo, exec_lo, s1
	s_cbranch_execz .LBB181_28
; %bb.24:
	s_waitcnt lgkmcnt(0)
	v_add_f32_e32 v2, v11, v12
	s_ashr_i32 s23, s22, 31
	s_delay_alu instid0(SALU_CYCLE_1) | instskip(NEXT) | instid1(VALU_DEP_1)
	s_lshl_b64 s[4:5], s[22:23], 2
	v_cmp_gt_f32_e64 s1, 0x800000, v2
	s_delay_alu instid0(VALU_DEP_1) | instskip(NEXT) | instid1(VALU_DEP_1)
	v_cndmask_b32_e64 v5, 1.0, 0x4f800000, s1
	v_mul_f32_e32 v2, v2, v5
	s_delay_alu instid0(VALU_DEP_1) | instskip(SKIP_2) | instid1(VALU_DEP_1)
	v_log_f32_e32 v2, v2
	s_waitcnt_depctr 0xfff
	v_mul_f32_e32 v5, 0x3f317217, v2
	v_fma_f32 v6, 0x3f317217, v2, -v5
	s_delay_alu instid0(VALU_DEP_1) | instskip(NEXT) | instid1(VALU_DEP_1)
	v_fmamk_f32 v6, v2, 0x3377d1cf, v6
	v_add_f32_e32 v5, v5, v6
	v_cndmask_b32_e64 v6, 0, 0x41b17218, s1
	v_cmp_gt_f32_e64 s1, 0x7f800000, |v2|
	s_delay_alu instid0(VALU_DEP_1) | instskip(SKIP_1) | instid1(VALU_DEP_1)
	v_cndmask_b32_e64 v2, v2, v5, s1
	v_add_co_u32 v0, s1, v0, s4
	v_add_co_ci_u32_e64 v1, s1, s5, v1, s1
	s_delay_alu instid0(VALU_DEP_3) | instskip(NEXT) | instid1(VALU_DEP_1)
	v_sub_f32_e32 v2, v2, v6
	v_sub_f32_e32 v3, v3, v2
	global_store_b32 v[0:1], v3, off
	s_and_b32 exec_lo, exec_lo, vcc_lo
	s_cbranch_execz .LBB181_28
; %bb.25:
	v_sub_f32_e32 v3, v4, v2
	global_store_b32 v[0:1], v3, off offset:128
	s_and_b32 exec_lo, exec_lo, s0
	s_cbranch_execz .LBB181_28
; %bb.26:
	v_sub_f32_e32 v3, v7, v2
	global_store_b32 v[0:1], v3, off offset:256
	s_and_b32 exec_lo, exec_lo, s2
	s_cbranch_execz .LBB181_28
; %bb.27:
	v_sub_f32_e32 v2, v9, v2
	global_store_b32 v[0:1], v2, off offset:384
.LBB181_28:
	s_nop 0
	s_sendmsg sendmsg(MSG_DEALLOC_VGPRS)
	s_endpgm
	.section	.rodata,"a",@progbits
	.p2align	6, 0x0
	.amdhsa_kernel _ZN12_GLOBAL__N_120softmax_warp_forwardIN3c108BFloat16EffLi7ELb1ELb0ELi32EEEvPT0_PKT_iiiPKbib
		.amdhsa_group_segment_fixed_size 0
		.amdhsa_private_segment_fixed_size 0
		.amdhsa_kernarg_size 304
		.amdhsa_user_sgpr_count 15
		.amdhsa_user_sgpr_dispatch_ptr 0
		.amdhsa_user_sgpr_queue_ptr 0
		.amdhsa_user_sgpr_kernarg_segment_ptr 1
		.amdhsa_user_sgpr_dispatch_id 0
		.amdhsa_user_sgpr_private_segment_size 0
		.amdhsa_wavefront_size32 1
		.amdhsa_uses_dynamic_stack 0
		.amdhsa_enable_private_segment 0
		.amdhsa_system_sgpr_workgroup_id_x 1
		.amdhsa_system_sgpr_workgroup_id_y 0
		.amdhsa_system_sgpr_workgroup_id_z 0
		.amdhsa_system_sgpr_workgroup_info 0
		.amdhsa_system_vgpr_workitem_id 1
		.amdhsa_next_free_vgpr 40
		.amdhsa_next_free_sgpr 24
		.amdhsa_reserve_vcc 1
		.amdhsa_float_round_mode_32 0
		.amdhsa_float_round_mode_16_64 0
		.amdhsa_float_denorm_mode_32 3
		.amdhsa_float_denorm_mode_16_64 3
		.amdhsa_dx10_clamp 1
		.amdhsa_ieee_mode 1
		.amdhsa_fp16_overflow 0
		.amdhsa_workgroup_processor_mode 1
		.amdhsa_memory_ordered 1
		.amdhsa_forward_progress 0
		.amdhsa_shared_vgpr_count 0
		.amdhsa_exception_fp_ieee_invalid_op 0
		.amdhsa_exception_fp_denorm_src 0
		.amdhsa_exception_fp_ieee_div_zero 0
		.amdhsa_exception_fp_ieee_overflow 0
		.amdhsa_exception_fp_ieee_underflow 0
		.amdhsa_exception_fp_ieee_inexact 0
		.amdhsa_exception_int_div_zero 0
	.end_amdhsa_kernel
	.section	.text._ZN12_GLOBAL__N_120softmax_warp_forwardIN3c108BFloat16EffLi7ELb1ELb0ELi32EEEvPT0_PKT_iiiPKbib,"axG",@progbits,_ZN12_GLOBAL__N_120softmax_warp_forwardIN3c108BFloat16EffLi7ELb1ELb0ELi32EEEvPT0_PKT_iiiPKbib,comdat
.Lfunc_end181:
	.size	_ZN12_GLOBAL__N_120softmax_warp_forwardIN3c108BFloat16EffLi7ELb1ELb0ELi32EEEvPT0_PKT_iiiPKbib, .Lfunc_end181-_ZN12_GLOBAL__N_120softmax_warp_forwardIN3c108BFloat16EffLi7ELb1ELb0ELi32EEEvPT0_PKT_iiiPKbib
                                        ; -- End function
	.section	.AMDGPU.csdata,"",@progbits
; Kernel info:
; codeLenInByte = 2796
; NumSgprs: 26
; NumVgprs: 40
; ScratchSize: 0
; MemoryBound: 0
; FloatMode: 240
; IeeeMode: 1
; LDSByteSize: 0 bytes/workgroup (compile time only)
; SGPRBlocks: 3
; VGPRBlocks: 4
; NumSGPRsForWavesPerEU: 26
; NumVGPRsForWavesPerEU: 40
; Occupancy: 16
; WaveLimiterHint : 0
; COMPUTE_PGM_RSRC2:SCRATCH_EN: 0
; COMPUTE_PGM_RSRC2:USER_SGPR: 15
; COMPUTE_PGM_RSRC2:TRAP_HANDLER: 0
; COMPUTE_PGM_RSRC2:TGID_X_EN: 1
; COMPUTE_PGM_RSRC2:TGID_Y_EN: 0
; COMPUTE_PGM_RSRC2:TGID_Z_EN: 0
; COMPUTE_PGM_RSRC2:TIDIG_COMP_CNT: 1
	.section	.text._ZN12_GLOBAL__N_120softmax_warp_forwardIN3c108BFloat16EffLi8ELb1ELb0ELi64EEEvPT0_PKT_iiiPKbib,"axG",@progbits,_ZN12_GLOBAL__N_120softmax_warp_forwardIN3c108BFloat16EffLi8ELb1ELb0ELi64EEEvPT0_PKT_iiiPKbib,comdat
	.globl	_ZN12_GLOBAL__N_120softmax_warp_forwardIN3c108BFloat16EffLi8ELb1ELb0ELi64EEEvPT0_PKT_iiiPKbib ; -- Begin function _ZN12_GLOBAL__N_120softmax_warp_forwardIN3c108BFloat16EffLi8ELb1ELb0ELi64EEEvPT0_PKT_iiiPKbib
	.p2align	8
	.type	_ZN12_GLOBAL__N_120softmax_warp_forwardIN3c108BFloat16EffLi8ELb1ELb0ELi64EEEvPT0_PKT_iiiPKbib,@function
_ZN12_GLOBAL__N_120softmax_warp_forwardIN3c108BFloat16EffLi8ELb1ELb0ELi64EEEvPT0_PKT_iiiPKbib: ; @_ZN12_GLOBAL__N_120softmax_warp_forwardIN3c108BFloat16EffLi8ELb1ELb0ELi64EEEvPT0_PKT_iiiPKbib
; %bb.0:
	s_clause 0x1
	s_load_b32 s2, s[0:1], 0x3c
	s_load_b256 s[4:11], s[0:1], 0x0
	v_bfe_u32 v1, v0, 10, 10
	v_mov_b32_e32 v6, 0xff800000
	v_mov_b32_e32 v8, 0xff800000
	s_waitcnt lgkmcnt(0)
	s_lshr_b32 s0, s2, 16
	s_delay_alu instid0(SALU_CYCLE_1) | instskip(SKIP_1) | instid1(VALU_DEP_1)
	v_mad_u64_u32 v[3:4], null, s15, s0, v[1:2]
	v_and_b32_e32 v2, 0x3ff, v0
	v_cmp_gt_i32_e64 s0, s10, v2
	s_delay_alu instid0(VALU_DEP_3) | instskip(SKIP_1) | instid1(VALU_DEP_1)
	v_mad_u64_u32 v[0:1], null, v3, s9, v[2:3]
	v_sub_nc_u32_e32 v5, s8, v3
	v_cmp_lt_i32_e64 s3, 0, v5
	s_delay_alu instid0(VALU_DEP_3) | instskip(NEXT) | instid1(VALU_DEP_2)
	v_ashrrev_i32_e32 v1, 31, v0
	s_and_b32 s2, s3, s0
	s_delay_alu instid0(VALU_DEP_1) | instskip(NEXT) | instid1(VALU_DEP_1)
	v_lshlrev_b64 v[3:4], 1, v[0:1]
	v_add_co_u32 v3, vcc_lo, s6, v3
	s_delay_alu instid0(VALU_DEP_2)
	v_add_co_ci_u32_e32 v4, vcc_lo, s7, v4, vcc_lo
	s_and_saveexec_b32 s1, s2
	s_cbranch_execz .LBB182_2
; %bb.1:
	global_load_u16 v7, v[3:4], off
	s_waitcnt vmcnt(0)
	v_lshlrev_b32_e32 v8, 16, v7
.LBB182_2:
	s_or_b32 exec_lo, exec_lo, s1
	v_add_nc_u32_e32 v7, 64, v2
	s_delay_alu instid0(VALU_DEP_1) | instskip(SKIP_1) | instid1(SALU_CYCLE_1)
	v_cmp_gt_i32_e32 vcc_lo, s10, v7
	s_and_b32 s2, s3, vcc_lo
	s_and_saveexec_b32 s1, s2
	s_cbranch_execz .LBB182_4
; %bb.3:
	global_load_u16 v6, v[3:4], off offset:128
	s_waitcnt vmcnt(0)
	v_lshlrev_b32_e32 v6, 16, v6
.LBB182_4:
	s_or_b32 exec_lo, exec_lo, s1
	v_add_nc_u32_e32 v7, 0x80, v2
	v_mov_b32_e32 v9, 0xff800000
	s_delay_alu instid0(VALU_DEP_2) | instskip(SKIP_1) | instid1(VALU_DEP_2)
	v_cmp_gt_i32_e64 s1, s10, v7
	v_mov_b32_e32 v7, 0xff800000
	s_and_b32 s6, s3, s1
	s_delay_alu instid0(SALU_CYCLE_1)
	s_and_saveexec_b32 s2, s6
	s_cbranch_execz .LBB182_6
; %bb.5:
	global_load_u16 v9, v[3:4], off offset:256
	s_waitcnt vmcnt(0)
	v_lshlrev_b32_e32 v9, 16, v9
.LBB182_6:
	s_or_b32 exec_lo, exec_lo, s2
	v_add_nc_u32_e32 v2, 0xc0, v2
	s_delay_alu instid0(VALU_DEP_1) | instskip(NEXT) | instid1(VALU_DEP_1)
	v_cmp_gt_i32_e64 s2, s10, v2
	s_and_b32 s6, s3, s2
	s_delay_alu instid0(SALU_CYCLE_1)
	s_and_saveexec_b32 s3, s6
	s_cbranch_execz .LBB182_8
; %bb.7:
	global_load_u16 v2, v[3:4], off offset:384
	s_waitcnt vmcnt(0)
	v_lshlrev_b32_e32 v7, 16, v2
.LBB182_8:
	s_or_b32 exec_lo, exec_lo, s3
	v_cmp_gt_f32_e64 s3, v8, v6
	v_mbcnt_lo_u32_b32 v2, -1, 0
	s_mov_b32 s6, exec_lo
	s_delay_alu instid0(VALU_DEP_2) | instskip(NEXT) | instid1(VALU_DEP_2)
	v_cndmask_b32_e64 v3, v6, v8, s3
	v_or_b32_e32 v4, 32, v2
	v_xor_b32_e32 v11, 16, v2
	v_xor_b32_e32 v12, 8, v2
	;; [unrolled: 1-line block ×3, first 2 shown]
	v_cmp_gt_f32_e64 s3, v3, v9
	v_xor_b32_e32 v14, 2, v2
	v_xor_b32_e32 v15, 1, v2
	s_delay_alu instid0(VALU_DEP_3) | instskip(SKIP_1) | instid1(VALU_DEP_1)
	v_cndmask_b32_e64 v3, v9, v3, s3
	v_cmp_gt_i32_e64 s3, 64, v4
	v_cndmask_b32_e64 v4, v2, v4, s3
	s_delay_alu instid0(VALU_DEP_3) | instskip(NEXT) | instid1(VALU_DEP_2)
	v_cmp_gt_f32_e64 s3, v3, v7
	v_lshlrev_b32_e32 v10, 2, v4
	s_delay_alu instid0(VALU_DEP_2) | instskip(SKIP_3) | instid1(VALU_DEP_1)
	v_cndmask_b32_e64 v3, v7, v3, s3
	v_cmp_gt_i32_e64 s3, 64, v11
	ds_bpermute_b32 v4, v10, v3
	v_cndmask_b32_e64 v11, v2, v11, s3
	v_lshlrev_b32_e32 v11, 2, v11
	s_waitcnt lgkmcnt(0)
	v_cmp_lt_f32_e64 s3, v3, v4
	s_delay_alu instid0(VALU_DEP_1) | instskip(SKIP_3) | instid1(VALU_DEP_1)
	v_cndmask_b32_e64 v3, v3, v4, s3
	v_cmp_gt_i32_e64 s3, 64, v12
	ds_bpermute_b32 v4, v11, v3
	v_cndmask_b32_e64 v12, v2, v12, s3
	v_lshlrev_b32_e32 v12, 2, v12
	s_waitcnt lgkmcnt(0)
	v_cmp_lt_f32_e64 s3, v3, v4
	s_delay_alu instid0(VALU_DEP_1) | instskip(SKIP_3) | instid1(VALU_DEP_1)
	;; [unrolled: 8-line block ×5, first 2 shown]
	v_cndmask_b32_e64 v2, v3, v4, s3
	ds_bpermute_b32 v3, v15, v2
	s_waitcnt lgkmcnt(0)
	v_cmp_lt_f32_e64 s3, v2, v3
	v_cndmask_b32_e64 v16, v2, v3, s3
	s_delay_alu instid0(VALU_DEP_1) | instskip(SKIP_2) | instid1(VALU_DEP_3)
	v_sub_f32_e32 v2, v8, v16
	v_sub_f32_e32 v3, v6, v16
	v_sub_f32_e32 v6, v7, v16
	v_dual_sub_f32 v4, v9, v16 :: v_dual_mul_f32 v7, 0x3fb8aa3b, v2
	s_delay_alu instid0(VALU_DEP_3) | instskip(SKIP_1) | instid1(VALU_DEP_3)
	v_mul_f32_e32 v8, 0x3fb8aa3b, v3
	v_cmp_ngt_f32_e64 s3, 0xc2ce8ed0, v2
	v_mul_f32_e32 v9, 0x3fb8aa3b, v4
	s_delay_alu instid0(VALU_DEP_4)
	v_fma_f32 v17, 0x3fb8aa3b, v2, -v7
	v_rndne_f32_e32 v18, v7
	v_rndne_f32_e32 v20, v8
	v_fma_f32 v19, 0x3fb8aa3b, v3, -v8
	v_fma_f32 v21, 0x3fb8aa3b, v4, -v9
	v_fmac_f32_e32 v17, 0x32a5705f, v2
	s_delay_alu instid0(VALU_DEP_4) | instskip(SKIP_3) | instid1(VALU_DEP_4)
	v_dual_sub_f32 v7, v7, v18 :: v_dual_sub_f32 v8, v8, v20
	v_mul_f32_e32 v16, 0x3fb8aa3b, v6
	v_rndne_f32_e32 v22, v9
	v_cvt_i32_f32_e32 v18, v18
	v_add_f32_e32 v7, v7, v17
	s_delay_alu instid0(VALU_DEP_4) | instskip(SKIP_2) | instid1(VALU_DEP_4)
	v_fma_f32 v23, 0x3fb8aa3b, v6, -v16
	v_rndne_f32_e32 v17, v16
	v_fmac_f32_e32 v19, 0x32a5705f, v3
	v_exp_f32_e32 v7, v7
	s_delay_alu instid0(VALU_DEP_2) | instskip(NEXT) | instid1(VALU_DEP_2)
	v_dual_fmac_f32 v23, 0x32a5705f, v6 :: v_dual_sub_f32 v16, v16, v17
	v_dual_fmac_f32 v21, 0x32a5705f, v4 :: v_dual_add_f32 v8, v8, v19
	v_sub_f32_e32 v9, v9, v22
	v_cvt_i32_f32_e32 v19, v20
	s_delay_alu instid0(VALU_DEP_4) | instskip(SKIP_3) | instid1(TRANS32_DEP_2)
	v_add_f32_e32 v16, v16, v23
	v_cvt_i32_f32_e32 v20, v22
	v_exp_f32_e32 v8, v8
	v_add_f32_e32 v9, v9, v21
	v_ldexp_f32 v7, v7, v18
	v_exp_f32_e32 v16, v16
	v_cvt_i32_f32_e32 v17, v17
	s_delay_alu instid0(VALU_DEP_3) | instskip(NEXT) | instid1(VALU_DEP_2)
	v_exp_f32_e32 v9, v9
	v_cndmask_b32_e64 v7, 0, v7, s3
	v_cmp_ngt_f32_e64 s3, 0xc2ce8ed0, v3
	s_delay_alu instid0(TRANS32_DEP_3)
	v_ldexp_f32 v8, v8, v19
	s_waitcnt_depctr 0xfff
	v_ldexp_f32 v16, v16, v17
	v_cndmask_b32_e64 v8, 0, v8, s3
	v_ldexp_f32 v9, v9, v20
	v_cmp_ngt_f32_e64 s3, 0xc2ce8ed0, v4
	s_delay_alu instid0(VALU_DEP_1) | instskip(SKIP_1) | instid1(VALU_DEP_1)
	v_cndmask_b32_e64 v9, 0, v9, s3
	v_cmp_nlt_f32_e64 s3, 0x42b17218, v2
	v_cndmask_b32_e64 v7, 0x7f800000, v7, s3
	v_cmp_nlt_f32_e64 s3, 0x42b17218, v3
	s_delay_alu instid0(VALU_DEP_1) | instskip(SKIP_1) | instid1(VALU_DEP_2)
	v_cndmask_b32_e64 v8, 0x7f800000, v8, s3
	v_cmp_nlt_f32_e64 s3, 0x42b17218, v4
	v_add_f32_e32 v7, v7, v8
	s_delay_alu instid0(VALU_DEP_2) | instskip(SKIP_1) | instid1(VALU_DEP_2)
	v_cndmask_b32_e64 v9, 0x7f800000, v9, s3
	v_cmp_ngt_f32_e64 s3, 0xc2ce8ed0, v6
	v_add_f32_e32 v7, v7, v9
	s_delay_alu instid0(VALU_DEP_2) | instskip(SKIP_1) | instid1(VALU_DEP_1)
	v_cndmask_b32_e64 v8, 0, v16, s3
	v_cmp_nlt_f32_e64 s3, 0x42b17218, v6
	v_cndmask_b32_e64 v8, 0x7f800000, v8, s3
	s_delay_alu instid0(VALU_DEP_1)
	v_add_f32_e32 v7, v7, v8
	ds_bpermute_b32 v8, v10, v7
	s_waitcnt lgkmcnt(0)
	v_add_f32_e32 v7, v7, v8
	ds_bpermute_b32 v8, v11, v7
	s_waitcnt lgkmcnt(0)
	;; [unrolled: 3-line block ×5, first 2 shown]
	v_add_f32_e32 v7, v7, v8
	ds_bpermute_b32 v8, v15, v7
	v_cmpx_lt_i32_e32 0, v5
	s_cbranch_execz .LBB182_14
; %bb.9:
	s_and_b32 exec_lo, exec_lo, s0
	s_cbranch_execz .LBB182_14
; %bb.10:
	s_waitcnt lgkmcnt(0)
	v_add_f32_e32 v5, v7, v8
	v_lshlrev_b64 v[0:1], 2, v[0:1]
	s_delay_alu instid0(VALU_DEP_2) | instskip(NEXT) | instid1(VALU_DEP_1)
	v_cmp_gt_f32_e64 s0, 0x800000, v5
	v_cndmask_b32_e64 v7, 1.0, 0x4f800000, s0
	s_delay_alu instid0(VALU_DEP_1) | instskip(NEXT) | instid1(VALU_DEP_1)
	v_mul_f32_e32 v5, v5, v7
	v_log_f32_e32 v5, v5
	s_waitcnt_depctr 0xfff
	v_mul_f32_e32 v7, 0x3f317217, v5
	v_cmp_gt_f32_e64 s3, 0x7f800000, |v5|
	s_delay_alu instid0(VALU_DEP_2) | instskip(NEXT) | instid1(VALU_DEP_1)
	v_fma_f32 v8, 0x3f317217, v5, -v7
	v_fmamk_f32 v8, v5, 0x3377d1cf, v8
	s_delay_alu instid0(VALU_DEP_1) | instskip(NEXT) | instid1(VALU_DEP_1)
	v_add_f32_e32 v7, v7, v8
	v_cndmask_b32_e64 v5, v5, v7, s3
	v_cndmask_b32_e64 v7, 0, 0x41b17218, s0
	v_add_co_u32 v0, s0, s4, v0
	s_delay_alu instid0(VALU_DEP_1) | instskip(NEXT) | instid1(VALU_DEP_3)
	v_add_co_ci_u32_e64 v1, s0, s5, v1, s0
	v_sub_f32_e32 v5, v5, v7
	s_delay_alu instid0(VALU_DEP_1)
	v_sub_f32_e32 v2, v2, v5
	global_store_b32 v[0:1], v2, off
	s_and_b32 exec_lo, exec_lo, vcc_lo
	s_cbranch_execz .LBB182_14
; %bb.11:
	v_sub_f32_e32 v2, v3, v5
	global_store_b32 v[0:1], v2, off offset:256
	s_and_b32 exec_lo, exec_lo, s1
	s_cbranch_execz .LBB182_14
; %bb.12:
	v_sub_f32_e32 v2, v4, v5
	global_store_b32 v[0:1], v2, off offset:512
	s_and_b32 exec_lo, exec_lo, s2
	s_cbranch_execz .LBB182_14
; %bb.13:
	v_sub_f32_e32 v2, v6, v5
	global_store_b32 v[0:1], v2, off offset:768
.LBB182_14:
	s_nop 0
	s_sendmsg sendmsg(MSG_DEALLOC_VGPRS)
	s_endpgm
	.section	.rodata,"a",@progbits
	.p2align	6, 0x0
	.amdhsa_kernel _ZN12_GLOBAL__N_120softmax_warp_forwardIN3c108BFloat16EffLi8ELb1ELb0ELi64EEEvPT0_PKT_iiiPKbib
		.amdhsa_group_segment_fixed_size 0
		.amdhsa_private_segment_fixed_size 0
		.amdhsa_kernarg_size 304
		.amdhsa_user_sgpr_count 15
		.amdhsa_user_sgpr_dispatch_ptr 0
		.amdhsa_user_sgpr_queue_ptr 0
		.amdhsa_user_sgpr_kernarg_segment_ptr 1
		.amdhsa_user_sgpr_dispatch_id 0
		.amdhsa_user_sgpr_private_segment_size 0
		.amdhsa_wavefront_size32 1
		.amdhsa_uses_dynamic_stack 0
		.amdhsa_enable_private_segment 0
		.amdhsa_system_sgpr_workgroup_id_x 1
		.amdhsa_system_sgpr_workgroup_id_y 0
		.amdhsa_system_sgpr_workgroup_id_z 0
		.amdhsa_system_sgpr_workgroup_info 0
		.amdhsa_system_vgpr_workitem_id 1
		.amdhsa_next_free_vgpr 24
		.amdhsa_next_free_sgpr 16
		.amdhsa_reserve_vcc 1
		.amdhsa_float_round_mode_32 0
		.amdhsa_float_round_mode_16_64 0
		.amdhsa_float_denorm_mode_32 3
		.amdhsa_float_denorm_mode_16_64 3
		.amdhsa_dx10_clamp 1
		.amdhsa_ieee_mode 1
		.amdhsa_fp16_overflow 0
		.amdhsa_workgroup_processor_mode 1
		.amdhsa_memory_ordered 1
		.amdhsa_forward_progress 0
		.amdhsa_shared_vgpr_count 0
		.amdhsa_exception_fp_ieee_invalid_op 0
		.amdhsa_exception_fp_denorm_src 0
		.amdhsa_exception_fp_ieee_div_zero 0
		.amdhsa_exception_fp_ieee_overflow 0
		.amdhsa_exception_fp_ieee_underflow 0
		.amdhsa_exception_fp_ieee_inexact 0
		.amdhsa_exception_int_div_zero 0
	.end_amdhsa_kernel
	.section	.text._ZN12_GLOBAL__N_120softmax_warp_forwardIN3c108BFloat16EffLi8ELb1ELb0ELi64EEEvPT0_PKT_iiiPKbib,"axG",@progbits,_ZN12_GLOBAL__N_120softmax_warp_forwardIN3c108BFloat16EffLi8ELb1ELb0ELi64EEEvPT0_PKT_iiiPKbib,comdat
.Lfunc_end182:
	.size	_ZN12_GLOBAL__N_120softmax_warp_forwardIN3c108BFloat16EffLi8ELb1ELb0ELi64EEEvPT0_PKT_iiiPKbib, .Lfunc_end182-_ZN12_GLOBAL__N_120softmax_warp_forwardIN3c108BFloat16EffLi8ELb1ELb0ELi64EEEvPT0_PKT_iiiPKbib
                                        ; -- End function
	.section	.AMDGPU.csdata,"",@progbits
; Kernel info:
; codeLenInByte = 1588
; NumSgprs: 18
; NumVgprs: 24
; ScratchSize: 0
; MemoryBound: 0
; FloatMode: 240
; IeeeMode: 1
; LDSByteSize: 0 bytes/workgroup (compile time only)
; SGPRBlocks: 2
; VGPRBlocks: 2
; NumSGPRsForWavesPerEU: 18
; NumVGPRsForWavesPerEU: 24
; Occupancy: 16
; WaveLimiterHint : 0
; COMPUTE_PGM_RSRC2:SCRATCH_EN: 0
; COMPUTE_PGM_RSRC2:USER_SGPR: 15
; COMPUTE_PGM_RSRC2:TRAP_HANDLER: 0
; COMPUTE_PGM_RSRC2:TGID_X_EN: 1
; COMPUTE_PGM_RSRC2:TGID_Y_EN: 0
; COMPUTE_PGM_RSRC2:TGID_Z_EN: 0
; COMPUTE_PGM_RSRC2:TIDIG_COMP_CNT: 1
	.section	.text._ZN12_GLOBAL__N_120softmax_warp_forwardIN3c108BFloat16EffLi8ELb1ELb0ELi32EEEvPT0_PKT_iiiPKbib,"axG",@progbits,_ZN12_GLOBAL__N_120softmax_warp_forwardIN3c108BFloat16EffLi8ELb1ELb0ELi32EEEvPT0_PKT_iiiPKbib,comdat
	.globl	_ZN12_GLOBAL__N_120softmax_warp_forwardIN3c108BFloat16EffLi8ELb1ELb0ELi32EEEvPT0_PKT_iiiPKbib ; -- Begin function _ZN12_GLOBAL__N_120softmax_warp_forwardIN3c108BFloat16EffLi8ELb1ELb0ELi32EEEvPT0_PKT_iiiPKbib
	.p2align	8
	.type	_ZN12_GLOBAL__N_120softmax_warp_forwardIN3c108BFloat16EffLi8ELb1ELb0ELi32EEEvPT0_PKT_iiiPKbib,@function
_ZN12_GLOBAL__N_120softmax_warp_forwardIN3c108BFloat16EffLi8ELb1ELb0ELi32EEEvPT0_PKT_iiiPKbib: ; @_ZN12_GLOBAL__N_120softmax_warp_forwardIN3c108BFloat16EffLi8ELb1ELb0ELi32EEEvPT0_PKT_iiiPKbib
; %bb.0:
	s_clause 0x1
	s_load_b32 s2, s[0:1], 0x3c
	s_load_b256 s[16:23], s[0:1], 0x0
	v_bfe_u32 v1, v0, 10, 10
	v_dual_mov_b32 v6, 0xff800000 :: v_dual_mov_b32 v9, 0xff800000
	s_waitcnt lgkmcnt(0)
	s_lshr_b32 s0, s2, 16
	s_delay_alu instid0(VALU_DEP_2) | instid1(SALU_CYCLE_1)
	v_mad_u64_u32 v[3:4], null, s15, s0, v[1:2]
	v_and_b32_e32 v2, 0x3ff, v0
	s_delay_alu instid0(VALU_DEP_1) | instskip(NEXT) | instid1(VALU_DEP_3)
	v_cmp_gt_i32_e64 s0, s22, v2
	v_mad_u64_u32 v[0:1], null, v3, s21, v[2:3]
	v_sub_nc_u32_e32 v5, s20, v3
	s_delay_alu instid0(VALU_DEP_1) | instskip(NEXT) | instid1(VALU_DEP_3)
	v_cmp_lt_i32_e64 s7, 0, v5
	v_ashrrev_i32_e32 v1, 31, v0
	s_delay_alu instid0(VALU_DEP_2) | instskip(NEXT) | instid1(VALU_DEP_1)
	s_and_b32 s2, s7, s0
	v_lshlrev_b64 v[3:4], 1, v[0:1]
	s_delay_alu instid0(VALU_DEP_1) | instskip(NEXT) | instid1(VALU_DEP_2)
	v_add_co_u32 v3, vcc_lo, s18, v3
	v_add_co_ci_u32_e32 v4, vcc_lo, s19, v4, vcc_lo
	s_and_saveexec_b32 s1, s2
	s_cbranch_execz .LBB183_2
; %bb.1:
	global_load_u16 v7, v[3:4], off
	s_waitcnt vmcnt(0)
	v_lshlrev_b32_e32 v9, 16, v7
.LBB183_2:
	s_or_b32 exec_lo, exec_lo, s1
	v_add_nc_u32_e32 v7, 32, v2
	s_delay_alu instid0(VALU_DEP_1) | instskip(SKIP_1) | instid1(SALU_CYCLE_1)
	v_cmp_gt_i32_e32 vcc_lo, s22, v7
	s_and_b32 s2, s7, vcc_lo
	s_and_saveexec_b32 s1, s2
	s_cbranch_execz .LBB183_4
; %bb.3:
	global_load_u16 v6, v[3:4], off offset:64
	s_waitcnt vmcnt(0)
	v_lshlrev_b32_e32 v6, 16, v6
.LBB183_4:
	s_or_b32 exec_lo, exec_lo, s1
	v_add_nc_u32_e32 v7, 64, v2
	v_mov_b32_e32 v11, 0xff800000
	s_delay_alu instid0(VALU_DEP_2) | instskip(SKIP_1) | instid1(VALU_DEP_2)
	v_cmp_gt_i32_e64 s1, s22, v7
	v_mov_b32_e32 v7, 0xff800000
	s_and_b32 s3, s7, s1
	s_delay_alu instid0(SALU_CYCLE_1)
	s_and_saveexec_b32 s2, s3
	s_cbranch_execz .LBB183_6
; %bb.5:
	global_load_u16 v8, v[3:4], off offset:128
	s_waitcnt vmcnt(0)
	v_lshlrev_b32_e32 v11, 16, v8
.LBB183_6:
	s_or_b32 exec_lo, exec_lo, s2
	v_add_nc_u32_e32 v8, 0x60, v2
	s_delay_alu instid0(VALU_DEP_1) | instskip(NEXT) | instid1(VALU_DEP_1)
	v_cmp_gt_i32_e64 s2, s22, v8
	s_and_b32 s4, s7, s2
	s_delay_alu instid0(SALU_CYCLE_1)
	s_and_saveexec_b32 s3, s4
	s_cbranch_execz .LBB183_8
; %bb.7:
	global_load_u16 v7, v[3:4], off offset:192
	s_waitcnt vmcnt(0)
	v_lshlrev_b32_e32 v7, 16, v7
.LBB183_8:
	s_or_b32 exec_lo, exec_lo, s3
	v_add_nc_u32_e32 v8, 0x80, v2
	v_mov_b32_e32 v12, 0xff800000
	s_delay_alu instid0(VALU_DEP_2) | instskip(SKIP_1) | instid1(VALU_DEP_2)
	v_cmp_gt_i32_e64 s3, s22, v8
	v_mov_b32_e32 v8, 0xff800000
	s_and_b32 s5, s7, s3
	s_delay_alu instid0(SALU_CYCLE_1)
	s_and_saveexec_b32 s4, s5
	s_cbranch_execz .LBB183_10
; %bb.9:
	global_load_u16 v10, v[3:4], off offset:256
	s_waitcnt vmcnt(0)
	v_lshlrev_b32_e32 v12, 16, v10
.LBB183_10:
	s_or_b32 exec_lo, exec_lo, s4
	v_add_nc_u32_e32 v10, 0xa0, v2
	s_delay_alu instid0(VALU_DEP_1) | instskip(NEXT) | instid1(VALU_DEP_1)
	v_cmp_gt_i32_e64 s4, s22, v10
	s_and_b32 s6, s7, s4
	s_delay_alu instid0(SALU_CYCLE_1)
	;; [unrolled: 28-line block ×3, first 2 shown]
	s_and_saveexec_b32 s7, s8
	s_cbranch_execz .LBB183_16
; %bb.15:
	global_load_u16 v2, v[3:4], off offset:448
	s_waitcnt vmcnt(0)
	v_lshlrev_b32_e32 v10, 16, v2
.LBB183_16:
	s_or_b32 exec_lo, exec_lo, s7
	v_cmp_gt_f32_e64 s7, v9, v6
	v_mbcnt_lo_u32_b32 v3, -1, 0
	s_mov_b32 s8, exec_lo
	s_delay_alu instid0(VALU_DEP_2) | instskip(NEXT) | instid1(VALU_DEP_2)
	v_cndmask_b32_e64 v2, v6, v9, s7
	v_xor_b32_e32 v4, 16, v3
	v_xor_b32_e32 v15, 8, v3
	;; [unrolled: 1-line block ×4, first 2 shown]
	v_cmp_gt_f32_e64 s7, v2, v11
	v_xor_b32_e32 v18, 1, v3
	s_delay_alu instid0(VALU_DEP_2) | instskip(NEXT) | instid1(VALU_DEP_1)
	v_cndmask_b32_e64 v2, v11, v2, s7
	v_cmp_gt_f32_e64 s7, v2, v7
	s_delay_alu instid0(VALU_DEP_1) | instskip(NEXT) | instid1(VALU_DEP_1)
	v_cndmask_b32_e64 v2, v7, v2, s7
	v_cmp_gt_f32_e64 s7, v2, v12
	s_delay_alu instid0(VALU_DEP_1) | instskip(NEXT) | instid1(VALU_DEP_1)
	v_cndmask_b32_e64 v2, v12, v2, s7
	v_cmp_gt_f32_e64 s7, v2, v8
	s_delay_alu instid0(VALU_DEP_1) | instskip(SKIP_1) | instid1(VALU_DEP_1)
	v_cndmask_b32_e64 v2, v8, v2, s7
	v_cmp_gt_i32_e64 s7, 32, v4
	v_cndmask_b32_e64 v4, v3, v4, s7
	s_delay_alu instid0(VALU_DEP_3) | instskip(NEXT) | instid1(VALU_DEP_2)
	v_cmp_gt_f32_e64 s7, v2, v13
	v_lshlrev_b32_e32 v14, 2, v4
	s_delay_alu instid0(VALU_DEP_2) | instskip(NEXT) | instid1(VALU_DEP_1)
	v_cndmask_b32_e64 v2, v13, v2, s7
	v_cmp_gt_f32_e64 s7, v2, v10
	s_delay_alu instid0(VALU_DEP_1) | instskip(SKIP_3) | instid1(VALU_DEP_1)
	v_cndmask_b32_e64 v2, v10, v2, s7
	v_cmp_gt_i32_e64 s7, 32, v15
	ds_bpermute_b32 v4, v14, v2
	v_cndmask_b32_e64 v15, v3, v15, s7
	v_lshlrev_b32_e32 v15, 2, v15
	s_waitcnt lgkmcnt(0)
	v_cmp_lt_f32_e64 s7, v2, v4
	s_delay_alu instid0(VALU_DEP_1) | instskip(SKIP_3) | instid1(VALU_DEP_1)
	v_cndmask_b32_e64 v2, v2, v4, s7
	v_cmp_gt_i32_e64 s7, 32, v16
	ds_bpermute_b32 v4, v15, v2
	v_cndmask_b32_e64 v16, v3, v16, s7
	v_lshlrev_b32_e32 v16, 2, v16
	s_waitcnt lgkmcnt(0)
	v_cmp_lt_f32_e64 s7, v2, v4
	;; [unrolled: 8-line block ×4, first 2 shown]
	s_delay_alu instid0(VALU_DEP_1) | instskip(SKIP_3) | instid1(VALU_DEP_1)
	v_cndmask_b32_e64 v2, v2, v4, s7
	ds_bpermute_b32 v3, v18, v2
	s_waitcnt lgkmcnt(0)
	v_cmp_lt_f32_e64 s7, v2, v3
	v_cndmask_b32_e64 v19, v2, v3, s7
	s_delay_alu instid0(VALU_DEP_1)
	v_sub_f32_e32 v2, v9, v19
	v_sub_f32_e32 v3, v6, v19
	;; [unrolled: 1-line block ×5, first 2 shown]
	v_dual_mul_f32 v11, 0x3fb8aa3b, v2 :: v_dual_sub_f32 v10, v10, v19
	v_sub_f32_e32 v8, v8, v19
	v_cmp_ngt_f32_e64 s7, 0xc2ce8ed0, v2
	s_delay_alu instid0(VALU_DEP_3) | instskip(NEXT) | instid1(VALU_DEP_4)
	v_fma_f32 v24, 0x3fb8aa3b, v2, -v11
	v_mul_f32_e32 v23, 0x3fb8aa3b, v10
	v_sub_f32_e32 v9, v13, v19
	v_mul_f32_e32 v19, 0x3fb8aa3b, v6
	v_mul_f32_e32 v13, 0x3fb8aa3b, v4
	v_fmac_f32_e32 v24, 0x32a5705f, v2
	v_rndne_f32_e32 v25, v11
	v_mul_f32_e32 v12, 0x3fb8aa3b, v3
	v_rndne_f32_e32 v31, v19
	v_fma_f32 v28, 0x3fb8aa3b, v4, -v13
	v_rndne_f32_e32 v29, v13
	v_sub_f32_e32 v11, v11, v25
	v_fma_f32 v26, 0x3fb8aa3b, v3, -v12
	v_rndne_f32_e32 v27, v12
	s_delay_alu instid0(VALU_DEP_4) | instskip(SKIP_1) | instid1(VALU_DEP_4)
	v_dual_mul_f32 v20, 0x3fb8aa3b, v7 :: v_dual_sub_f32 v13, v13, v29
	v_fma_f32 v30, 0x3fb8aa3b, v6, -v19
	v_dual_fmac_f32 v26, 0x32a5705f, v3 :: v_dual_add_f32 v11, v11, v24
	v_dual_fmac_f32 v28, 0x32a5705f, v4 :: v_dual_sub_f32 v19, v19, v31
	v_sub_f32_e32 v12, v12, v27
	v_cvt_i32_f32_e32 v25, v25
	s_delay_alu instid0(VALU_DEP_4) | instskip(NEXT) | instid1(VALU_DEP_3)
	v_exp_f32_e32 v11, v11
	v_add_f32_e32 v13, v13, v28
	s_delay_alu instid0(VALU_DEP_3) | instskip(SKIP_2) | instid1(VALU_DEP_4)
	v_dual_mul_f32 v21, 0x3fb8aa3b, v8 :: v_dual_add_f32 v12, v12, v26
	v_cvt_i32_f32_e32 v27, v27
	v_fma_f32 v32, 0x3fb8aa3b, v7, -v20
	v_exp_f32_e32 v13, v13
	s_delay_alu instid0(VALU_DEP_3) | instskip(SKIP_2) | instid1(TRANS32_DEP_3)
	v_rndne_f32_e32 v35, v21
	v_exp_f32_e32 v12, v12
	v_cvt_i32_f32_e32 v29, v29
	v_ldexp_f32 v11, v11, v25
	v_fmac_f32_e32 v30, 0x32a5705f, v6
	v_fma_f32 v34, 0x3fb8aa3b, v8, -v21
	v_sub_f32_e32 v21, v21, v35
	v_fmac_f32_e32 v32, 0x32a5705f, v7
	v_cndmask_b32_e64 v11, 0, v11, s7
	v_add_f32_e32 v19, v19, v30
	v_cmp_ngt_f32_e64 s7, 0xc2ce8ed0, v3
	v_ldexp_f32 v12, v12, v27
	v_ldexp_f32 v13, v13, v29
	v_cvt_i32_f32_e32 v31, v31
	v_exp_f32_e32 v19, v19
	v_mul_f32_e32 v22, 0x3fb8aa3b, v9
	v_cndmask_b32_e64 v12, 0, v12, s7
	v_cmp_ngt_f32_e64 s7, 0xc2ce8ed0, v4
	v_rndne_f32_e32 v33, v20
	v_rndne_f32_e32 v39, v23
	;; [unrolled: 1-line block ×3, first 2 shown]
	v_fma_f32 v36, 0x3fb8aa3b, v9, -v22
	v_cndmask_b32_e64 v13, 0, v13, s7
	v_cmp_nlt_f32_e64 s7, 0x42b17218, v2
	v_ldexp_f32 v19, v19, v31
	v_sub_f32_e32 v20, v20, v33
	v_fma_f32 v38, 0x3fb8aa3b, v10, -v23
	v_sub_f32_e32 v23, v23, v39
	v_cndmask_b32_e64 v11, 0x7f800000, v11, s7
	v_cmp_nlt_f32_e64 s7, 0x42b17218, v3
	v_add_f32_e32 v20, v20, v32
	v_cvt_i32_f32_e32 v33, v33
	v_cvt_i32_f32_e32 v35, v35
	;; [unrolled: 1-line block ×3, first 2 shown]
	v_cndmask_b32_e64 v12, 0x7f800000, v12, s7
	v_cmp_ngt_f32_e64 s7, 0xc2ce8ed0, v6
	v_sub_f32_e32 v22, v22, v37
	v_exp_f32_e32 v20, v20
	v_cvt_i32_f32_e32 v26, v39
	v_add_f32_e32 v11, v11, v12
	v_cndmask_b32_e64 v19, 0, v19, s7
	v_cmp_nlt_f32_e64 s7, 0x42b17218, v4
	s_delay_alu instid0(VALU_DEP_1) | instskip(SKIP_1) | instid1(TRANS32_DEP_1)
	v_cndmask_b32_e64 v13, 0x7f800000, v13, s7
	v_fmac_f32_e32 v38, 0x32a5705f, v10
	v_ldexp_f32 v20, v20, v33
	v_cmp_ngt_f32_e64 s7, 0xc2ce8ed0, v7
	s_delay_alu instid0(VALU_DEP_4) | instskip(NEXT) | instid1(VALU_DEP_4)
	v_dual_add_f32 v11, v11, v13 :: v_dual_fmac_f32 v34, 0x32a5705f, v8
	v_dual_add_f32 v23, v23, v38 :: v_dual_fmac_f32 v36, 0x32a5705f, v9
	s_delay_alu instid0(VALU_DEP_3) | instskip(SKIP_1) | instid1(VALU_DEP_4)
	v_cndmask_b32_e64 v12, 0, v20, s7
	v_cmp_nlt_f32_e64 s7, 0x42b17218, v6
	v_add_f32_e32 v21, v21, v34
	s_delay_alu instid0(VALU_DEP_4) | instskip(SKIP_1) | instid1(VALU_DEP_3)
	v_exp_f32_e32 v23, v23
	v_add_f32_e32 v22, v22, v36
	v_cndmask_b32_e64 v19, 0x7f800000, v19, s7
	s_delay_alu instid0(VALU_DEP_3) | instskip(SKIP_1) | instid1(VALU_DEP_3)
	v_exp_f32_e32 v21, v21
	v_cmp_ngt_f32_e64 s7, 0xc2ce8ed0, v8
	v_exp_f32_e32 v22, v22
	s_delay_alu instid0(VALU_DEP_2) | instskip(SKIP_3) | instid1(VALU_DEP_2)
	v_add_f32_e32 v11, v11, v19
	s_waitcnt_depctr 0xfff
	v_ldexp_f32 v21, v21, v35
	v_ldexp_f32 v22, v22, v24
	v_cndmask_b32_e64 v13, 0, v21, s7
	v_cmp_nlt_f32_e64 s7, 0x42b17218, v7
	s_delay_alu instid0(VALU_DEP_1) | instskip(SKIP_1) | instid1(VALU_DEP_2)
	v_cndmask_b32_e64 v12, 0x7f800000, v12, s7
	v_cmp_ngt_f32_e64 s7, 0xc2ce8ed0, v9
	v_add_f32_e32 v11, v11, v12
	s_delay_alu instid0(VALU_DEP_2) | instskip(SKIP_2) | instid1(VALU_DEP_2)
	v_cndmask_b32_e64 v19, 0, v22, s7
	v_cmp_nlt_f32_e64 s7, 0x42b17218, v8
	v_ldexp_f32 v12, v23, v26
	v_cndmask_b32_e64 v13, 0x7f800000, v13, s7
	v_cmp_nlt_f32_e64 s7, 0x42b17218, v9
	s_delay_alu instid0(VALU_DEP_2) | instskip(NEXT) | instid1(VALU_DEP_2)
	v_add_f32_e32 v11, v11, v13
	v_cndmask_b32_e64 v19, 0x7f800000, v19, s7
	v_cmp_ngt_f32_e64 s7, 0xc2ce8ed0, v10
	s_delay_alu instid0(VALU_DEP_2) | instskip(NEXT) | instid1(VALU_DEP_2)
	v_add_f32_e32 v11, v11, v19
	v_cndmask_b32_e64 v12, 0, v12, s7
	v_cmp_nlt_f32_e64 s7, 0x42b17218, v10
	s_delay_alu instid0(VALU_DEP_1) | instskip(NEXT) | instid1(VALU_DEP_1)
	v_cndmask_b32_e64 v12, 0x7f800000, v12, s7
	v_add_f32_e32 v11, v11, v12
	ds_bpermute_b32 v12, v14, v11
	s_waitcnt lgkmcnt(0)
	v_add_f32_e32 v11, v11, v12
	ds_bpermute_b32 v12, v15, v11
	s_waitcnt lgkmcnt(0)
	;; [unrolled: 3-line block ×4, first 2 shown]
	v_add_f32_e32 v11, v11, v12
	ds_bpermute_b32 v12, v18, v11
	v_cmpx_lt_i32_e32 0, v5
	s_cbranch_execz .LBB183_26
; %bb.17:
	s_and_b32 exec_lo, exec_lo, s0
	s_cbranch_execz .LBB183_26
; %bb.18:
	s_waitcnt lgkmcnt(0)
	v_add_f32_e32 v5, v11, v12
	v_lshlrev_b64 v[0:1], 2, v[0:1]
	s_delay_alu instid0(VALU_DEP_2) | instskip(NEXT) | instid1(VALU_DEP_1)
	v_cmp_gt_f32_e64 s0, 0x800000, v5
	v_cndmask_b32_e64 v11, 1.0, 0x4f800000, s0
	s_delay_alu instid0(VALU_DEP_1) | instskip(NEXT) | instid1(VALU_DEP_1)
	v_mul_f32_e32 v5, v5, v11
	v_log_f32_e32 v5, v5
	s_waitcnt_depctr 0xfff
	v_mul_f32_e32 v11, 0x3f317217, v5
	v_cmp_gt_f32_e64 s7, 0x7f800000, |v5|
	s_delay_alu instid0(VALU_DEP_2) | instskip(NEXT) | instid1(VALU_DEP_1)
	v_fma_f32 v12, 0x3f317217, v5, -v11
	v_fmamk_f32 v12, v5, 0x3377d1cf, v12
	s_delay_alu instid0(VALU_DEP_1) | instskip(NEXT) | instid1(VALU_DEP_1)
	v_add_f32_e32 v11, v11, v12
	v_cndmask_b32_e64 v5, v5, v11, s7
	v_cndmask_b32_e64 v11, 0, 0x41b17218, s0
	v_add_co_u32 v0, s0, s16, v0
	s_delay_alu instid0(VALU_DEP_1) | instskip(NEXT) | instid1(VALU_DEP_3)
	v_add_co_ci_u32_e64 v1, s0, s17, v1, s0
	v_sub_f32_e32 v5, v5, v11
	s_delay_alu instid0(VALU_DEP_1)
	v_sub_f32_e32 v2, v2, v5
	global_store_b32 v[0:1], v2, off
	s_and_b32 exec_lo, exec_lo, vcc_lo
	s_cbranch_execz .LBB183_26
; %bb.19:
	v_sub_f32_e32 v2, v3, v5
	global_store_b32 v[0:1], v2, off offset:128
	s_and_b32 exec_lo, exec_lo, s1
	s_cbranch_execz .LBB183_26
; %bb.20:
	v_sub_f32_e32 v2, v4, v5
	global_store_b32 v[0:1], v2, off offset:256
	s_and_b32 exec_lo, exec_lo, s2
	;; [unrolled: 5-line block ×6, first 2 shown]
	s_cbranch_execz .LBB183_26
; %bb.25:
	v_sub_f32_e32 v2, v10, v5
	global_store_b32 v[0:1], v2, off offset:896
.LBB183_26:
	s_nop 0
	s_sendmsg sendmsg(MSG_DEALLOC_VGPRS)
	s_endpgm
	.section	.rodata,"a",@progbits
	.p2align	6, 0x0
	.amdhsa_kernel _ZN12_GLOBAL__N_120softmax_warp_forwardIN3c108BFloat16EffLi8ELb1ELb0ELi32EEEvPT0_PKT_iiiPKbib
		.amdhsa_group_segment_fixed_size 0
		.amdhsa_private_segment_fixed_size 0
		.amdhsa_kernarg_size 304
		.amdhsa_user_sgpr_count 15
		.amdhsa_user_sgpr_dispatch_ptr 0
		.amdhsa_user_sgpr_queue_ptr 0
		.amdhsa_user_sgpr_kernarg_segment_ptr 1
		.amdhsa_user_sgpr_dispatch_id 0
		.amdhsa_user_sgpr_private_segment_size 0
		.amdhsa_wavefront_size32 1
		.amdhsa_uses_dynamic_stack 0
		.amdhsa_enable_private_segment 0
		.amdhsa_system_sgpr_workgroup_id_x 1
		.amdhsa_system_sgpr_workgroup_id_y 0
		.amdhsa_system_sgpr_workgroup_id_z 0
		.amdhsa_system_sgpr_workgroup_info 0
		.amdhsa_system_vgpr_workitem_id 1
		.amdhsa_next_free_vgpr 40
		.amdhsa_next_free_sgpr 24
		.amdhsa_reserve_vcc 1
		.amdhsa_float_round_mode_32 0
		.amdhsa_float_round_mode_16_64 0
		.amdhsa_float_denorm_mode_32 3
		.amdhsa_float_denorm_mode_16_64 3
		.amdhsa_dx10_clamp 1
		.amdhsa_ieee_mode 1
		.amdhsa_fp16_overflow 0
		.amdhsa_workgroup_processor_mode 1
		.amdhsa_memory_ordered 1
		.amdhsa_forward_progress 0
		.amdhsa_shared_vgpr_count 0
		.amdhsa_exception_fp_ieee_invalid_op 0
		.amdhsa_exception_fp_denorm_src 0
		.amdhsa_exception_fp_ieee_div_zero 0
		.amdhsa_exception_fp_ieee_overflow 0
		.amdhsa_exception_fp_ieee_underflow 0
		.amdhsa_exception_fp_ieee_inexact 0
		.amdhsa_exception_int_div_zero 0
	.end_amdhsa_kernel
	.section	.text._ZN12_GLOBAL__N_120softmax_warp_forwardIN3c108BFloat16EffLi8ELb1ELb0ELi32EEEvPT0_PKT_iiiPKbib,"axG",@progbits,_ZN12_GLOBAL__N_120softmax_warp_forwardIN3c108BFloat16EffLi8ELb1ELb0ELi32EEEvPT0_PKT_iiiPKbib,comdat
.Lfunc_end183:
	.size	_ZN12_GLOBAL__N_120softmax_warp_forwardIN3c108BFloat16EffLi8ELb1ELb0ELi32EEEvPT0_PKT_iiiPKbib, .Lfunc_end183-_ZN12_GLOBAL__N_120softmax_warp_forwardIN3c108BFloat16EffLi8ELb1ELb0ELi32EEEvPT0_PKT_iiiPKbib
                                        ; -- End function
	.section	.AMDGPU.csdata,"",@progbits
; Kernel info:
; codeLenInByte = 2368
; NumSgprs: 26
; NumVgprs: 40
; ScratchSize: 0
; MemoryBound: 0
; FloatMode: 240
; IeeeMode: 1
; LDSByteSize: 0 bytes/workgroup (compile time only)
; SGPRBlocks: 3
; VGPRBlocks: 4
; NumSGPRsForWavesPerEU: 26
; NumVGPRsForWavesPerEU: 40
; Occupancy: 16
; WaveLimiterHint : 0
; COMPUTE_PGM_RSRC2:SCRATCH_EN: 0
; COMPUTE_PGM_RSRC2:USER_SGPR: 15
; COMPUTE_PGM_RSRC2:TRAP_HANDLER: 0
; COMPUTE_PGM_RSRC2:TGID_X_EN: 1
; COMPUTE_PGM_RSRC2:TGID_Y_EN: 0
; COMPUTE_PGM_RSRC2:TGID_Z_EN: 0
; COMPUTE_PGM_RSRC2:TIDIG_COMP_CNT: 1
	.section	.text._ZN12_GLOBAL__N_120softmax_warp_forwardIN3c108BFloat16EffLi9ELb1ELb0ELi64EEEvPT0_PKT_iiiPKbib,"axG",@progbits,_ZN12_GLOBAL__N_120softmax_warp_forwardIN3c108BFloat16EffLi9ELb1ELb0ELi64EEEvPT0_PKT_iiiPKbib,comdat
	.globl	_ZN12_GLOBAL__N_120softmax_warp_forwardIN3c108BFloat16EffLi9ELb1ELb0ELi64EEEvPT0_PKT_iiiPKbib ; -- Begin function _ZN12_GLOBAL__N_120softmax_warp_forwardIN3c108BFloat16EffLi9ELb1ELb0ELi64EEEvPT0_PKT_iiiPKbib
	.p2align	8
	.type	_ZN12_GLOBAL__N_120softmax_warp_forwardIN3c108BFloat16EffLi9ELb1ELb0ELi64EEEvPT0_PKT_iiiPKbib,@function
_ZN12_GLOBAL__N_120softmax_warp_forwardIN3c108BFloat16EffLi9ELb1ELb0ELi64EEEvPT0_PKT_iiiPKbib: ; @_ZN12_GLOBAL__N_120softmax_warp_forwardIN3c108BFloat16EffLi9ELb1ELb0ELi64EEEvPT0_PKT_iiiPKbib
; %bb.0:
	s_clause 0x1
	s_load_b32 s2, s[0:1], 0x3c
	s_load_b256 s[16:23], s[0:1], 0x0
	v_bfe_u32 v1, v0, 10, 10
	v_dual_mov_b32 v6, 0xff800000 :: v_dual_mov_b32 v9, 0xff800000
	s_waitcnt lgkmcnt(0)
	s_lshr_b32 s0, s2, 16
	s_delay_alu instid0(VALU_DEP_2) | instid1(SALU_CYCLE_1)
	v_mad_u64_u32 v[3:4], null, s15, s0, v[1:2]
	v_and_b32_e32 v2, 0x3ff, v0
	s_delay_alu instid0(VALU_DEP_1) | instskip(NEXT) | instid1(VALU_DEP_3)
	v_cmp_gt_i32_e64 s0, s22, v2
	v_mad_u64_u32 v[0:1], null, v3, s21, v[2:3]
	v_sub_nc_u32_e32 v5, s20, v3
	s_delay_alu instid0(VALU_DEP_1) | instskip(NEXT) | instid1(VALU_DEP_3)
	v_cmp_lt_i32_e64 s7, 0, v5
	v_ashrrev_i32_e32 v1, 31, v0
	s_delay_alu instid0(VALU_DEP_2) | instskip(NEXT) | instid1(VALU_DEP_1)
	s_and_b32 s2, s7, s0
	v_lshlrev_b64 v[3:4], 1, v[0:1]
	s_delay_alu instid0(VALU_DEP_1) | instskip(NEXT) | instid1(VALU_DEP_2)
	v_add_co_u32 v3, vcc_lo, s18, v3
	v_add_co_ci_u32_e32 v4, vcc_lo, s19, v4, vcc_lo
	s_and_saveexec_b32 s1, s2
	s_cbranch_execz .LBB184_2
; %bb.1:
	global_load_u16 v7, v[3:4], off
	s_waitcnt vmcnt(0)
	v_lshlrev_b32_e32 v9, 16, v7
.LBB184_2:
	s_or_b32 exec_lo, exec_lo, s1
	v_add_nc_u32_e32 v7, 64, v2
	s_delay_alu instid0(VALU_DEP_1) | instskip(SKIP_1) | instid1(SALU_CYCLE_1)
	v_cmp_gt_i32_e32 vcc_lo, s22, v7
	s_and_b32 s2, s7, vcc_lo
	s_and_saveexec_b32 s1, s2
	s_cbranch_execz .LBB184_4
; %bb.3:
	global_load_u16 v6, v[3:4], off offset:128
	s_waitcnt vmcnt(0)
	v_lshlrev_b32_e32 v6, 16, v6
.LBB184_4:
	s_or_b32 exec_lo, exec_lo, s1
	v_add_nc_u32_e32 v7, 0x80, v2
	v_mov_b32_e32 v11, 0xff800000
	s_delay_alu instid0(VALU_DEP_2) | instskip(SKIP_1) | instid1(VALU_DEP_2)
	v_cmp_gt_i32_e64 s1, s22, v7
	v_mov_b32_e32 v7, 0xff800000
	s_and_b32 s3, s7, s1
	s_delay_alu instid0(SALU_CYCLE_1)
	s_and_saveexec_b32 s2, s3
	s_cbranch_execz .LBB184_6
; %bb.5:
	global_load_u16 v8, v[3:4], off offset:256
	s_waitcnt vmcnt(0)
	v_lshlrev_b32_e32 v11, 16, v8
.LBB184_6:
	s_or_b32 exec_lo, exec_lo, s2
	v_add_nc_u32_e32 v8, 0xc0, v2
	s_delay_alu instid0(VALU_DEP_1) | instskip(NEXT) | instid1(VALU_DEP_1)
	v_cmp_gt_i32_e64 s2, s22, v8
	s_and_b32 s4, s7, s2
	s_delay_alu instid0(SALU_CYCLE_1)
	s_and_saveexec_b32 s3, s4
	s_cbranch_execz .LBB184_8
; %bb.7:
	global_load_u16 v7, v[3:4], off offset:384
	s_waitcnt vmcnt(0)
	v_lshlrev_b32_e32 v7, 16, v7
.LBB184_8:
	s_or_b32 exec_lo, exec_lo, s3
	v_add_nc_u32_e32 v8, 0x100, v2
	v_mov_b32_e32 v12, 0xff800000
	s_delay_alu instid0(VALU_DEP_2) | instskip(SKIP_1) | instid1(VALU_DEP_2)
	v_cmp_gt_i32_e64 s3, s22, v8
	v_mov_b32_e32 v8, 0xff800000
	s_and_b32 s5, s7, s3
	s_delay_alu instid0(SALU_CYCLE_1)
	s_and_saveexec_b32 s4, s5
	s_cbranch_execz .LBB184_10
; %bb.9:
	global_load_u16 v10, v[3:4], off offset:512
	s_waitcnt vmcnt(0)
	v_lshlrev_b32_e32 v12, 16, v10
.LBB184_10:
	s_or_b32 exec_lo, exec_lo, s4
	v_add_nc_u32_e32 v10, 0x140, v2
	s_delay_alu instid0(VALU_DEP_1) | instskip(NEXT) | instid1(VALU_DEP_1)
	v_cmp_gt_i32_e64 s4, s22, v10
	s_and_b32 s6, s7, s4
	s_delay_alu instid0(SALU_CYCLE_1)
	;; [unrolled: 28-line block ×3, first 2 shown]
	s_and_saveexec_b32 s7, s8
	s_cbranch_execz .LBB184_16
; %bb.15:
	global_load_u16 v2, v[3:4], off offset:896
	s_waitcnt vmcnt(0)
	v_lshlrev_b32_e32 v10, 16, v2
.LBB184_16:
	s_or_b32 exec_lo, exec_lo, s7
	v_cmp_gt_f32_e64 s7, v9, v6
	v_mbcnt_lo_u32_b32 v3, -1, 0
	s_mov_b32 s8, exec_lo
	s_delay_alu instid0(VALU_DEP_2) | instskip(NEXT) | instid1(VALU_DEP_2)
	v_cndmask_b32_e64 v2, v6, v9, s7
	v_or_b32_e32 v4, 32, v3
	v_xor_b32_e32 v15, 16, v3
	v_xor_b32_e32 v16, 8, v3
	;; [unrolled: 1-line block ×3, first 2 shown]
	v_cmp_gt_f32_e64 s7, v2, v11
	v_xor_b32_e32 v18, 2, v3
	v_xor_b32_e32 v19, 1, v3
	s_delay_alu instid0(VALU_DEP_3) | instskip(NEXT) | instid1(VALU_DEP_1)
	v_cndmask_b32_e64 v2, v11, v2, s7
	v_cmp_gt_f32_e64 s7, v2, v7
	s_delay_alu instid0(VALU_DEP_1) | instskip(NEXT) | instid1(VALU_DEP_1)
	v_cndmask_b32_e64 v2, v7, v2, s7
	v_cmp_gt_f32_e64 s7, v2, v12
	s_delay_alu instid0(VALU_DEP_1) | instskip(NEXT) | instid1(VALU_DEP_1)
	v_cndmask_b32_e64 v2, v12, v2, s7
	v_cmp_gt_f32_e64 s7, v2, v8
	s_delay_alu instid0(VALU_DEP_1) | instskip(SKIP_1) | instid1(VALU_DEP_1)
	v_cndmask_b32_e64 v2, v8, v2, s7
	v_cmp_gt_i32_e64 s7, 64, v4
	v_cndmask_b32_e64 v4, v3, v4, s7
	s_delay_alu instid0(VALU_DEP_3) | instskip(NEXT) | instid1(VALU_DEP_2)
	v_cmp_gt_f32_e64 s7, v2, v13
	v_lshlrev_b32_e32 v14, 2, v4
	s_delay_alu instid0(VALU_DEP_2) | instskip(NEXT) | instid1(VALU_DEP_1)
	v_cndmask_b32_e64 v2, v13, v2, s7
	v_cmp_gt_f32_e64 s7, v2, v10
	s_delay_alu instid0(VALU_DEP_1) | instskip(SKIP_3) | instid1(VALU_DEP_1)
	v_cndmask_b32_e64 v2, v10, v2, s7
	v_cmp_gt_i32_e64 s7, 64, v15
	ds_bpermute_b32 v4, v14, v2
	v_cndmask_b32_e64 v15, v3, v15, s7
	v_lshlrev_b32_e32 v15, 2, v15
	s_waitcnt lgkmcnt(0)
	v_cmp_lt_f32_e64 s7, v2, v4
	s_delay_alu instid0(VALU_DEP_1) | instskip(SKIP_3) | instid1(VALU_DEP_1)
	v_cndmask_b32_e64 v2, v2, v4, s7
	v_cmp_gt_i32_e64 s7, 64, v16
	ds_bpermute_b32 v4, v15, v2
	v_cndmask_b32_e64 v16, v3, v16, s7
	v_lshlrev_b32_e32 v16, 2, v16
	s_waitcnt lgkmcnt(0)
	v_cmp_lt_f32_e64 s7, v2, v4
	;; [unrolled: 8-line block ×5, first 2 shown]
	s_delay_alu instid0(VALU_DEP_1) | instskip(SKIP_3) | instid1(VALU_DEP_1)
	v_cndmask_b32_e64 v2, v2, v4, s7
	ds_bpermute_b32 v3, v19, v2
	s_waitcnt lgkmcnt(0)
	v_cmp_lt_f32_e64 s7, v2, v3
	v_cndmask_b32_e64 v20, v2, v3, s7
	s_delay_alu instid0(VALU_DEP_1) | instskip(SKIP_4) | instid1(VALU_DEP_4)
	v_sub_f32_e32 v2, v9, v20
	v_sub_f32_e32 v3, v6, v20
	;; [unrolled: 1-line block ×5, first 2 shown]
	v_dual_mul_f32 v11, 0x3fb8aa3b, v2 :: v_dual_mul_f32 v12, 0x3fb8aa3b, v3
	v_sub_f32_e32 v9, v13, v20
	s_delay_alu instid0(VALU_DEP_3) | instskip(NEXT) | instid1(VALU_DEP_3)
	v_dual_sub_f32 v8, v8, v20 :: v_dual_mul_f32 v21, 0x3fb8aa3b, v7
	v_fma_f32 v25, 0x3fb8aa3b, v2, -v11
	v_rndne_f32_e32 v26, v11
	v_sub_f32_e32 v10, v10, v20
	v_dual_mul_f32 v20, 0x3fb8aa3b, v6 :: v_dual_mul_f32 v23, 0x3fb8aa3b, v9
	s_delay_alu instid0(VALU_DEP_4) | instskip(NEXT) | instid1(VALU_DEP_3)
	v_fmac_f32_e32 v25, 0x32a5705f, v2
	v_dual_mul_f32 v13, 0x3fb8aa3b, v4 :: v_dual_mul_f32 v24, 0x3fb8aa3b, v10
	v_dual_mul_f32 v22, 0x3fb8aa3b, v8 :: v_dual_sub_f32 v11, v11, v26
	v_fma_f32 v27, 0x3fb8aa3b, v3, -v12
	v_rndne_f32_e32 v28, v12
	s_delay_alu instid0(VALU_DEP_4) | instskip(SKIP_2) | instid1(VALU_DEP_4)
	v_fma_f32 v29, 0x3fb8aa3b, v4, -v13
	v_rndne_f32_e32 v30, v13
	v_add_f32_e32 v11, v11, v25
	v_dual_fmac_f32 v27, 0x32a5705f, v3 :: v_dual_sub_f32 v12, v12, v28
	v_rndne_f32_e32 v32, v20
	v_fmac_f32_e32 v29, 0x32a5705f, v4
	v_sub_f32_e32 v13, v13, v30
	v_exp_f32_e32 v11, v11
	v_add_f32_e32 v12, v12, v27
	v_fma_f32 v31, 0x3fb8aa3b, v6, -v20
	v_sub_f32_e32 v20, v20, v32
	v_cvt_i32_f32_e32 v26, v26
	v_add_f32_e32 v13, v13, v29
	v_exp_f32_e32 v12, v12
	v_cvt_i32_f32_e32 v28, v28
	v_cmp_ngt_f32_e64 s7, 0xc2ce8ed0, v2
	v_rndne_f32_e32 v34, v21
	v_exp_f32_e32 v13, v13
	v_ldexp_f32 v11, v11, v26
	v_rndne_f32_e32 v36, v22
	v_cvt_i32_f32_e32 v30, v30
	v_fmac_f32_e32 v31, 0x32a5705f, v6
	v_fma_f32 v33, 0x3fb8aa3b, v7, -v21
	v_ldexp_f32 v12, v12, v28
	v_cndmask_b32_e64 v11, 0, v11, s7
	v_cmp_ngt_f32_e64 s7, 0xc2ce8ed0, v3
	v_fma_f32 v35, 0x3fb8aa3b, v8, -v22
	v_dual_sub_f32 v22, v22, v36 :: v_dual_sub_f32 v21, v21, v34
	v_add_f32_e32 v20, v20, v31
	v_ldexp_f32 v13, v13, v30
	v_cndmask_b32_e64 v12, 0, v12, s7
	v_cmp_ngt_f32_e64 s7, 0xc2ce8ed0, v4
	v_rndne_f32_e32 v40, v24
	v_fmac_f32_e32 v33, 0x32a5705f, v7
	v_exp_f32_e32 v20, v20
	v_fma_f32 v39, 0x3fb8aa3b, v10, -v24
	v_cndmask_b32_e64 v13, 0, v13, s7
	v_sub_f32_e32 v24, v24, v40
	v_cmp_nlt_f32_e64 s7, 0x42b17218, v2
	v_cvt_i32_f32_e32 v32, v32
	v_add_f32_e32 v21, v21, v33
	v_fma_f32 v37, 0x3fb8aa3b, v9, -v23
	v_fmac_f32_e32 v39, 0x32a5705f, v10
	v_cndmask_b32_e64 v11, 0x7f800000, v11, s7
	v_cmp_nlt_f32_e64 s7, 0x42b17218, v3
	v_fmac_f32_e32 v35, 0x32a5705f, v8
	v_exp_f32_e32 v21, v21
	v_add_f32_e32 v24, v24, v39
	v_ldexp_f32 v20, v20, v32
	v_cndmask_b32_e64 v12, 0x7f800000, v12, s7
	v_cmp_ngt_f32_e64 s7, 0xc2ce8ed0, v6
	v_rndne_f32_e32 v38, v23
	v_cvt_i32_f32_e32 v34, v34
	v_dual_fmac_f32 v37, 0x32a5705f, v9 :: v_dual_add_f32 v22, v22, v35
	s_delay_alu instid0(VALU_DEP_4)
	v_cndmask_b32_e64 v20, 0, v20, s7
	v_cmp_nlt_f32_e64 s7, 0x42b17218, v4
	v_sub_f32_e32 v23, v23, v38
	v_ldexp_f32 v21, v21, v34
	v_exp_f32_e32 v22, v22
	v_cvt_i32_f32_e32 v36, v36
	v_cndmask_b32_e64 v13, 0x7f800000, v13, s7
	v_cmp_ngt_f32_e64 s7, 0xc2ce8ed0, v7
	v_add_f32_e32 v23, v23, v37
	v_add_f32_e32 v11, v11, v12
	v_cvt_i32_f32_e32 v25, v38
	v_exp_f32_e32 v24, v24
	v_cndmask_b32_e64 v12, 0, v21, s7
	v_cmp_nlt_f32_e64 s7, 0x42b17218, v6
	v_exp_f32_e32 v23, v23
	v_ldexp_f32 v22, v22, v36
	v_add_f32_e32 v11, v11, v13
	v_cvt_i32_f32_e32 v27, v40
	v_cndmask_b32_e64 v20, 0x7f800000, v20, s7
	v_cmp_ngt_f32_e64 s7, 0xc2ce8ed0, v8
	s_delay_alu instid0(VALU_DEP_2) | instskip(NEXT) | instid1(VALU_DEP_2)
	v_add_f32_e32 v11, v11, v20
	v_cndmask_b32_e64 v13, 0, v22, s7
	v_cmp_nlt_f32_e64 s7, 0x42b17218, v7
	s_delay_alu instid0(TRANS32_DEP_1) | instskip(NEXT) | instid1(VALU_DEP_2)
	v_ldexp_f32 v23, v23, v25
	v_cndmask_b32_e64 v12, 0x7f800000, v12, s7
	v_cmp_ngt_f32_e64 s7, 0xc2ce8ed0, v9
	s_delay_alu instid0(VALU_DEP_2) | instskip(NEXT) | instid1(VALU_DEP_2)
	v_add_f32_e32 v11, v11, v12
	v_cndmask_b32_e64 v20, 0, v23, s7
	v_cmp_nlt_f32_e64 s7, 0x42b17218, v8
	v_ldexp_f32 v12, v24, v27
	s_delay_alu instid0(VALU_DEP_2) | instskip(SKIP_1) | instid1(VALU_DEP_2)
	v_cndmask_b32_e64 v13, 0x7f800000, v13, s7
	v_cmp_nlt_f32_e64 s7, 0x42b17218, v9
	v_add_f32_e32 v11, v11, v13
	s_delay_alu instid0(VALU_DEP_2) | instskip(SKIP_1) | instid1(VALU_DEP_2)
	v_cndmask_b32_e64 v20, 0x7f800000, v20, s7
	v_cmp_ngt_f32_e64 s7, 0xc2ce8ed0, v10
	v_add_f32_e32 v11, v11, v20
	s_delay_alu instid0(VALU_DEP_2) | instskip(SKIP_1) | instid1(VALU_DEP_1)
	v_cndmask_b32_e64 v12, 0, v12, s7
	v_cmp_nlt_f32_e64 s7, 0x42b17218, v10
	v_cndmask_b32_e64 v12, 0x7f800000, v12, s7
	s_delay_alu instid0(VALU_DEP_1)
	v_add_f32_e32 v11, v11, v12
	ds_bpermute_b32 v12, v14, v11
	s_waitcnt lgkmcnt(0)
	v_add_f32_e32 v11, v11, v12
	ds_bpermute_b32 v12, v15, v11
	s_waitcnt lgkmcnt(0)
	;; [unrolled: 3-line block ×5, first 2 shown]
	v_add_f32_e32 v11, v11, v12
	ds_bpermute_b32 v12, v19, v11
	v_cmpx_lt_i32_e32 0, v5
	s_cbranch_execz .LBB184_26
; %bb.17:
	s_and_b32 exec_lo, exec_lo, s0
	s_cbranch_execz .LBB184_26
; %bb.18:
	s_waitcnt lgkmcnt(0)
	v_add_f32_e32 v5, v11, v12
	v_lshlrev_b64 v[0:1], 2, v[0:1]
	s_delay_alu instid0(VALU_DEP_2) | instskip(NEXT) | instid1(VALU_DEP_1)
	v_cmp_gt_f32_e64 s0, 0x800000, v5
	v_cndmask_b32_e64 v11, 1.0, 0x4f800000, s0
	s_delay_alu instid0(VALU_DEP_1) | instskip(NEXT) | instid1(VALU_DEP_1)
	v_mul_f32_e32 v5, v5, v11
	v_log_f32_e32 v5, v5
	s_waitcnt_depctr 0xfff
	v_mul_f32_e32 v11, 0x3f317217, v5
	v_cmp_gt_f32_e64 s7, 0x7f800000, |v5|
	s_delay_alu instid0(VALU_DEP_2) | instskip(NEXT) | instid1(VALU_DEP_1)
	v_fma_f32 v12, 0x3f317217, v5, -v11
	v_fmamk_f32 v12, v5, 0x3377d1cf, v12
	s_delay_alu instid0(VALU_DEP_1) | instskip(NEXT) | instid1(VALU_DEP_1)
	v_add_f32_e32 v11, v11, v12
	v_cndmask_b32_e64 v5, v5, v11, s7
	v_cndmask_b32_e64 v11, 0, 0x41b17218, s0
	v_add_co_u32 v0, s0, s16, v0
	s_delay_alu instid0(VALU_DEP_1) | instskip(NEXT) | instid1(VALU_DEP_3)
	v_add_co_ci_u32_e64 v1, s0, s17, v1, s0
	v_sub_f32_e32 v5, v5, v11
	s_delay_alu instid0(VALU_DEP_1)
	v_sub_f32_e32 v2, v2, v5
	global_store_b32 v[0:1], v2, off
	s_and_b32 exec_lo, exec_lo, vcc_lo
	s_cbranch_execz .LBB184_26
; %bb.19:
	v_sub_f32_e32 v2, v3, v5
	global_store_b32 v[0:1], v2, off offset:256
	s_and_b32 exec_lo, exec_lo, s1
	s_cbranch_execz .LBB184_26
; %bb.20:
	v_sub_f32_e32 v2, v4, v5
	global_store_b32 v[0:1], v2, off offset:512
	s_and_b32 exec_lo, exec_lo, s2
	;; [unrolled: 5-line block ×6, first 2 shown]
	s_cbranch_execz .LBB184_26
; %bb.25:
	v_sub_f32_e32 v2, v10, v5
	global_store_b32 v[0:1], v2, off offset:1792
.LBB184_26:
	s_nop 0
	s_sendmsg sendmsg(MSG_DEALLOC_VGPRS)
	s_endpgm
	.section	.rodata,"a",@progbits
	.p2align	6, 0x0
	.amdhsa_kernel _ZN12_GLOBAL__N_120softmax_warp_forwardIN3c108BFloat16EffLi9ELb1ELb0ELi64EEEvPT0_PKT_iiiPKbib
		.amdhsa_group_segment_fixed_size 0
		.amdhsa_private_segment_fixed_size 0
		.amdhsa_kernarg_size 304
		.amdhsa_user_sgpr_count 15
		.amdhsa_user_sgpr_dispatch_ptr 0
		.amdhsa_user_sgpr_queue_ptr 0
		.amdhsa_user_sgpr_kernarg_segment_ptr 1
		.amdhsa_user_sgpr_dispatch_id 0
		.amdhsa_user_sgpr_private_segment_size 0
		.amdhsa_wavefront_size32 1
		.amdhsa_uses_dynamic_stack 0
		.amdhsa_enable_private_segment 0
		.amdhsa_system_sgpr_workgroup_id_x 1
		.amdhsa_system_sgpr_workgroup_id_y 0
		.amdhsa_system_sgpr_workgroup_id_z 0
		.amdhsa_system_sgpr_workgroup_info 0
		.amdhsa_system_vgpr_workitem_id 1
		.amdhsa_next_free_vgpr 41
		.amdhsa_next_free_sgpr 24
		.amdhsa_reserve_vcc 1
		.amdhsa_float_round_mode_32 0
		.amdhsa_float_round_mode_16_64 0
		.amdhsa_float_denorm_mode_32 3
		.amdhsa_float_denorm_mode_16_64 3
		.amdhsa_dx10_clamp 1
		.amdhsa_ieee_mode 1
		.amdhsa_fp16_overflow 0
		.amdhsa_workgroup_processor_mode 1
		.amdhsa_memory_ordered 1
		.amdhsa_forward_progress 0
		.amdhsa_shared_vgpr_count 0
		.amdhsa_exception_fp_ieee_invalid_op 0
		.amdhsa_exception_fp_denorm_src 0
		.amdhsa_exception_fp_ieee_div_zero 0
		.amdhsa_exception_fp_ieee_overflow 0
		.amdhsa_exception_fp_ieee_underflow 0
		.amdhsa_exception_fp_ieee_inexact 0
		.amdhsa_exception_int_div_zero 0
	.end_amdhsa_kernel
	.section	.text._ZN12_GLOBAL__N_120softmax_warp_forwardIN3c108BFloat16EffLi9ELb1ELb0ELi64EEEvPT0_PKT_iiiPKbib,"axG",@progbits,_ZN12_GLOBAL__N_120softmax_warp_forwardIN3c108BFloat16EffLi9ELb1ELb0ELi64EEEvPT0_PKT_iiiPKbib,comdat
.Lfunc_end184:
	.size	_ZN12_GLOBAL__N_120softmax_warp_forwardIN3c108BFloat16EffLi9ELb1ELb0ELi64EEEvPT0_PKT_iiiPKbib, .Lfunc_end184-_ZN12_GLOBAL__N_120softmax_warp_forwardIN3c108BFloat16EffLi9ELb1ELb0ELi64EEEvPT0_PKT_iiiPKbib
                                        ; -- End function
	.section	.AMDGPU.csdata,"",@progbits
; Kernel info:
; codeLenInByte = 2408
; NumSgprs: 26
; NumVgprs: 41
; ScratchSize: 0
; MemoryBound: 0
; FloatMode: 240
; IeeeMode: 1
; LDSByteSize: 0 bytes/workgroup (compile time only)
; SGPRBlocks: 3
; VGPRBlocks: 5
; NumSGPRsForWavesPerEU: 26
; NumVGPRsForWavesPerEU: 41
; Occupancy: 16
; WaveLimiterHint : 0
; COMPUTE_PGM_RSRC2:SCRATCH_EN: 0
; COMPUTE_PGM_RSRC2:USER_SGPR: 15
; COMPUTE_PGM_RSRC2:TRAP_HANDLER: 0
; COMPUTE_PGM_RSRC2:TGID_X_EN: 1
; COMPUTE_PGM_RSRC2:TGID_Y_EN: 0
; COMPUTE_PGM_RSRC2:TGID_Z_EN: 0
; COMPUTE_PGM_RSRC2:TIDIG_COMP_CNT: 1
	.section	.text._ZN12_GLOBAL__N_120softmax_warp_forwardIN3c108BFloat16EffLi9ELb1ELb0ELi32EEEvPT0_PKT_iiiPKbib,"axG",@progbits,_ZN12_GLOBAL__N_120softmax_warp_forwardIN3c108BFloat16EffLi9ELb1ELb0ELi32EEEvPT0_PKT_iiiPKbib,comdat
	.globl	_ZN12_GLOBAL__N_120softmax_warp_forwardIN3c108BFloat16EffLi9ELb1ELb0ELi32EEEvPT0_PKT_iiiPKbib ; -- Begin function _ZN12_GLOBAL__N_120softmax_warp_forwardIN3c108BFloat16EffLi9ELb1ELb0ELi32EEEvPT0_PKT_iiiPKbib
	.p2align	8
	.type	_ZN12_GLOBAL__N_120softmax_warp_forwardIN3c108BFloat16EffLi9ELb1ELb0ELi32EEEvPT0_PKT_iiiPKbib,@function
_ZN12_GLOBAL__N_120softmax_warp_forwardIN3c108BFloat16EffLi9ELb1ELb0ELi32EEEvPT0_PKT_iiiPKbib: ; @_ZN12_GLOBAL__N_120softmax_warp_forwardIN3c108BFloat16EffLi9ELb1ELb0ELi32EEEvPT0_PKT_iiiPKbib
; %bb.0:
	s_clause 0x1
	s_load_b32 s2, s[0:1], 0x3c
	s_load_b256 s[16:23], s[0:1], 0x0
	v_bfe_u32 v1, v0, 10, 10
	v_mov_b32_e32 v6, 0xff800000
	v_mov_b32_e32 v8, 0xff800000
	s_waitcnt lgkmcnt(0)
	s_lshr_b32 s0, s2, 16
	s_delay_alu instid0(SALU_CYCLE_1) | instskip(SKIP_1) | instid1(VALU_DEP_1)
	v_mad_u64_u32 v[3:4], null, s15, s0, v[1:2]
	v_and_b32_e32 v2, 0x3ff, v0
	v_cmp_gt_i32_e64 s0, s22, v2
	s_delay_alu instid0(VALU_DEP_3) | instskip(SKIP_1) | instid1(VALU_DEP_1)
	v_mad_u64_u32 v[0:1], null, v3, s21, v[2:3]
	v_sub_nc_u32_e32 v5, s20, v3
	v_cmp_lt_i32_e64 s15, 0, v5
	s_delay_alu instid0(VALU_DEP_3) | instskip(NEXT) | instid1(VALU_DEP_2)
	v_ashrrev_i32_e32 v1, 31, v0
	s_and_b32 s2, s15, s0
	s_delay_alu instid0(VALU_DEP_1) | instskip(NEXT) | instid1(VALU_DEP_1)
	v_lshlrev_b64 v[3:4], 1, v[0:1]
	v_add_co_u32 v3, vcc_lo, s18, v3
	s_delay_alu instid0(VALU_DEP_2)
	v_add_co_ci_u32_e32 v4, vcc_lo, s19, v4, vcc_lo
	s_and_saveexec_b32 s1, s2
	s_cbranch_execz .LBB185_2
; %bb.1:
	global_load_u16 v7, v[3:4], off
	s_waitcnt vmcnt(0)
	v_lshlrev_b32_e32 v8, 16, v7
.LBB185_2:
	s_or_b32 exec_lo, exec_lo, s1
	v_add_nc_u32_e32 v7, 32, v2
	s_delay_alu instid0(VALU_DEP_1) | instskip(SKIP_1) | instid1(SALU_CYCLE_1)
	v_cmp_gt_i32_e32 vcc_lo, s22, v7
	s_and_b32 s2, s15, vcc_lo
	s_and_saveexec_b32 s1, s2
	s_cbranch_execz .LBB185_4
; %bb.3:
	global_load_u16 v6, v[3:4], off offset:64
	s_waitcnt vmcnt(0)
	v_lshlrev_b32_e32 v6, 16, v6
.LBB185_4:
	s_or_b32 exec_lo, exec_lo, s1
	v_dual_mov_b32 v10, 0xff800000 :: v_dual_add_nc_u32 v7, 64, v2
	v_mov_b32_e32 v12, 0xff800000
	s_delay_alu instid0(VALU_DEP_2) | instskip(NEXT) | instid1(VALU_DEP_1)
	v_cmp_gt_i32_e64 s1, s22, v7
	s_and_b32 s3, s15, s1
	s_delay_alu instid0(SALU_CYCLE_1)
	s_and_saveexec_b32 s2, s3
	s_cbranch_execz .LBB185_6
; %bb.5:
	global_load_u16 v7, v[3:4], off offset:128
	s_waitcnt vmcnt(0)
	v_lshlrev_b32_e32 v12, 16, v7
.LBB185_6:
	s_or_b32 exec_lo, exec_lo, s2
	v_add_nc_u32_e32 v7, 0x60, v2
	s_delay_alu instid0(VALU_DEP_1) | instskip(NEXT) | instid1(VALU_DEP_1)
	v_cmp_gt_i32_e64 s2, s22, v7
	s_and_b32 s4, s15, s2
	s_delay_alu instid0(SALU_CYCLE_1)
	s_and_saveexec_b32 s3, s4
	s_cbranch_execz .LBB185_8
; %bb.7:
	global_load_u16 v7, v[3:4], off offset:192
	s_waitcnt vmcnt(0)
	v_lshlrev_b32_e32 v10, 16, v7
.LBB185_8:
	s_or_b32 exec_lo, exec_lo, s3
	v_add_nc_u32_e32 v7, 0x80, v2
	v_dual_mov_b32 v13, 0xff800000 :: v_dual_mov_b32 v14, 0xff800000
	s_delay_alu instid0(VALU_DEP_2) | instskip(NEXT) | instid1(VALU_DEP_1)
	v_cmp_gt_i32_e64 s3, s22, v7
	s_and_b32 s5, s15, s3
	s_delay_alu instid0(SALU_CYCLE_1)
	s_and_saveexec_b32 s4, s5
	s_cbranch_execz .LBB185_10
; %bb.9:
	global_load_u16 v7, v[3:4], off offset:256
	s_waitcnt vmcnt(0)
	v_lshlrev_b32_e32 v14, 16, v7
.LBB185_10:
	s_or_b32 exec_lo, exec_lo, s4
	v_add_nc_u32_e32 v7, 0xa0, v2
	s_delay_alu instid0(VALU_DEP_1) | instskip(NEXT) | instid1(VALU_DEP_1)
	v_cmp_gt_i32_e64 s4, s22, v7
	s_and_b32 s6, s15, s4
	s_delay_alu instid0(SALU_CYCLE_1)
	s_and_saveexec_b32 s5, s6
	s_cbranch_execz .LBB185_12
; %bb.11:
	global_load_u16 v7, v[3:4], off offset:320
	s_waitcnt vmcnt(0)
	v_lshlrev_b32_e32 v13, 16, v7
.LBB185_12:
	s_or_b32 exec_lo, exec_lo, s5
	v_add_nc_u32_e32 v7, 0xc0, v2
	v_dual_mov_b32 v15, 0xff800000 :: v_dual_mov_b32 v16, 0xff800000
	;; [unrolled: 27-line block ×6, first 2 shown]
	s_delay_alu instid0(VALU_DEP_2) | instskip(NEXT) | instid1(VALU_DEP_1)
	v_cmp_gt_i32_e64 s13, s22, v7
	s_and_b32 s18, s15, s13
	s_delay_alu instid0(SALU_CYCLE_1)
	s_and_saveexec_b32 s14, s18
	s_cbranch_execz .LBB185_30
; %bb.29:
	global_load_u16 v7, v[3:4], off offset:896
	s_waitcnt vmcnt(0)
	v_lshlrev_b32_e32 v24, 16, v7
.LBB185_30:
	s_or_b32 exec_lo, exec_lo, s14
	v_add_nc_u32_e32 v2, 0x1e0, v2
	s_delay_alu instid0(VALU_DEP_1) | instskip(NEXT) | instid1(VALU_DEP_1)
	v_cmp_gt_i32_e64 s14, s22, v2
	s_and_b32 s18, s15, s14
	s_delay_alu instid0(SALU_CYCLE_1)
	s_and_saveexec_b32 s15, s18
	s_cbranch_execz .LBB185_32
; %bb.31:
	global_load_u16 v2, v[3:4], off offset:960
	s_waitcnt vmcnt(0)
	v_lshlrev_b32_e32 v23, 16, v2
.LBB185_32:
	s_or_b32 exec_lo, exec_lo, s15
	v_cmp_gt_f32_e64 s15, v8, v6
	v_mbcnt_lo_u32_b32 v3, -1, 0
	s_mov_b32 s18, exec_lo
	s_delay_alu instid0(VALU_DEP_2) | instskip(NEXT) | instid1(VALU_DEP_2)
	v_cndmask_b32_e64 v2, v6, v8, s15
	v_xor_b32_e32 v4, 16, v3
	s_delay_alu instid0(VALU_DEP_2) | instskip(NEXT) | instid1(VALU_DEP_1)
	v_cmp_gt_f32_e64 s15, v2, v12
	v_cndmask_b32_e64 v2, v12, v2, s15
	s_delay_alu instid0(VALU_DEP_1) | instskip(NEXT) | instid1(VALU_DEP_1)
	v_cmp_gt_f32_e64 s15, v2, v10
	v_cndmask_b32_e64 v2, v10, v2, s15
	s_delay_alu instid0(VALU_DEP_1) | instskip(NEXT) | instid1(VALU_DEP_1)
	;; [unrolled: 3-line block ×11, first 2 shown]
	v_cmp_gt_f32_e64 s15, v2, v21
	v_cndmask_b32_e64 v2, v21, v2, s15
	v_cmp_gt_i32_e64 s15, 32, v4
	s_delay_alu instid0(VALU_DEP_1) | instskip(NEXT) | instid1(VALU_DEP_3)
	v_cndmask_b32_e64 v4, v3, v4, s15
	v_cmp_gt_f32_e64 s15, v2, v24
	s_delay_alu instid0(VALU_DEP_1) | instskip(NEXT) | instid1(VALU_DEP_3)
	v_cndmask_b32_e64 v7, v24, v2, s15
	v_lshlrev_b32_e32 v2, 2, v4
	v_xor_b32_e32 v4, 8, v3
	s_delay_alu instid0(VALU_DEP_3) | instskip(NEXT) | instid1(VALU_DEP_1)
	v_cmp_gt_f32_e64 s15, v7, v23
	v_cndmask_b32_e64 v7, v23, v7, s15
	s_delay_alu instid0(VALU_DEP_3) | instskip(SKIP_2) | instid1(VALU_DEP_1)
	v_cmp_gt_i32_e64 s15, 32, v4
	ds_bpermute_b32 v9, v2, v7
	v_cndmask_b32_e64 v4, v3, v4, s15
	v_lshlrev_b32_e32 v4, 2, v4
	s_waitcnt lgkmcnt(0)
	v_cmp_lt_f32_e64 s15, v7, v9
	s_delay_alu instid0(VALU_DEP_1) | instskip(SKIP_3) | instid1(VALU_DEP_1)
	v_cndmask_b32_e64 v9, v7, v9, s15
	v_xor_b32_e32 v7, 4, v3
	ds_bpermute_b32 v11, v4, v9
	v_cmp_gt_i32_e64 s15, 32, v7
	v_cndmask_b32_e64 v7, v3, v7, s15
	s_delay_alu instid0(VALU_DEP_1) | instskip(SKIP_2) | instid1(VALU_DEP_1)
	v_lshlrev_b32_e32 v7, 2, v7
	s_waitcnt lgkmcnt(0)
	v_cmp_lt_f32_e64 s15, v9, v11
	v_cndmask_b32_e64 v11, v9, v11, s15
	v_xor_b32_e32 v9, 2, v3
	ds_bpermute_b32 v25, v7, v11
	v_cmp_gt_i32_e64 s15, 32, v9
	s_delay_alu instid0(VALU_DEP_1) | instskip(NEXT) | instid1(VALU_DEP_1)
	v_cndmask_b32_e64 v9, v3, v9, s15
	v_lshlrev_b32_e32 v9, 2, v9
	s_waitcnt lgkmcnt(0)
	v_cmp_lt_f32_e64 s15, v11, v25
	s_delay_alu instid0(VALU_DEP_1) | instskip(SKIP_3) | instid1(VALU_DEP_1)
	v_cndmask_b32_e64 v25, v11, v25, s15
	v_xor_b32_e32 v11, 1, v3
	ds_bpermute_b32 v26, v9, v25
	v_cmp_gt_i32_e64 s15, 32, v11
	v_cndmask_b32_e64 v3, v3, v11, s15
	s_delay_alu instid0(VALU_DEP_1) | instskip(SKIP_2) | instid1(VALU_DEP_1)
	v_lshlrev_b32_e32 v11, 2, v3
	s_waitcnt lgkmcnt(0)
	v_cmp_lt_f32_e64 s15, v25, v26
	v_cndmask_b32_e64 v3, v25, v26, s15
	ds_bpermute_b32 v25, v11, v3
	s_waitcnt lgkmcnt(0)
	v_cmp_lt_f32_e64 s15, v3, v25
	s_delay_alu instid0(VALU_DEP_1) | instskip(NEXT) | instid1(VALU_DEP_1)
	v_cndmask_b32_e64 v25, v3, v25, s15
	v_sub_f32_e32 v3, v8, v25
	v_sub_f32_e32 v8, v12, v25
	;; [unrolled: 1-line block ×6, first 2 shown]
	v_mul_f32_e32 v26, 0x3fb8aa3b, v8
	v_dual_sub_f32 v14, v16, v25 :: v_dual_mul_f32 v31, 0x3fb8aa3b, v15
	v_sub_f32_e32 v19, v19, v25
	v_sub_f32_e32 v13, v13, v25
	;; [unrolled: 1-line block ×3, first 2 shown]
	s_delay_alu instid0(VALU_DEP_4) | instskip(NEXT) | instid1(VALU_DEP_4)
	v_dual_sub_f32 v23, v23, v25 :: v_dual_mul_f32 v30, 0x3fb8aa3b, v14
	v_dual_sub_f32 v16, v18, v25 :: v_dual_mul_f32 v35, 0x3fb8aa3b, v19
	s_delay_alu instid0(VALU_DEP_2) | instskip(SKIP_1) | instid1(VALU_DEP_3)
	v_dual_sub_f32 v18, v20, v25 :: v_dual_mul_f32 v39, 0x3fb8aa3b, v23
	v_sub_f32_e32 v20, v22, v25
	v_dual_sub_f32 v21, v21, v25 :: v_dual_mul_f32 v32, 0x3fb8aa3b, v16
	v_dual_sub_f32 v22, v24, v25 :: v_dual_mul_f32 v25, 0x3fb8aa3b, v6
	v_dual_mul_f32 v24, 0x3fb8aa3b, v3 :: v_dual_mul_f32 v27, 0x3fb8aa3b, v10
	v_rndne_f32_e32 v55, v31
	v_fma_f32 v54, 0x3fb8aa3b, v15, -v31
	s_delay_alu instid0(VALU_DEP_4) | instskip(NEXT) | instid1(VALU_DEP_4)
	v_rndne_f32_e32 v43, v25
	v_fma_f32 v40, 0x3fb8aa3b, v3, -v24
	v_rndne_f32_e32 v41, v24
	v_fma_f32 v42, 0x3fb8aa3b, v6, -v25
	v_rndne_f32_e32 v47, v27
	v_sub_f32_e32 v25, v25, v43
	v_dual_mul_f32 v29, 0x3fb8aa3b, v13 :: v_dual_mul_f32 v36, 0x3fb8aa3b, v20
	s_delay_alu instid0(VALU_DEP_4) | instskip(SKIP_1) | instid1(VALU_DEP_3)
	v_dual_fmac_f32 v42, 0x32a5705f, v6 :: v_dual_sub_f32 v31, v31, v55
	v_fmac_f32_e32 v40, 0x32a5705f, v3
	v_rndne_f32_e32 v51, v29
	v_sub_f32_e32 v24, v24, v41
	v_mul_f32_e32 v28, 0x3fb8aa3b, v12
	v_fma_f32 v44, 0x3fb8aa3b, v8, -v26
	v_rndne_f32_e32 v45, v26
	v_fma_f32 v46, 0x3fb8aa3b, v10, -v27
	v_fma_f32 v50, 0x3fb8aa3b, v13, -v29
	v_sub_f32_e32 v29, v29, v51
	v_sub_f32_e32 v27, v27, v47
	v_dual_mul_f32 v33, 0x3fb8aa3b, v17 :: v_dual_mul_f32 v38, 0x3fb8aa3b, v22
	v_add_f32_e32 v25, v25, v42
	v_dual_mul_f32 v37, 0x3fb8aa3b, v21 :: v_dual_add_f32 v24, v24, v40
	s_delay_alu instid0(VALU_DEP_3)
	v_rndne_f32_e32 v59, v33
	v_rndne_f32_e32 v63, v35
	v_fmac_f32_e32 v44, 0x32a5705f, v8
	v_sub_f32_e32 v26, v26, v45
	v_exp_f32_e32 v24, v24
	v_fma_f32 v58, 0x3fb8aa3b, v17, -v33
	v_fma_f32 v62, 0x3fb8aa3b, v19, -v35
	v_sub_f32_e32 v35, v35, v63
	v_cvt_i32_f32_e32 v41, v41
	v_dual_sub_f32 v33, v33, v59 :: v_dual_add_f32 v26, v26, v44
	v_exp_f32_e32 v25, v25
	v_cvt_i32_f32_e32 v43, v43
	v_cmp_ngt_f32_e64 s15, 0xc2ce8ed0, v3
	s_delay_alu instid0(TRANS32_DEP_2)
	v_ldexp_f32 v24, v24, v41
	v_exp_f32_e32 v26, v26
	v_rndne_f32_e32 v49, v28
	v_rndne_f32_e32 v67, v37
	v_cvt_i32_f32_e32 v45, v45
	v_fmac_f32_e32 v46, 0x32a5705f, v10
	v_cndmask_b32_e64 v24, 0, v24, s15
	v_ldexp_f32 v25, v25, v43
	v_cmp_ngt_f32_e64 s15, 0xc2ce8ed0, v6
	v_fma_f32 v48, 0x3fb8aa3b, v12, -v28
	v_fma_f32 v66, 0x3fb8aa3b, v21, -v37
	v_dual_sub_f32 v37, v37, v67 :: v_dual_sub_f32 v28, v28, v49
	v_add_f32_e32 v27, v27, v46
	v_ldexp_f32 v26, v26, v45
	v_cndmask_b32_e64 v25, 0, v25, s15
	v_cmp_ngt_f32_e64 s15, 0xc2ce8ed0, v8
	v_mul_f32_e32 v34, 0x3fb8aa3b, v18
	v_fma_f32 v70, 0x3fb8aa3b, v23, -v39
	v_rndne_f32_e32 v71, v39
	v_fmac_f32_e32 v48, 0x32a5705f, v12
	v_exp_f32_e32 v27, v27
	v_cndmask_b32_e64 v26, 0, v26, s15
	v_cmp_nlt_f32_e64 s15, 0x42b17218, v3
	v_sub_f32_e32 v39, v39, v71
	v_cvt_i32_f32_e32 v47, v47
	v_fmac_f32_e32 v70, 0x32a5705f, v23
	v_fmac_f32_e32 v58, 0x32a5705f, v17
	v_add_f32_e32 v28, v28, v48
	v_cndmask_b32_e64 v24, 0x7f800000, v24, s15
	v_cmp_nlt_f32_e64 s15, 0x42b17218, v6
	v_add_f32_e32 v39, v39, v70
	v_rndne_f32_e32 v53, v30
	v_dual_fmac_f32 v54, 0x32a5705f, v15 :: v_dual_add_f32 v33, v33, v58
	v_fmac_f32_e32 v50, 0x32a5705f, v13
	v_exp_f32_e32 v28, v28
	v_ldexp_f32 v27, v27, v47
	s_delay_alu instid0(VALU_DEP_3)
	v_add_f32_e32 v31, v31, v54
	v_cndmask_b32_e64 v25, 0x7f800000, v25, s15
	v_cmp_ngt_f32_e64 s15, 0xc2ce8ed0, v10
	v_fma_f32 v52, 0x3fb8aa3b, v14, -v30
	v_cvt_i32_f32_e32 v49, v49
	v_dual_sub_f32 v30, v30, v53 :: v_dual_add_f32 v29, v29, v50
	s_delay_alu instid0(VALU_DEP_4)
	v_cndmask_b32_e64 v27, 0, v27, s15
	v_cmp_nlt_f32_e64 s15, 0x42b17218, v8
	v_fmac_f32_e32 v52, 0x32a5705f, v14
	v_ldexp_f32 v28, v28, v49
	v_exp_f32_e32 v29, v29
	v_cvt_i32_f32_e32 v51, v51
	v_cndmask_b32_e64 v26, 0x7f800000, v26, s15
	v_cmp_ngt_f32_e64 s15, 0xc2ce8ed0, v12
	v_add_f32_e32 v30, v30, v52
	v_add_f32_e32 v24, v24, v25
	v_fma_f32 v56, 0x3fb8aa3b, v16, -v32
	v_rndne_f32_e32 v57, v32
	v_cndmask_b32_e64 v25, 0, v28, s15
	v_cmp_nlt_f32_e64 s15, 0x42b17218, v10
	v_exp_f32_e32 v30, v30
	v_ldexp_f32 v29, v29, v51
	v_cvt_i32_f32_e32 v53, v53
	v_add_f32_e32 v24, v24, v26
	v_cndmask_b32_e64 v27, 0x7f800000, v27, s15
	v_cmp_ngt_f32_e64 s15, 0xc2ce8ed0, v13
	v_fmac_f32_e32 v62, 0x32a5705f, v19
	v_fmac_f32_e32 v56, 0x32a5705f, v16
	;; [unrolled: 1-line block ×3, first 2 shown]
	v_sub_f32_e32 v32, v32, v57
	v_cndmask_b32_e64 v26, 0, v29, s15
	v_cmp_nlt_f32_e64 s15, 0x42b17218, v12
	v_exp_f32_e32 v31, v31
	v_add_f32_e32 v37, v37, v66
	v_ldexp_f32 v30, v30, v53
	v_cvt_i32_f32_e32 v55, v55
	v_cndmask_b32_e64 v25, 0x7f800000, v25, s15
	v_cmp_ngt_f32_e64 s15, 0xc2ce8ed0, v14
	v_dual_add_f32 v35, v35, v62 :: v_dual_add_f32 v32, v32, v56
	v_add_f32_e32 v24, v24, v27
	v_fma_f32 v60, 0x3fb8aa3b, v18, -v34
	s_delay_alu instid0(VALU_DEP_4)
	v_cndmask_b32_e64 v27, 0, v30, s15
	v_cmp_nlt_f32_e64 s15, 0x42b17218, v13
	v_exp_f32_e32 v32, v32
	v_ldexp_f32 v31, v31, v55
	v_rndne_f32_e32 v61, v34
	v_cvt_i32_f32_e32 v57, v57
	v_cndmask_b32_e64 v26, 0x7f800000, v26, s15
	v_cmp_ngt_f32_e64 s15, 0xc2ce8ed0, v15
	v_add_f32_e32 v24, v24, v25
	v_fmac_f32_e32 v60, 0x32a5705f, v18
	v_sub_f32_e32 v34, v34, v61
	v_exp_f32_e32 v33, v33
	v_cndmask_b32_e64 v25, 0, v31, s15
	v_cmp_nlt_f32_e64 s15, 0x42b17218, v14
	v_ldexp_f32 v32, v32, v57
	v_cvt_i32_f32_e32 v59, v59
	v_add_f32_e32 v34, v34, v60
	v_add_f32_e32 v24, v24, v26
	v_cndmask_b32_e64 v27, 0x7f800000, v27, s15
	v_cmp_ngt_f32_e64 s15, 0xc2ce8ed0, v16
	v_fma_f32 v64, 0x3fb8aa3b, v20, -v36
	v_exp_f32_e32 v34, v34
	v_ldexp_f32 v33, v33, v59
	v_rndne_f32_e32 v65, v36
	v_cndmask_b32_e64 v26, 0, v32, s15
	v_cmp_nlt_f32_e64 s15, 0x42b17218, v15
	v_cvt_i32_f32_e32 v61, v61
	v_add_f32_e32 v24, v24, v27
	v_fmac_f32_e32 v64, 0x32a5705f, v20
	v_sub_f32_e32 v36, v36, v65
	v_cndmask_b32_e64 v25, 0x7f800000, v25, s15
	v_cmp_ngt_f32_e64 s15, 0xc2ce8ed0, v17
	v_exp_f32_e32 v35, v35
	v_ldexp_f32 v34, v34, v61
	v_cvt_i32_f32_e32 v63, v63
	v_add_f32_e32 v36, v36, v64
	v_cndmask_b32_e64 v27, 0, v33, s15
	v_cmp_nlt_f32_e64 s15, 0x42b17218, v16
	v_add_f32_e32 v24, v24, v25
	v_fma_f32 v68, 0x3fb8aa3b, v22, -v38
	v_exp_f32_e32 v36, v36
	v_rndne_f32_e32 v69, v38
	v_cndmask_b32_e64 v26, 0x7f800000, v26, s15
	v_cmp_ngt_f32_e64 s15, 0xc2ce8ed0, v18
	v_ldexp_f32 v35, v35, v63
	v_cvt_i32_f32_e32 v65, v65
	v_fmac_f32_e32 v68, 0x32a5705f, v22
	v_add_f32_e32 v24, v24, v26
	v_cndmask_b32_e64 v25, 0, v34, s15
	v_cmp_nlt_f32_e64 s15, 0x42b17218, v17
	v_sub_f32_e32 v38, v38, v69
	v_exp_f32_e32 v37, v37
	v_ldexp_f32 v36, v36, v65
	v_cvt_i32_f32_e32 v67, v67
	v_cndmask_b32_e64 v27, 0x7f800000, v27, s15
	v_cmp_ngt_f32_e64 s15, 0xc2ce8ed0, v19
	v_add_f32_e32 v38, v38, v68
	v_cvt_i32_f32_e32 v69, v69
	v_exp_f32_e32 v39, v39
	v_add_f32_e32 v24, v24, v27
	v_cndmask_b32_e64 v26, 0, v35, s15
	v_cmp_nlt_f32_e64 s15, 0x42b17218, v18
	v_exp_f32_e32 v38, v38
	v_ldexp_f32 v37, v37, v67
	v_cvt_i32_f32_e32 v71, v71
	s_delay_alu instid0(VALU_DEP_3) | instskip(SKIP_1) | instid1(VALU_DEP_2)
	v_cndmask_b32_e64 v25, 0x7f800000, v25, s15
	v_cmp_ngt_f32_e64 s15, 0xc2ce8ed0, v20
	v_add_f32_e32 v24, v24, v25
	s_delay_alu instid0(VALU_DEP_2) | instskip(SKIP_1) | instid1(TRANS32_DEP_1)
	v_cndmask_b32_e64 v27, 0, v36, s15
	v_cmp_nlt_f32_e64 s15, 0x42b17218, v19
	v_ldexp_f32 v38, v38, v69
	s_delay_alu instid0(VALU_DEP_2) | instskip(SKIP_1) | instid1(VALU_DEP_2)
	v_cndmask_b32_e64 v26, 0x7f800000, v26, s15
	v_cmp_ngt_f32_e64 s15, 0xc2ce8ed0, v21
	v_add_f32_e32 v24, v24, v26
	s_delay_alu instid0(VALU_DEP_2) | instskip(SKIP_1) | instid1(VALU_DEP_1)
	v_cndmask_b32_e64 v25, 0, v37, s15
	v_cmp_nlt_f32_e64 s15, 0x42b17218, v20
	v_cndmask_b32_e64 v27, 0x7f800000, v27, s15
	v_cmp_ngt_f32_e64 s15, 0xc2ce8ed0, v22
	s_delay_alu instid0(VALU_DEP_2) | instskip(NEXT) | instid1(VALU_DEP_2)
	v_add_f32_e32 v24, v24, v27
	v_cndmask_b32_e64 v26, 0, v38, s15
	v_cmp_nlt_f32_e64 s15, 0x42b17218, v21
	v_ldexp_f32 v27, v39, v71
	s_delay_alu instid0(VALU_DEP_2) | instskip(SKIP_1) | instid1(VALU_DEP_2)
	v_cndmask_b32_e64 v25, 0x7f800000, v25, s15
	v_cmp_nlt_f32_e64 s15, 0x42b17218, v22
	v_add_f32_e32 v24, v24, v25
	s_delay_alu instid0(VALU_DEP_2) | instskip(SKIP_1) | instid1(VALU_DEP_2)
	v_cndmask_b32_e64 v26, 0x7f800000, v26, s15
	v_cmp_ngt_f32_e64 s15, 0xc2ce8ed0, v23
	v_add_f32_e32 v24, v24, v26
	s_delay_alu instid0(VALU_DEP_2) | instskip(SKIP_1) | instid1(VALU_DEP_1)
	v_cndmask_b32_e64 v25, 0, v27, s15
	v_cmp_nlt_f32_e64 s15, 0x42b17218, v23
	v_cndmask_b32_e64 v25, 0x7f800000, v25, s15
	s_delay_alu instid0(VALU_DEP_1)
	v_add_f32_e32 v24, v24, v25
	ds_bpermute_b32 v2, v2, v24
	s_waitcnt lgkmcnt(0)
	v_add_f32_e32 v2, v24, v2
	ds_bpermute_b32 v4, v4, v2
	s_waitcnt lgkmcnt(0)
	;; [unrolled: 3-line block ×4, first 2 shown]
	v_add_f32_e32 v2, v2, v4
	ds_bpermute_b32 v4, v11, v2
	v_cmpx_lt_i32_e32 0, v5
	s_cbranch_execz .LBB185_50
; %bb.33:
	s_and_b32 exec_lo, exec_lo, s0
	s_cbranch_execz .LBB185_50
; %bb.34:
	s_waitcnt lgkmcnt(0)
	v_add_f32_e32 v2, v2, v4
	v_lshlrev_b64 v[0:1], 2, v[0:1]
	s_delay_alu instid0(VALU_DEP_2) | instskip(NEXT) | instid1(VALU_DEP_1)
	v_cmp_gt_f32_e64 s0, 0x800000, v2
	v_cndmask_b32_e64 v4, 1.0, 0x4f800000, s0
	s_delay_alu instid0(VALU_DEP_1) | instskip(NEXT) | instid1(VALU_DEP_1)
	v_mul_f32_e32 v2, v2, v4
	v_log_f32_e32 v2, v2
	s_waitcnt_depctr 0xfff
	v_mul_f32_e32 v4, 0x3f317217, v2
	v_cmp_gt_f32_e64 s15, 0x7f800000, |v2|
	s_delay_alu instid0(VALU_DEP_2) | instskip(NEXT) | instid1(VALU_DEP_1)
	v_fma_f32 v5, 0x3f317217, v2, -v4
	v_fmamk_f32 v5, v2, 0x3377d1cf, v5
	s_delay_alu instid0(VALU_DEP_1) | instskip(NEXT) | instid1(VALU_DEP_1)
	v_add_f32_e32 v4, v4, v5
	v_cndmask_b32_e64 v2, v2, v4, s15
	v_cndmask_b32_e64 v4, 0, 0x41b17218, s0
	v_add_co_u32 v0, s0, s16, v0
	s_delay_alu instid0(VALU_DEP_1) | instskip(NEXT) | instid1(VALU_DEP_3)
	v_add_co_ci_u32_e64 v1, s0, s17, v1, s0
	v_sub_f32_e32 v2, v2, v4
	s_delay_alu instid0(VALU_DEP_1)
	v_sub_f32_e32 v3, v3, v2
	global_store_b32 v[0:1], v3, off
	s_and_b32 exec_lo, exec_lo, vcc_lo
	s_cbranch_execz .LBB185_50
; %bb.35:
	v_sub_f32_e32 v3, v6, v2
	global_store_b32 v[0:1], v3, off offset:128
	s_and_b32 exec_lo, exec_lo, s1
	s_cbranch_execz .LBB185_50
; %bb.36:
	v_sub_f32_e32 v3, v8, v2
	global_store_b32 v[0:1], v3, off offset:256
	s_and_b32 exec_lo, exec_lo, s2
	;; [unrolled: 5-line block ×14, first 2 shown]
	s_cbranch_execz .LBB185_50
; %bb.49:
	v_sub_f32_e32 v2, v23, v2
	global_store_b32 v[0:1], v2, off offset:1920
.LBB185_50:
	s_nop 0
	s_sendmsg sendmsg(MSG_DEALLOC_VGPRS)
	s_endpgm
	.section	.rodata,"a",@progbits
	.p2align	6, 0x0
	.amdhsa_kernel _ZN12_GLOBAL__N_120softmax_warp_forwardIN3c108BFloat16EffLi9ELb1ELb0ELi32EEEvPT0_PKT_iiiPKbib
		.amdhsa_group_segment_fixed_size 0
		.amdhsa_private_segment_fixed_size 0
		.amdhsa_kernarg_size 304
		.amdhsa_user_sgpr_count 15
		.amdhsa_user_sgpr_dispatch_ptr 0
		.amdhsa_user_sgpr_queue_ptr 0
		.amdhsa_user_sgpr_kernarg_segment_ptr 1
		.amdhsa_user_sgpr_dispatch_id 0
		.amdhsa_user_sgpr_private_segment_size 0
		.amdhsa_wavefront_size32 1
		.amdhsa_uses_dynamic_stack 0
		.amdhsa_enable_private_segment 0
		.amdhsa_system_sgpr_workgroup_id_x 1
		.amdhsa_system_sgpr_workgroup_id_y 0
		.amdhsa_system_sgpr_workgroup_id_z 0
		.amdhsa_system_sgpr_workgroup_info 0
		.amdhsa_system_vgpr_workitem_id 1
		.amdhsa_next_free_vgpr 72
		.amdhsa_next_free_sgpr 24
		.amdhsa_reserve_vcc 1
		.amdhsa_float_round_mode_32 0
		.amdhsa_float_round_mode_16_64 0
		.amdhsa_float_denorm_mode_32 3
		.amdhsa_float_denorm_mode_16_64 3
		.amdhsa_dx10_clamp 1
		.amdhsa_ieee_mode 1
		.amdhsa_fp16_overflow 0
		.amdhsa_workgroup_processor_mode 1
		.amdhsa_memory_ordered 1
		.amdhsa_forward_progress 0
		.amdhsa_shared_vgpr_count 0
		.amdhsa_exception_fp_ieee_invalid_op 0
		.amdhsa_exception_fp_denorm_src 0
		.amdhsa_exception_fp_ieee_div_zero 0
		.amdhsa_exception_fp_ieee_overflow 0
		.amdhsa_exception_fp_ieee_underflow 0
		.amdhsa_exception_fp_ieee_inexact 0
		.amdhsa_exception_int_div_zero 0
	.end_amdhsa_kernel
	.section	.text._ZN12_GLOBAL__N_120softmax_warp_forwardIN3c108BFloat16EffLi9ELb1ELb0ELi32EEEvPT0_PKT_iiiPKbib,"axG",@progbits,_ZN12_GLOBAL__N_120softmax_warp_forwardIN3c108BFloat16EffLi9ELb1ELb0ELi32EEEvPT0_PKT_iiiPKbib,comdat
.Lfunc_end185:
	.size	_ZN12_GLOBAL__N_120softmax_warp_forwardIN3c108BFloat16EffLi9ELb1ELb0ELi32EEEvPT0_PKT_iiiPKbib, .Lfunc_end185-_ZN12_GLOBAL__N_120softmax_warp_forwardIN3c108BFloat16EffLi9ELb1ELb0ELi32EEEvPT0_PKT_iiiPKbib
                                        ; -- End function
	.section	.AMDGPU.csdata,"",@progbits
; Kernel info:
; codeLenInByte = 4044
; NumSgprs: 26
; NumVgprs: 72
; ScratchSize: 0
; MemoryBound: 0
; FloatMode: 240
; IeeeMode: 1
; LDSByteSize: 0 bytes/workgroup (compile time only)
; SGPRBlocks: 3
; VGPRBlocks: 8
; NumSGPRsForWavesPerEU: 26
; NumVGPRsForWavesPerEU: 72
; Occupancy: 16
; WaveLimiterHint : 0
; COMPUTE_PGM_RSRC2:SCRATCH_EN: 0
; COMPUTE_PGM_RSRC2:USER_SGPR: 15
; COMPUTE_PGM_RSRC2:TRAP_HANDLER: 0
; COMPUTE_PGM_RSRC2:TGID_X_EN: 1
; COMPUTE_PGM_RSRC2:TGID_Y_EN: 0
; COMPUTE_PGM_RSRC2:TGID_Z_EN: 0
; COMPUTE_PGM_RSRC2:TIDIG_COMP_CNT: 1
	.section	.text._ZN12_GLOBAL__N_120softmax_warp_forwardIN3c108BFloat16EffLi10ELb1ELb0ELi64EEEvPT0_PKT_iiiPKbib,"axG",@progbits,_ZN12_GLOBAL__N_120softmax_warp_forwardIN3c108BFloat16EffLi10ELb1ELb0ELi64EEEvPT0_PKT_iiiPKbib,comdat
	.globl	_ZN12_GLOBAL__N_120softmax_warp_forwardIN3c108BFloat16EffLi10ELb1ELb0ELi64EEEvPT0_PKT_iiiPKbib ; -- Begin function _ZN12_GLOBAL__N_120softmax_warp_forwardIN3c108BFloat16EffLi10ELb1ELb0ELi64EEEvPT0_PKT_iiiPKbib
	.p2align	8
	.type	_ZN12_GLOBAL__N_120softmax_warp_forwardIN3c108BFloat16EffLi10ELb1ELb0ELi64EEEvPT0_PKT_iiiPKbib,@function
_ZN12_GLOBAL__N_120softmax_warp_forwardIN3c108BFloat16EffLi10ELb1ELb0ELi64EEEvPT0_PKT_iiiPKbib: ; @_ZN12_GLOBAL__N_120softmax_warp_forwardIN3c108BFloat16EffLi10ELb1ELb0ELi64EEEvPT0_PKT_iiiPKbib
; %bb.0:
	s_clause 0x1
	s_load_b32 s2, s[0:1], 0x3c
	s_load_b256 s[16:23], s[0:1], 0x0
	v_bfe_u32 v1, v0, 10, 10
	v_mov_b32_e32 v7, 0xff800000
	v_mov_b32_e32 v9, 0xff800000
	s_waitcnt lgkmcnt(0)
	s_lshr_b32 s0, s2, 16
	s_delay_alu instid0(SALU_CYCLE_1) | instskip(SKIP_1) | instid1(VALU_DEP_1)
	v_mad_u64_u32 v[3:4], null, s15, s0, v[1:2]
	v_and_b32_e32 v2, 0x3ff, v0
	v_cmp_gt_i32_e64 s0, s22, v2
	s_delay_alu instid0(VALU_DEP_3) | instskip(SKIP_1) | instid1(VALU_DEP_1)
	v_mad_u64_u32 v[0:1], null, v3, s21, v[2:3]
	v_sub_nc_u32_e32 v5, s20, v3
	v_cmp_lt_i32_e64 s15, 0, v5
	s_delay_alu instid0(VALU_DEP_3) | instskip(NEXT) | instid1(VALU_DEP_2)
	v_ashrrev_i32_e32 v1, 31, v0
	s_and_b32 s2, s15, s0
	s_delay_alu instid0(VALU_DEP_1) | instskip(NEXT) | instid1(VALU_DEP_1)
	v_lshlrev_b64 v[3:4], 1, v[0:1]
	v_add_co_u32 v3, vcc_lo, s18, v3
	s_delay_alu instid0(VALU_DEP_2)
	v_add_co_ci_u32_e32 v4, vcc_lo, s19, v4, vcc_lo
	s_and_saveexec_b32 s1, s2
	s_cbranch_execz .LBB186_2
; %bb.1:
	global_load_u16 v6, v[3:4], off
	s_waitcnt vmcnt(0)
	v_lshlrev_b32_e32 v9, 16, v6
.LBB186_2:
	s_or_b32 exec_lo, exec_lo, s1
	v_add_nc_u32_e32 v6, 64, v2
	s_delay_alu instid0(VALU_DEP_1) | instskip(SKIP_1) | instid1(SALU_CYCLE_1)
	v_cmp_gt_i32_e32 vcc_lo, s22, v6
	s_and_b32 s2, s15, vcc_lo
	s_and_saveexec_b32 s1, s2
	s_cbranch_execz .LBB186_4
; %bb.3:
	global_load_u16 v6, v[3:4], off offset:128
	s_waitcnt vmcnt(0)
	v_lshlrev_b32_e32 v7, 16, v6
.LBB186_4:
	s_or_b32 exec_lo, exec_lo, s1
	v_add_nc_u32_e32 v6, 0x80, v2
	v_mov_b32_e32 v11, 0xff800000
	v_mov_b32_e32 v13, 0xff800000
	s_delay_alu instid0(VALU_DEP_3) | instskip(NEXT) | instid1(VALU_DEP_1)
	v_cmp_gt_i32_e64 s1, s22, v6
	s_and_b32 s3, s15, s1
	s_delay_alu instid0(SALU_CYCLE_1)
	s_and_saveexec_b32 s2, s3
	s_cbranch_execz .LBB186_6
; %bb.5:
	global_load_u16 v6, v[3:4], off offset:256
	s_waitcnt vmcnt(0)
	v_lshlrev_b32_e32 v13, 16, v6
.LBB186_6:
	s_or_b32 exec_lo, exec_lo, s2
	v_add_nc_u32_e32 v6, 0xc0, v2
	s_delay_alu instid0(VALU_DEP_1) | instskip(NEXT) | instid1(VALU_DEP_1)
	v_cmp_gt_i32_e64 s2, s22, v6
	s_and_b32 s4, s15, s2
	s_delay_alu instid0(SALU_CYCLE_1)
	s_and_saveexec_b32 s3, s4
	s_cbranch_execz .LBB186_8
; %bb.7:
	global_load_u16 v6, v[3:4], off offset:384
	s_waitcnt vmcnt(0)
	v_lshlrev_b32_e32 v11, 16, v6
.LBB186_8:
	s_or_b32 exec_lo, exec_lo, s3
	v_add_nc_u32_e32 v6, 0x100, v2
	v_dual_mov_b32 v14, 0xff800000 :: v_dual_mov_b32 v15, 0xff800000
	s_delay_alu instid0(VALU_DEP_2) | instskip(NEXT) | instid1(VALU_DEP_1)
	v_cmp_gt_i32_e64 s3, s22, v6
	s_and_b32 s5, s15, s3
	s_delay_alu instid0(SALU_CYCLE_1)
	s_and_saveexec_b32 s4, s5
	s_cbranch_execz .LBB186_10
; %bb.9:
	global_load_u16 v6, v[3:4], off offset:512
	s_waitcnt vmcnt(0)
	v_lshlrev_b32_e32 v15, 16, v6
.LBB186_10:
	s_or_b32 exec_lo, exec_lo, s4
	v_add_nc_u32_e32 v6, 0x140, v2
	s_delay_alu instid0(VALU_DEP_1) | instskip(NEXT) | instid1(VALU_DEP_1)
	v_cmp_gt_i32_e64 s4, s22, v6
	s_and_b32 s6, s15, s4
	s_delay_alu instid0(SALU_CYCLE_1)
	s_and_saveexec_b32 s5, s6
	s_cbranch_execz .LBB186_12
; %bb.11:
	global_load_u16 v6, v[3:4], off offset:640
	s_waitcnt vmcnt(0)
	v_lshlrev_b32_e32 v14, 16, v6
.LBB186_12:
	s_or_b32 exec_lo, exec_lo, s5
	v_add_nc_u32_e32 v6, 0x180, v2
	v_dual_mov_b32 v16, 0xff800000 :: v_dual_mov_b32 v17, 0xff800000
	s_delay_alu instid0(VALU_DEP_2) | instskip(NEXT) | instid1(VALU_DEP_1)
	;; [unrolled: 27-line block ×6, first 2 shown]
	v_cmp_gt_i32_e64 s13, s22, v6
	s_and_b32 s18, s15, s13
	s_delay_alu instid0(SALU_CYCLE_1)
	s_and_saveexec_b32 s14, s18
	s_cbranch_execz .LBB186_30
; %bb.29:
	global_load_u16 v6, v[3:4], off offset:1792
	s_waitcnt vmcnt(0)
	v_lshlrev_b32_e32 v25, 16, v6
.LBB186_30:
	s_or_b32 exec_lo, exec_lo, s14
	v_add_nc_u32_e32 v2, 0x3c0, v2
	s_delay_alu instid0(VALU_DEP_1) | instskip(NEXT) | instid1(VALU_DEP_1)
	v_cmp_gt_i32_e64 s14, s22, v2
	s_and_b32 s18, s15, s14
	s_delay_alu instid0(SALU_CYCLE_1)
	s_and_saveexec_b32 s15, s18
	s_cbranch_execz .LBB186_32
; %bb.31:
	global_load_u16 v2, v[3:4], off offset:1920
	s_waitcnt vmcnt(0)
	v_lshlrev_b32_e32 v24, 16, v2
.LBB186_32:
	s_or_b32 exec_lo, exec_lo, s15
	v_cmp_gt_f32_e64 s15, v9, v7
	v_mbcnt_lo_u32_b32 v4, -1, 0
	s_mov_b32 s18, exec_lo
	s_delay_alu instid0(VALU_DEP_2) | instskip(NEXT) | instid1(VALU_DEP_2)
	v_cndmask_b32_e64 v2, v7, v9, s15
	v_or_b32_e32 v3, 32, v4
	s_delay_alu instid0(VALU_DEP_2) | instskip(NEXT) | instid1(VALU_DEP_1)
	v_cmp_gt_f32_e64 s15, v2, v13
	v_cndmask_b32_e64 v2, v13, v2, s15
	s_delay_alu instid0(VALU_DEP_1) | instskip(NEXT) | instid1(VALU_DEP_1)
	v_cmp_gt_f32_e64 s15, v2, v11
	v_cndmask_b32_e64 v2, v11, v2, s15
	s_delay_alu instid0(VALU_DEP_1) | instskip(NEXT) | instid1(VALU_DEP_1)
	;; [unrolled: 3-line block ×11, first 2 shown]
	v_cmp_gt_f32_e64 s15, v2, v22
	v_cndmask_b32_e64 v2, v22, v2, s15
	v_cmp_gt_i32_e64 s15, 64, v3
	s_delay_alu instid0(VALU_DEP_1) | instskip(NEXT) | instid1(VALU_DEP_3)
	v_cndmask_b32_e64 v3, v4, v3, s15
	v_cmp_gt_f32_e64 s15, v2, v25
	s_delay_alu instid0(VALU_DEP_1) | instskip(NEXT) | instid1(VALU_DEP_3)
	v_cndmask_b32_e64 v6, v25, v2, s15
	v_lshlrev_b32_e32 v2, 2, v3
	v_xor_b32_e32 v3, 16, v4
	s_delay_alu instid0(VALU_DEP_3) | instskip(NEXT) | instid1(VALU_DEP_1)
	v_cmp_gt_f32_e64 s15, v6, v24
	v_cndmask_b32_e64 v6, v24, v6, s15
	s_delay_alu instid0(VALU_DEP_3) | instskip(SKIP_2) | instid1(VALU_DEP_1)
	v_cmp_gt_i32_e64 s15, 64, v3
	ds_bpermute_b32 v8, v2, v6
	v_cndmask_b32_e64 v3, v4, v3, s15
	v_lshlrev_b32_e32 v3, 2, v3
	s_waitcnt lgkmcnt(0)
	v_cmp_lt_f32_e64 s15, v6, v8
	s_delay_alu instid0(VALU_DEP_1) | instskip(SKIP_3) | instid1(VALU_DEP_1)
	v_cndmask_b32_e64 v8, v6, v8, s15
	v_xor_b32_e32 v6, 8, v4
	ds_bpermute_b32 v10, v3, v8
	v_cmp_gt_i32_e64 s15, 64, v6
	v_cndmask_b32_e64 v6, v4, v6, s15
	s_delay_alu instid0(VALU_DEP_1) | instskip(SKIP_2) | instid1(VALU_DEP_1)
	v_lshlrev_b32_e32 v6, 2, v6
	s_waitcnt lgkmcnt(0)
	v_cmp_lt_f32_e64 s15, v8, v10
	v_cndmask_b32_e64 v10, v8, v10, s15
	v_xor_b32_e32 v8, 4, v4
	ds_bpermute_b32 v12, v6, v10
	v_cmp_gt_i32_e64 s15, 64, v8
	s_delay_alu instid0(VALU_DEP_1) | instskip(NEXT) | instid1(VALU_DEP_1)
	v_cndmask_b32_e64 v8, v4, v8, s15
	v_lshlrev_b32_e32 v8, 2, v8
	s_waitcnt lgkmcnt(0)
	v_cmp_lt_f32_e64 s15, v10, v12
	s_delay_alu instid0(VALU_DEP_1) | instskip(SKIP_3) | instid1(VALU_DEP_1)
	v_cndmask_b32_e64 v12, v10, v12, s15
	v_xor_b32_e32 v10, 2, v4
	ds_bpermute_b32 v26, v8, v12
	v_cmp_gt_i32_e64 s15, 64, v10
	v_cndmask_b32_e64 v10, v4, v10, s15
	s_delay_alu instid0(VALU_DEP_1) | instskip(SKIP_2) | instid1(VALU_DEP_1)
	v_lshlrev_b32_e32 v10, 2, v10
	s_waitcnt lgkmcnt(0)
	v_cmp_lt_f32_e64 s15, v12, v26
	v_cndmask_b32_e64 v26, v12, v26, s15
	v_xor_b32_e32 v12, 1, v4
	ds_bpermute_b32 v27, v10, v26
	v_cmp_gt_i32_e64 s15, 64, v12
	s_delay_alu instid0(VALU_DEP_1) | instskip(NEXT) | instid1(VALU_DEP_1)
	v_cndmask_b32_e64 v4, v4, v12, s15
	v_lshlrev_b32_e32 v12, 2, v4
	s_waitcnt lgkmcnt(0)
	v_cmp_lt_f32_e64 s15, v26, v27
	s_delay_alu instid0(VALU_DEP_1) | instskip(SKIP_3) | instid1(VALU_DEP_1)
	v_cndmask_b32_e64 v4, v26, v27, s15
	ds_bpermute_b32 v26, v12, v4
	s_waitcnt lgkmcnt(0)
	v_cmp_lt_f32_e64 s15, v4, v26
	v_cndmask_b32_e64 v26, v4, v26, s15
	s_delay_alu instid0(VALU_DEP_1)
	v_sub_f32_e32 v11, v11, v26
	v_sub_f32_e32 v4, v9, v26
	;; [unrolled: 1-line block ×5, first 2 shown]
	v_dual_sub_f32 v15, v17, v26 :: v_dual_mul_f32 v28, 0x3fb8aa3b, v11
	v_sub_f32_e32 v16, v16, v26
	v_sub_f32_e32 v24, v24, v26
	;; [unrolled: 1-line block ×3, first 2 shown]
	s_delay_alu instid0(VALU_DEP_4) | instskip(NEXT) | instid1(VALU_DEP_4)
	v_dual_sub_f32 v20, v20, v26 :: v_dual_mul_f32 v31, 0x3fb8aa3b, v15
	v_dual_sub_f32 v17, v19, v26 :: v_dual_mul_f32 v32, 0x3fb8aa3b, v16
	v_sub_f32_e32 v18, v18, v26
	s_delay_alu instid0(VALU_DEP_3)
	v_dual_sub_f32 v19, v21, v26 :: v_dual_mul_f32 v36, 0x3fb8aa3b, v20
	v_dual_sub_f32 v21, v23, v26 :: v_dual_mul_f32 v40, 0x3fb8aa3b, v24
	v_sub_f32_e32 v22, v22, v26
	v_sub_f32_e32 v23, v25, v26
	v_dual_mul_f32 v25, 0x3fb8aa3b, v4 :: v_dual_mul_f32 v26, 0x3fb8aa3b, v7
	v_mul_f32_e32 v27, 0x3fb8aa3b, v9
	v_rndne_f32_e32 v48, v28
	v_mul_f32_e32 v29, 0x3fb8aa3b, v13
	s_delay_alu instid0(VALU_DEP_4)
	v_fma_f32 v41, 0x3fb8aa3b, v4, -v25
	v_rndne_f32_e32 v42, v25
	v_fma_f32 v43, 0x3fb8aa3b, v7, -v26
	v_rndne_f32_e32 v44, v26
	;; [unrolled: 2-line block ×3, first 2 shown]
	v_sub_f32_e32 v25, v25, v42
	s_delay_alu instid0(VALU_DEP_4)
	v_dual_fmac_f32 v43, 0x32a5705f, v7 :: v_dual_sub_f32 v26, v26, v44
	v_fmac_f32_e32 v41, 0x32a5705f, v4
	v_fma_f32 v47, 0x3fb8aa3b, v11, -v28
	v_sub_f32_e32 v28, v28, v48
	v_rndne_f32_e32 v56, v32
	v_add_f32_e32 v26, v26, v43
	v_dual_mul_f32 v30, 0x3fb8aa3b, v14 :: v_dual_add_f32 v25, v25, v41
	v_fmac_f32_e32 v45, 0x32a5705f, v9
	v_sub_f32_e32 v27, v27, v46
	v_mul_f32_e32 v33, 0x3fb8aa3b, v17
	v_fma_f32 v55, 0x3fb8aa3b, v16, -v32
	v_exp_f32_e32 v25, v25
	v_cvt_i32_f32_e32 v42, v42
	v_sub_f32_e32 v32, v32, v56
	v_dual_mul_f32 v34, 0x3fb8aa3b, v18 :: v_dual_add_f32 v27, v27, v45
	v_exp_f32_e32 v26, v26
	v_cvt_i32_f32_e32 v44, v44
	v_cmp_ngt_f32_e64 s15, 0xc2ce8ed0, v4
	v_fma_f32 v51, 0x3fb8aa3b, v14, -v30
	v_exp_f32_e32 v27, v27
	s_delay_alu instid0(TRANS32_DEP_3)
	v_ldexp_f32 v25, v25, v42
	v_rndne_f32_e32 v64, v36
	v_cvt_i32_f32_e32 v46, v46
	v_fmac_f32_e32 v47, 0x32a5705f, v11
	v_mul_f32_e32 v35, 0x3fb8aa3b, v19
	v_ldexp_f32 v26, v26, v44
	v_cndmask_b32_e64 v25, 0, v25, s15
	v_cmp_ngt_f32_e64 s15, 0xc2ce8ed0, v7
	v_fma_f32 v49, 0x3fb8aa3b, v13, -v29
	v_rndne_f32_e32 v50, v29
	v_fma_f32 v63, 0x3fb8aa3b, v20, -v36
	v_dual_sub_f32 v36, v36, v64 :: v_dual_fmac_f32 v51, 0x32a5705f, v14
	v_add_f32_e32 v28, v28, v47
	v_ldexp_f32 v27, v27, v46
	v_cndmask_b32_e64 v26, 0, v26, s15
	v_cmp_ngt_f32_e64 s15, 0xc2ce8ed0, v9
	v_rndne_f32_e32 v72, v40
	v_fmac_f32_e32 v49, 0x32a5705f, v13
	v_sub_f32_e32 v29, v29, v50
	v_exp_f32_e32 v28, v28
	v_cndmask_b32_e64 v27, 0, v27, s15
	v_cmp_nlt_f32_e64 s15, 0x42b17218, v4
	v_mul_f32_e32 v37, 0x3fb8aa3b, v21
	v_mul_f32_e32 v39, 0x3fb8aa3b, v23
	v_rndne_f32_e32 v52, v30
	v_fma_f32 v71, 0x3fb8aa3b, v24, -v40
	v_sub_f32_e32 v40, v40, v72
	v_dual_mul_f32 v38, 0x3fb8aa3b, v22 :: v_dual_add_f32 v29, v29, v49
	v_cvt_i32_f32_e32 v48, v48
	v_cndmask_b32_e64 v25, 0x7f800000, v25, s15
	v_cmp_nlt_f32_e64 s15, 0x42b17218, v7
	v_rndne_f32_e32 v54, v31
	v_sub_f32_e32 v30, v30, v52
	v_exp_f32_e32 v29, v29
	v_ldexp_f32 v28, v28, v48
	v_cndmask_b32_e64 v26, 0x7f800000, v26, s15
	v_cmp_ngt_f32_e64 s15, 0xc2ce8ed0, v11
	v_fma_f32 v53, 0x3fb8aa3b, v15, -v31
	v_cvt_i32_f32_e32 v50, v50
	v_dual_sub_f32 v31, v31, v54 :: v_dual_add_f32 v30, v30, v51
	s_delay_alu instid0(VALU_DEP_4)
	v_cndmask_b32_e64 v28, 0, v28, s15
	v_cmp_nlt_f32_e64 s15, 0x42b17218, v9
	v_fma_f32 v67, 0x3fb8aa3b, v22, -v38
	v_rndne_f32_e32 v68, v38
	v_fmac_f32_e32 v53, 0x32a5705f, v15
	v_exp_f32_e32 v30, v30
	v_ldexp_f32 v29, v29, v50
	v_cndmask_b32_e64 v27, 0x7f800000, v27, s15
	v_cmp_ngt_f32_e64 s15, 0xc2ce8ed0, v13
	v_fma_f32 v59, 0x3fb8aa3b, v18, -v34
	v_rndne_f32_e32 v60, v34
	v_cvt_i32_f32_e32 v52, v52
	v_dual_fmac_f32 v67, 0x32a5705f, v22 :: v_dual_sub_f32 v38, v38, v68
	v_add_f32_e32 v31, v31, v53
	v_add_f32_e32 v25, v25, v26
	v_cndmask_b32_e64 v26, 0, v29, s15
	v_cmp_nlt_f32_e64 s15, 0x42b17218, v11
	v_fma_f32 v57, 0x3fb8aa3b, v17, -v33
	v_dual_fmac_f32 v59, 0x32a5705f, v18 :: v_dual_add_f32 v38, v38, v67
	v_sub_f32_e32 v34, v34, v60
	v_fmac_f32_e32 v55, 0x32a5705f, v16
	v_exp_f32_e32 v31, v31
	v_ldexp_f32 v30, v30, v52
	v_cndmask_b32_e64 v28, 0x7f800000, v28, s15
	v_add_f32_e32 v34, v34, v59
	v_cmp_ngt_f32_e64 s15, 0xc2ce8ed0, v14
	v_rndne_f32_e32 v58, v33
	v_cvt_i32_f32_e32 v54, v54
	v_dual_fmac_f32 v57, 0x32a5705f, v17 :: v_dual_add_f32 v32, v32, v55
	v_add_f32_e32 v25, v25, v27
	v_cndmask_b32_e64 v27, 0, v30, s15
	v_cmp_nlt_f32_e64 s15, 0x42b17218, v13
	v_fmac_f32_e32 v63, 0x32a5705f, v20
	v_sub_f32_e32 v33, v33, v58
	v_exp_f32_e32 v32, v32
	v_ldexp_f32 v31, v31, v54
	v_cndmask_b32_e64 v26, 0x7f800000, v26, s15
	v_add_f32_e32 v36, v36, v63
	v_cmp_ngt_f32_e64 s15, 0xc2ce8ed0, v15
	v_cvt_i32_f32_e32 v56, v56
	v_add_f32_e32 v33, v33, v57
	v_add_f32_e32 v25, v25, v28
	v_fma_f32 v61, 0x3fb8aa3b, v19, -v35
	v_cndmask_b32_e64 v28, 0, v31, s15
	v_cmp_nlt_f32_e64 s15, 0x42b17218, v14
	v_exp_f32_e32 v33, v33
	v_ldexp_f32 v32, v32, v56
	v_rndne_f32_e32 v62, v35
	v_cvt_i32_f32_e32 v58, v58
	v_cndmask_b32_e64 v27, 0x7f800000, v27, s15
	v_cmp_ngt_f32_e64 s15, 0xc2ce8ed0, v16
	v_add_f32_e32 v25, v25, v26
	v_fmac_f32_e32 v61, 0x32a5705f, v19
	v_fmac_f32_e32 v71, 0x32a5705f, v24
	v_sub_f32_e32 v35, v35, v62
	v_cndmask_b32_e64 v26, 0, v32, s15
	v_cmp_nlt_f32_e64 s15, 0x42b17218, v15
	v_exp_f32_e32 v34, v34
	v_add_f32_e32 v40, v40, v71
	v_ldexp_f32 v33, v33, v58
	v_cvt_i32_f32_e32 v60, v60
	v_cndmask_b32_e64 v28, 0x7f800000, v28, s15
	v_cmp_ngt_f32_e64 s15, 0xc2ce8ed0, v17
	v_add_f32_e32 v35, v35, v61
	v_add_f32_e32 v25, v25, v27
	v_fma_f32 v65, 0x3fb8aa3b, v21, -v37
	v_rndne_f32_e32 v66, v37
	v_cndmask_b32_e64 v27, 0, v33, s15
	v_cmp_nlt_f32_e64 s15, 0x42b17218, v16
	v_exp_f32_e32 v35, v35
	v_ldexp_f32 v34, v34, v60
	v_cvt_i32_f32_e32 v62, v62
	v_add_f32_e32 v25, v25, v28
	v_cndmask_b32_e64 v26, 0x7f800000, v26, s15
	v_cmp_ngt_f32_e64 s15, 0xc2ce8ed0, v18
	v_fmac_f32_e32 v65, 0x32a5705f, v21
	v_sub_f32_e32 v37, v37, v66
	v_exp_f32_e32 v36, v36
	v_cvt_i32_f32_e32 v64, v64
	v_cndmask_b32_e64 v28, 0, v34, s15
	v_cmp_nlt_f32_e64 s15, 0x42b17218, v17
	v_ldexp_f32 v35, v35, v62
	v_add_f32_e32 v37, v37, v65
	v_add_f32_e32 v25, v25, v26
	v_fma_f32 v69, 0x3fb8aa3b, v23, -v39
	v_cndmask_b32_e64 v27, 0x7f800000, v27, s15
	v_cmp_ngt_f32_e64 s15, 0xc2ce8ed0, v19
	v_exp_f32_e32 v37, v37
	v_ldexp_f32 v36, v36, v64
	v_rndne_f32_e32 v70, v39
	v_cvt_i32_f32_e32 v66, v66
	v_cndmask_b32_e64 v26, 0, v35, s15
	v_cmp_nlt_f32_e64 s15, 0x42b17218, v18
	v_add_f32_e32 v25, v25, v27
	v_fmac_f32_e32 v69, 0x32a5705f, v23
	v_sub_f32_e32 v39, v39, v70
	v_exp_f32_e32 v38, v38
	v_cndmask_b32_e64 v28, 0x7f800000, v28, s15
	v_cmp_ngt_f32_e64 s15, 0xc2ce8ed0, v20
	v_ldexp_f32 v37, v37, v66
	v_cvt_i32_f32_e32 v68, v68
	v_add_f32_e32 v39, v39, v69
	v_add_f32_e32 v25, v25, v28
	v_cndmask_b32_e64 v27, 0, v36, s15
	v_cmp_nlt_f32_e64 s15, 0x42b17218, v19
	v_cvt_i32_f32_e32 v70, v70
	v_exp_f32_e32 v39, v39
	v_ldexp_f32 v38, v38, v68
	v_exp_f32_e32 v40, v40
	v_cndmask_b32_e64 v26, 0x7f800000, v26, s15
	v_cmp_ngt_f32_e64 s15, 0xc2ce8ed0, v21
	v_cvt_i32_f32_e32 v72, v72
	s_delay_alu instid0(VALU_DEP_3) | instskip(NEXT) | instid1(VALU_DEP_3)
	v_add_f32_e32 v25, v25, v26
	v_cndmask_b32_e64 v28, 0, v37, s15
	v_cmp_nlt_f32_e64 s15, 0x42b17218, v20
	s_delay_alu instid0(TRANS32_DEP_2) | instskip(NEXT) | instid1(VALU_DEP_2)
	v_ldexp_f32 v39, v39, v70
	v_cndmask_b32_e64 v27, 0x7f800000, v27, s15
	v_cmp_ngt_f32_e64 s15, 0xc2ce8ed0, v22
	s_delay_alu instid0(VALU_DEP_2) | instskip(NEXT) | instid1(VALU_DEP_2)
	v_add_f32_e32 v25, v25, v27
	v_cndmask_b32_e64 v26, 0, v38, s15
	v_cmp_nlt_f32_e64 s15, 0x42b17218, v21
	s_delay_alu instid0(VALU_DEP_1) | instskip(SKIP_1) | instid1(VALU_DEP_2)
	v_cndmask_b32_e64 v28, 0x7f800000, v28, s15
	v_cmp_ngt_f32_e64 s15, 0xc2ce8ed0, v23
	v_add_f32_e32 v25, v25, v28
	s_delay_alu instid0(VALU_DEP_2) | instskip(SKIP_2) | instid1(VALU_DEP_2)
	v_cndmask_b32_e64 v27, 0, v39, s15
	v_cmp_nlt_f32_e64 s15, 0x42b17218, v22
	v_ldexp_f32 v28, v40, v72
	v_cndmask_b32_e64 v26, 0x7f800000, v26, s15
	v_cmp_nlt_f32_e64 s15, 0x42b17218, v23
	s_delay_alu instid0(VALU_DEP_2) | instskip(NEXT) | instid1(VALU_DEP_2)
	v_add_f32_e32 v25, v25, v26
	v_cndmask_b32_e64 v27, 0x7f800000, v27, s15
	v_cmp_ngt_f32_e64 s15, 0xc2ce8ed0, v24
	s_delay_alu instid0(VALU_DEP_2) | instskip(NEXT) | instid1(VALU_DEP_2)
	v_add_f32_e32 v25, v25, v27
	v_cndmask_b32_e64 v26, 0, v28, s15
	v_cmp_nlt_f32_e64 s15, 0x42b17218, v24
	s_delay_alu instid0(VALU_DEP_1) | instskip(NEXT) | instid1(VALU_DEP_1)
	v_cndmask_b32_e64 v26, 0x7f800000, v26, s15
	v_add_f32_e32 v25, v25, v26
	ds_bpermute_b32 v2, v2, v25
	s_waitcnt lgkmcnt(0)
	v_add_f32_e32 v2, v25, v2
	ds_bpermute_b32 v3, v3, v2
	s_waitcnt lgkmcnt(0)
	;; [unrolled: 3-line block ×5, first 2 shown]
	v_add_f32_e32 v2, v2, v3
	ds_bpermute_b32 v3, v12, v2
	v_cmpx_lt_i32_e32 0, v5
	s_cbranch_execz .LBB186_50
; %bb.33:
	s_and_b32 exec_lo, exec_lo, s0
	s_cbranch_execz .LBB186_50
; %bb.34:
	s_waitcnt lgkmcnt(0)
	v_add_f32_e32 v2, v2, v3
	v_lshlrev_b64 v[0:1], 2, v[0:1]
	s_delay_alu instid0(VALU_DEP_2) | instskip(NEXT) | instid1(VALU_DEP_1)
	v_cmp_gt_f32_e64 s0, 0x800000, v2
	v_cndmask_b32_e64 v3, 1.0, 0x4f800000, s0
	s_delay_alu instid0(VALU_DEP_1) | instskip(NEXT) | instid1(VALU_DEP_1)
	v_mul_f32_e32 v2, v2, v3
	v_log_f32_e32 v2, v2
	s_waitcnt_depctr 0xfff
	v_mul_f32_e32 v3, 0x3f317217, v2
	v_cmp_gt_f32_e64 s15, 0x7f800000, |v2|
	s_delay_alu instid0(VALU_DEP_2) | instskip(NEXT) | instid1(VALU_DEP_1)
	v_fma_f32 v5, 0x3f317217, v2, -v3
	v_fmamk_f32 v5, v2, 0x3377d1cf, v5
	s_delay_alu instid0(VALU_DEP_1) | instskip(NEXT) | instid1(VALU_DEP_1)
	v_add_f32_e32 v3, v3, v5
	v_cndmask_b32_e64 v2, v2, v3, s15
	v_cndmask_b32_e64 v3, 0, 0x41b17218, s0
	v_add_co_u32 v0, s0, s16, v0
	s_delay_alu instid0(VALU_DEP_1) | instskip(NEXT) | instid1(VALU_DEP_3)
	v_add_co_ci_u32_e64 v1, s0, s17, v1, s0
	v_sub_f32_e32 v2, v2, v3
	s_delay_alu instid0(VALU_DEP_1)
	v_sub_f32_e32 v3, v4, v2
	global_store_b32 v[0:1], v3, off
	s_and_b32 exec_lo, exec_lo, vcc_lo
	s_cbranch_execz .LBB186_50
; %bb.35:
	v_sub_f32_e32 v3, v7, v2
	global_store_b32 v[0:1], v3, off offset:256
	s_and_b32 exec_lo, exec_lo, s1
	s_cbranch_execz .LBB186_50
; %bb.36:
	v_sub_f32_e32 v3, v9, v2
	global_store_b32 v[0:1], v3, off offset:512
	s_and_b32 exec_lo, exec_lo, s2
	;; [unrolled: 5-line block ×14, first 2 shown]
	s_cbranch_execz .LBB186_50
; %bb.49:
	v_sub_f32_e32 v2, v24, v2
	global_store_b32 v[0:1], v2, off offset:3840
.LBB186_50:
	s_nop 0
	s_sendmsg sendmsg(MSG_DEALLOC_VGPRS)
	s_endpgm
	.section	.rodata,"a",@progbits
	.p2align	6, 0x0
	.amdhsa_kernel _ZN12_GLOBAL__N_120softmax_warp_forwardIN3c108BFloat16EffLi10ELb1ELb0ELi64EEEvPT0_PKT_iiiPKbib
		.amdhsa_group_segment_fixed_size 0
		.amdhsa_private_segment_fixed_size 0
		.amdhsa_kernarg_size 304
		.amdhsa_user_sgpr_count 15
		.amdhsa_user_sgpr_dispatch_ptr 0
		.amdhsa_user_sgpr_queue_ptr 0
		.amdhsa_user_sgpr_kernarg_segment_ptr 1
		.amdhsa_user_sgpr_dispatch_id 0
		.amdhsa_user_sgpr_private_segment_size 0
		.amdhsa_wavefront_size32 1
		.amdhsa_uses_dynamic_stack 0
		.amdhsa_enable_private_segment 0
		.amdhsa_system_sgpr_workgroup_id_x 1
		.amdhsa_system_sgpr_workgroup_id_y 0
		.amdhsa_system_sgpr_workgroup_id_z 0
		.amdhsa_system_sgpr_workgroup_info 0
		.amdhsa_system_vgpr_workitem_id 1
		.amdhsa_next_free_vgpr 73
		.amdhsa_next_free_sgpr 24
		.amdhsa_reserve_vcc 1
		.amdhsa_float_round_mode_32 0
		.amdhsa_float_round_mode_16_64 0
		.amdhsa_float_denorm_mode_32 3
		.amdhsa_float_denorm_mode_16_64 3
		.amdhsa_dx10_clamp 1
		.amdhsa_ieee_mode 1
		.amdhsa_fp16_overflow 0
		.amdhsa_workgroup_processor_mode 1
		.amdhsa_memory_ordered 1
		.amdhsa_forward_progress 0
		.amdhsa_shared_vgpr_count 0
		.amdhsa_exception_fp_ieee_invalid_op 0
		.amdhsa_exception_fp_denorm_src 0
		.amdhsa_exception_fp_ieee_div_zero 0
		.amdhsa_exception_fp_ieee_overflow 0
		.amdhsa_exception_fp_ieee_underflow 0
		.amdhsa_exception_fp_ieee_inexact 0
		.amdhsa_exception_int_div_zero 0
	.end_amdhsa_kernel
	.section	.text._ZN12_GLOBAL__N_120softmax_warp_forwardIN3c108BFloat16EffLi10ELb1ELb0ELi64EEEvPT0_PKT_iiiPKbib,"axG",@progbits,_ZN12_GLOBAL__N_120softmax_warp_forwardIN3c108BFloat16EffLi10ELb1ELb0ELi64EEEvPT0_PKT_iiiPKbib,comdat
.Lfunc_end186:
	.size	_ZN12_GLOBAL__N_120softmax_warp_forwardIN3c108BFloat16EffLi10ELb1ELb0ELi64EEEvPT0_PKT_iiiPKbib, .Lfunc_end186-_ZN12_GLOBAL__N_120softmax_warp_forwardIN3c108BFloat16EffLi10ELb1ELb0ELi64EEEvPT0_PKT_iiiPKbib
                                        ; -- End function
	.section	.AMDGPU.csdata,"",@progbits
; Kernel info:
; codeLenInByte = 4116
; NumSgprs: 26
; NumVgprs: 73
; ScratchSize: 0
; MemoryBound: 0
; FloatMode: 240
; IeeeMode: 1
; LDSByteSize: 0 bytes/workgroup (compile time only)
; SGPRBlocks: 3
; VGPRBlocks: 9
; NumSGPRsForWavesPerEU: 26
; NumVGPRsForWavesPerEU: 73
; Occupancy: 16
; WaveLimiterHint : 0
; COMPUTE_PGM_RSRC2:SCRATCH_EN: 0
; COMPUTE_PGM_RSRC2:USER_SGPR: 15
; COMPUTE_PGM_RSRC2:TRAP_HANDLER: 0
; COMPUTE_PGM_RSRC2:TGID_X_EN: 1
; COMPUTE_PGM_RSRC2:TGID_Y_EN: 0
; COMPUTE_PGM_RSRC2:TGID_Z_EN: 0
; COMPUTE_PGM_RSRC2:TIDIG_COMP_CNT: 1
	.section	.text._ZN12_GLOBAL__N_120softmax_warp_forwardIN3c108BFloat16EffLi10ELb1ELb0ELi32EEEvPT0_PKT_iiiPKbib,"axG",@progbits,_ZN12_GLOBAL__N_120softmax_warp_forwardIN3c108BFloat16EffLi10ELb1ELb0ELi32EEEvPT0_PKT_iiiPKbib,comdat
	.globl	_ZN12_GLOBAL__N_120softmax_warp_forwardIN3c108BFloat16EffLi10ELb1ELb0ELi32EEEvPT0_PKT_iiiPKbib ; -- Begin function _ZN12_GLOBAL__N_120softmax_warp_forwardIN3c108BFloat16EffLi10ELb1ELb0ELi32EEEvPT0_PKT_iiiPKbib
	.p2align	8
	.type	_ZN12_GLOBAL__N_120softmax_warp_forwardIN3c108BFloat16EffLi10ELb1ELb0ELi32EEEvPT0_PKT_iiiPKbib,@function
_ZN12_GLOBAL__N_120softmax_warp_forwardIN3c108BFloat16EffLi10ELb1ELb0ELi32EEEvPT0_PKT_iiiPKbib: ; @_ZN12_GLOBAL__N_120softmax_warp_forwardIN3c108BFloat16EffLi10ELb1ELb0ELi32EEEvPT0_PKT_iiiPKbib
; %bb.0:
	s_clause 0x1
	s_load_b32 s2, s[0:1], 0x3c
	s_load_b256 s[36:43], s[0:1], 0x0
	v_bfe_u32 v1, v0, 10, 10
	v_dual_mov_b32 v12, 0xff800000 :: v_dual_mov_b32 v15, 0xff800000
	s_waitcnt lgkmcnt(0)
	s_lshr_b32 s0, s2, 16
	s_delay_alu instid0(VALU_DEP_2) | instid1(SALU_CYCLE_1)
	v_mad_u64_u32 v[3:4], null, s15, s0, v[1:2]
	v_and_b32_e32 v2, 0x3ff, v0
	s_delay_alu instid0(VALU_DEP_1) | instskip(NEXT) | instid1(VALU_DEP_3)
	v_cmp_gt_i32_e64 s0, s42, v2
	v_mad_u64_u32 v[0:1], null, v3, s41, v[2:3]
	v_sub_nc_u32_e32 v5, s40, v3
	s_delay_alu instid0(VALU_DEP_1) | instskip(NEXT) | instid1(VALU_DEP_3)
	v_cmp_lt_i32_e64 s31, 0, v5
	v_ashrrev_i32_e32 v1, 31, v0
	s_delay_alu instid0(VALU_DEP_2) | instskip(NEXT) | instid1(VALU_DEP_1)
	s_and_b32 s2, s31, s0
	v_lshlrev_b64 v[3:4], 1, v[0:1]
	s_delay_alu instid0(VALU_DEP_1) | instskip(NEXT) | instid1(VALU_DEP_2)
	v_add_co_u32 v3, vcc_lo, s38, v3
	v_add_co_ci_u32_e32 v4, vcc_lo, s39, v4, vcc_lo
	s_and_saveexec_b32 s1, s2
	s_cbranch_execz .LBB187_2
; %bb.1:
	global_load_u16 v6, v[3:4], off
	s_waitcnt vmcnt(0)
	v_lshlrev_b32_e32 v15, 16, v6
.LBB187_2:
	s_or_b32 exec_lo, exec_lo, s1
	v_add_nc_u32_e32 v6, 32, v2
	s_delay_alu instid0(VALU_DEP_1) | instskip(SKIP_1) | instid1(SALU_CYCLE_1)
	v_cmp_gt_i32_e32 vcc_lo, s42, v6
	s_and_b32 s2, s31, vcc_lo
	s_and_saveexec_b32 s1, s2
	s_cbranch_execz .LBB187_4
; %bb.3:
	global_load_u16 v6, v[3:4], off offset:64
	s_waitcnt vmcnt(0)
	v_lshlrev_b32_e32 v12, 16, v6
.LBB187_4:
	s_or_b32 exec_lo, exec_lo, s1
	v_dual_mov_b32 v19, 0xff800000 :: v_dual_add_nc_u32 v6, 64, v2
	v_mov_b32_e32 v21, 0xff800000
	s_delay_alu instid0(VALU_DEP_2) | instskip(NEXT) | instid1(VALU_DEP_1)
	v_cmp_gt_i32_e64 s1, s42, v6
	s_and_b32 s3, s31, s1
	s_delay_alu instid0(SALU_CYCLE_1)
	s_and_saveexec_b32 s2, s3
	s_cbranch_execz .LBB187_6
; %bb.5:
	global_load_u16 v6, v[3:4], off offset:128
	s_waitcnt vmcnt(0)
	v_lshlrev_b32_e32 v21, 16, v6
.LBB187_6:
	s_or_b32 exec_lo, exec_lo, s2
	v_add_nc_u32_e32 v6, 0x60, v2
	s_delay_alu instid0(VALU_DEP_1) | instskip(NEXT) | instid1(VALU_DEP_1)
	v_cmp_gt_i32_e64 s2, s42, v6
	s_and_b32 s4, s31, s2
	s_delay_alu instid0(SALU_CYCLE_1)
	s_and_saveexec_b32 s3, s4
	s_cbranch_execz .LBB187_8
; %bb.7:
	global_load_u16 v6, v[3:4], off offset:192
	s_waitcnt vmcnt(0)
	v_lshlrev_b32_e32 v19, 16, v6
.LBB187_8:
	s_or_b32 exec_lo, exec_lo, s3
	v_add_nc_u32_e32 v6, 0x80, v2
	v_dual_mov_b32 v22, 0xff800000 :: v_dual_mov_b32 v23, 0xff800000
	s_delay_alu instid0(VALU_DEP_2) | instskip(NEXT) | instid1(VALU_DEP_1)
	v_cmp_gt_i32_e64 s3, s42, v6
	s_and_b32 s5, s31, s3
	s_delay_alu instid0(SALU_CYCLE_1)
	s_and_saveexec_b32 s4, s5
	s_cbranch_execz .LBB187_10
; %bb.9:
	global_load_u16 v6, v[3:4], off offset:256
	s_waitcnt vmcnt(0)
	v_lshlrev_b32_e32 v23, 16, v6
.LBB187_10:
	s_or_b32 exec_lo, exec_lo, s4
	v_add_nc_u32_e32 v6, 0xa0, v2
	s_delay_alu instid0(VALU_DEP_1) | instskip(NEXT) | instid1(VALU_DEP_1)
	v_cmp_gt_i32_e64 s4, s42, v6
	s_and_b32 s6, s31, s4
	s_delay_alu instid0(SALU_CYCLE_1)
	s_and_saveexec_b32 s5, s6
	s_cbranch_execz .LBB187_12
; %bb.11:
	global_load_u16 v6, v[3:4], off offset:320
	s_waitcnt vmcnt(0)
	v_lshlrev_b32_e32 v22, 16, v6
.LBB187_12:
	s_or_b32 exec_lo, exec_lo, s5
	v_add_nc_u32_e32 v6, 0xc0, v2
	v_dual_mov_b32 v24, 0xff800000 :: v_dual_mov_b32 v25, 0xff800000
	;; [unrolled: 27-line block ×3, first 2 shown]
	s_delay_alu instid0(VALU_DEP_2) | instskip(NEXT) | instid1(VALU_DEP_1)
	v_cmp_gt_i32_e64 s7, s42, v6
	s_and_b32 s9, s31, s7
	s_delay_alu instid0(SALU_CYCLE_1)
	s_and_saveexec_b32 s8, s9
	s_cbranch_execz .LBB187_18
; %bb.17:
	global_load_u16 v6, v[3:4], off offset:512
	s_waitcnt vmcnt(0)
	v_lshlrev_b32_e32 v27, 16, v6
.LBB187_18:
	s_or_b32 exec_lo, exec_lo, s8
	v_add_nc_u32_e32 v6, 0x120, v2
	s_delay_alu instid0(VALU_DEP_1) | instskip(NEXT) | instid1(VALU_DEP_1)
	v_cmp_gt_i32_e64 s8, s42, v6
	s_and_b32 s10, s31, s8
	s_delay_alu instid0(SALU_CYCLE_1)
	s_and_saveexec_b32 s9, s10
	s_cbranch_execz .LBB187_20
; %bb.19:
	global_load_u16 v6, v[3:4], off offset:576
	s_waitcnt vmcnt(0)
	v_lshlrev_b32_e32 v26, 16, v6
.LBB187_20:
	s_or_b32 exec_lo, exec_lo, s9
	v_add_nc_u32_e32 v6, 0x140, v2
	v_mov_b32_e32 v28, 0xff800000
	v_mov_b32_e32 v30, 0xff800000
	s_delay_alu instid0(VALU_DEP_3) | instskip(NEXT) | instid1(VALU_DEP_1)
	v_cmp_gt_i32_e64 s9, s42, v6
	s_and_b32 s11, s31, s9
	s_delay_alu instid0(SALU_CYCLE_1)
	s_and_saveexec_b32 s10, s11
	s_cbranch_execz .LBB187_22
; %bb.21:
	global_load_u16 v6, v[3:4], off offset:640
	s_waitcnt vmcnt(0)
	v_lshlrev_b32_e32 v30, 16, v6
.LBB187_22:
	s_or_b32 exec_lo, exec_lo, s10
	v_add_nc_u32_e32 v6, 0x160, v2
	s_delay_alu instid0(VALU_DEP_1) | instskip(NEXT) | instid1(VALU_DEP_1)
	v_cmp_gt_i32_e64 s10, s42, v6
	s_and_b32 s12, s31, s10
	s_delay_alu instid0(SALU_CYCLE_1)
	s_and_saveexec_b32 s11, s12
	s_cbranch_execz .LBB187_24
; %bb.23:
	global_load_u16 v6, v[3:4], off offset:704
	s_waitcnt vmcnt(0)
	v_lshlrev_b32_e32 v28, 16, v6
.LBB187_24:
	s_or_b32 exec_lo, exec_lo, s11
	v_add_nc_u32_e32 v6, 0x180, v2
	v_dual_mov_b32 v31, 0xff800000 :: v_dual_mov_b32 v32, 0xff800000
	s_delay_alu instid0(VALU_DEP_2) | instskip(NEXT) | instid1(VALU_DEP_1)
	v_cmp_gt_i32_e64 s11, s42, v6
	s_and_b32 s13, s31, s11
	s_delay_alu instid0(SALU_CYCLE_1)
	s_and_saveexec_b32 s12, s13
	s_cbranch_execz .LBB187_26
; %bb.25:
	global_load_u16 v6, v[3:4], off offset:768
	s_waitcnt vmcnt(0)
	v_lshlrev_b32_e32 v32, 16, v6
.LBB187_26:
	s_or_b32 exec_lo, exec_lo, s12
	v_add_nc_u32_e32 v6, 0x1a0, v2
	s_delay_alu instid0(VALU_DEP_1) | instskip(NEXT) | instid1(VALU_DEP_1)
	v_cmp_gt_i32_e64 s12, s42, v6
	s_and_b32 s14, s31, s12
	s_delay_alu instid0(SALU_CYCLE_1)
	s_and_saveexec_b32 s13, s14
	s_cbranch_execz .LBB187_28
; %bb.27:
	global_load_u16 v6, v[3:4], off offset:832
	s_waitcnt vmcnt(0)
	v_lshlrev_b32_e32 v31, 16, v6
.LBB187_28:
	s_or_b32 exec_lo, exec_lo, s13
	v_add_nc_u32_e32 v6, 0x1c0, v2
	v_dual_mov_b32 v33, 0xff800000 :: v_dual_mov_b32 v34, 0xff800000
	s_delay_alu instid0(VALU_DEP_2) | instskip(NEXT) | instid1(VALU_DEP_1)
	;; [unrolled: 27-line block ×8, first 2 shown]
	v_cmp_gt_i32_e64 s25, s42, v6
	s_and_b32 s27, s31, s25
	s_delay_alu instid0(SALU_CYCLE_1)
	s_and_saveexec_b32 s26, s27
	s_cbranch_execz .LBB187_54
; %bb.53:
	global_load_u16 v6, v[3:4], off offset:1664
	s_waitcnt vmcnt(0)
	v_lshlrev_b32_e32 v13, 16, v6
.LBB187_54:
	s_or_b32 exec_lo, exec_lo, s26
	v_add_nc_u32_e32 v6, 0x360, v2
	s_delay_alu instid0(VALU_DEP_1) | instskip(NEXT) | instid1(VALU_DEP_1)
	v_cmp_gt_i32_e64 s26, s42, v6
	s_and_b32 s28, s31, s26
	s_delay_alu instid0(SALU_CYCLE_1)
	s_and_saveexec_b32 s27, s28
	s_cbranch_execz .LBB187_56
; %bb.55:
	global_load_u16 v6, v[3:4], off offset:1728
	s_waitcnt vmcnt(0)
	v_lshlrev_b32_e32 v10, 16, v6
.LBB187_56:
	s_or_b32 exec_lo, exec_lo, s27
	v_add_nc_u32_e32 v6, 0x380, v2
	v_mov_b32_e32 v7, 0xff800000
	v_mov_b32_e32 v9, 0xff800000
	s_delay_alu instid0(VALU_DEP_3) | instskip(NEXT) | instid1(VALU_DEP_1)
	v_cmp_gt_i32_e64 s27, s42, v6
	s_and_b32 s29, s31, s27
	s_delay_alu instid0(SALU_CYCLE_1)
	s_and_saveexec_b32 s28, s29
	s_cbranch_execz .LBB187_58
; %bb.57:
	global_load_u16 v6, v[3:4], off offset:1792
	s_waitcnt vmcnt(0)
	v_lshlrev_b32_e32 v9, 16, v6
.LBB187_58:
	s_or_b32 exec_lo, exec_lo, s28
	v_add_nc_u32_e32 v6, 0x3a0, v2
	s_delay_alu instid0(VALU_DEP_1) | instskip(NEXT) | instid1(VALU_DEP_1)
	v_cmp_gt_i32_e64 s28, s42, v6
	s_and_b32 s30, s31, s28
	s_delay_alu instid0(SALU_CYCLE_1)
	s_and_saveexec_b32 s29, s30
	s_cbranch_execz .LBB187_60
; %bb.59:
	global_load_u16 v6, v[3:4], off offset:1856
	s_waitcnt vmcnt(0)
	v_lshlrev_b32_e32 v7, 16, v6
.LBB187_60:
	s_or_b32 exec_lo, exec_lo, s29
	v_add_nc_u32_e32 v6, 0x3c0, v2
	v_mov_b32_e32 v8, 0xff800000
	s_delay_alu instid0(VALU_DEP_2) | instskip(SKIP_1) | instid1(VALU_DEP_2)
	v_cmp_gt_i32_e64 s29, s42, v6
	v_mov_b32_e32 v6, 0xff800000
	s_and_b32 s33, s31, s29
	s_delay_alu instid0(SALU_CYCLE_1)
	s_and_saveexec_b32 s30, s33
	s_cbranch_execz .LBB187_62
; %bb.61:
	global_load_u16 v8, v[3:4], off offset:1920
	s_waitcnt vmcnt(0)
	v_lshlrev_b32_e32 v8, 16, v8
.LBB187_62:
	s_or_b32 exec_lo, exec_lo, s30
	v_add_nc_u32_e32 v2, 0x3e0, v2
	s_delay_alu instid0(VALU_DEP_1) | instskip(NEXT) | instid1(VALU_DEP_1)
	v_cmp_gt_i32_e64 s30, s42, v2
	s_and_b32 s33, s31, s30
	s_delay_alu instid0(SALU_CYCLE_1)
	s_and_saveexec_b32 s31, s33
	s_cbranch_execz .LBB187_64
; %bb.63:
	global_load_u16 v2, v[3:4], off offset:1984
	s_waitcnt vmcnt(0)
	v_lshlrev_b32_e32 v6, 16, v2
.LBB187_64:
	s_or_b32 exec_lo, exec_lo, s31
	v_cmp_gt_f32_e64 s31, v15, v12
	v_mbcnt_lo_u32_b32 v3, -1, 0
	s_mov_b32 s33, exec_lo
	s_delay_alu instid0(VALU_DEP_2) | instskip(NEXT) | instid1(VALU_DEP_2)
	v_cndmask_b32_e64 v2, v12, v15, s31
	v_xor_b32_e32 v4, 16, v3
	s_delay_alu instid0(VALU_DEP_2) | instskip(NEXT) | instid1(VALU_DEP_1)
	v_cmp_gt_f32_e64 s31, v2, v21
	v_cndmask_b32_e64 v2, v21, v2, s31
	s_delay_alu instid0(VALU_DEP_1) | instskip(NEXT) | instid1(VALU_DEP_1)
	v_cmp_gt_f32_e64 s31, v2, v19
	v_cndmask_b32_e64 v2, v19, v2, s31
	s_delay_alu instid0(VALU_DEP_1) | instskip(NEXT) | instid1(VALU_DEP_1)
	;; [unrolled: 3-line block ×27, first 2 shown]
	v_cmp_gt_f32_e64 s31, v2, v7
	v_cndmask_b32_e64 v2, v7, v2, s31
	v_cmp_gt_i32_e64 s31, 32, v4
	s_delay_alu instid0(VALU_DEP_1) | instskip(NEXT) | instid1(VALU_DEP_3)
	v_cndmask_b32_e64 v4, v3, v4, s31
	v_cmp_gt_f32_e64 s31, v2, v8
	s_delay_alu instid0(VALU_DEP_1) | instskip(NEXT) | instid1(VALU_DEP_3)
	v_cndmask_b32_e64 v14, v8, v2, s31
	v_lshlrev_b32_e32 v2, 2, v4
	v_xor_b32_e32 v4, 8, v3
	s_delay_alu instid0(VALU_DEP_3) | instskip(NEXT) | instid1(VALU_DEP_1)
	v_cmp_gt_f32_e64 s31, v14, v6
	v_cndmask_b32_e64 v14, v6, v14, s31
	s_delay_alu instid0(VALU_DEP_3) | instskip(SKIP_2) | instid1(VALU_DEP_1)
	v_cmp_gt_i32_e64 s31, 32, v4
	ds_bpermute_b32 v17, v2, v14
	v_cndmask_b32_e64 v4, v3, v4, s31
	v_lshlrev_b32_e32 v4, 2, v4
	s_waitcnt lgkmcnt(0)
	v_cmp_lt_f32_e64 s31, v14, v17
	s_delay_alu instid0(VALU_DEP_1) | instskip(SKIP_3) | instid1(VALU_DEP_1)
	v_cndmask_b32_e64 v17, v14, v17, s31
	v_xor_b32_e32 v14, 4, v3
	ds_bpermute_b32 v20, v4, v17
	v_cmp_gt_i32_e64 s31, 32, v14
	v_cndmask_b32_e64 v14, v3, v14, s31
	s_delay_alu instid0(VALU_DEP_1) | instskip(SKIP_2) | instid1(VALU_DEP_1)
	v_lshlrev_b32_e32 v14, 2, v14
	s_waitcnt lgkmcnt(0)
	v_cmp_lt_f32_e64 s31, v17, v20
	v_cndmask_b32_e64 v20, v17, v20, s31
	v_xor_b32_e32 v17, 2, v3
	ds_bpermute_b32 v29, v14, v20
	v_cmp_gt_i32_e64 s31, 32, v17
	s_delay_alu instid0(VALU_DEP_1) | instskip(NEXT) | instid1(VALU_DEP_1)
	v_cndmask_b32_e64 v17, v3, v17, s31
	v_lshlrev_b32_e32 v17, 2, v17
	s_waitcnt lgkmcnt(0)
	v_cmp_lt_f32_e64 s31, v20, v29
	s_delay_alu instid0(VALU_DEP_1) | instskip(SKIP_3) | instid1(VALU_DEP_1)
	v_cndmask_b32_e64 v29, v20, v29, s31
	v_xor_b32_e32 v20, 1, v3
	ds_bpermute_b32 v42, v17, v29
	v_cmp_gt_i32_e64 s31, 32, v20
	v_cndmask_b32_e64 v3, v3, v20, s31
	s_delay_alu instid0(VALU_DEP_1) | instskip(SKIP_2) | instid1(VALU_DEP_1)
	v_lshlrev_b32_e32 v20, 2, v3
	s_waitcnt lgkmcnt(0)
	v_cmp_lt_f32_e64 s31, v29, v42
	v_cndmask_b32_e64 v3, v29, v42, s31
	ds_bpermute_b32 v29, v20, v3
	s_waitcnt lgkmcnt(0)
	v_cmp_lt_f32_e64 s31, v3, v29
	s_delay_alu instid0(VALU_DEP_1) | instskip(NEXT) | instid1(VALU_DEP_1)
	v_cndmask_b32_e64 v29, v3, v29, s31
	v_sub_f32_e32 v3, v15, v29
	v_sub_f32_e32 v15, v21, v29
	v_sub_f32_e32 v21, v23, v29
	v_sub_f32_e32 v22, v22, v29
	v_sub_f32_e32 v19, v19, v29
	v_sub_f32_e32 v23, v25, v29
	v_dual_mul_f32 v43, 0x3fb8aa3b, v15 :: v_dual_sub_f32 v12, v12, v29
	s_delay_alu instid0(VALU_DEP_4) | instskip(NEXT) | instid1(VALU_DEP_4)
	v_dual_sub_f32 v25, v27, v29 :: v_dual_mul_f32 v46, 0x3fb8aa3b, v22
	v_mul_f32_e32 v44, 0x3fb8aa3b, v19
	s_delay_alu instid0(VALU_DEP_3)
	v_fma_f32 v68, 0x3fb8aa3b, v15, -v43
	v_rndne_f32_e32 v69, v43
	v_dual_sub_f32 v24, v24, v29 :: v_dual_mul_f32 v47, 0x3fb8aa3b, v23
	v_sub_f32_e32 v27, v30, v29
	v_sub_f32_e32 v30, v32, v29
	;; [unrolled: 1-line block ×6, first 2 shown]
	v_dual_fmac_f32 v68, 0x32a5705f, v15 :: v_dual_sub_f32 v43, v43, v69
	v_dual_sub_f32 v40, v41, v29 :: v_dual_mul_f32 v41, 0x3fb8aa3b, v3
	v_mul_f32_e32 v42, 0x3fb8aa3b, v12
	v_cmp_ngt_f32_e64 s31, 0xc2ce8ed0, v3
	s_delay_alu instid0(VALU_DEP_4) | instskip(NEXT) | instid1(VALU_DEP_4)
	v_add_f32_e32 v43, v43, v68
	v_mul_f32_e32 v63, 0x3fb8aa3b, v40
	v_fma_f32 v64, 0x3fb8aa3b, v3, -v41
	v_rndne_f32_e32 v65, v41
	v_sub_f32_e32 v39, v39, v29
	v_mul_f32_e32 v61, 0x3fb8aa3b, v38
	v_mul_f32_e32 v59, 0x3fb8aa3b, v36
	v_fmac_f32_e32 v64, 0x32a5705f, v3
	v_mul_f32_e32 v57, 0x3fb8aa3b, v34
	v_dual_mul_f32 v55, 0x3fb8aa3b, v32 :: v_dual_sub_f32 v28, v28, v29
	v_mul_f32_e32 v53, 0x3fb8aa3b, v30
	v_sub_f32_e32 v33, v33, v29
	v_fma_f32 v66, 0x3fb8aa3b, v12, -v42
	v_rndne_f32_e32 v67, v42
	v_dual_mul_f32 v52, 0x3fb8aa3b, v28 :: v_dual_sub_f32 v41, v41, v65
	v_dual_mul_f32 v45, 0x3fb8aa3b, v21 :: v_dual_mul_f32 v62, 0x3fb8aa3b, v39
	s_delay_alu instid0(VALU_DEP_3) | instskip(SKIP_1) | instid1(VALU_DEP_4)
	v_dual_mul_f32 v49, 0x3fb8aa3b, v25 :: v_dual_sub_f32 v42, v42, v67
	v_fmac_f32_e32 v66, 0x32a5705f, v12
	v_dual_mul_f32 v56, 0x3fb8aa3b, v33 :: v_dual_add_f32 v41, v41, v64
	s_delay_alu instid0(VALU_DEP_4) | instskip(SKIP_1) | instid1(VALU_DEP_4)
	v_rndne_f32_e32 v73, v45
	v_fma_f32 v72, 0x3fb8aa3b, v21, -v45
	v_add_f32_e32 v42, v42, v66
	v_cvt_i32_f32_e32 v65, v65
	v_exp_f32_e32 v41, v41
	v_sub_f32_e32 v45, v45, v73
	v_cvt_i32_f32_e32 v67, v67
	v_exp_f32_e32 v42, v42
	v_exp_f32_e32 v43, v43
	v_cvt_i32_f32_e32 v69, v69
	v_mul_f32_e32 v48, 0x3fb8aa3b, v24
	v_dual_sub_f32 v26, v26, v29 :: v_dual_mul_f32 v51, 0x3fb8aa3b, v27
	v_fma_f32 v70, 0x3fb8aa3b, v19, -v44
	s_delay_alu instid0(TRANS32_DEP_3) | instskip(SKIP_2) | instid1(TRANS32_DEP_2)
	v_ldexp_f32 v41, v41, v65
	v_rndne_f32_e32 v71, v44
	v_fma_f32 v86, 0x3fb8aa3b, v28, -v52
	v_ldexp_f32 v42, v42, v67
	s_delay_alu instid0(TRANS32_DEP_1)
	v_ldexp_f32 v43, v43, v69
	v_cndmask_b32_e64 v41, 0, v41, s31
	v_cmp_ngt_f32_e64 s31, 0xc2ce8ed0, v12
	v_rndne_f32_e32 v87, v52
	v_rndne_f32_e32 v75, v46
	;; [unrolled: 1-line block ×4, first 2 shown]
	v_cndmask_b32_e64 v42, 0, v42, s31
	v_cmp_ngt_f32_e64 s31, 0xc2ce8ed0, v15
	v_fma_f32 v84, 0x3fb8aa3b, v27, -v51
	v_rndne_f32_e32 v85, v51
	v_fmac_f32_e32 v70, 0x32a5705f, v19
	v_sub_f32_e32 v44, v44, v71
	v_cndmask_b32_e64 v43, 0, v43, s31
	v_cmp_nlt_f32_e64 s31, 0x42b17218, v3
	v_dual_sub_f32 v52, v52, v87 :: v_dual_sub_f32 v31, v31, v29
	v_mul_f32_e32 v50, 0x3fb8aa3b, v26
	v_fma_f32 v74, 0x3fb8aa3b, v22, -v46
	s_delay_alu instid0(VALU_DEP_4)
	v_cndmask_b32_e64 v41, 0x7f800000, v41, s31
	v_cmp_nlt_f32_e64 s31, 0x42b17218, v12
	v_fma_f32 v76, 0x3fb8aa3b, v23, -v47
	v_fma_f32 v80, 0x3fb8aa3b, v25, -v49
	v_rndne_f32_e32 v93, v55
	v_dual_sub_f32 v46, v46, v75 :: v_dual_sub_f32 v51, v51, v85
	v_cndmask_b32_e64 v42, 0x7f800000, v42, s31
	v_dual_fmac_f32 v86, 0x32a5705f, v28 :: v_dual_sub_f32 v47, v47, v77
	v_sub_f32_e32 v49, v49, v81
	v_dual_sub_f32 v35, v35, v29 :: v_dual_mul_f32 v54, 0x3fb8aa3b, v31
	s_delay_alu instid0(VALU_DEP_4) | instskip(NEXT) | instid1(VALU_DEP_4)
	v_add_f32_e32 v41, v41, v42
	v_add_f32_e32 v52, v52, v86
	v_rndne_f32_e32 v86, v61
	v_fmac_f32_e32 v84, 0x32a5705f, v27
	v_dual_add_f32 v44, v44, v70 :: v_dual_sub_f32 v37, v37, v29
	v_mul_f32_e32 v58, 0x3fb8aa3b, v35
	v_fma_f32 v92, 0x3fb8aa3b, v32, -v55
	v_dual_fmac_f32 v76, 0x32a5705f, v23 :: v_dual_sub_f32 v55, v55, v93
	v_dual_fmac_f32 v72, 0x32a5705f, v21 :: v_dual_add_f32 v51, v51, v84
	v_exp_f32_e32 v44, v44
	s_delay_alu instid0(VALU_DEP_2) | instskip(NEXT) | instid1(VALU_DEP_2)
	v_dual_add_f32 v47, v47, v76 :: v_dual_mul_f32 v60, 0x3fb8aa3b, v37
	v_add_f32_e32 v45, v45, v72
	v_fmac_f32_e32 v92, 0x32a5705f, v32
	v_cvt_i32_f32_e32 v71, v71
	v_fmac_f32_e32 v80, 0x32a5705f, v25
	v_cmp_ngt_f32_e64 s31, 0xc2ce8ed0, v19
	v_exp_f32_e32 v45, v45
	v_dual_add_f32 v55, v55, v92 :: v_dual_fmac_f32 v74, 0x32a5705f, v22
	s_delay_alu instid0(VALU_DEP_3)
	v_add_f32_e32 v49, v49, v80
	v_ldexp_f32 v44, v44, v71
	v_fma_f32 v78, 0x3fb8aa3b, v24, -v48
	v_rndne_f32_e32 v79, v48
	v_fma_f32 v88, 0x3fb8aa3b, v30, -v53
	v_rndne_f32_e32 v89, v53
	v_add_f32_e32 v46, v46, v74
	v_cvt_i32_f32_e32 v73, v73
	v_cndmask_b32_e64 v44, 0, v44, s31
	v_cmp_nlt_f32_e64 s31, 0x42b17218, v15
	v_sub_f32_e32 v53, v53, v89
	v_fma_f32 v68, 0x3fb8aa3b, v34, -v57
	v_rndne_f32_e32 v70, v57
	v_fmac_f32_e32 v78, 0x32a5705f, v24
	v_fmac_f32_e32 v88, 0x32a5705f, v30
	v_sub_f32_e32 v48, v48, v79
	v_exp_f32_e32 v46, v46
	v_ldexp_f32 v45, v45, v73
	v_cndmask_b32_e64 v43, 0x7f800000, v43, s31
	v_add_f32_e32 v53, v53, v88
	v_cmp_ngt_f32_e64 s31, 0xc2ce8ed0, v21
	v_fma_f32 v82, 0x3fb8aa3b, v26, -v50
	v_rndne_f32_e32 v83, v50
	v_fma_f32 v76, 0x3fb8aa3b, v36, -v59
	v_cvt_i32_f32_e32 v75, v75
	v_fmac_f32_e32 v68, 0x32a5705f, v34
	v_sub_f32_e32 v57, v57, v70
	v_add_f32_e32 v48, v48, v78
	v_rndne_f32_e32 v78, v59
	v_cndmask_b32_e64 v42, 0, v45, s31
	v_cmp_nlt_f32_e64 s31, 0x42b17218, v19
	v_dual_add_f32 v57, v57, v68 :: v_dual_sub_f32 v50, v50, v83
	s_delay_alu instid0(VALU_DEP_4)
	v_dual_sub_f32 v59, v59, v78 :: v_dual_fmac_f32 v76, 0x32a5705f, v36
	v_fmac_f32_e32 v82, 0x32a5705f, v26
	v_exp_f32_e32 v47, v47
	v_ldexp_f32 v46, v46, v75
	v_cndmask_b32_e64 v44, 0x7f800000, v44, s31
	v_add_f32_e32 v59, v59, v76
	v_cmp_ngt_f32_e64 s31, 0xc2ce8ed0, v22
	v_dual_add_f32 v50, v50, v82 :: v_dual_add_f32 v41, v41, v43
	v_cvt_i32_f32_e32 v77, v77
	v_exp_f32_e32 v48, v48
	s_delay_alu instid0(VALU_DEP_3)
	v_cndmask_b32_e64 v43, 0, v46, s31
	v_cmp_nlt_f32_e64 s31, 0x42b17218, v21
	v_cvt_i32_f32_e32 v79, v79
	v_ldexp_f32 v47, v47, v77
	v_add_f32_e32 v41, v41, v44
	v_fma_f32 v90, 0x3fb8aa3b, v31, -v54
	v_cndmask_b32_e64 v42, 0x7f800000, v42, s31
	v_cmp_ngt_f32_e64 s31, 0xc2ce8ed0, v23
	v_exp_f32_e32 v49, v49
	v_ldexp_f32 v48, v48, v79
	s_delay_alu instid0(VALU_DEP_3) | instskip(NEXT) | instid1(VALU_DEP_3)
	v_dual_fmac_f32 v90, 0x32a5705f, v31 :: v_dual_add_f32 v41, v41, v42
	v_cndmask_b32_e64 v44, 0, v47, s31
	v_cmp_nlt_f32_e64 s31, 0x42b17218, v22
	v_cvt_i32_f32_e32 v81, v81
	v_exp_f32_e32 v50, v50
	v_cvt_i32_f32_e32 v83, v83
	v_rndne_f32_e32 v91, v54
	v_cndmask_b32_e64 v43, 0x7f800000, v43, s31
	v_cmp_ngt_f32_e64 s31, 0xc2ce8ed0, v24
	v_ldexp_f32 v49, v49, v81
	v_exp_f32_e32 v51, v51
	v_cvt_i32_f32_e32 v85, v85
	v_add_f32_e32 v41, v41, v43
	v_cndmask_b32_e64 v42, 0, v48, s31
	v_cmp_nlt_f32_e64 s31, 0x42b17218, v23
	v_ldexp_f32 v50, v50, v83
	v_exp_f32_e32 v52, v52
	v_cvt_i32_f32_e32 v87, v87
	v_exp_f32_e32 v53, v53
	v_cndmask_b32_e64 v44, 0x7f800000, v44, s31
	v_cmp_ngt_f32_e64 s31, 0xc2ce8ed0, v25
	v_sub_f32_e32 v54, v54, v91
	v_ldexp_f32 v51, v51, v85
	v_cvt_i32_f32_e32 v89, v89
	v_add_f32_e32 v41, v41, v44
	v_cndmask_b32_e64 v43, 0, v49, s31
	v_cmp_nlt_f32_e64 s31, 0x42b17218, v24
	v_ldexp_f32 v52, v52, v87
	v_fma_f32 v64, 0x3fb8aa3b, v33, -v56
	v_ldexp_f32 v53, v53, v89
	v_rndne_f32_e32 v66, v56
	v_cndmask_b32_e64 v42, 0x7f800000, v42, s31
	v_cmp_ngt_f32_e64 s31, 0xc2ce8ed0, v26
	v_fma_f32 v72, 0x3fb8aa3b, v35, -v58
	v_cvt_i32_f32_e32 v91, v91
	v_exp_f32_e32 v55, v55
	v_add_f32_e32 v41, v41, v42
	v_cndmask_b32_e64 v44, 0, v50, s31
	v_cmp_nlt_f32_e64 s31, 0x42b17218, v25
	v_cvt_i32_f32_e32 v93, v93
	v_rndne_f32_e32 v74, v58
	v_exp_f32_e32 v57, v57
	v_cvt_i32_f32_e32 v70, v70
	v_cndmask_b32_e64 v43, 0x7f800000, v43, s31
	v_cmp_ngt_f32_e64 s31, 0xc2ce8ed0, v27
	v_add_f32_e32 v54, v54, v90
	v_ldexp_f32 v55, v55, v93
	v_exp_f32_e32 v59, v59
	v_add_f32_e32 v41, v41, v43
	v_cndmask_b32_e64 v42, 0, v51, s31
	v_cmp_nlt_f32_e64 s31, 0x42b17218, v26
	v_exp_f32_e32 v54, v54
	v_ldexp_f32 v57, v57, v70
	v_cvt_i32_f32_e32 v78, v78
	v_fma_f32 v80, 0x3fb8aa3b, v37, -v60
	v_cndmask_b32_e64 v44, 0x7f800000, v44, s31
	v_cmp_ngt_f32_e64 s31, 0xc2ce8ed0, v28
	v_fmac_f32_e32 v64, 0x32a5705f, v33
	v_ldexp_f32 v59, v59, v78
	v_rndne_f32_e32 v82, v60
	v_add_f32_e32 v41, v41, v44
	v_cndmask_b32_e64 v43, 0, v52, s31
	v_cmp_nlt_f32_e64 s31, 0x42b17218, v27
	v_ldexp_f32 v54, v54, v91
	v_fma_f32 v88, 0x3fb8aa3b, v39, -v62
	v_sub_f32_e32 v16, v16, v29
	v_sub_f32_e32 v18, v18, v29
	v_cndmask_b32_e64 v42, 0x7f800000, v42, s31
	v_cmp_ngt_f32_e64 s31, 0xc2ce8ed0, v30
	v_fmac_f32_e32 v72, 0x32a5705f, v35
	v_mul_f32_e32 v47, 0x3fb8aa3b, v16
	v_fma_f32 v84, 0x3fb8aa3b, v38, -v61
	v_add_f32_e32 v41, v41, v42
	v_cndmask_b32_e64 v44, 0, v53, s31
	v_cmp_nlt_f32_e64 s31, 0x42b17218, v28
	v_rndne_f32_e32 v90, v62
	v_sub_f32_e32 v61, v61, v86
	v_cvt_i32_f32_e32 v86, v86
	v_fma_f32 v92, 0x3fb8aa3b, v40, -v63
	v_cndmask_b32_e64 v43, 0x7f800000, v43, s31
	v_sub_f32_e32 v56, v56, v66
	v_cmp_ngt_f32_e64 s31, 0xc2ce8ed0, v31
	v_cvt_i32_f32_e32 v66, v66
	v_cvt_i32_f32_e32 v46, v90
	s_delay_alu instid0(VALU_DEP_4) | instskip(NEXT) | instid1(VALU_DEP_4)
	v_dual_add_f32 v41, v41, v43 :: v_dual_add_f32 v56, v56, v64
	v_cndmask_b32_e64 v42, 0, v54, s31
	v_cmp_nlt_f32_e64 s31, 0x42b17218, v30
	v_sub_f32_e32 v10, v10, v29
	v_sub_f32_e32 v9, v9, v29
	v_exp_f32_e32 v56, v56
	v_sub_f32_e32 v11, v11, v29
	v_cndmask_b32_e64 v44, 0x7f800000, v44, s31
	v_cmp_ngt_f32_e64 s31, 0xc2ce8ed0, v32
	v_dual_mul_f32 v50, 0x3fb8aa3b, v10 :: v_dual_sub_f32 v13, v13, v29
	v_sub_f32_e32 v7, v7, v29
	s_delay_alu instid0(VALU_DEP_4) | instskip(NEXT) | instid1(VALU_DEP_4)
	v_add_f32_e32 v41, v41, v44
	v_cndmask_b32_e64 v43, 0, v55, s31
	v_cmp_nlt_f32_e64 s31, 0x42b17218, v31
	s_delay_alu instid0(TRANS32_DEP_1) | instskip(NEXT) | instid1(VALU_DEP_2)
	v_ldexp_f32 v56, v56, v66
	v_cndmask_b32_e64 v42, 0x7f800000, v42, s31
	v_cmp_ngt_f32_e64 s31, 0xc2ce8ed0, v33
	s_delay_alu instid0(VALU_DEP_2) | instskip(NEXT) | instid1(VALU_DEP_2)
	v_add_f32_e32 v41, v41, v42
	v_cndmask_b32_e64 v44, 0, v56, s31
	v_cmp_nlt_f32_e64 s31, 0x42b17218, v32
	s_delay_alu instid0(VALU_DEP_1) | instskip(SKIP_3) | instid1(VALU_DEP_3)
	v_cndmask_b32_e64 v43, 0x7f800000, v43, s31
	v_sub_f32_e32 v58, v58, v74
	v_cmp_ngt_f32_e64 s31, 0xc2ce8ed0, v34
	v_cvt_i32_f32_e32 v74, v74
	v_dual_add_f32 v41, v41, v43 :: v_dual_add_f32 v58, v58, v72
	s_delay_alu instid0(VALU_DEP_3) | instskip(SKIP_1) | instid1(VALU_DEP_3)
	v_cndmask_b32_e64 v42, 0, v57, s31
	v_cmp_nlt_f32_e64 s31, 0x42b17218, v33
	v_exp_f32_e32 v58, v58
	s_delay_alu instid0(VALU_DEP_1) | instskip(SKIP_1) | instid1(VALU_DEP_2)
	v_cndmask_b32_e64 v44, 0x7f800000, v44, s31
	v_cmp_ngt_f32_e64 s31, 0xc2ce8ed0, v35
	v_dual_fmac_f32 v80, 0x32a5705f, v37 :: v_dual_add_f32 v41, v41, v44
	s_waitcnt_depctr 0xfff
	v_ldexp_f32 v58, v58, v74
	s_delay_alu instid0(VALU_DEP_1) | instskip(SKIP_1) | instid1(VALU_DEP_1)
	v_cndmask_b32_e64 v43, 0, v58, s31
	v_cmp_nlt_f32_e64 s31, 0x42b17218, v34
	v_cndmask_b32_e64 v42, 0x7f800000, v42, s31
	v_cmp_ngt_f32_e64 s31, 0xc2ce8ed0, v36
	s_delay_alu instid0(VALU_DEP_2) | instskip(NEXT) | instid1(VALU_DEP_2)
	v_dual_fmac_f32 v88, 0x32a5705f, v39 :: v_dual_add_f32 v41, v41, v42
	v_cndmask_b32_e64 v44, 0, v59, s31
	v_cmp_nlt_f32_e64 s31, 0x42b17218, v35
	s_delay_alu instid0(VALU_DEP_1) | instskip(SKIP_3) | instid1(VALU_DEP_3)
	v_cndmask_b32_e64 v43, 0x7f800000, v43, s31
	v_sub_f32_e32 v60, v60, v82
	v_cvt_i32_f32_e32 v82, v82
	v_cmp_ngt_f32_e64 s31, 0xc2ce8ed0, v37
	v_dual_add_f32 v41, v41, v43 :: v_dual_add_f32 v60, v60, v80
	s_delay_alu instid0(VALU_DEP_1) | instskip(SKIP_2) | instid1(VALU_DEP_1)
	v_exp_f32_e32 v60, v60
	s_waitcnt_depctr 0xfff
	v_ldexp_f32 v60, v60, v82
	v_cndmask_b32_e64 v42, 0, v60, s31
	v_cmp_nlt_f32_e64 s31, 0x42b17218, v36
	s_delay_alu instid0(VALU_DEP_1) | instskip(SKIP_2) | instid1(VALU_DEP_3)
	v_cndmask_b32_e64 v44, 0x7f800000, v44, s31
	v_sub_f32_e32 v62, v62, v90
	v_cmp_nlt_f32_e64 s31, 0x42b17218, v37
	v_dual_add_f32 v41, v41, v44 :: v_dual_fmac_f32 v84, 0x32a5705f, v38
	s_delay_alu instid0(VALU_DEP_3) | instskip(NEXT) | instid1(VALU_DEP_3)
	v_add_f32_e32 v43, v62, v88
	v_cndmask_b32_e64 v42, 0x7f800000, v42, s31
	v_cmp_ngt_f32_e64 s31, 0xc2ce8ed0, v38
	v_rndne_f32_e32 v44, v63
	v_add_f32_e32 v61, v61, v84
	v_exp_f32_e32 v43, v43
	s_delay_alu instid0(VALU_DEP_2) | instskip(NEXT) | instid1(VALU_DEP_2)
	v_dual_add_f32 v41, v41, v42 :: v_dual_sub_f32 v42, v63, v44
	v_exp_f32_e32 v61, v61
	v_cvt_i32_f32_e32 v44, v44
	s_waitcnt_depctr 0xfff
	v_ldexp_f32 v43, v43, v46
	v_rndne_f32_e32 v46, v47
	v_ldexp_f32 v45, v61, v86
	s_delay_alu instid0(VALU_DEP_1) | instskip(SKIP_1) | instid1(VALU_DEP_1)
	v_cndmask_b32_e64 v45, 0, v45, s31
	v_cmp_nlt_f32_e64 s31, 0x42b17218, v38
	v_cndmask_b32_e64 v45, 0x7f800000, v45, s31
	v_cmp_ngt_f32_e64 s31, 0xc2ce8ed0, v39
	s_delay_alu instid0(VALU_DEP_2) | instskip(NEXT) | instid1(VALU_DEP_2)
	v_add_f32_e32 v41, v41, v45
	v_cndmask_b32_e64 v43, 0, v43, s31
	v_cmp_nlt_f32_e64 s31, 0x42b17218, v39
	s_delay_alu instid0(VALU_DEP_1) | instskip(SKIP_2) | instid1(VALU_DEP_2)
	v_cndmask_b32_e64 v43, 0x7f800000, v43, s31
	v_fmac_f32_e32 v92, 0x32a5705f, v40
	v_cmp_ngt_f32_e64 s31, 0xc2ce8ed0, v40
	v_dual_add_f32 v41, v41, v43 :: v_dual_add_f32 v42, v42, v92
	s_delay_alu instid0(VALU_DEP_1) | instskip(SKIP_2) | instid1(VALU_DEP_1)
	v_exp_f32_e32 v42, v42
	s_waitcnt_depctr 0xfff
	v_ldexp_f32 v42, v42, v44
	v_cndmask_b32_e64 v42, 0, v42, s31
	v_cmp_nlt_f32_e64 s31, 0x42b17218, v40
	s_delay_alu instid0(VALU_DEP_1) | instskip(NEXT) | instid1(VALU_DEP_1)
	v_cndmask_b32_e64 v42, 0x7f800000, v42, s31
	v_add_f32_e32 v41, v41, v42
	v_fma_f32 v45, 0x3fb8aa3b, v16, -v47
	v_sub_f32_e32 v47, v47, v46
	v_cmp_ngt_f32_e64 s31, 0xc2ce8ed0, v16
	s_delay_alu instid0(VALU_DEP_3) | instskip(NEXT) | instid1(VALU_DEP_1)
	v_fmac_f32_e32 v45, 0x32a5705f, v16
	v_add_f32_e32 v44, v47, v45
	v_cvt_i32_f32_e32 v45, v46
	s_delay_alu instid0(VALU_DEP_2) | instskip(SKIP_1) | instid1(VALU_DEP_1)
	v_exp_f32_e32 v43, v44
	v_mul_f32_e32 v44, 0x3fb8aa3b, v18
	v_fma_f32 v46, 0x3fb8aa3b, v18, -v44
	v_rndne_f32_e32 v47, v44
	s_waitcnt_depctr 0xfff
	v_ldexp_f32 v42, v43, v45
	v_dual_fmac_f32 v46, 0x32a5705f, v18 :: v_dual_sub_f32 v43, v44, v47
	v_mul_f32_e32 v48, 0x3fb8aa3b, v11
	v_cvt_i32_f32_e32 v47, v47
	s_delay_alu instid0(VALU_DEP_4) | instskip(SKIP_4) | instid1(VALU_DEP_4)
	v_cndmask_b32_e64 v42, 0, v42, s31
	v_cmp_nlt_f32_e64 s31, 0x42b17218, v16
	v_add_f32_e32 v43, v43, v46
	v_fma_f32 v44, 0x3fb8aa3b, v11, -v48
	v_rndne_f32_e32 v45, v48
	v_cndmask_b32_e64 v42, 0x7f800000, v42, s31
	s_delay_alu instid0(VALU_DEP_4) | instskip(SKIP_1) | instid1(VALU_DEP_2)
	v_exp_f32_e32 v43, v43
	v_cmp_ngt_f32_e64 s31, 0xc2ce8ed0, v18
	v_dual_fmac_f32 v44, 0x32a5705f, v11 :: v_dual_add_f32 v41, v41, v42
	s_waitcnt_depctr 0xfff
	v_ldexp_f32 v42, v43, v47
	v_rndne_f32_e32 v47, v50
	v_sub_f32_e32 v46, v48, v45
	v_cvt_i32_f32_e32 v43, v45
	v_mul_f32_e32 v48, 0x3fb8aa3b, v13
	v_cndmask_b32_e64 v42, 0, v42, s31
	v_cmp_nlt_f32_e64 s31, 0x42b17218, v18
	s_delay_alu instid0(VALU_DEP_3) | instskip(NEXT) | instid1(VALU_DEP_2)
	v_rndne_f32_e32 v49, v48
	v_cndmask_b32_e64 v42, 0x7f800000, v42, s31
	v_add_f32_e32 v44, v46, v44
	v_cmp_ngt_f32_e64 s31, 0xc2ce8ed0, v11
	v_fma_f32 v46, 0x3fb8aa3b, v13, -v48
	s_delay_alu instid0(VALU_DEP_4) | instskip(NEXT) | instid1(VALU_DEP_4)
	v_dual_sub_f32 v48, v48, v49 :: v_dual_add_f32 v41, v41, v42
	v_exp_f32_e32 v44, v44
	s_waitcnt_depctr 0xfff
	v_ldexp_f32 v43, v44, v43
	s_delay_alu instid0(VALU_DEP_1) | instskip(SKIP_1) | instid1(VALU_DEP_1)
	v_cndmask_b32_e64 v43, 0, v43, s31
	v_cmp_nlt_f32_e64 s31, 0x42b17218, v11
	v_cndmask_b32_e64 v43, 0x7f800000, v43, s31
	v_cmp_ngt_f32_e64 s31, 0xc2ce8ed0, v13
	s_delay_alu instid0(VALU_DEP_2) | instskip(SKIP_1) | instid1(VALU_DEP_2)
	v_dual_add_f32 v41, v41, v43 :: v_dual_fmac_f32 v46, 0x32a5705f, v13
	v_cvt_i32_f32_e32 v43, v47
	v_add_f32_e32 v45, v48, v46
	v_fma_f32 v46, 0x3fb8aa3b, v10, -v50
	v_cvt_i32_f32_e32 v48, v49
	s_delay_alu instid0(VALU_DEP_3) | instskip(NEXT) | instid1(VALU_DEP_2)
	v_exp_f32_e32 v44, v45
	v_dual_fmac_f32 v46, 0x32a5705f, v10 :: v_dual_sub_f32 v45, v50, v47
	s_delay_alu instid0(VALU_DEP_1) | instskip(SKIP_4) | instid1(VALU_DEP_2)
	v_dual_add_f32 v45, v45, v46 :: v_dual_mul_f32 v46, 0x3fb8aa3b, v7
	s_waitcnt_depctr 0xfff
	v_ldexp_f32 v42, v44, v48
	v_exp_f32_e32 v44, v45
	v_mul_f32_e32 v45, 0x3fb8aa3b, v9
	v_cndmask_b32_e64 v42, 0, v42, s31
	v_cmp_nlt_f32_e64 s31, 0x42b17218, v13
	s_delay_alu instid0(VALU_DEP_1)
	v_cndmask_b32_e64 v42, 0x7f800000, v42, s31
	s_waitcnt_depctr 0xfff
	v_ldexp_f32 v43, v44, v43
	v_cmp_ngt_f32_e64 s31, 0xc2ce8ed0, v10
	v_rndne_f32_e32 v44, v45
	v_add_f32_e32 v41, v41, v42
	v_fma_f32 v42, 0x3fb8aa3b, v9, -v45
	s_delay_alu instid0(VALU_DEP_4) | instskip(SKIP_3) | instid1(VALU_DEP_3)
	v_cndmask_b32_e64 v43, 0, v43, s31
	v_cmp_nlt_f32_e64 s31, 0x42b17218, v10
	v_sub_f32_e32 v45, v45, v44
	v_cvt_i32_f32_e32 v44, v44
	v_cndmask_b32_e64 v43, 0x7f800000, v43, s31
	v_fmac_f32_e32 v42, 0x32a5705f, v9
	v_cmp_ngt_f32_e64 s31, 0xc2ce8ed0, v9
	s_delay_alu instid0(VALU_DEP_3) | instskip(SKIP_1) | instid1(VALU_DEP_1)
	v_add_f32_e32 v41, v41, v43
	v_fma_f32 v43, 0x3fb8aa3b, v7, -v46
	v_dual_sub_f32 v8, v8, v29 :: v_dual_fmac_f32 v43, 0x32a5705f, v7
	s_delay_alu instid0(VALU_DEP_1) | instskip(SKIP_2) | instid1(VALU_DEP_3)
	v_dual_add_f32 v42, v45, v42 :: v_dual_mul_f32 v47, 0x3fb8aa3b, v8
	v_rndne_f32_e32 v45, v46
	v_sub_f32_e32 v6, v6, v29
	v_exp_f32_e32 v42, v42
	s_delay_alu instid0(VALU_DEP_3) | instskip(NEXT) | instid1(VALU_DEP_3)
	v_rndne_f32_e32 v48, v47
	v_sub_f32_e32 v29, v46, v45
	v_fma_f32 v46, 0x3fb8aa3b, v8, -v47
	v_cvt_i32_f32_e32 v45, v45
	s_delay_alu instid0(VALU_DEP_2) | instskip(SKIP_1) | instid1(TRANS32_DEP_1)
	v_dual_fmac_f32 v46, 0x32a5705f, v8 :: v_dual_add_f32 v29, v29, v43
	v_mul_f32_e32 v49, 0x3fb8aa3b, v6
	v_ldexp_f32 v42, v42, v44
	s_delay_alu instid0(VALU_DEP_3) | instskip(NEXT) | instid1(VALU_DEP_2)
	v_exp_f32_e32 v29, v29
	v_rndne_f32_e32 v50, v49
	v_sub_f32_e32 v43, v47, v48
	v_fma_f32 v47, 0x3fb8aa3b, v6, -v49
	v_cndmask_b32_e64 v42, 0, v42, s31
	v_cmp_nlt_f32_e64 s31, 0x42b17218, v9
	v_sub_f32_e32 v44, v49, v50
	v_add_f32_e32 v43, v43, v46
	v_fmac_f32_e32 v47, 0x32a5705f, v6
	s_delay_alu instid0(TRANS32_DEP_1) | instskip(SKIP_1) | instid1(VALU_DEP_4)
	v_ldexp_f32 v29, v29, v45
	v_cndmask_b32_e64 v42, 0x7f800000, v42, s31
	v_exp_f32_e32 v43, v43
	v_cmp_ngt_f32_e64 s31, 0xc2ce8ed0, v7
	v_add_f32_e32 v44, v44, v47
	v_cvt_i32_f32_e32 v45, v48
	v_add_f32_e32 v41, v41, v42
	s_delay_alu instid0(VALU_DEP_4) | instskip(SKIP_2) | instid1(TRANS32_DEP_2)
	v_cndmask_b32_e64 v29, 0, v29, s31
	v_cmp_nlt_f32_e64 s31, 0x42b17218, v7
	v_exp_f32_e32 v44, v44
	v_ldexp_f32 v42, v43, v45
	v_cvt_i32_f32_e32 v43, v50
	s_delay_alu instid0(VALU_DEP_3) | instskip(SKIP_1) | instid1(VALU_DEP_2)
	v_cndmask_b32_e64 v29, 0x7f800000, v29, s31
	v_cmp_ngt_f32_e64 s31, 0xc2ce8ed0, v8
	v_add_f32_e32 v29, v41, v29
	s_delay_alu instid0(VALU_DEP_2) | instskip(SKIP_1) | instid1(TRANS32_DEP_1)
	v_cndmask_b32_e64 v42, 0, v42, s31
	v_cmp_nlt_f32_e64 s31, 0x42b17218, v8
	v_ldexp_f32 v43, v44, v43
	s_delay_alu instid0(VALU_DEP_2) | instskip(SKIP_1) | instid1(VALU_DEP_2)
	v_cndmask_b32_e64 v41, 0x7f800000, v42, s31
	v_cmp_ngt_f32_e64 s31, 0xc2ce8ed0, v6
	v_add_f32_e32 v29, v29, v41
	s_delay_alu instid0(VALU_DEP_2) | instskip(SKIP_1) | instid1(VALU_DEP_1)
	v_cndmask_b32_e64 v42, 0, v43, s31
	v_cmp_nlt_f32_e64 s31, 0x42b17218, v6
	v_cndmask_b32_e64 v41, 0x7f800000, v42, s31
	s_delay_alu instid0(VALU_DEP_1)
	v_add_f32_e32 v29, v29, v41
	ds_bpermute_b32 v2, v2, v29
	s_waitcnt lgkmcnt(0)
	v_add_f32_e32 v2, v29, v2
	ds_bpermute_b32 v4, v4, v2
	s_waitcnt lgkmcnt(0)
	;; [unrolled: 3-line block ×4, first 2 shown]
	v_add_f32_e32 v2, v2, v4
	ds_bpermute_b32 v4, v20, v2
	v_cmpx_lt_i32_e32 0, v5
	s_cbranch_execz .LBB187_98
; %bb.65:
	s_and_b32 exec_lo, exec_lo, s0
	s_cbranch_execz .LBB187_98
; %bb.66:
	s_waitcnt lgkmcnt(0)
	v_add_f32_e32 v2, v2, v4
	v_lshlrev_b64 v[0:1], 2, v[0:1]
	s_delay_alu instid0(VALU_DEP_2) | instskip(NEXT) | instid1(VALU_DEP_1)
	v_cmp_gt_f32_e64 s0, 0x800000, v2
	v_cndmask_b32_e64 v4, 1.0, 0x4f800000, s0
	s_delay_alu instid0(VALU_DEP_1) | instskip(NEXT) | instid1(VALU_DEP_1)
	v_mul_f32_e32 v2, v2, v4
	v_log_f32_e32 v2, v2
	s_waitcnt_depctr 0xfff
	v_mul_f32_e32 v4, 0x3f317217, v2
	v_cmp_gt_f32_e64 s31, 0x7f800000, |v2|
	s_delay_alu instid0(VALU_DEP_2) | instskip(NEXT) | instid1(VALU_DEP_1)
	v_fma_f32 v5, 0x3f317217, v2, -v4
	v_fmamk_f32 v5, v2, 0x3377d1cf, v5
	s_delay_alu instid0(VALU_DEP_1) | instskip(NEXT) | instid1(VALU_DEP_1)
	v_add_f32_e32 v4, v4, v5
	v_cndmask_b32_e64 v2, v2, v4, s31
	v_cndmask_b32_e64 v4, 0, 0x41b17218, s0
	v_add_co_u32 v0, s0, s36, v0
	s_delay_alu instid0(VALU_DEP_1) | instskip(NEXT) | instid1(VALU_DEP_3)
	v_add_co_ci_u32_e64 v1, s0, s37, v1, s0
	v_sub_f32_e32 v2, v2, v4
	s_delay_alu instid0(VALU_DEP_1)
	v_sub_f32_e32 v3, v3, v2
	global_store_b32 v[0:1], v3, off
	s_and_b32 exec_lo, exec_lo, vcc_lo
	s_cbranch_execz .LBB187_98
; %bb.67:
	v_sub_f32_e32 v3, v12, v2
	global_store_b32 v[0:1], v3, off offset:128
	s_and_b32 exec_lo, exec_lo, s1
	s_cbranch_execz .LBB187_98
; %bb.68:
	v_sub_f32_e32 v3, v15, v2
	global_store_b32 v[0:1], v3, off offset:256
	s_and_b32 exec_lo, exec_lo, s2
	s_cbranch_execz .LBB187_98
; %bb.69:
	v_sub_f32_e32 v3, v19, v2
	global_store_b32 v[0:1], v3, off offset:384
	s_and_b32 exec_lo, exec_lo, s3
	s_cbranch_execz .LBB187_98
; %bb.70:
	v_sub_f32_e32 v3, v21, v2
	global_store_b32 v[0:1], v3, off offset:512
	s_and_b32 exec_lo, exec_lo, s4
	s_cbranch_execz .LBB187_98
; %bb.71:
	v_sub_f32_e32 v3, v22, v2
	global_store_b32 v[0:1], v3, off offset:640
	s_and_b32 exec_lo, exec_lo, s5
	s_cbranch_execz .LBB187_98
; %bb.72:
	v_sub_f32_e32 v3, v23, v2
	global_store_b32 v[0:1], v3, off offset:768
	s_and_b32 exec_lo, exec_lo, s6
	s_cbranch_execz .LBB187_98
; %bb.73:
	v_sub_f32_e32 v3, v24, v2
	global_store_b32 v[0:1], v3, off offset:896
	s_and_b32 exec_lo, exec_lo, s7
	s_cbranch_execz .LBB187_98
; %bb.74:
	v_sub_f32_e32 v3, v25, v2
	global_store_b32 v[0:1], v3, off offset:1024
	s_and_b32 exec_lo, exec_lo, s8
	s_cbranch_execz .LBB187_98
; %bb.75:
	v_sub_f32_e32 v3, v26, v2
	global_store_b32 v[0:1], v3, off offset:1152
	s_and_b32 exec_lo, exec_lo, s9
	s_cbranch_execz .LBB187_98
; %bb.76:
	v_sub_f32_e32 v3, v27, v2
	global_store_b32 v[0:1], v3, off offset:1280
	s_and_b32 exec_lo, exec_lo, s10
	s_cbranch_execz .LBB187_98
; %bb.77:
	v_sub_f32_e32 v3, v28, v2
	global_store_b32 v[0:1], v3, off offset:1408
	s_and_b32 exec_lo, exec_lo, s11
	s_cbranch_execz .LBB187_98
; %bb.78:
	v_sub_f32_e32 v3, v30, v2
	global_store_b32 v[0:1], v3, off offset:1536
	s_and_b32 exec_lo, exec_lo, s12
	s_cbranch_execz .LBB187_98
; %bb.79:
	v_sub_f32_e32 v3, v31, v2
	global_store_b32 v[0:1], v3, off offset:1664
	s_and_b32 exec_lo, exec_lo, s13
	s_cbranch_execz .LBB187_98
; %bb.80:
	v_sub_f32_e32 v3, v32, v2
	global_store_b32 v[0:1], v3, off offset:1792
	s_and_b32 exec_lo, exec_lo, s14
	s_cbranch_execz .LBB187_98
; %bb.81:
	v_sub_f32_e32 v3, v33, v2
	global_store_b32 v[0:1], v3, off offset:1920
	s_and_b32 exec_lo, exec_lo, s15
	s_cbranch_execz .LBB187_98
; %bb.82:
	v_sub_f32_e32 v3, v34, v2
	global_store_b32 v[0:1], v3, off offset:2048
	s_and_b32 exec_lo, exec_lo, s16
	s_cbranch_execz .LBB187_98
; %bb.83:
	v_sub_f32_e32 v3, v35, v2
	global_store_b32 v[0:1], v3, off offset:2176
	s_and_b32 exec_lo, exec_lo, s17
	s_cbranch_execz .LBB187_98
; %bb.84:
	v_sub_f32_e32 v3, v36, v2
	global_store_b32 v[0:1], v3, off offset:2304
	s_and_b32 exec_lo, exec_lo, s18
	s_cbranch_execz .LBB187_98
; %bb.85:
	v_sub_f32_e32 v3, v37, v2
	global_store_b32 v[0:1], v3, off offset:2432
	s_and_b32 exec_lo, exec_lo, s19
	s_cbranch_execz .LBB187_98
; %bb.86:
	v_sub_f32_e32 v3, v38, v2
	global_store_b32 v[0:1], v3, off offset:2560
	s_and_b32 exec_lo, exec_lo, s20
	s_cbranch_execz .LBB187_98
; %bb.87:
	v_sub_f32_e32 v3, v39, v2
	global_store_b32 v[0:1], v3, off offset:2688
	s_and_b32 exec_lo, exec_lo, s21
	s_cbranch_execz .LBB187_98
; %bb.88:
	v_sub_f32_e32 v3, v40, v2
	global_store_b32 v[0:1], v3, off offset:2816
	s_and_b32 exec_lo, exec_lo, s22
	s_cbranch_execz .LBB187_98
; %bb.89:
	v_sub_f32_e32 v3, v16, v2
	global_store_b32 v[0:1], v3, off offset:2944
	s_and_b32 exec_lo, exec_lo, s23
	s_cbranch_execz .LBB187_98
; %bb.90:
	v_sub_f32_e32 v3, v18, v2
	global_store_b32 v[0:1], v3, off offset:3072
	s_and_b32 exec_lo, exec_lo, s24
	s_cbranch_execz .LBB187_98
; %bb.91:
	v_sub_f32_e32 v3, v11, v2
	global_store_b32 v[0:1], v3, off offset:3200
	s_and_b32 exec_lo, exec_lo, s25
	s_cbranch_execz .LBB187_98
; %bb.92:
	v_sub_f32_e32 v3, v13, v2
	global_store_b32 v[0:1], v3, off offset:3328
	s_and_b32 exec_lo, exec_lo, s26
	s_cbranch_execz .LBB187_98
; %bb.93:
	v_sub_f32_e32 v3, v10, v2
	global_store_b32 v[0:1], v3, off offset:3456
	s_and_b32 exec_lo, exec_lo, s27
	s_cbranch_execz .LBB187_98
; %bb.94:
	v_sub_f32_e32 v3, v9, v2
	global_store_b32 v[0:1], v3, off offset:3584
	s_and_b32 exec_lo, exec_lo, s28
	s_cbranch_execz .LBB187_98
; %bb.95:
	v_sub_f32_e32 v3, v7, v2
	global_store_b32 v[0:1], v3, off offset:3712
	s_and_b32 exec_lo, exec_lo, s29
	s_cbranch_execz .LBB187_98
; %bb.96:
	v_sub_f32_e32 v3, v8, v2
	global_store_b32 v[0:1], v3, off offset:3840
	s_and_b32 exec_lo, exec_lo, s30
	s_cbranch_execz .LBB187_98
; %bb.97:
	v_sub_f32_e32 v2, v6, v2
	global_store_b32 v[0:1], v2, off offset:3968
.LBB187_98:
	s_nop 0
	s_sendmsg sendmsg(MSG_DEALLOC_VGPRS)
	s_endpgm
	.section	.rodata,"a",@progbits
	.p2align	6, 0x0
	.amdhsa_kernel _ZN12_GLOBAL__N_120softmax_warp_forwardIN3c108BFloat16EffLi10ELb1ELb0ELi32EEEvPT0_PKT_iiiPKbib
		.amdhsa_group_segment_fixed_size 0
		.amdhsa_private_segment_fixed_size 0
		.amdhsa_kernarg_size 304
		.amdhsa_user_sgpr_count 15
		.amdhsa_user_sgpr_dispatch_ptr 0
		.amdhsa_user_sgpr_queue_ptr 0
		.amdhsa_user_sgpr_kernarg_segment_ptr 1
		.amdhsa_user_sgpr_dispatch_id 0
		.amdhsa_user_sgpr_private_segment_size 0
		.amdhsa_wavefront_size32 1
		.amdhsa_uses_dynamic_stack 0
		.amdhsa_enable_private_segment 0
		.amdhsa_system_sgpr_workgroup_id_x 1
		.amdhsa_system_sgpr_workgroup_id_y 0
		.amdhsa_system_sgpr_workgroup_id_z 0
		.amdhsa_system_sgpr_workgroup_info 0
		.amdhsa_system_vgpr_workitem_id 1
		.amdhsa_next_free_vgpr 94
		.amdhsa_next_free_sgpr 44
		.amdhsa_reserve_vcc 1
		.amdhsa_float_round_mode_32 0
		.amdhsa_float_round_mode_16_64 0
		.amdhsa_float_denorm_mode_32 3
		.amdhsa_float_denorm_mode_16_64 3
		.amdhsa_dx10_clamp 1
		.amdhsa_ieee_mode 1
		.amdhsa_fp16_overflow 0
		.amdhsa_workgroup_processor_mode 1
		.amdhsa_memory_ordered 1
		.amdhsa_forward_progress 0
		.amdhsa_shared_vgpr_count 0
		.amdhsa_exception_fp_ieee_invalid_op 0
		.amdhsa_exception_fp_denorm_src 0
		.amdhsa_exception_fp_ieee_div_zero 0
		.amdhsa_exception_fp_ieee_overflow 0
		.amdhsa_exception_fp_ieee_underflow 0
		.amdhsa_exception_fp_ieee_inexact 0
		.amdhsa_exception_int_div_zero 0
	.end_amdhsa_kernel
	.section	.text._ZN12_GLOBAL__N_120softmax_warp_forwardIN3c108BFloat16EffLi10ELb1ELb0ELi32EEEvPT0_PKT_iiiPKbib,"axG",@progbits,_ZN12_GLOBAL__N_120softmax_warp_forwardIN3c108BFloat16EffLi10ELb1ELb0ELi32EEEvPT0_PKT_iiiPKbib,comdat
.Lfunc_end187:
	.size	_ZN12_GLOBAL__N_120softmax_warp_forwardIN3c108BFloat16EffLi10ELb1ELb0ELi32EEEvPT0_PKT_iiiPKbib, .Lfunc_end187-_ZN12_GLOBAL__N_120softmax_warp_forwardIN3c108BFloat16EffLi10ELb1ELb0ELi32EEEvPT0_PKT_iiiPKbib
                                        ; -- End function
	.section	.AMDGPU.csdata,"",@progbits
; Kernel info:
; codeLenInByte = 7612
; NumSgprs: 46
; NumVgprs: 94
; ScratchSize: 0
; MemoryBound: 0
; FloatMode: 240
; IeeeMode: 1
; LDSByteSize: 0 bytes/workgroup (compile time only)
; SGPRBlocks: 5
; VGPRBlocks: 11
; NumSGPRsForWavesPerEU: 46
; NumVGPRsForWavesPerEU: 94
; Occupancy: 16
; WaveLimiterHint : 0
; COMPUTE_PGM_RSRC2:SCRATCH_EN: 0
; COMPUTE_PGM_RSRC2:USER_SGPR: 15
; COMPUTE_PGM_RSRC2:TRAP_HANDLER: 0
; COMPUTE_PGM_RSRC2:TGID_X_EN: 1
; COMPUTE_PGM_RSRC2:TGID_Y_EN: 0
; COMPUTE_PGM_RSRC2:TGID_Z_EN: 0
; COMPUTE_PGM_RSRC2:TIDIG_COMP_CNT: 1
	.section	.text._ZN12_GLOBAL__N_120softmax_warp_forwardIN3c108BFloat16EffLi11ELb1ELb0ELi64EEEvPT0_PKT_iiiPKbib,"axG",@progbits,_ZN12_GLOBAL__N_120softmax_warp_forwardIN3c108BFloat16EffLi11ELb1ELb0ELi64EEEvPT0_PKT_iiiPKbib,comdat
	.globl	_ZN12_GLOBAL__N_120softmax_warp_forwardIN3c108BFloat16EffLi11ELb1ELb0ELi64EEEvPT0_PKT_iiiPKbib ; -- Begin function _ZN12_GLOBAL__N_120softmax_warp_forwardIN3c108BFloat16EffLi11ELb1ELb0ELi64EEEvPT0_PKT_iiiPKbib
	.p2align	8
	.type	_ZN12_GLOBAL__N_120softmax_warp_forwardIN3c108BFloat16EffLi11ELb1ELb0ELi64EEEvPT0_PKT_iiiPKbib,@function
_ZN12_GLOBAL__N_120softmax_warp_forwardIN3c108BFloat16EffLi11ELb1ELb0ELi64EEEvPT0_PKT_iiiPKbib: ; @_ZN12_GLOBAL__N_120softmax_warp_forwardIN3c108BFloat16EffLi11ELb1ELb0ELi64EEEvPT0_PKT_iiiPKbib
; %bb.0:
	s_clause 0x1
	s_load_b32 s2, s[0:1], 0x3c
	s_load_b256 s[36:43], s[0:1], 0x0
	v_bfe_u32 v1, v0, 10, 10
	v_mov_b32_e32 v14, 0xff800000
	v_mov_b32_e32 v16, 0xff800000
	s_waitcnt lgkmcnt(0)
	s_lshr_b32 s0, s2, 16
	s_delay_alu instid0(SALU_CYCLE_1) | instskip(SKIP_1) | instid1(VALU_DEP_1)
	v_mad_u64_u32 v[3:4], null, s15, s0, v[1:2]
	v_and_b32_e32 v2, 0x3ff, v0
	v_cmp_gt_i32_e64 s0, s42, v2
	s_delay_alu instid0(VALU_DEP_3) | instskip(SKIP_1) | instid1(VALU_DEP_1)
	v_mad_u64_u32 v[0:1], null, v3, s41, v[2:3]
	v_sub_nc_u32_e32 v5, s40, v3
	v_cmp_lt_i32_e64 s31, 0, v5
	s_delay_alu instid0(VALU_DEP_3) | instskip(NEXT) | instid1(VALU_DEP_2)
	v_ashrrev_i32_e32 v1, 31, v0
	s_and_b32 s2, s31, s0
	s_delay_alu instid0(VALU_DEP_1) | instskip(NEXT) | instid1(VALU_DEP_1)
	v_lshlrev_b64 v[3:4], 1, v[0:1]
	v_add_co_u32 v3, vcc_lo, s38, v3
	s_delay_alu instid0(VALU_DEP_2)
	v_add_co_ci_u32_e32 v4, vcc_lo, s39, v4, vcc_lo
	s_and_saveexec_b32 s1, s2
	s_cbranch_execz .LBB188_2
; %bb.1:
	global_load_u16 v6, v[3:4], off
	s_waitcnt vmcnt(0)
	v_lshlrev_b32_e32 v16, 16, v6
.LBB188_2:
	s_or_b32 exec_lo, exec_lo, s1
	v_add_nc_u32_e32 v6, 64, v2
	s_delay_alu instid0(VALU_DEP_1) | instskip(SKIP_1) | instid1(SALU_CYCLE_1)
	v_cmp_gt_i32_e32 vcc_lo, s42, v6
	s_and_b32 s2, s31, vcc_lo
	s_and_saveexec_b32 s1, s2
	s_cbranch_execz .LBB188_4
; %bb.3:
	global_load_u16 v6, v[3:4], off offset:128
	s_waitcnt vmcnt(0)
	v_lshlrev_b32_e32 v14, 16, v6
.LBB188_4:
	s_or_b32 exec_lo, exec_lo, s1
	v_add_nc_u32_e32 v6, 0x80, v2
	v_mov_b32_e32 v18, 0xff800000
	v_mov_b32_e32 v20, 0xff800000
	s_delay_alu instid0(VALU_DEP_3) | instskip(NEXT) | instid1(VALU_DEP_1)
	v_cmp_gt_i32_e64 s1, s42, v6
	s_and_b32 s3, s31, s1
	s_delay_alu instid0(SALU_CYCLE_1)
	s_and_saveexec_b32 s2, s3
	s_cbranch_execz .LBB188_6
; %bb.5:
	global_load_u16 v6, v[3:4], off offset:256
	s_waitcnt vmcnt(0)
	v_lshlrev_b32_e32 v20, 16, v6
.LBB188_6:
	s_or_b32 exec_lo, exec_lo, s2
	v_add_nc_u32_e32 v6, 0xc0, v2
	s_delay_alu instid0(VALU_DEP_1) | instskip(NEXT) | instid1(VALU_DEP_1)
	v_cmp_gt_i32_e64 s2, s42, v6
	s_and_b32 s4, s31, s2
	s_delay_alu instid0(SALU_CYCLE_1)
	s_and_saveexec_b32 s3, s4
	s_cbranch_execz .LBB188_8
; %bb.7:
	global_load_u16 v6, v[3:4], off offset:384
	s_waitcnt vmcnt(0)
	v_lshlrev_b32_e32 v18, 16, v6
.LBB188_8:
	s_or_b32 exec_lo, exec_lo, s3
	v_add_nc_u32_e32 v6, 0x100, v2
	v_dual_mov_b32 v21, 0xff800000 :: v_dual_mov_b32 v22, 0xff800000
	s_delay_alu instid0(VALU_DEP_2) | instskip(NEXT) | instid1(VALU_DEP_1)
	v_cmp_gt_i32_e64 s3, s42, v6
	s_and_b32 s5, s31, s3
	s_delay_alu instid0(SALU_CYCLE_1)
	s_and_saveexec_b32 s4, s5
	s_cbranch_execz .LBB188_10
; %bb.9:
	global_load_u16 v6, v[3:4], off offset:512
	s_waitcnt vmcnt(0)
	v_lshlrev_b32_e32 v22, 16, v6
.LBB188_10:
	s_or_b32 exec_lo, exec_lo, s4
	v_add_nc_u32_e32 v6, 0x140, v2
	s_delay_alu instid0(VALU_DEP_1) | instskip(NEXT) | instid1(VALU_DEP_1)
	v_cmp_gt_i32_e64 s4, s42, v6
	s_and_b32 s6, s31, s4
	s_delay_alu instid0(SALU_CYCLE_1)
	s_and_saveexec_b32 s5, s6
	s_cbranch_execz .LBB188_12
; %bb.11:
	global_load_u16 v6, v[3:4], off offset:640
	s_waitcnt vmcnt(0)
	v_lshlrev_b32_e32 v21, 16, v6
.LBB188_12:
	s_or_b32 exec_lo, exec_lo, s5
	v_add_nc_u32_e32 v6, 0x180, v2
	v_dual_mov_b32 v23, 0xff800000 :: v_dual_mov_b32 v24, 0xff800000
	s_delay_alu instid0(VALU_DEP_2) | instskip(NEXT) | instid1(VALU_DEP_1)
	;; [unrolled: 27-line block ×3, first 2 shown]
	v_cmp_gt_i32_e64 s7, s42, v6
	s_and_b32 s9, s31, s7
	s_delay_alu instid0(SALU_CYCLE_1)
	s_and_saveexec_b32 s8, s9
	s_cbranch_execz .LBB188_18
; %bb.17:
	global_load_u16 v6, v[3:4], off offset:1024
	s_waitcnt vmcnt(0)
	v_lshlrev_b32_e32 v26, 16, v6
.LBB188_18:
	s_or_b32 exec_lo, exec_lo, s8
	v_add_nc_u32_e32 v6, 0x240, v2
	s_delay_alu instid0(VALU_DEP_1) | instskip(NEXT) | instid1(VALU_DEP_1)
	v_cmp_gt_i32_e64 s8, s42, v6
	s_and_b32 s10, s31, s8
	s_delay_alu instid0(SALU_CYCLE_1)
	s_and_saveexec_b32 s9, s10
	s_cbranch_execz .LBB188_20
; %bb.19:
	global_load_u16 v6, v[3:4], off offset:1152
	s_waitcnt vmcnt(0)
	v_lshlrev_b32_e32 v25, 16, v6
.LBB188_20:
	s_or_b32 exec_lo, exec_lo, s9
	v_add_nc_u32_e32 v6, 0x280, v2
	v_mov_b32_e32 v27, 0xff800000
	v_mov_b32_e32 v29, 0xff800000
	s_delay_alu instid0(VALU_DEP_3) | instskip(NEXT) | instid1(VALU_DEP_1)
	v_cmp_gt_i32_e64 s9, s42, v6
	s_and_b32 s11, s31, s9
	s_delay_alu instid0(SALU_CYCLE_1)
	s_and_saveexec_b32 s10, s11
	s_cbranch_execz .LBB188_22
; %bb.21:
	global_load_u16 v6, v[3:4], off offset:1280
	s_waitcnt vmcnt(0)
	v_lshlrev_b32_e32 v29, 16, v6
.LBB188_22:
	s_or_b32 exec_lo, exec_lo, s10
	v_add_nc_u32_e32 v6, 0x2c0, v2
	s_delay_alu instid0(VALU_DEP_1) | instskip(NEXT) | instid1(VALU_DEP_1)
	v_cmp_gt_i32_e64 s10, s42, v6
	s_and_b32 s12, s31, s10
	s_delay_alu instid0(SALU_CYCLE_1)
	s_and_saveexec_b32 s11, s12
	s_cbranch_execz .LBB188_24
; %bb.23:
	global_load_u16 v6, v[3:4], off offset:1408
	s_waitcnt vmcnt(0)
	v_lshlrev_b32_e32 v27, 16, v6
.LBB188_24:
	s_or_b32 exec_lo, exec_lo, s11
	v_add_nc_u32_e32 v6, 0x300, v2
	v_dual_mov_b32 v30, 0xff800000 :: v_dual_mov_b32 v31, 0xff800000
	s_delay_alu instid0(VALU_DEP_2) | instskip(NEXT) | instid1(VALU_DEP_1)
	v_cmp_gt_i32_e64 s11, s42, v6
	s_and_b32 s13, s31, s11
	s_delay_alu instid0(SALU_CYCLE_1)
	s_and_saveexec_b32 s12, s13
	s_cbranch_execz .LBB188_26
; %bb.25:
	global_load_u16 v6, v[3:4], off offset:1536
	s_waitcnt vmcnt(0)
	v_lshlrev_b32_e32 v31, 16, v6
.LBB188_26:
	s_or_b32 exec_lo, exec_lo, s12
	v_add_nc_u32_e32 v6, 0x340, v2
	s_delay_alu instid0(VALU_DEP_1) | instskip(NEXT) | instid1(VALU_DEP_1)
	v_cmp_gt_i32_e64 s12, s42, v6
	s_and_b32 s14, s31, s12
	s_delay_alu instid0(SALU_CYCLE_1)
	s_and_saveexec_b32 s13, s14
	s_cbranch_execz .LBB188_28
; %bb.27:
	global_load_u16 v6, v[3:4], off offset:1664
	s_waitcnt vmcnt(0)
	v_lshlrev_b32_e32 v30, 16, v6
.LBB188_28:
	s_or_b32 exec_lo, exec_lo, s13
	v_add_nc_u32_e32 v6, 0x380, v2
	v_dual_mov_b32 v32, 0xff800000 :: v_dual_mov_b32 v33, 0xff800000
	s_delay_alu instid0(VALU_DEP_2) | instskip(NEXT) | instid1(VALU_DEP_1)
	v_cmp_gt_i32_e64 s13, s42, v6
	s_and_b32 s15, s31, s13
	s_delay_alu instid0(SALU_CYCLE_1)
	s_and_saveexec_b32 s14, s15
	s_cbranch_execz .LBB188_30
; %bb.29:
	global_load_u16 v6, v[3:4], off offset:1792
	s_waitcnt vmcnt(0)
	v_lshlrev_b32_e32 v33, 16, v6
.LBB188_30:
	s_or_b32 exec_lo, exec_lo, s14
	v_add_nc_u32_e32 v6, 0x3c0, v2
	s_delay_alu instid0(VALU_DEP_1) | instskip(NEXT) | instid1(VALU_DEP_1)
	v_cmp_gt_i32_e64 s14, s42, v6
	s_and_b32 s16, s31, s14
	s_delay_alu instid0(SALU_CYCLE_1)
	s_and_saveexec_b32 s15, s16
	s_cbranch_execz .LBB188_32
; %bb.31:
	global_load_u16 v6, v[3:4], off offset:1920
	s_waitcnt vmcnt(0)
	v_lshlrev_b32_e32 v32, 16, v6
.LBB188_32:
	s_or_b32 exec_lo, exec_lo, s15
	v_or_b32_e32 v6, 0x400, v2
	v_dual_mov_b32 v34, 0xff800000 :: v_dual_mov_b32 v35, 0xff800000
	s_delay_alu instid0(VALU_DEP_2) | instskip(NEXT) | instid1(VALU_DEP_1)
	v_cmp_gt_i32_e64 s15, s42, v6
	s_and_b32 s17, s31, s15
	s_delay_alu instid0(SALU_CYCLE_1)
	s_and_saveexec_b32 s16, s17
	s_cbranch_execz .LBB188_34
; %bb.33:
	global_load_u16 v6, v[3:4], off offset:2048
	s_waitcnt vmcnt(0)
	v_lshlrev_b32_e32 v35, 16, v6
.LBB188_34:
	s_or_b32 exec_lo, exec_lo, s16
	v_add_nc_u32_e32 v6, 0x440, v2
	s_delay_alu instid0(VALU_DEP_1) | instskip(NEXT) | instid1(VALU_DEP_1)
	v_cmp_gt_i32_e64 s16, s42, v6
	s_and_b32 s18, s31, s16
	s_delay_alu instid0(SALU_CYCLE_1)
	s_and_saveexec_b32 s17, s18
	s_cbranch_execz .LBB188_36
; %bb.35:
	global_load_u16 v6, v[3:4], off offset:2176
	s_waitcnt vmcnt(0)
	v_lshlrev_b32_e32 v34, 16, v6
.LBB188_36:
	s_or_b32 exec_lo, exec_lo, s17
	v_add_nc_u32_e32 v6, 0x480, v2
	v_dual_mov_b32 v36, 0xff800000 :: v_dual_mov_b32 v37, 0xff800000
	s_delay_alu instid0(VALU_DEP_2) | instskip(NEXT) | instid1(VALU_DEP_1)
	v_cmp_gt_i32_e64 s17, s42, v6
	s_and_b32 s19, s31, s17
	s_delay_alu instid0(SALU_CYCLE_1)
	s_and_saveexec_b32 s18, s19
	s_cbranch_execz .LBB188_38
; %bb.37:
	global_load_u16 v6, v[3:4], off offset:2304
	s_waitcnt vmcnt(0)
	v_lshlrev_b32_e32 v37, 16, v6
.LBB188_38:
	s_or_b32 exec_lo, exec_lo, s18
	v_add_nc_u32_e32 v6, 0x4c0, v2
	s_delay_alu instid0(VALU_DEP_1) | instskip(NEXT) | instid1(VALU_DEP_1)
	v_cmp_gt_i32_e64 s18, s42, v6
	s_and_b32 s20, s31, s18
	s_delay_alu instid0(SALU_CYCLE_1)
	s_and_saveexec_b32 s19, s20
	s_cbranch_execz .LBB188_40
; %bb.39:
	global_load_u16 v6, v[3:4], off offset:2432
	s_waitcnt vmcnt(0)
	v_lshlrev_b32_e32 v36, 16, v6
.LBB188_40:
	s_or_b32 exec_lo, exec_lo, s19
	v_add_nc_u32_e32 v6, 0x500, v2
	;; [unrolled: 27-line block ×5, first 2 shown]
	v_mov_b32_e32 v10, 0xff800000
	v_mov_b32_e32 v12, 0xff800000
	s_delay_alu instid0(VALU_DEP_3) | instskip(NEXT) | instid1(VALU_DEP_1)
	v_cmp_gt_i32_e64 s25, s42, v6
	s_and_b32 s27, s31, s25
	s_delay_alu instid0(SALU_CYCLE_1)
	s_and_saveexec_b32 s26, s27
	s_cbranch_execz .LBB188_54
; %bb.53:
	global_load_u16 v6, v[3:4], off offset:3328
	s_waitcnt vmcnt(0)
	v_lshlrev_b32_e32 v12, 16, v6
.LBB188_54:
	s_or_b32 exec_lo, exec_lo, s26
	v_add_nc_u32_e32 v6, 0x6c0, v2
	s_delay_alu instid0(VALU_DEP_1) | instskip(NEXT) | instid1(VALU_DEP_1)
	v_cmp_gt_i32_e64 s26, s42, v6
	s_and_b32 s28, s31, s26
	s_delay_alu instid0(SALU_CYCLE_1)
	s_and_saveexec_b32 s27, s28
	s_cbranch_execz .LBB188_56
; %bb.55:
	global_load_u16 v6, v[3:4], off offset:3456
	s_waitcnt vmcnt(0)
	v_lshlrev_b32_e32 v10, 16, v6
.LBB188_56:
	s_or_b32 exec_lo, exec_lo, s27
	v_add_nc_u32_e32 v6, 0x700, v2
	v_mov_b32_e32 v7, 0xff800000
	v_mov_b32_e32 v9, 0xff800000
	s_delay_alu instid0(VALU_DEP_3) | instskip(NEXT) | instid1(VALU_DEP_1)
	v_cmp_gt_i32_e64 s27, s42, v6
	s_and_b32 s29, s31, s27
	s_delay_alu instid0(SALU_CYCLE_1)
	s_and_saveexec_b32 s28, s29
	s_cbranch_execz .LBB188_58
; %bb.57:
	global_load_u16 v6, v[3:4], off offset:3584
	s_waitcnt vmcnt(0)
	v_lshlrev_b32_e32 v9, 16, v6
.LBB188_58:
	s_or_b32 exec_lo, exec_lo, s28
	v_add_nc_u32_e32 v6, 0x740, v2
	s_delay_alu instid0(VALU_DEP_1) | instskip(NEXT) | instid1(VALU_DEP_1)
	v_cmp_gt_i32_e64 s28, s42, v6
	s_and_b32 s30, s31, s28
	s_delay_alu instid0(SALU_CYCLE_1)
	s_and_saveexec_b32 s29, s30
	s_cbranch_execz .LBB188_60
; %bb.59:
	global_load_u16 v6, v[3:4], off offset:3712
	s_waitcnt vmcnt(0)
	v_lshlrev_b32_e32 v7, 16, v6
.LBB188_60:
	s_or_b32 exec_lo, exec_lo, s29
	v_add_nc_u32_e32 v6, 0x780, v2
	v_mov_b32_e32 v8, 0xff800000
	s_delay_alu instid0(VALU_DEP_2) | instskip(SKIP_1) | instid1(VALU_DEP_2)
	v_cmp_gt_i32_e64 s29, s42, v6
	v_mov_b32_e32 v6, 0xff800000
	s_and_b32 s33, s31, s29
	s_delay_alu instid0(SALU_CYCLE_1)
	s_and_saveexec_b32 s30, s33
	s_cbranch_execz .LBB188_62
; %bb.61:
	global_load_u16 v8, v[3:4], off offset:3840
	s_waitcnt vmcnt(0)
	v_lshlrev_b32_e32 v8, 16, v8
.LBB188_62:
	s_or_b32 exec_lo, exec_lo, s30
	v_add_nc_u32_e32 v2, 0x7c0, v2
	s_delay_alu instid0(VALU_DEP_1) | instskip(NEXT) | instid1(VALU_DEP_1)
	v_cmp_gt_i32_e64 s30, s42, v2
	s_and_b32 s33, s31, s30
	s_delay_alu instid0(SALU_CYCLE_1)
	s_and_saveexec_b32 s31, s33
	s_cbranch_execz .LBB188_64
; %bb.63:
	global_load_u16 v2, v[3:4], off offset:3968
	s_waitcnt vmcnt(0)
	v_lshlrev_b32_e32 v6, 16, v2
.LBB188_64:
	s_or_b32 exec_lo, exec_lo, s31
	v_cmp_gt_f32_e64 s31, v16, v14
	v_mbcnt_lo_u32_b32 v4, -1, 0
	s_mov_b32 s33, exec_lo
	s_delay_alu instid0(VALU_DEP_2) | instskip(NEXT) | instid1(VALU_DEP_2)
	v_cndmask_b32_e64 v2, v14, v16, s31
	v_or_b32_e32 v3, 32, v4
	s_delay_alu instid0(VALU_DEP_2) | instskip(NEXT) | instid1(VALU_DEP_1)
	v_cmp_gt_f32_e64 s31, v2, v20
	v_cndmask_b32_e64 v2, v20, v2, s31
	s_delay_alu instid0(VALU_DEP_1) | instskip(NEXT) | instid1(VALU_DEP_1)
	v_cmp_gt_f32_e64 s31, v2, v18
	v_cndmask_b32_e64 v2, v18, v2, s31
	s_delay_alu instid0(VALU_DEP_1) | instskip(NEXT) | instid1(VALU_DEP_1)
	;; [unrolled: 3-line block ×27, first 2 shown]
	v_cmp_gt_f32_e64 s31, v2, v7
	v_cndmask_b32_e64 v2, v7, v2, s31
	v_cmp_gt_i32_e64 s31, 64, v3
	s_delay_alu instid0(VALU_DEP_1) | instskip(NEXT) | instid1(VALU_DEP_3)
	v_cndmask_b32_e64 v3, v4, v3, s31
	v_cmp_gt_f32_e64 s31, v2, v8
	s_delay_alu instid0(VALU_DEP_1) | instskip(NEXT) | instid1(VALU_DEP_3)
	v_cndmask_b32_e64 v13, v8, v2, s31
	v_lshlrev_b32_e32 v2, 2, v3
	v_xor_b32_e32 v3, 16, v4
	s_delay_alu instid0(VALU_DEP_3) | instskip(NEXT) | instid1(VALU_DEP_1)
	v_cmp_gt_f32_e64 s31, v13, v6
	v_cndmask_b32_e64 v13, v6, v13, s31
	s_delay_alu instid0(VALU_DEP_3) | instskip(SKIP_2) | instid1(VALU_DEP_1)
	v_cmp_gt_i32_e64 s31, 64, v3
	ds_bpermute_b32 v15, v2, v13
	v_cndmask_b32_e64 v3, v4, v3, s31
	v_lshlrev_b32_e32 v3, 2, v3
	s_waitcnt lgkmcnt(0)
	v_cmp_lt_f32_e64 s31, v13, v15
	s_delay_alu instid0(VALU_DEP_1) | instskip(SKIP_3) | instid1(VALU_DEP_1)
	v_cndmask_b32_e64 v15, v13, v15, s31
	v_xor_b32_e32 v13, 8, v4
	ds_bpermute_b32 v17, v3, v15
	v_cmp_gt_i32_e64 s31, 64, v13
	v_cndmask_b32_e64 v13, v4, v13, s31
	s_delay_alu instid0(VALU_DEP_1) | instskip(SKIP_2) | instid1(VALU_DEP_1)
	v_lshlrev_b32_e32 v13, 2, v13
	s_waitcnt lgkmcnt(0)
	v_cmp_lt_f32_e64 s31, v15, v17
	v_cndmask_b32_e64 v17, v15, v17, s31
	v_xor_b32_e32 v15, 4, v4
	ds_bpermute_b32 v19, v13, v17
	v_cmp_gt_i32_e64 s31, 64, v15
	s_delay_alu instid0(VALU_DEP_1) | instskip(NEXT) | instid1(VALU_DEP_1)
	v_cndmask_b32_e64 v15, v4, v15, s31
	v_lshlrev_b32_e32 v15, 2, v15
	s_waitcnt lgkmcnt(0)
	v_cmp_lt_f32_e64 s31, v17, v19
	s_delay_alu instid0(VALU_DEP_1) | instskip(SKIP_3) | instid1(VALU_DEP_1)
	v_cndmask_b32_e64 v19, v17, v19, s31
	v_xor_b32_e32 v17, 2, v4
	ds_bpermute_b32 v28, v15, v19
	v_cmp_gt_i32_e64 s31, 64, v17
	v_cndmask_b32_e64 v17, v4, v17, s31
	s_delay_alu instid0(VALU_DEP_1) | instskip(SKIP_2) | instid1(VALU_DEP_1)
	v_lshlrev_b32_e32 v17, 2, v17
	s_waitcnt lgkmcnt(0)
	v_cmp_lt_f32_e64 s31, v19, v28
	v_cndmask_b32_e64 v28, v19, v28, s31
	v_xor_b32_e32 v19, 1, v4
	ds_bpermute_b32 v43, v17, v28
	v_cmp_gt_i32_e64 s31, 64, v19
	s_delay_alu instid0(VALU_DEP_1) | instskip(NEXT) | instid1(VALU_DEP_1)
	v_cndmask_b32_e64 v4, v4, v19, s31
	v_lshlrev_b32_e32 v19, 2, v4
	s_waitcnt lgkmcnt(0)
	v_cmp_lt_f32_e64 s31, v28, v43
	s_delay_alu instid0(VALU_DEP_1) | instskip(SKIP_3) | instid1(VALU_DEP_1)
	v_cndmask_b32_e64 v4, v28, v43, s31
	ds_bpermute_b32 v28, v19, v4
	s_waitcnt lgkmcnt(0)
	v_cmp_lt_f32_e64 s31, v4, v28
	v_cndmask_b32_e64 v28, v4, v28, s31
	s_delay_alu instid0(VALU_DEP_1)
	v_sub_f32_e32 v14, v14, v28
	v_sub_f32_e32 v21, v21, v28
	;; [unrolled: 1-line block ×5, first 2 shown]
	v_dual_sub_f32 v20, v22, v28 :: v_dual_mul_f32 v43, 0x3fb8aa3b, v14
	v_sub_f32_e32 v22, v24, v28
	v_dual_sub_f32 v24, v26, v28 :: v_dual_mul_f32 v47, 0x3fb8aa3b, v21
	v_sub_f32_e32 v26, v29, v28
	v_sub_f32_e32 v29, v31, v28
	;; [unrolled: 1-line block ×6, first 2 shown]
	v_mul_f32_e32 v45, 0x3fb8aa3b, v18
	v_fma_f32 v68, 0x3fb8aa3b, v14, -v43
	v_sub_f32_e32 v39, v41, v28
	v_rndne_f32_e32 v77, v47
	v_mul_f32_e32 v44, 0x3fb8aa3b, v16
	v_rndne_f32_e32 v73, v45
	v_fma_f32 v76, 0x3fb8aa3b, v21, -v47
	s_delay_alu instid0(VALU_DEP_4)
	v_dual_fmac_f32 v68, 0x32a5705f, v14 :: v_dual_sub_f32 v47, v47, v77
	v_mul_f32_e32 v64, 0x3fb8aa3b, v39
	v_dual_mul_f32 v60, 0x3fb8aa3b, v35 :: v_dual_sub_f32 v27, v27, v28
	v_mul_f32_e32 v56, 0x3fb8aa3b, v31
	v_rndne_f32_e32 v71, v44
	v_sub_f32_e32 v41, v42, v28
	v_mul_f32_e32 v42, 0x3fb8aa3b, v4
	v_dual_sub_f32 v32, v32, v28 :: v_dual_mul_f32 v53, 0x3fb8aa3b, v27
	v_fma_f32 v72, 0x3fb8aa3b, v18, -v45
	v_sub_f32_e32 v45, v45, v73
	s_delay_alu instid0(VALU_DEP_4)
	v_fma_f32 v66, 0x3fb8aa3b, v4, -v42
	v_rndne_f32_e32 v67, v42
	v_rndne_f32_e32 v69, v43
	;; [unrolled: 1-line block ×3, first 2 shown]
	v_dual_sub_f32 v23, v23, v28 :: v_dual_mul_f32 v52, 0x3fb8aa3b, v26
	v_fmac_f32_e32 v66, 0x32a5705f, v4
	v_sub_f32_e32 v42, v42, v67
	v_mul_f32_e32 v62, 0x3fb8aa3b, v37
	v_dual_mul_f32 v58, 0x3fb8aa3b, v33 :: v_dual_sub_f32 v25, v25, v28
	v_mul_f32_e32 v54, 0x3fb8aa3b, v29
	v_sub_f32_e32 v30, v30, v28
	v_dual_sub_f32 v38, v38, v28 :: v_dual_sub_f32 v43, v43, v69
	s_delay_alu instid0(VALU_DEP_4) | instskip(NEXT) | instid1(VALU_DEP_3)
	v_dual_mul_f32 v51, 0x3fb8aa3b, v25 :: v_dual_sub_f32 v34, v34, v28
	v_mul_f32_e32 v55, 0x3fb8aa3b, v30
	v_fma_f32 v70, 0x3fb8aa3b, v16, -v44
	v_fma_f32 v88, 0x3fb8aa3b, v27, -v53
	v_sub_f32_e32 v53, v53, v89
	v_dual_mul_f32 v57, 0x3fb8aa3b, v32 :: v_dual_add_f32 v42, v42, v66
	v_dual_sub_f32 v40, v40, v28 :: v_dual_mul_f32 v63, 0x3fb8aa3b, v38
	v_mul_f32_e32 v49, 0x3fb8aa3b, v23
	v_rndne_f32_e32 v93, v55
	v_dual_add_f32 v43, v43, v68 :: v_dual_fmac_f32 v72, 0x32a5705f, v18
	v_fmac_f32_e32 v70, 0x32a5705f, v16
	v_sub_f32_e32 v44, v44, v71
	v_exp_f32_e32 v42, v42
	v_rndne_f32_e32 v81, v49
	v_mul_f32_e32 v46, 0x3fb8aa3b, v20
	v_fma_f32 v92, 0x3fb8aa3b, v30, -v55
	v_sub_f32_e32 v55, v55, v93
	v_dual_mul_f32 v65, 0x3fb8aa3b, v40 :: v_dual_add_f32 v44, v44, v70
	v_cvt_i32_f32_e32 v67, v67
	v_exp_f32_e32 v43, v43
	v_dual_sub_f32 v36, v36, v28 :: v_dual_mul_f32 v59, 0x3fb8aa3b, v34
	v_fma_f32 v80, 0x3fb8aa3b, v23, -v49
	v_rndne_f32_e32 v85, v51
	v_dual_mul_f32 v50, 0x3fb8aa3b, v24 :: v_dual_sub_f32 v49, v49, v81
	v_rndne_f32_e32 v75, v46
	v_cvt_i32_f32_e32 v69, v69
	v_exp_f32_e32 v44, v44
	v_ldexp_f32 v42, v42, v67
	v_cmp_ngt_f32_e64 s31, 0xc2ce8ed0, v4
	v_mul_f32_e32 v61, 0x3fb8aa3b, v36
	v_fma_f32 v74, 0x3fb8aa3b, v20, -v46
	v_sub_f32_e32 v46, v46, v75
	v_fma_f32 v84, 0x3fb8aa3b, v25, -v51
	v_fma_f32 v70, 0x3fb8aa3b, v32, -v57
	v_add_f32_e32 v45, v45, v72
	v_rndne_f32_e32 v72, v57
	v_sub_f32_e32 v51, v51, v85
	v_rndne_f32_e32 v83, v50
	v_cvt_i32_f32_e32 v71, v71
	v_ldexp_f32 v43, v43, v69
	v_cndmask_b32_e64 v42, 0, v42, s31
	v_cmp_ngt_f32_e64 s31, 0xc2ce8ed0, v14
	v_fma_f32 v82, 0x3fb8aa3b, v24, -v50
	v_dual_sub_f32 v50, v50, v83 :: v_dual_sub_f32 v57, v57, v72
	v_fmac_f32_e32 v70, 0x32a5705f, v32
	v_fmac_f32_e32 v74, 0x32a5705f, v20
	v_ldexp_f32 v44, v44, v71
	v_cndmask_b32_e64 v43, 0, v43, s31
	v_cmp_ngt_f32_e64 s31, 0xc2ce8ed0, v16
	v_add_f32_e32 v57, v57, v70
	v_fma_f32 v66, 0x3fb8aa3b, v31, -v56
	v_rndne_f32_e32 v68, v56
	v_add_f32_e32 v46, v46, v74
	v_exp_f32_e32 v45, v45
	v_cndmask_b32_e64 v44, 0, v44, s31
	v_cmp_nlt_f32_e64 s31, 0x42b17218, v4
	v_mul_f32_e32 v48, 0x3fb8aa3b, v22
	v_fmac_f32_e32 v66, 0x32a5705f, v31
	v_sub_f32_e32 v56, v56, v68
	v_rndne_f32_e32 v70, v63
	v_fmac_f32_e32 v88, 0x32a5705f, v27
	v_cvt_i32_f32_e32 v73, v73
	v_cndmask_b32_e64 v42, 0x7f800000, v42, s31
	v_cmp_nlt_f32_e64 s31, 0x42b17218, v14
	v_fma_f32 v78, 0x3fb8aa3b, v22, -v48
	v_exp_f32_e32 v46, v46
	v_ldexp_f32 v45, v45, v73
	v_sub_f32_e32 v12, v12, v28
	v_add_f32_e32 v56, v56, v66
	v_fma_f32 v66, 0x3fb8aa3b, v38, -v63
	v_dual_sub_f32 v63, v63, v70 :: v_dual_fmac_f32 v80, 0x32a5705f, v23
	v_dual_add_f32 v53, v53, v88 :: v_dual_fmac_f32 v76, 0x32a5705f, v21
	v_cndmask_b32_e64 v43, 0x7f800000, v43, s31
	v_cmp_ngt_f32_e64 s31, 0xc2ce8ed0, v18
	s_delay_alu instid0(VALU_DEP_4)
	v_add_f32_e32 v49, v49, v80
	v_rndne_f32_e32 v79, v48
	v_dual_fmac_f32 v78, 0x32a5705f, v22 :: v_dual_add_f32 v47, v47, v76
	v_cvt_i32_f32_e32 v75, v75
	v_cndmask_b32_e64 v45, 0, v45, s31
	v_cmp_nlt_f32_e64 s31, 0x42b17218, v16
	v_rndne_f32_e32 v80, v59
	v_fmac_f32_e32 v84, 0x32a5705f, v25
	v_sub_f32_e32 v48, v48, v79
	v_exp_f32_e32 v47, v47
	v_ldexp_f32 v46, v46, v75
	v_cndmask_b32_e64 v44, 0x7f800000, v44, s31
	v_add_f32_e32 v51, v51, v84
	v_cmp_ngt_f32_e64 s31, 0xc2ce8ed0, v20
	v_fmac_f32_e32 v92, 0x32a5705f, v30
	v_add_f32_e32 v48, v48, v78
	v_cvt_i32_f32_e32 v77, v77
	v_add_f32_e32 v42, v42, v43
	v_cndmask_b32_e64 v43, 0, v46, s31
	v_add_f32_e32 v55, v55, v92
	v_cmp_nlt_f32_e64 s31, 0x42b17218, v18
	v_exp_f32_e32 v48, v48
	v_ldexp_f32 v47, v47, v77
	v_fma_f32 v78, 0x3fb8aa3b, v34, -v59
	v_cvt_i32_f32_e32 v79, v79
	v_cndmask_b32_e64 v45, 0x7f800000, v45, s31
	v_cmp_ngt_f32_e64 s31, 0xc2ce8ed0, v21
	v_add_f32_e32 v42, v42, v44
	v_dual_fmac_f32 v78, 0x32a5705f, v34 :: v_dual_sub_f32 v7, v7, v28
	v_sub_f32_e32 v59, v59, v80
	s_delay_alu instid0(VALU_DEP_4)
	v_cndmask_b32_e64 v44, 0, v47, s31
	v_cmp_nlt_f32_e64 s31, 0x42b17218, v20
	v_fmac_f32_e32 v82, 0x32a5705f, v24
	v_exp_f32_e32 v49, v49
	v_add_f32_e32 v59, v59, v78
	v_ldexp_f32 v48, v48, v79
	v_cndmask_b32_e64 v43, 0x7f800000, v43, s31
	v_cmp_ngt_f32_e64 s31, 0xc2ce8ed0, v22
	v_dual_add_f32 v50, v50, v82 :: v_dual_sub_f32 v11, v11, v28
	v_cvt_i32_f32_e32 v81, v81
	v_add_f32_e32 v42, v42, v45
	s_delay_alu instid0(VALU_DEP_4)
	v_cndmask_b32_e64 v45, 0, v48, s31
	v_cmp_nlt_f32_e64 s31, 0x42b17218, v21
	v_exp_f32_e32 v50, v50
	v_ldexp_f32 v49, v49, v81
	v_fma_f32 v86, 0x3fb8aa3b, v26, -v52
	v_rndne_f32_e32 v87, v52
	v_cndmask_b32_e64 v44, 0x7f800000, v44, s31
	v_cmp_ngt_f32_e64 s31, 0xc2ce8ed0, v23
	v_cvt_i32_f32_e32 v83, v83
	v_add_f32_e32 v42, v42, v43
	v_sub_f32_e32 v52, v52, v87
	v_rndne_f32_e32 v88, v61
	v_cndmask_b32_e64 v43, 0, v49, s31
	v_cmp_nlt_f32_e64 s31, 0x42b17218, v22
	v_fmac_f32_e32 v86, 0x32a5705f, v26
	v_exp_f32_e32 v51, v51
	v_ldexp_f32 v50, v50, v83
	v_fma_f32 v74, 0x3fb8aa3b, v33, -v58
	v_cndmask_b32_e64 v45, 0x7f800000, v45, s31
	v_cmp_ngt_f32_e64 s31, 0xc2ce8ed0, v24
	v_rndne_f32_e32 v76, v58
	v_dual_add_f32 v52, v52, v86 :: v_dual_mul_f32 v49, 0x3fb8aa3b, v11
	v_cvt_i32_f32_e32 v85, v85
	v_add_f32_e32 v42, v42, v44
	v_cndmask_b32_e64 v44, 0, v50, s31
	v_cmp_nlt_f32_e64 s31, 0x42b17218, v23
	v_fma_f32 v86, 0x3fb8aa3b, v36, -v61
	v_fmac_f32_e32 v74, 0x32a5705f, v33
	v_sub_f32_e32 v58, v58, v76
	v_exp_f32_e32 v52, v52
	v_ldexp_f32 v51, v51, v85
	v_cndmask_b32_e64 v43, 0x7f800000, v43, s31
	v_cmp_ngt_f32_e64 s31, 0xc2ce8ed0, v25
	v_fma_f32 v90, 0x3fb8aa3b, v29, -v54
	v_rndne_f32_e32 v91, v54
	v_fma_f32 v82, 0x3fb8aa3b, v35, -v60
	v_rndne_f32_e32 v84, v60
	v_dual_add_f32 v58, v58, v74 :: v_dual_sub_f32 v9, v9, v28
	v_fmac_f32_e32 v86, 0x32a5705f, v36
	v_sub_f32_e32 v61, v61, v88
	v_cvt_i32_f32_e32 v87, v87
	v_add_f32_e32 v42, v42, v45
	v_cndmask_b32_e64 v45, 0, v51, s31
	v_cmp_nlt_f32_e64 s31, 0x42b17218, v24
	v_add_f32_e32 v61, v61, v86
	v_rndne_f32_e32 v86, v65
	v_fmac_f32_e32 v90, 0x32a5705f, v29
	v_exp_f32_e32 v53, v53
	v_ldexp_f32 v52, v52, v87
	v_cndmask_b32_e64 v44, 0x7f800000, v44, s31
	v_cmp_ngt_f32_e64 s31, 0xc2ce8ed0, v26
	v_sub_f32_e32 v10, v10, v28
	v_fmac_f32_e32 v82, 0x32a5705f, v35
	v_sub_f32_e32 v60, v60, v84
	v_sub_f32_e32 v8, v8, v28
	v_fmac_f32_e32 v66, 0x32a5705f, v38
	v_sub_f32_e32 v54, v54, v91
	v_cvt_i32_f32_e32 v89, v89
	v_add_f32_e32 v42, v42, v43
	v_cndmask_b32_e64 v43, 0, v52, s31
	v_add_f32_e32 v63, v63, v66
	v_cmp_nlt_f32_e64 s31, 0x42b17218, v25
	v_mul_f32_e32 v51, 0x3fb8aa3b, v10
	v_add_f32_e32 v60, v60, v82
	v_fma_f32 v82, 0x3fb8aa3b, v40, -v65
	v_sub_f32_e32 v65, v65, v86
	v_add_f32_e32 v54, v54, v90
	v_ldexp_f32 v53, v53, v89
	v_cndmask_b32_e64 v45, 0x7f800000, v45, s31
	v_cmp_ngt_f32_e64 s31, 0xc2ce8ed0, v27
	v_cvt_i32_f32_e32 v91, v91
	v_exp_f32_e32 v54, v54
	v_add_f32_e32 v42, v42, v44
	v_exp_f32_e32 v55, v55
	v_cndmask_b32_e64 v44, 0, v53, s31
	v_cmp_nlt_f32_e64 s31, 0x42b17218, v26
	v_cvt_i32_f32_e32 v93, v93
	v_add_f32_e32 v42, v42, v45
	v_exp_f32_e32 v56, v56
	v_cvt_i32_f32_e32 v68, v68
	v_cndmask_b32_e64 v43, 0x7f800000, v43, s31
	v_ldexp_f32 v54, v54, v91
	v_cmp_ngt_f32_e64 s31, 0xc2ce8ed0, v29
	v_ldexp_f32 v55, v55, v93
	v_exp_f32_e32 v57, v57
	v_add_f32_e32 v42, v42, v43
	v_cvt_i32_f32_e32 v72, v72
	v_cndmask_b32_e64 v45, 0, v54, s31
	v_cmp_nlt_f32_e64 s31, 0x42b17218, v27
	v_ldexp_f32 v56, v56, v68
	v_exp_f32_e32 v58, v58
	v_cvt_i32_f32_e32 v76, v76
	v_exp_f32_e32 v59, v59
	v_cndmask_b32_e64 v44, 0x7f800000, v44, s31
	v_cmp_ngt_f32_e64 s31, 0xc2ce8ed0, v30
	v_ldexp_f32 v57, v57, v72
	v_cvt_i32_f32_e32 v80, v80
	v_exp_f32_e32 v60, v60
	v_add_f32_e32 v42, v42, v44
	v_cndmask_b32_e64 v43, 0, v55, s31
	v_cmp_nlt_f32_e64 s31, 0x42b17218, v29
	v_ldexp_f32 v58, v58, v76
	v_ldexp_f32 v59, v59, v80
	v_fma_f32 v90, 0x3fb8aa3b, v37, -v62
	v_rndne_f32_e32 v92, v62
	v_cndmask_b32_e64 v45, 0x7f800000, v45, s31
	v_cmp_ngt_f32_e64 s31, 0xc2ce8ed0, v31
	v_cvt_i32_f32_e32 v84, v84
	v_fmac_f32_e32 v90, 0x32a5705f, v37
	v_sub_f32_e32 v62, v62, v92
	v_add_f32_e32 v42, v42, v45
	v_cndmask_b32_e64 v44, 0, v56, s31
	v_cmp_nlt_f32_e64 s31, 0x42b17218, v30
	v_exp_f32_e32 v61, v61
	v_ldexp_f32 v60, v60, v84
	v_cvt_i32_f32_e32 v88, v88
	v_add_f32_e32 v62, v62, v90
	v_cndmask_b32_e64 v43, 0x7f800000, v43, s31
	v_cmp_ngt_f32_e64 s31, 0xc2ce8ed0, v32
	v_cvt_i32_f32_e32 v92, v92
	v_fma_f32 v74, 0x3fb8aa3b, v39, -v64
	v_exp_f32_e32 v62, v62
	v_add_f32_e32 v42, v42, v43
	v_cndmask_b32_e64 v45, 0, v57, s31
	v_cmp_nlt_f32_e64 s31, 0x42b17218, v31
	v_ldexp_f32 v61, v61, v88
	v_rndne_f32_e32 v78, v64
	v_exp_f32_e32 v63, v63
	v_cvt_i32_f32_e32 v70, v70
	v_cndmask_b32_e64 v44, 0x7f800000, v44, s31
	v_cmp_ngt_f32_e64 s31, 0xc2ce8ed0, v33
	v_ldexp_f32 v62, v62, v92
	v_fmac_f32_e32 v74, 0x32a5705f, v39
	v_sub_f32_e32 v64, v64, v78
	v_add_f32_e32 v42, v42, v44
	v_cndmask_b32_e64 v43, 0, v58, s31
	v_cmp_nlt_f32_e64 s31, 0x42b17218, v32
	v_ldexp_f32 v63, v63, v70
	v_add_f32_e32 v64, v64, v74
	v_cvt_i32_f32_e32 v78, v78
	v_fmac_f32_e32 v82, 0x32a5705f, v40
	v_cndmask_b32_e64 v45, 0x7f800000, v45, s31
	v_cmp_ngt_f32_e64 s31, 0xc2ce8ed0, v34
	v_exp_f32_e32 v64, v64
	v_sub_f32_e32 v6, v6, v28
	s_delay_alu instid0(VALU_DEP_3) | instskip(NEXT) | instid1(VALU_DEP_3)
	v_add_f32_e32 v42, v42, v45
	v_cndmask_b32_e64 v44, 0, v59, s31
	v_cmp_nlt_f32_e64 s31, 0x42b17218, v33
	s_delay_alu instid0(VALU_DEP_1) | instskip(SKIP_1) | instid1(TRANS32_DEP_1)
	v_cndmask_b32_e64 v43, 0x7f800000, v43, s31
	v_cmp_ngt_f32_e64 s31, 0xc2ce8ed0, v35
	v_ldexp_f32 v46, v64, v78
	s_delay_alu instid0(VALU_DEP_3) | instskip(NEXT) | instid1(VALU_DEP_3)
	v_add_f32_e32 v42, v42, v43
	v_cndmask_b32_e64 v45, 0, v60, s31
	v_cmp_nlt_f32_e64 s31, 0x42b17218, v34
	s_delay_alu instid0(VALU_DEP_1) | instskip(SKIP_1) | instid1(VALU_DEP_2)
	v_cndmask_b32_e64 v44, 0x7f800000, v44, s31
	v_cmp_ngt_f32_e64 s31, 0xc2ce8ed0, v36
	v_add_f32_e32 v42, v42, v44
	s_delay_alu instid0(VALU_DEP_2) | instskip(SKIP_1) | instid1(VALU_DEP_1)
	v_cndmask_b32_e64 v43, 0, v61, s31
	v_cmp_nlt_f32_e64 s31, 0x42b17218, v35
	v_cndmask_b32_e64 v45, 0x7f800000, v45, s31
	v_cmp_ngt_f32_e64 s31, 0xc2ce8ed0, v37
	s_delay_alu instid0(VALU_DEP_2) | instskip(NEXT) | instid1(VALU_DEP_2)
	v_add_f32_e32 v42, v42, v45
	v_cndmask_b32_e64 v44, 0, v62, s31
	v_cmp_nlt_f32_e64 s31, 0x42b17218, v36
	s_delay_alu instid0(VALU_DEP_1) | instskip(SKIP_1) | instid1(VALU_DEP_2)
	v_cndmask_b32_e64 v43, 0x7f800000, v43, s31
	v_cmp_ngt_f32_e64 s31, 0xc2ce8ed0, v38
	v_add_f32_e32 v42, v42, v43
	s_delay_alu instid0(VALU_DEP_2) | instskip(SKIP_2) | instid1(VALU_DEP_2)
	v_cndmask_b32_e64 v45, 0, v63, s31
	v_cmp_nlt_f32_e64 s31, 0x42b17218, v37
	v_add_f32_e32 v43, v65, v82
	v_cndmask_b32_e64 v44, 0x7f800000, v44, s31
	v_cmp_nlt_f32_e64 s31, 0x42b17218, v38
	s_delay_alu instid0(VALU_DEP_3) | instskip(NEXT) | instid1(VALU_DEP_2)
	v_exp_f32_e32 v43, v43
	v_add_f32_e32 v42, v42, v44
	s_delay_alu instid0(VALU_DEP_2) | instskip(SKIP_2) | instid1(VALU_DEP_3)
	v_cndmask_b32_e64 v45, 0x7f800000, v45, s31
	v_mul_f32_e32 v44, 0x3fb8aa3b, v41
	v_cmp_ngt_f32_e64 s31, 0xc2ce8ed0, v39
	v_add_f32_e32 v42, v42, v45
	s_delay_alu instid0(VALU_DEP_3) | instskip(NEXT) | instid1(VALU_DEP_3)
	v_fma_f32 v47, 0x3fb8aa3b, v41, -v44
	v_cndmask_b32_e64 v46, 0, v46, s31
	v_cmp_nlt_f32_e64 s31, 0x42b17218, v39
	v_rndne_f32_e32 v48, v44
	s_delay_alu instid0(VALU_DEP_4) | instskip(NEXT) | instid1(VALU_DEP_3)
	v_fmac_f32_e32 v47, 0x32a5705f, v41
	v_cndmask_b32_e64 v45, 0x7f800000, v46, s31
	v_cvt_i32_f32_e32 v46, v86
	s_delay_alu instid0(VALU_DEP_4)
	v_sub_f32_e32 v44, v44, v48
	v_cmp_ngt_f32_e64 s31, 0xc2ce8ed0, v40
	v_cvt_i32_f32_e32 v48, v48
	v_add_f32_e32 v42, v42, v45
	v_ldexp_f32 v43, v43, v46
	v_fma_f32 v45, 0x3fb8aa3b, v11, -v49
	v_rndne_f32_e32 v46, v49
	v_add_f32_e32 v44, v44, v47
	s_delay_alu instid0(VALU_DEP_4) | instskip(NEXT) | instid1(VALU_DEP_4)
	v_cndmask_b32_e64 v43, 0, v43, s31
	v_fmac_f32_e32 v45, 0x32a5705f, v11
	s_delay_alu instid0(VALU_DEP_4) | instskip(SKIP_3) | instid1(VALU_DEP_3)
	v_sub_f32_e32 v47, v49, v46
	v_mul_f32_e32 v49, 0x3fb8aa3b, v12
	v_cmp_nlt_f32_e64 s31, 0x42b17218, v40
	v_exp_f32_e32 v44, v44
	v_add_f32_e32 v45, v47, v45
	s_delay_alu instid0(VALU_DEP_3) | instskip(NEXT) | instid1(VALU_DEP_3)
	v_fma_f32 v47, 0x3fb8aa3b, v12, -v49
	v_cndmask_b32_e64 v43, 0x7f800000, v43, s31
	v_rndne_f32_e32 v50, v49
	v_cmp_ngt_f32_e64 s31, 0xc2ce8ed0, v41
	v_exp_f32_e32 v45, v45
	s_delay_alu instid0(VALU_DEP_3) | instskip(NEXT) | instid1(VALU_DEP_3)
	v_dual_fmac_f32 v47, 0x32a5705f, v12 :: v_dual_add_f32 v42, v42, v43
	v_sub_f32_e32 v49, v49, v50
	s_delay_alu instid0(TRANS32_DEP_2) | instskip(SKIP_2) | instid1(VALU_DEP_4)
	v_ldexp_f32 v43, v44, v48
	v_cvt_i32_f32_e32 v44, v46
	v_rndne_f32_e32 v48, v51
	v_add_f32_e32 v46, v49, v47
	v_fma_f32 v47, 0x3fb8aa3b, v10, -v51
	v_cndmask_b32_e64 v43, 0, v43, s31
	v_cmp_nlt_f32_e64 s31, 0x42b17218, v41
	v_ldexp_f32 v44, v45, v44
	v_exp_f32_e32 v45, v46
	v_dual_fmac_f32 v47, 0x32a5705f, v10 :: v_dual_sub_f32 v46, v51, v48
	s_delay_alu instid0(VALU_DEP_3)
	v_cndmask_b32_e64 v43, 0x7f800000, v43, s31
	v_cmp_ngt_f32_e64 s31, 0xc2ce8ed0, v11
	v_cvt_i32_f32_e32 v49, v50
	v_mul_f32_e32 v50, 0x3fb8aa3b, v6
	v_add_f32_e32 v46, v46, v47
	v_add_f32_e32 v42, v42, v43
	v_cndmask_b32_e64 v44, 0, v44, s31
	v_cmp_nlt_f32_e64 s31, 0x42b17218, v11
	v_ldexp_f32 v43, v45, v49
	v_exp_f32_e32 v45, v46
	v_dual_mul_f32 v46, 0x3fb8aa3b, v9 :: v_dual_mul_f32 v47, 0x3fb8aa3b, v7
	s_delay_alu instid0(VALU_DEP_3) | instskip(SKIP_2) | instid1(VALU_DEP_3)
	v_cndmask_b32_e64 v44, 0x7f800000, v44, s31
	v_cmp_ngt_f32_e64 s31, 0xc2ce8ed0, v12
	v_rndne_f32_e32 v51, v50
	v_add_f32_e32 v42, v42, v44
	s_delay_alu instid0(VALU_DEP_3) | instskip(SKIP_3) | instid1(VALU_DEP_3)
	v_cndmask_b32_e64 v43, 0, v43, s31
	v_cvt_i32_f32_e32 v44, v48
	v_cmp_nlt_f32_e64 s31, 0x42b17218, v12
	v_mul_f32_e32 v48, 0x3fb8aa3b, v8
	v_ldexp_f32 v44, v45, v44
	s_delay_alu instid0(VALU_DEP_3) | instskip(SKIP_3) | instid1(VALU_DEP_4)
	v_cndmask_b32_e64 v43, 0x7f800000, v43, s31
	v_cmp_ngt_f32_e64 s31, 0xc2ce8ed0, v10
	v_rndne_f32_e32 v45, v46
	v_rndne_f32_e32 v49, v48
	v_add_f32_e32 v42, v42, v43
	v_fma_f32 v43, 0x3fb8aa3b, v9, -v46
	v_cndmask_b32_e64 v44, 0, v44, s31
	v_cmp_nlt_f32_e64 s31, 0x42b17218, v10
	v_sub_f32_e32 v46, v46, v45
	v_cvt_i32_f32_e32 v45, v45
	v_fmac_f32_e32 v43, 0x32a5705f, v9
	s_delay_alu instid0(VALU_DEP_4) | instskip(SKIP_1) | instid1(VALU_DEP_3)
	v_cndmask_b32_e64 v44, 0x7f800000, v44, s31
	v_cmp_ngt_f32_e64 s31, 0xc2ce8ed0, v9
	v_add_f32_e32 v43, v46, v43
	v_rndne_f32_e32 v46, v47
	s_delay_alu instid0(VALU_DEP_4) | instskip(SKIP_1) | instid1(VALU_DEP_4)
	v_add_f32_e32 v42, v42, v44
	v_fma_f32 v44, 0x3fb8aa3b, v7, -v47
	v_exp_f32_e32 v43, v43
	s_delay_alu instid0(VALU_DEP_3) | instskip(SKIP_1) | instid1(VALU_DEP_3)
	v_sub_f32_e32 v28, v47, v46
	v_fma_f32 v47, 0x3fb8aa3b, v8, -v48
	v_fmac_f32_e32 v44, 0x32a5705f, v7
	v_cvt_i32_f32_e32 v46, v46
	s_delay_alu instid0(VALU_DEP_3) | instskip(NEXT) | instid1(VALU_DEP_3)
	v_fmac_f32_e32 v47, 0x32a5705f, v8
	v_add_f32_e32 v28, v28, v44
	v_sub_f32_e32 v44, v48, v49
	s_delay_alu instid0(TRANS32_DEP_1)
	v_ldexp_f32 v43, v43, v45
	v_sub_f32_e32 v45, v50, v51
	v_fma_f32 v48, 0x3fb8aa3b, v6, -v50
	v_exp_f32_e32 v28, v28
	v_add_f32_e32 v44, v44, v47
	v_cndmask_b32_e64 v43, 0, v43, s31
	v_cmp_nlt_f32_e64 s31, 0x42b17218, v9
	v_fmac_f32_e32 v48, 0x32a5705f, v6
	s_delay_alu instid0(VALU_DEP_4) | instskip(NEXT) | instid1(VALU_DEP_2)
	v_exp_f32_e32 v44, v44
	v_cndmask_b32_e64 v43, 0x7f800000, v43, s31
	v_cmp_ngt_f32_e64 s31, 0xc2ce8ed0, v7
	s_delay_alu instid0(TRANS32_DEP_2) | instskip(SKIP_3) | instid1(VALU_DEP_4)
	v_ldexp_f32 v28, v28, v46
	v_add_f32_e32 v45, v45, v48
	v_cvt_i32_f32_e32 v46, v49
	v_add_f32_e32 v42, v42, v43
	v_cndmask_b32_e64 v28, 0, v28, s31
	v_cmp_nlt_f32_e64 s31, 0x42b17218, v7
	v_exp_f32_e32 v45, v45
	v_ldexp_f32 v43, v44, v46
	v_cvt_i32_f32_e32 v44, v51
	s_delay_alu instid0(VALU_DEP_3) | instskip(SKIP_1) | instid1(VALU_DEP_2)
	v_cndmask_b32_e64 v28, 0x7f800000, v28, s31
	v_cmp_ngt_f32_e64 s31, 0xc2ce8ed0, v8
	v_add_f32_e32 v28, v42, v28
	s_delay_alu instid0(VALU_DEP_2) | instskip(SKIP_1) | instid1(TRANS32_DEP_1)
	v_cndmask_b32_e64 v43, 0, v43, s31
	v_cmp_nlt_f32_e64 s31, 0x42b17218, v8
	v_ldexp_f32 v44, v45, v44
	s_delay_alu instid0(VALU_DEP_2) | instskip(SKIP_1) | instid1(VALU_DEP_2)
	v_cndmask_b32_e64 v42, 0x7f800000, v43, s31
	v_cmp_ngt_f32_e64 s31, 0xc2ce8ed0, v6
	v_add_f32_e32 v28, v28, v42
	s_delay_alu instid0(VALU_DEP_2) | instskip(SKIP_1) | instid1(VALU_DEP_1)
	v_cndmask_b32_e64 v43, 0, v44, s31
	v_cmp_nlt_f32_e64 s31, 0x42b17218, v6
	v_cndmask_b32_e64 v42, 0x7f800000, v43, s31
	s_delay_alu instid0(VALU_DEP_1)
	v_add_f32_e32 v28, v28, v42
	ds_bpermute_b32 v2, v2, v28
	s_waitcnt lgkmcnt(0)
	v_add_f32_e32 v2, v28, v2
	ds_bpermute_b32 v3, v3, v2
	s_waitcnt lgkmcnt(0)
	;; [unrolled: 3-line block ×5, first 2 shown]
	v_add_f32_e32 v2, v2, v3
	ds_bpermute_b32 v3, v19, v2
	v_cmpx_lt_i32_e32 0, v5
	s_cbranch_execz .LBB188_98
; %bb.65:
	s_and_b32 exec_lo, exec_lo, s0
	s_cbranch_execz .LBB188_98
; %bb.66:
	s_waitcnt lgkmcnt(0)
	v_add_f32_e32 v2, v2, v3
	v_lshlrev_b64 v[0:1], 2, v[0:1]
	s_delay_alu instid0(VALU_DEP_2) | instskip(NEXT) | instid1(VALU_DEP_1)
	v_cmp_gt_f32_e64 s0, 0x800000, v2
	v_cndmask_b32_e64 v3, 1.0, 0x4f800000, s0
	s_delay_alu instid0(VALU_DEP_1) | instskip(NEXT) | instid1(VALU_DEP_1)
	v_mul_f32_e32 v2, v2, v3
	v_log_f32_e32 v2, v2
	s_waitcnt_depctr 0xfff
	v_mul_f32_e32 v3, 0x3f317217, v2
	v_cmp_gt_f32_e64 s31, 0x7f800000, |v2|
	s_delay_alu instid0(VALU_DEP_2) | instskip(NEXT) | instid1(VALU_DEP_1)
	v_fma_f32 v5, 0x3f317217, v2, -v3
	v_fmamk_f32 v5, v2, 0x3377d1cf, v5
	s_delay_alu instid0(VALU_DEP_1) | instskip(NEXT) | instid1(VALU_DEP_1)
	v_add_f32_e32 v3, v3, v5
	v_cndmask_b32_e64 v2, v2, v3, s31
	v_cndmask_b32_e64 v3, 0, 0x41b17218, s0
	v_add_co_u32 v0, s0, s36, v0
	s_delay_alu instid0(VALU_DEP_1) | instskip(NEXT) | instid1(VALU_DEP_3)
	v_add_co_ci_u32_e64 v1, s0, s37, v1, s0
	v_sub_f32_e32 v2, v2, v3
	s_delay_alu instid0(VALU_DEP_1)
	v_sub_f32_e32 v3, v4, v2
	global_store_b32 v[0:1], v3, off
	s_and_b32 exec_lo, exec_lo, vcc_lo
	s_cbranch_execz .LBB188_98
; %bb.67:
	v_sub_f32_e32 v3, v14, v2
	global_store_b32 v[0:1], v3, off offset:256
	s_and_b32 exec_lo, exec_lo, s1
	s_cbranch_execz .LBB188_98
; %bb.68:
	v_sub_f32_e32 v3, v16, v2
	global_store_b32 v[0:1], v3, off offset:512
	s_and_b32 exec_lo, exec_lo, s2
	;; [unrolled: 5-line block ×15, first 2 shown]
	s_cbranch_execz .LBB188_98
; %bb.82:
	v_add_co_u32 v0, vcc_lo, 0x1000, v0
	v_sub_f32_e32 v3, v33, v2
	v_add_co_ci_u32_e32 v1, vcc_lo, 0, v1, vcc_lo
	global_store_b32 v[0:1], v3, off
	s_and_b32 exec_lo, exec_lo, s16
	s_cbranch_execz .LBB188_98
; %bb.83:
	v_sub_f32_e32 v3, v34, v2
	global_store_b32 v[0:1], v3, off offset:256
	s_and_b32 exec_lo, exec_lo, s17
	s_cbranch_execz .LBB188_98
; %bb.84:
	v_sub_f32_e32 v3, v35, v2
	global_store_b32 v[0:1], v3, off offset:512
	;; [unrolled: 5-line block ×15, first 2 shown]
.LBB188_98:
	s_nop 0
	s_sendmsg sendmsg(MSG_DEALLOC_VGPRS)
	s_endpgm
	.section	.rodata,"a",@progbits
	.p2align	6, 0x0
	.amdhsa_kernel _ZN12_GLOBAL__N_120softmax_warp_forwardIN3c108BFloat16EffLi11ELb1ELb0ELi64EEEvPT0_PKT_iiiPKbib
		.amdhsa_group_segment_fixed_size 0
		.amdhsa_private_segment_fixed_size 0
		.amdhsa_kernarg_size 304
		.amdhsa_user_sgpr_count 15
		.amdhsa_user_sgpr_dispatch_ptr 0
		.amdhsa_user_sgpr_queue_ptr 0
		.amdhsa_user_sgpr_kernarg_segment_ptr 1
		.amdhsa_user_sgpr_dispatch_id 0
		.amdhsa_user_sgpr_private_segment_size 0
		.amdhsa_wavefront_size32 1
		.amdhsa_uses_dynamic_stack 0
		.amdhsa_enable_private_segment 0
		.amdhsa_system_sgpr_workgroup_id_x 1
		.amdhsa_system_sgpr_workgroup_id_y 0
		.amdhsa_system_sgpr_workgroup_id_z 0
		.amdhsa_system_sgpr_workgroup_info 0
		.amdhsa_system_vgpr_workitem_id 1
		.amdhsa_next_free_vgpr 94
		.amdhsa_next_free_sgpr 44
		.amdhsa_reserve_vcc 1
		.amdhsa_float_round_mode_32 0
		.amdhsa_float_round_mode_16_64 0
		.amdhsa_float_denorm_mode_32 3
		.amdhsa_float_denorm_mode_16_64 3
		.amdhsa_dx10_clamp 1
		.amdhsa_ieee_mode 1
		.amdhsa_fp16_overflow 0
		.amdhsa_workgroup_processor_mode 1
		.amdhsa_memory_ordered 1
		.amdhsa_forward_progress 0
		.amdhsa_shared_vgpr_count 0
		.amdhsa_exception_fp_ieee_invalid_op 0
		.amdhsa_exception_fp_denorm_src 0
		.amdhsa_exception_fp_ieee_div_zero 0
		.amdhsa_exception_fp_ieee_overflow 0
		.amdhsa_exception_fp_ieee_underflow 0
		.amdhsa_exception_fp_ieee_inexact 0
		.amdhsa_exception_int_div_zero 0
	.end_amdhsa_kernel
	.section	.text._ZN12_GLOBAL__N_120softmax_warp_forwardIN3c108BFloat16EffLi11ELb1ELb0ELi64EEEvPT0_PKT_iiiPKbib,"axG",@progbits,_ZN12_GLOBAL__N_120softmax_warp_forwardIN3c108BFloat16EffLi11ELb1ELb0ELi64EEEvPT0_PKT_iiiPKbib,comdat
.Lfunc_end188:
	.size	_ZN12_GLOBAL__N_120softmax_warp_forwardIN3c108BFloat16EffLi11ELb1ELb0ELi64EEEvPT0_PKT_iiiPKbib, .Lfunc_end188-_ZN12_GLOBAL__N_120softmax_warp_forwardIN3c108BFloat16EffLi11ELb1ELb0ELi64EEEvPT0_PKT_iiiPKbib
                                        ; -- End function
	.section	.AMDGPU.csdata,"",@progbits
; Kernel info:
; codeLenInByte = 7612
; NumSgprs: 46
; NumVgprs: 94
; ScratchSize: 0
; MemoryBound: 0
; FloatMode: 240
; IeeeMode: 1
; LDSByteSize: 0 bytes/workgroup (compile time only)
; SGPRBlocks: 5
; VGPRBlocks: 11
; NumSGPRsForWavesPerEU: 46
; NumVGPRsForWavesPerEU: 94
; Occupancy: 16
; WaveLimiterHint : 0
; COMPUTE_PGM_RSRC2:SCRATCH_EN: 0
; COMPUTE_PGM_RSRC2:USER_SGPR: 15
; COMPUTE_PGM_RSRC2:TRAP_HANDLER: 0
; COMPUTE_PGM_RSRC2:TGID_X_EN: 1
; COMPUTE_PGM_RSRC2:TGID_Y_EN: 0
; COMPUTE_PGM_RSRC2:TGID_Z_EN: 0
; COMPUTE_PGM_RSRC2:TIDIG_COMP_CNT: 1
	.section	.text._ZN12_GLOBAL__N_120softmax_warp_forwardIN3c108BFloat16EffLi11ELb1ELb0ELi32EEEvPT0_PKT_iiiPKbib,"axG",@progbits,_ZN12_GLOBAL__N_120softmax_warp_forwardIN3c108BFloat16EffLi11ELb1ELb0ELi32EEEvPT0_PKT_iiiPKbib,comdat
	.globl	_ZN12_GLOBAL__N_120softmax_warp_forwardIN3c108BFloat16EffLi11ELb1ELb0ELi32EEEvPT0_PKT_iiiPKbib ; -- Begin function _ZN12_GLOBAL__N_120softmax_warp_forwardIN3c108BFloat16EffLi11ELb1ELb0ELi32EEEvPT0_PKT_iiiPKbib
	.p2align	8
	.type	_ZN12_GLOBAL__N_120softmax_warp_forwardIN3c108BFloat16EffLi11ELb1ELb0ELi32EEEvPT0_PKT_iiiPKbib,@function
_ZN12_GLOBAL__N_120softmax_warp_forwardIN3c108BFloat16EffLi11ELb1ELb0ELi32EEEvPT0_PKT_iiiPKbib: ; @_ZN12_GLOBAL__N_120softmax_warp_forwardIN3c108BFloat16EffLi11ELb1ELb0ELi32EEEvPT0_PKT_iiiPKbib
; %bb.0:
	s_clause 0x1
	s_load_b32 s2, s[0:1], 0x3c
	s_load_b256 s[68:75], s[0:1], 0x0
	v_bfe_u32 v1, v0, 10, 10
	v_mov_b32_e32 v15, 0xff800000
	v_mov_b32_e32 v73, 0xff800000
	s_waitcnt lgkmcnt(0)
	s_lshr_b32 s0, s2, 16
	s_delay_alu instid0(SALU_CYCLE_1) | instskip(SKIP_1) | instid1(VALU_DEP_1)
	v_mad_u64_u32 v[3:4], null, s15, s0, v[1:2]
	v_and_b32_e32 v2, 0x3ff, v0
	v_cmp_gt_i32_e64 s0, s74, v2
	s_delay_alu instid0(VALU_DEP_3) | instskip(SKIP_1) | instid1(VALU_DEP_1)
	v_mad_u64_u32 v[0:1], null, v3, s73, v[2:3]
	v_sub_nc_u32_e32 v5, s72, v3
	v_cmp_lt_i32_e64 s64, 0, v5
	s_delay_alu instid0(VALU_DEP_3) | instskip(NEXT) | instid1(VALU_DEP_2)
	v_ashrrev_i32_e32 v1, 31, v0
	s_and_b32 s2, s64, s0
	s_delay_alu instid0(VALU_DEP_1) | instskip(NEXT) | instid1(VALU_DEP_1)
	v_lshlrev_b64 v[3:4], 1, v[0:1]
	v_add_co_u32 v3, vcc_lo, s70, v3
	s_delay_alu instid0(VALU_DEP_2)
	v_add_co_ci_u32_e32 v4, vcc_lo, s71, v4, vcc_lo
	s_and_saveexec_b32 s1, s2
	s_cbranch_execz .LBB189_2
; %bb.1:
	global_load_u16 v6, v[3:4], off
	s_waitcnt vmcnt(0)
	v_lshlrev_b32_e32 v73, 16, v6
.LBB189_2:
	s_or_b32 exec_lo, exec_lo, s1
	v_add_nc_u32_e32 v6, 32, v2
	s_delay_alu instid0(VALU_DEP_1) | instskip(SKIP_1) | instid1(SALU_CYCLE_1)
	v_cmp_gt_i32_e32 vcc_lo, s74, v6
	s_and_b32 s2, s64, vcc_lo
	s_and_saveexec_b32 s1, s2
	s_cbranch_execz .LBB189_4
; %bb.3:
	global_load_u16 v6, v[3:4], off offset:64
	s_waitcnt vmcnt(0)
	v_lshlrev_b32_e32 v15, 16, v6
.LBB189_4:
	s_or_b32 exec_lo, exec_lo, s1
	v_dual_mov_b32 v19, 0xff800000 :: v_dual_add_nc_u32 v6, 64, v2
	v_mov_b32_e32 v20, 0xff800000
	s_delay_alu instid0(VALU_DEP_2) | instskip(NEXT) | instid1(VALU_DEP_1)
	v_cmp_gt_i32_e64 s1, s74, v6
	s_and_b32 s3, s64, s1
	s_delay_alu instid0(SALU_CYCLE_1)
	s_and_saveexec_b32 s2, s3
	s_cbranch_execz .LBB189_6
; %bb.5:
	global_load_u16 v6, v[3:4], off offset:128
	s_waitcnt vmcnt(0)
	v_lshlrev_b32_e32 v19, 16, v6
.LBB189_6:
	s_or_b32 exec_lo, exec_lo, s2
	v_add_nc_u32_e32 v6, 0x60, v2
	s_delay_alu instid0(VALU_DEP_1) | instskip(NEXT) | instid1(VALU_DEP_1)
	v_cmp_gt_i32_e64 s2, s74, v6
	s_and_b32 s4, s64, s2
	s_delay_alu instid0(SALU_CYCLE_1)
	s_and_saveexec_b32 s3, s4
	s_cbranch_execz .LBB189_8
; %bb.7:
	global_load_u16 v6, v[3:4], off offset:192
	s_waitcnt vmcnt(0)
	v_lshlrev_b32_e32 v20, 16, v6
.LBB189_8:
	s_or_b32 exec_lo, exec_lo, s3
	v_add_nc_u32_e32 v6, 0x80, v2
	v_mov_b32_e32 v27, 0xff800000
	v_mov_b32_e32 v23, 0xff800000
	s_delay_alu instid0(VALU_DEP_3) | instskip(NEXT) | instid1(VALU_DEP_1)
	v_cmp_gt_i32_e64 s3, s74, v6
	s_and_b32 s5, s64, s3
	s_delay_alu instid0(SALU_CYCLE_1)
	s_and_saveexec_b32 s4, s5
	s_cbranch_execz .LBB189_10
; %bb.9:
	global_load_u16 v6, v[3:4], off offset:256
	s_waitcnt vmcnt(0)
	v_lshlrev_b32_e32 v23, 16, v6
.LBB189_10:
	s_or_b32 exec_lo, exec_lo, s4
	v_add_nc_u32_e32 v6, 0xa0, v2
	s_delay_alu instid0(VALU_DEP_1) | instskip(NEXT) | instid1(VALU_DEP_1)
	v_cmp_gt_i32_e64 s4, s74, v6
	s_and_b32 s6, s64, s4
	s_delay_alu instid0(SALU_CYCLE_1)
	s_and_saveexec_b32 s5, s6
	s_cbranch_execz .LBB189_12
; %bb.11:
	global_load_u16 v6, v[3:4], off offset:320
	s_waitcnt vmcnt(0)
	v_lshlrev_b32_e32 v27, 16, v6
.LBB189_12:
	s_or_b32 exec_lo, exec_lo, s5
	v_add_nc_u32_e32 v6, 0xc0, v2
	v_dual_mov_b32 v31, 0xff800000 :: v_dual_mov_b32 v28, 0xff800000
	s_delay_alu instid0(VALU_DEP_2) | instskip(NEXT) | instid1(VALU_DEP_1)
	v_cmp_gt_i32_e64 s5, s74, v6
	s_and_b32 s7, s64, s5
	s_delay_alu instid0(SALU_CYCLE_1)
	s_and_saveexec_b32 s6, s7
	s_cbranch_execz .LBB189_14
; %bb.13:
	global_load_u16 v6, v[3:4], off offset:384
	s_waitcnt vmcnt(0)
	v_lshlrev_b32_e32 v28, 16, v6
.LBB189_14:
	s_or_b32 exec_lo, exec_lo, s6
	v_add_nc_u32_e32 v6, 0xe0, v2
	s_delay_alu instid0(VALU_DEP_1) | instskip(NEXT) | instid1(VALU_DEP_1)
	v_cmp_gt_i32_e64 s6, s74, v6
	s_and_b32 s8, s64, s6
	s_delay_alu instid0(SALU_CYCLE_1)
	s_and_saveexec_b32 s7, s8
	s_cbranch_execz .LBB189_16
; %bb.15:
	global_load_u16 v6, v[3:4], off offset:448
	s_waitcnt vmcnt(0)
	v_lshlrev_b32_e32 v31, 16, v6
.LBB189_16:
	s_or_b32 exec_lo, exec_lo, s7
	v_add_nc_u32_e32 v6, 0x100, v2
	v_dual_mov_b32 v35, 0xff800000 :: v_dual_mov_b32 v32, 0xff800000
	s_delay_alu instid0(VALU_DEP_2) | instskip(NEXT) | instid1(VALU_DEP_1)
	;; [unrolled: 27-line block ×13, first 2 shown]
	v_cmp_gt_i32_e64 s29, s74, v6
	s_and_b32 s31, s64, s29
	s_delay_alu instid0(SALU_CYCLE_1)
	s_and_saveexec_b32 s30, s31
	s_cbranch_execz .LBB189_62
; %bb.61:
	global_load_u16 v6, v[3:4], off offset:1920
	s_waitcnt vmcnt(0)
	v_lshlrev_b32_e32 v72, 16, v6
.LBB189_62:
	s_or_b32 exec_lo, exec_lo, s30
	v_add_nc_u32_e32 v6, 0x3e0, v2
	s_delay_alu instid0(VALU_DEP_1) | instskip(NEXT) | instid1(VALU_DEP_1)
	v_cmp_gt_i32_e64 s30, s74, v6
	s_and_b32 s33, s64, s30
	s_delay_alu instid0(SALU_CYCLE_1)
	s_and_saveexec_b32 s31, s33
	s_cbranch_execz .LBB189_64
; %bb.63:
	global_load_u16 v6, v[3:4], off offset:1984
	s_waitcnt vmcnt(0)
	v_lshlrev_b32_e32 v71, 16, v6
.LBB189_64:
	s_or_b32 exec_lo, exec_lo, s31
	v_or_b32_e32 v6, 0x400, v2
	v_dual_mov_b32 v61, 0xff800000 :: v_dual_mov_b32 v70, 0xff800000
	s_delay_alu instid0(VALU_DEP_2) | instskip(NEXT) | instid1(VALU_DEP_1)
	v_cmp_gt_i32_e64 s31, s74, v6
	s_and_b32 s34, s64, s31
	s_delay_alu instid0(SALU_CYCLE_1)
	s_and_saveexec_b32 s33, s34
	s_cbranch_execz .LBB189_66
; %bb.65:
	global_load_u16 v6, v[3:4], off offset:2048
	s_waitcnt vmcnt(0)
	v_lshlrev_b32_e32 v70, 16, v6
.LBB189_66:
	s_or_b32 exec_lo, exec_lo, s33
	v_add_nc_u32_e32 v6, 0x420, v2
	s_delay_alu instid0(VALU_DEP_1) | instskip(NEXT) | instid1(VALU_DEP_1)
	v_cmp_gt_i32_e64 s33, s74, v6
	s_and_b32 s35, s64, s33
	s_delay_alu instid0(SALU_CYCLE_1)
	s_and_saveexec_b32 s34, s35
	s_cbranch_execz .LBB189_68
; %bb.67:
	global_load_u16 v6, v[3:4], off offset:2112
	s_waitcnt vmcnt(0)
	v_lshlrev_b32_e32 v61, 16, v6
.LBB189_68:
	s_or_b32 exec_lo, exec_lo, s34
	v_add_nc_u32_e32 v6, 0x440, v2
	v_mov_b32_e32 v56, 0xff800000
	v_mov_b32_e32 v60, 0xff800000
	s_delay_alu instid0(VALU_DEP_3) | instskip(NEXT) | instid1(VALU_DEP_1)
	v_cmp_gt_i32_e64 s34, s74, v6
	s_and_b32 s36, s64, s34
	s_delay_alu instid0(SALU_CYCLE_1)
	s_and_saveexec_b32 s35, s36
	s_cbranch_execz .LBB189_70
; %bb.69:
	global_load_u16 v6, v[3:4], off offset:2176
	s_waitcnt vmcnt(0)
	v_lshlrev_b32_e32 v60, 16, v6
.LBB189_70:
	s_or_b32 exec_lo, exec_lo, s35
	v_add_nc_u32_e32 v6, 0x460, v2
	s_delay_alu instid0(VALU_DEP_1) | instskip(NEXT) | instid1(VALU_DEP_1)
	v_cmp_gt_i32_e64 s35, s74, v6
	s_and_b32 s37, s64, s35
	s_delay_alu instid0(SALU_CYCLE_1)
	s_and_saveexec_b32 s36, s37
	s_cbranch_execz .LBB189_72
; %bb.71:
	global_load_u16 v6, v[3:4], off offset:2240
	s_waitcnt vmcnt(0)
	v_lshlrev_b32_e32 v56, 16, v6
.LBB189_72:
	s_or_b32 exec_lo, exec_lo, s36
	v_add_nc_u32_e32 v6, 0x480, v2
	v_dual_mov_b32 v52, 0xff800000 :: v_dual_mov_b32 v57, 0xff800000
	s_delay_alu instid0(VALU_DEP_2) | instskip(NEXT) | instid1(VALU_DEP_1)
	v_cmp_gt_i32_e64 s36, s74, v6
	s_and_b32 s38, s64, s36
	s_delay_alu instid0(SALU_CYCLE_1)
	s_and_saveexec_b32 s37, s38
	s_cbranch_execz .LBB189_74
; %bb.73:
	global_load_u16 v6, v[3:4], off offset:2304
	s_waitcnt vmcnt(0)
	v_lshlrev_b32_e32 v57, 16, v6
.LBB189_74:
	s_or_b32 exec_lo, exec_lo, s37
	v_add_nc_u32_e32 v6, 0x4a0, v2
	s_delay_alu instid0(VALU_DEP_1) | instskip(NEXT) | instid1(VALU_DEP_1)
	v_cmp_gt_i32_e64 s37, s74, v6
	s_and_b32 s39, s64, s37
	s_delay_alu instid0(SALU_CYCLE_1)
	s_and_saveexec_b32 s38, s39
	s_cbranch_execz .LBB189_76
; %bb.75:
	global_load_u16 v6, v[3:4], off offset:2368
	s_waitcnt vmcnt(0)
	v_lshlrev_b32_e32 v52, 16, v6
.LBB189_76:
	s_or_b32 exec_lo, exec_lo, s38
	v_add_nc_u32_e32 v6, 0x4c0, v2
	v_dual_mov_b32 v48, 0xff800000 :: v_dual_mov_b32 v51, 0xff800000
	s_delay_alu instid0(VALU_DEP_2) | instskip(NEXT) | instid1(VALU_DEP_1)
	;; [unrolled: 27-line block ×3, first 2 shown]
	v_cmp_gt_i32_e64 s40, s74, v6
	s_and_b32 s42, s64, s40
	s_delay_alu instid0(SALU_CYCLE_1)
	s_and_saveexec_b32 s41, s42
	s_cbranch_execz .LBB189_82
; %bb.81:
	global_load_u16 v6, v[3:4], off offset:2560
	s_waitcnt vmcnt(0)
	v_lshlrev_b32_e32 v47, 16, v6
.LBB189_82:
	s_or_b32 exec_lo, exec_lo, s41
	v_add_nc_u32_e32 v6, 0x520, v2
	s_delay_alu instid0(VALU_DEP_1) | instskip(NEXT) | instid1(VALU_DEP_1)
	v_cmp_gt_i32_e64 s41, s74, v6
	s_and_b32 s43, s64, s41
	s_delay_alu instid0(SALU_CYCLE_1)
	s_and_saveexec_b32 s42, s43
	s_cbranch_execz .LBB189_84
; %bb.83:
	global_load_u16 v6, v[3:4], off offset:2624
	s_waitcnt vmcnt(0)
	v_lshlrev_b32_e32 v42, 16, v6
.LBB189_84:
	s_or_b32 exec_lo, exec_lo, s42
	v_add_nc_u32_e32 v6, 0x540, v2
	v_mov_b32_e32 v39, 0xff800000
	v_mov_b32_e32 v43, 0xff800000
	s_delay_alu instid0(VALU_DEP_3) | instskip(NEXT) | instid1(VALU_DEP_1)
	v_cmp_gt_i32_e64 s42, s74, v6
	s_and_b32 s44, s64, s42
	s_delay_alu instid0(SALU_CYCLE_1)
	s_and_saveexec_b32 s43, s44
	s_cbranch_execz .LBB189_86
; %bb.85:
	global_load_u16 v6, v[3:4], off offset:2688
	s_waitcnt vmcnt(0)
	v_lshlrev_b32_e32 v43, 16, v6
.LBB189_86:
	s_or_b32 exec_lo, exec_lo, s43
	v_add_nc_u32_e32 v6, 0x560, v2
	s_delay_alu instid0(VALU_DEP_1) | instskip(NEXT) | instid1(VALU_DEP_1)
	v_cmp_gt_i32_e64 s43, s74, v6
	s_and_b32 s45, s64, s43
	s_delay_alu instid0(SALU_CYCLE_1)
	s_and_saveexec_b32 s44, s45
	s_cbranch_execz .LBB189_88
; %bb.87:
	global_load_u16 v6, v[3:4], off offset:2752
	s_waitcnt vmcnt(0)
	v_lshlrev_b32_e32 v39, 16, v6
.LBB189_88:
	s_or_b32 exec_lo, exec_lo, s44
	v_add_nc_u32_e32 v6, 0x580, v2
	v_dual_mov_b32 v37, 0xff800000 :: v_dual_mov_b32 v38, 0xff800000
	s_delay_alu instid0(VALU_DEP_2) | instskip(NEXT) | instid1(VALU_DEP_1)
	v_cmp_gt_i32_e64 s44, s74, v6
	s_and_b32 s46, s64, s44
	s_delay_alu instid0(SALU_CYCLE_1)
	s_and_saveexec_b32 s45, s46
	s_cbranch_execz .LBB189_90
; %bb.89:
	global_load_u16 v6, v[3:4], off offset:2816
	s_waitcnt vmcnt(0)
	v_lshlrev_b32_e32 v38, 16, v6
.LBB189_90:
	s_or_b32 exec_lo, exec_lo, s45
	v_add_nc_u32_e32 v6, 0x5a0, v2
	s_delay_alu instid0(VALU_DEP_1) | instskip(NEXT) | instid1(VALU_DEP_1)
	v_cmp_gt_i32_e64 s45, s74, v6
	s_and_b32 s47, s64, s45
	s_delay_alu instid0(SALU_CYCLE_1)
	s_and_saveexec_b32 s46, s47
	s_cbranch_execz .LBB189_92
; %bb.91:
	global_load_u16 v6, v[3:4], off offset:2880
	s_waitcnt vmcnt(0)
	v_lshlrev_b32_e32 v37, 16, v6
.LBB189_92:
	s_or_b32 exec_lo, exec_lo, s46
	v_add_nc_u32_e32 v6, 0x5c0, v2
	v_dual_mov_b32 v33, 0xff800000 :: v_dual_mov_b32 v36, 0xff800000
	s_delay_alu instid0(VALU_DEP_2) | instskip(NEXT) | instid1(VALU_DEP_1)
	v_cmp_gt_i32_e64 s46, s74, v6
	s_and_b32 s48, s64, s46
	s_delay_alu instid0(SALU_CYCLE_1)
	s_and_saveexec_b32 s47, s48
	s_cbranch_execz .LBB189_94
; %bb.93:
	global_load_u16 v6, v[3:4], off offset:2944
	s_waitcnt vmcnt(0)
	v_lshlrev_b32_e32 v36, 16, v6
.LBB189_94:
	s_or_b32 exec_lo, exec_lo, s47
	v_add_nc_u32_e32 v6, 0x5e0, v2
	s_delay_alu instid0(VALU_DEP_1) | instskip(NEXT) | instid1(VALU_DEP_1)
	v_cmp_gt_i32_e64 s47, s74, v6
	s_and_b32 s49, s64, s47
	s_delay_alu instid0(SALU_CYCLE_1)
	s_and_saveexec_b32 s48, s49
	s_cbranch_execz .LBB189_96
; %bb.95:
	global_load_u16 v6, v[3:4], off offset:3008
	s_waitcnt vmcnt(0)
	v_lshlrev_b32_e32 v33, 16, v6
.LBB189_96:
	s_or_b32 exec_lo, exec_lo, s48
	v_add_nc_u32_e32 v6, 0x600, v2
	v_mov_b32_e32 v30, 0xff800000
	v_mov_b32_e32 v34, 0xff800000
	s_delay_alu instid0(VALU_DEP_3) | instskip(NEXT) | instid1(VALU_DEP_1)
	v_cmp_gt_i32_e64 s48, s74, v6
	s_and_b32 s50, s64, s48
	s_delay_alu instid0(SALU_CYCLE_1)
	s_and_saveexec_b32 s49, s50
	s_cbranch_execz .LBB189_98
; %bb.97:
	global_load_u16 v6, v[3:4], off offset:3072
	s_waitcnt vmcnt(0)
	v_lshlrev_b32_e32 v34, 16, v6
.LBB189_98:
	s_or_b32 exec_lo, exec_lo, s49
	v_add_nc_u32_e32 v6, 0x620, v2
	s_delay_alu instid0(VALU_DEP_1) | instskip(NEXT) | instid1(VALU_DEP_1)
	v_cmp_gt_i32_e64 s49, s74, v6
	s_and_b32 s51, s64, s49
	s_delay_alu instid0(SALU_CYCLE_1)
	s_and_saveexec_b32 s50, s51
	s_cbranch_execz .LBB189_100
; %bb.99:
	global_load_u16 v6, v[3:4], off offset:3136
	s_waitcnt vmcnt(0)
	v_lshlrev_b32_e32 v30, 16, v6
.LBB189_100:
	s_or_b32 exec_lo, exec_lo, s50
	v_add_nc_u32_e32 v6, 0x640, v2
	v_dual_mov_b32 v26, 0xff800000 :: v_dual_mov_b32 v29, 0xff800000
	s_delay_alu instid0(VALU_DEP_2) | instskip(NEXT) | instid1(VALU_DEP_1)
	v_cmp_gt_i32_e64 s50, s74, v6
	s_and_b32 s52, s64, s50
	s_delay_alu instid0(SALU_CYCLE_1)
	s_and_saveexec_b32 s51, s52
	s_cbranch_execz .LBB189_102
; %bb.101:
	global_load_u16 v6, v[3:4], off offset:3200
	s_waitcnt vmcnt(0)
	v_lshlrev_b32_e32 v29, 16, v6
.LBB189_102:
	s_or_b32 exec_lo, exec_lo, s51
	v_add_nc_u32_e32 v6, 0x660, v2
	s_delay_alu instid0(VALU_DEP_1) | instskip(NEXT) | instid1(VALU_DEP_1)
	v_cmp_gt_i32_e64 s51, s74, v6
	s_and_b32 s53, s64, s51
	s_delay_alu instid0(SALU_CYCLE_1)
	s_and_saveexec_b32 s52, s53
	s_cbranch_execz .LBB189_104
; %bb.103:
	global_load_u16 v6, v[3:4], off offset:3264
	s_waitcnt vmcnt(0)
	v_lshlrev_b32_e32 v26, 16, v6
.LBB189_104:
	s_or_b32 exec_lo, exec_lo, s52
	v_add_nc_u32_e32 v6, 0x680, v2
	v_mov_b32_e32 v21, 0xff800000
	v_mov_b32_e32 v25, 0xff800000
	s_delay_alu instid0(VALU_DEP_3) | instskip(NEXT) | instid1(VALU_DEP_1)
	;; [unrolled: 55-line block ×4, first 2 shown]
	v_cmp_gt_i32_e64 s60, s74, v6
	s_and_b32 s62, s64, s60
	s_delay_alu instid0(SALU_CYCLE_1)
	s_and_saveexec_b32 s61, s62
	s_cbranch_execz .LBB189_122
; %bb.121:
	global_load_u16 v6, v[3:4], off offset:3840
	s_waitcnt vmcnt(0)
	v_lshlrev_b32_e32 v9, 16, v6
.LBB189_122:
	s_or_b32 exec_lo, exec_lo, s61
	v_add_nc_u32_e32 v6, 0x7a0, v2
	s_delay_alu instid0(VALU_DEP_1) | instskip(NEXT) | instid1(VALU_DEP_1)
	v_cmp_gt_i32_e64 s61, s74, v6
	s_and_b32 s63, s64, s61
	s_delay_alu instid0(SALU_CYCLE_1)
	s_and_saveexec_b32 s62, s63
	s_cbranch_execz .LBB189_124
; %bb.123:
	global_load_u16 v6, v[3:4], off offset:3904
	s_waitcnt vmcnt(0)
	v_lshlrev_b32_e32 v7, 16, v6
.LBB189_124:
	s_or_b32 exec_lo, exec_lo, s62
	v_add_nc_u32_e32 v6, 0x7c0, v2
	v_mov_b32_e32 v8, 0xff800000
	s_delay_alu instid0(VALU_DEP_2) | instskip(SKIP_1) | instid1(VALU_DEP_2)
	v_cmp_gt_i32_e64 s62, s74, v6
	v_mov_b32_e32 v6, 0xff800000
	s_and_b32 s65, s64, s62
	s_delay_alu instid0(SALU_CYCLE_1)
	s_and_saveexec_b32 s63, s65
	s_cbranch_execz .LBB189_126
; %bb.125:
	global_load_u16 v8, v[3:4], off offset:3968
	s_waitcnt vmcnt(0)
	v_lshlrev_b32_e32 v8, 16, v8
.LBB189_126:
	s_or_b32 exec_lo, exec_lo, s63
	v_add_nc_u32_e32 v2, 0x7e0, v2
	s_delay_alu instid0(VALU_DEP_1) | instskip(NEXT) | instid1(VALU_DEP_1)
	v_cmp_gt_i32_e64 s63, s74, v2
	s_and_b32 s65, s64, s63
	s_delay_alu instid0(SALU_CYCLE_1)
	s_and_saveexec_b32 s64, s65
	s_cbranch_execz .LBB189_128
; %bb.127:
	global_load_u16 v2, v[3:4], off offset:4032
	s_waitcnt vmcnt(0)
	v_lshlrev_b32_e32 v6, 16, v2
.LBB189_128:
	s_or_b32 exec_lo, exec_lo, s64
	v_cmp_gt_f32_e64 s64, v73, v15
	v_mbcnt_lo_u32_b32 v18, -1, 0
	s_mov_b32 s65, exec_lo
	s_delay_alu instid0(VALU_DEP_2) | instskip(NEXT) | instid1(VALU_DEP_1)
	v_cndmask_b32_e64 v2, v15, v73, s64
	v_cmp_gt_f32_e64 s64, v2, v19
	s_delay_alu instid0(VALU_DEP_1) | instskip(NEXT) | instid1(VALU_DEP_1)
	v_cndmask_b32_e64 v2, v19, v2, s64
	v_cmp_gt_f32_e64 s64, v2, v20
	s_delay_alu instid0(VALU_DEP_1) | instskip(NEXT) | instid1(VALU_DEP_1)
	;; [unrolled: 3-line block ×61, first 2 shown]
	v_cndmask_b32_e64 v2, v8, v2, s64
	v_cmp_gt_f32_e64 s64, v2, v6
	s_delay_alu instid0(VALU_DEP_1) | instskip(SKIP_1) | instid1(VALU_DEP_1)
	v_cndmask_b32_e64 v3, v6, v2, s64
	v_xor_b32_e32 v2, 16, v18
	v_cmp_gt_i32_e64 s64, 32, v2
	s_delay_alu instid0(VALU_DEP_1) | instskip(NEXT) | instid1(VALU_DEP_1)
	v_cndmask_b32_e64 v2, v18, v2, s64
	v_lshlrev_b32_e32 v2, 2, v2
	ds_bpermute_b32 v4, v2, v3
	s_waitcnt lgkmcnt(0)
	v_cmp_lt_f32_e64 s64, v3, v4
	s_delay_alu instid0(VALU_DEP_1) | instskip(SKIP_1) | instid1(VALU_DEP_1)
	v_cndmask_b32_e64 v3, v3, v4, s64
	v_xor_b32_e32 v4, 8, v18
	v_cmp_gt_i32_e64 s64, 32, v4
	s_delay_alu instid0(VALU_DEP_1) | instskip(NEXT) | instid1(VALU_DEP_1)
	v_cndmask_b32_e64 v4, v18, v4, s64
	v_lshlrev_b32_e32 v4, 2, v4
	ds_bpermute_b32 v13, v4, v3
	s_waitcnt lgkmcnt(0)
	v_cmp_lt_f32_e64 s64, v3, v13
	s_delay_alu instid0(VALU_DEP_1) | instskip(SKIP_1) | instid1(VALU_DEP_1)
	v_cndmask_b32_e64 v3, v3, v13, s64
	v_xor_b32_e32 v13, 4, v18
	v_cmp_gt_i32_e64 s64, 32, v13
	s_delay_alu instid0(VALU_DEP_1) | instskip(NEXT) | instid1(VALU_DEP_1)
	v_cndmask_b32_e64 v13, v18, v13, s64
	v_lshlrev_b32_e32 v13, 2, v13
	ds_bpermute_b32 v14, v13, v3
	s_waitcnt lgkmcnt(0)
	v_cmp_lt_f32_e64 s64, v3, v14
	s_delay_alu instid0(VALU_DEP_1) | instskip(SKIP_1) | instid1(VALU_DEP_1)
	v_cndmask_b32_e64 v3, v3, v14, s64
	v_xor_b32_e32 v14, 2, v18
	v_cmp_gt_i32_e64 s64, 32, v14
	s_delay_alu instid0(VALU_DEP_1) | instskip(NEXT) | instid1(VALU_DEP_1)
	v_cndmask_b32_e64 v14, v18, v14, s64
	v_lshlrev_b32_e32 v14, 2, v14
	ds_bpermute_b32 v24, v14, v3
	s_waitcnt lgkmcnt(0)
	v_cmp_lt_f32_e64 s64, v3, v24
	s_delay_alu instid0(VALU_DEP_1) | instskip(SKIP_1) | instid1(VALU_DEP_1)
	v_cndmask_b32_e64 v3, v3, v24, s64
	v_xor_b32_e32 v24, 1, v18
	v_cmp_gt_i32_e64 s64, 32, v24
	s_delay_alu instid0(VALU_DEP_1) | instskip(NEXT) | instid1(VALU_DEP_1)
	v_cndmask_b32_e64 v18, v18, v24, s64
	v_lshlrev_b32_e32 v18, 2, v18
	ds_bpermute_b32 v24, v18, v3
	s_waitcnt lgkmcnt(0)
	v_cmp_lt_f32_e64 s64, v3, v24
	s_delay_alu instid0(VALU_DEP_1) | instskip(NEXT) | instid1(VALU_DEP_1)
	v_cndmask_b32_e64 v24, v3, v24, s64
	v_sub_f32_e32 v15, v15, v24
	v_sub_f32_e32 v3, v73, v24
	;; [unrolled: 1-line block ×6, first 2 shown]
	v_mul_f32_e32 v73, 0x3fb8aa3b, v3
	v_cmp_ngt_f32_e64 s64, 0xc2ce8ed0, v3
	v_sub_f32_e32 v32, v32, v24
	v_sub_f32_e32 v40, v40, v24
	;; [unrolled: 1-line block ×3, first 2 shown]
	v_fma_f32 v74, 0x3fb8aa3b, v3, -v73
	v_rndne_f32_e32 v75, v73
	v_sub_f32_e32 v44, v44, v24
	v_sub_f32_e32 v46, v46, v24
	;; [unrolled: 1-line block ×3, first 2 shown]
	v_fmac_f32_e32 v74, 0x32a5705f, v3
	v_dual_sub_f32 v73, v73, v75 :: v_dual_sub_f32 v54, v54, v24
	v_sub_f32_e32 v55, v55, v24
	v_sub_f32_e32 v58, v58, v24
	s_delay_alu instid0(VALU_DEP_3)
	v_dual_sub_f32 v62, v62, v24 :: v_dual_add_f32 v73, v73, v74
	v_cvt_i32_f32_e32 v74, v75
	v_sub_f32_e32 v64, v64, v24
	v_sub_f32_e32 v66, v66, v24
	;; [unrolled: 1-line block ×3, first 2 shown]
	v_exp_f32_e32 v73, v73
	v_sub_f32_e32 v72, v72, v24
	v_sub_f32_e32 v70, v70, v24
	;; [unrolled: 1-line block ×9, first 2 shown]
	v_ldexp_f32 v73, v73, v74
	v_mul_f32_e32 v74, 0x3fb8aa3b, v15
	v_sub_f32_e32 v34, v34, v24
	v_sub_f32_e32 v30, v30, v24
	;; [unrolled: 1-line block ×3, first 2 shown]
	v_cndmask_b32_e64 v73, 0, v73, s64
	v_fma_f32 v75, 0x3fb8aa3b, v15, -v74
	v_rndne_f32_e32 v76, v74
	v_sub_f32_e32 v19, v19, v24
	v_cmp_nlt_f32_e64 s64, 0x42b17218, v3
	s_delay_alu instid0(VALU_DEP_4) | instskip(NEXT) | instid1(VALU_DEP_4)
	v_dual_sub_f32 v22, v22, v24 :: v_dual_fmac_f32 v75, 0x32a5705f, v15
	v_sub_f32_e32 v74, v74, v76
	v_sub_f32_e32 v11, v11, v24
	s_delay_alu instid0(VALU_DEP_4)
	v_cndmask_b32_e64 v73, 0x7f800000, v73, s64
	v_cmp_ngt_f32_e64 s64, 0xc2ce8ed0, v15
	v_sub_f32_e32 v16, v16, v24
	v_add_f32_e32 v74, v74, v75
	v_cvt_i32_f32_e32 v75, v76
	v_sub_f32_e32 v10, v10, v24
	v_sub_f32_e32 v12, v12, v24
	;; [unrolled: 1-line block ×3, first 2 shown]
	v_exp_f32_e32 v74, v74
	v_sub_f32_e32 v6, v6, v24
	v_sub_f32_e32 v27, v27, v24
	v_sub_f32_e32 v31, v31, v24
	v_sub_f32_e32 v41, v41, v24
	v_sub_f32_e32 v49, v49, v24
	v_sub_f32_e32 v53, v53, v24
	v_sub_f32_e32 v59, v59, v24
	v_sub_f32_e32 v63, v63, v24
	v_sub_f32_e32 v65, v65, v24
	v_ldexp_f32 v74, v74, v75
	v_sub_f32_e32 v67, v67, v24
	v_sub_f32_e32 v69, v69, v24
	;; [unrolled: 1-line block ×4, first 2 shown]
	v_cndmask_b32_e64 v74, 0, v74, s64
	v_cmp_nlt_f32_e64 s64, 0x42b17218, v15
	v_sub_f32_e32 v57, v57, v24
	v_sub_f32_e32 v51, v51, v24
	;; [unrolled: 1-line block ×4, first 2 shown]
	v_cndmask_b32_e64 v74, 0x7f800000, v74, s64
	v_cmp_ngt_f32_e64 s64, 0xc2ce8ed0, v19
	v_sub_f32_e32 v39, v39, v24
	v_sub_f32_e32 v37, v37, v24
	;; [unrolled: 1-line block ×3, first 2 shown]
	v_dual_add_f32 v73, v73, v74 :: v_dual_mul_f32 v74, 0x3fb8aa3b, v19
	v_sub_f32_e32 v29, v29, v24
	v_sub_f32_e32 v25, v25, v24
	;; [unrolled: 1-line block ×4, first 2 shown]
	v_fma_f32 v75, 0x3fb8aa3b, v19, -v74
	v_rndne_f32_e32 v76, v74
	v_sub_f32_e32 v9, v9, v24
	v_dual_sub_f32 v7, v7, v24 :: v_dual_mul_f32 v24, 0x3fb8aa3b, v6
	s_delay_alu instid0(VALU_DEP_3) | instskip(NEXT) | instid1(VALU_DEP_1)
	v_dual_fmac_f32 v75, 0x32a5705f, v19 :: v_dual_sub_f32 v74, v74, v76
	v_add_f32_e32 v74, v74, v75
	v_cvt_i32_f32_e32 v75, v76
	s_delay_alu instid0(VALU_DEP_2) | instskip(SKIP_2) | instid1(VALU_DEP_1)
	v_exp_f32_e32 v74, v74
	s_waitcnt_depctr 0xfff
	v_ldexp_f32 v74, v74, v75
	v_cndmask_b32_e64 v74, 0, v74, s64
	v_cmp_nlt_f32_e64 s64, 0x42b17218, v19
	s_delay_alu instid0(VALU_DEP_1) | instskip(SKIP_1) | instid1(VALU_DEP_2)
	v_cndmask_b32_e64 v74, 0x7f800000, v74, s64
	v_cmp_ngt_f32_e64 s64, 0xc2ce8ed0, v20
	v_dual_add_f32 v73, v73, v74 :: v_dual_mul_f32 v74, 0x3fb8aa3b, v20
	s_delay_alu instid0(VALU_DEP_1) | instskip(SKIP_1) | instid1(VALU_DEP_2)
	v_fma_f32 v75, 0x3fb8aa3b, v20, -v74
	v_rndne_f32_e32 v76, v74
	v_fmac_f32_e32 v75, 0x32a5705f, v20
	s_delay_alu instid0(VALU_DEP_2) | instskip(NEXT) | instid1(VALU_DEP_1)
	v_sub_f32_e32 v74, v74, v76
	v_add_f32_e32 v74, v74, v75
	v_cvt_i32_f32_e32 v75, v76
	s_delay_alu instid0(VALU_DEP_2) | instskip(SKIP_2) | instid1(VALU_DEP_1)
	v_exp_f32_e32 v74, v74
	s_waitcnt_depctr 0xfff
	v_ldexp_f32 v74, v74, v75
	v_cndmask_b32_e64 v74, 0, v74, s64
	v_cmp_nlt_f32_e64 s64, 0x42b17218, v20
	s_delay_alu instid0(VALU_DEP_1) | instskip(NEXT) | instid1(VALU_DEP_1)
	v_cndmask_b32_e64 v74, 0x7f800000, v74, s64
	v_dual_add_f32 v73, v73, v74 :: v_dual_mul_f32 v74, 0x3fb8aa3b, v23
	s_delay_alu instid0(VALU_DEP_1) | instskip(SKIP_1) | instid1(VALU_DEP_1)
	v_fma_f32 v75, 0x3fb8aa3b, v23, -v74
	v_rndne_f32_e32 v76, v74
	v_dual_fmac_f32 v75, 0x32a5705f, v23 :: v_dual_sub_f32 v74, v74, v76
	s_delay_alu instid0(VALU_DEP_1) | instskip(SKIP_2) | instid1(VALU_DEP_3)
	v_add_f32_e32 v74, v74, v75
	v_cvt_i32_f32_e32 v75, v76
	v_cmp_ngt_f32_e64 s64, 0xc2ce8ed0, v23
	v_exp_f32_e32 v74, v74
	s_waitcnt_depctr 0xfff
	v_ldexp_f32 v74, v74, v75
	s_delay_alu instid0(VALU_DEP_1) | instskip(SKIP_1) | instid1(VALU_DEP_1)
	v_cndmask_b32_e64 v74, 0, v74, s64
	v_cmp_nlt_f32_e64 s64, 0x42b17218, v23
	v_cndmask_b32_e64 v74, 0x7f800000, v74, s64
	v_cmp_ngt_f32_e64 s64, 0xc2ce8ed0, v27
	s_delay_alu instid0(VALU_DEP_2) | instskip(NEXT) | instid1(VALU_DEP_1)
	v_dual_add_f32 v73, v73, v74 :: v_dual_mul_f32 v74, 0x3fb8aa3b, v27
	v_fma_f32 v75, 0x3fb8aa3b, v27, -v74
	v_rndne_f32_e32 v76, v74
	s_delay_alu instid0(VALU_DEP_1) | instskip(NEXT) | instid1(VALU_DEP_1)
	v_dual_fmac_f32 v75, 0x32a5705f, v27 :: v_dual_sub_f32 v74, v74, v76
	v_add_f32_e32 v74, v74, v75
	v_cvt_i32_f32_e32 v75, v76
	s_delay_alu instid0(VALU_DEP_2) | instskip(SKIP_2) | instid1(VALU_DEP_1)
	v_exp_f32_e32 v74, v74
	s_waitcnt_depctr 0xfff
	v_ldexp_f32 v74, v74, v75
	v_cndmask_b32_e64 v74, 0, v74, s64
	v_cmp_nlt_f32_e64 s64, 0x42b17218, v27
	s_delay_alu instid0(VALU_DEP_1) | instskip(SKIP_1) | instid1(VALU_DEP_2)
	v_cndmask_b32_e64 v74, 0x7f800000, v74, s64
	v_cmp_ngt_f32_e64 s64, 0xc2ce8ed0, v28
	v_dual_add_f32 v73, v73, v74 :: v_dual_mul_f32 v74, 0x3fb8aa3b, v28
	s_delay_alu instid0(VALU_DEP_1) | instskip(SKIP_1) | instid1(VALU_DEP_2)
	v_fma_f32 v75, 0x3fb8aa3b, v28, -v74
	v_rndne_f32_e32 v76, v74
	v_fmac_f32_e32 v75, 0x32a5705f, v28
	s_delay_alu instid0(VALU_DEP_2) | instskip(NEXT) | instid1(VALU_DEP_1)
	v_sub_f32_e32 v74, v74, v76
	v_add_f32_e32 v74, v74, v75
	v_cvt_i32_f32_e32 v75, v76
	s_delay_alu instid0(VALU_DEP_2) | instskip(SKIP_2) | instid1(VALU_DEP_1)
	v_exp_f32_e32 v74, v74
	s_waitcnt_depctr 0xfff
	v_ldexp_f32 v74, v74, v75
	v_cndmask_b32_e64 v74, 0, v74, s64
	v_cmp_nlt_f32_e64 s64, 0x42b17218, v28
	s_delay_alu instid0(VALU_DEP_1) | instskip(SKIP_1) | instid1(VALU_DEP_2)
	v_cndmask_b32_e64 v74, 0x7f800000, v74, s64
	v_cmp_ngt_f32_e64 s64, 0xc2ce8ed0, v31
	v_dual_add_f32 v73, v73, v74 :: v_dual_mul_f32 v74, 0x3fb8aa3b, v31
	s_delay_alu instid0(VALU_DEP_1) | instskip(SKIP_1) | instid1(VALU_DEP_1)
	v_fma_f32 v75, 0x3fb8aa3b, v31, -v74
	v_rndne_f32_e32 v76, v74
	v_dual_fmac_f32 v75, 0x32a5705f, v31 :: v_dual_sub_f32 v74, v74, v76
	s_delay_alu instid0(VALU_DEP_1) | instskip(SKIP_1) | instid1(VALU_DEP_2)
	v_add_f32_e32 v74, v74, v75
	v_cvt_i32_f32_e32 v75, v76
	v_exp_f32_e32 v74, v74
	s_waitcnt_depctr 0xfff
	v_ldexp_f32 v74, v74, v75
	s_delay_alu instid0(VALU_DEP_1) | instskip(SKIP_1) | instid1(VALU_DEP_1)
	v_cndmask_b32_e64 v74, 0, v74, s64
	v_cmp_nlt_f32_e64 s64, 0x42b17218, v31
	v_cndmask_b32_e64 v74, 0x7f800000, v74, s64
	v_cmp_ngt_f32_e64 s64, 0xc2ce8ed0, v32
	s_delay_alu instid0(VALU_DEP_2) | instskip(NEXT) | instid1(VALU_DEP_1)
	v_dual_add_f32 v73, v73, v74 :: v_dual_mul_f32 v74, 0x3fb8aa3b, v32
	v_fma_f32 v75, 0x3fb8aa3b, v32, -v74
	v_rndne_f32_e32 v76, v74
	s_delay_alu instid0(VALU_DEP_2) | instskip(NEXT) | instid1(VALU_DEP_2)
	v_fmac_f32_e32 v75, 0x32a5705f, v32
	v_sub_f32_e32 v74, v74, v76
	s_delay_alu instid0(VALU_DEP_1) | instskip(SKIP_1) | instid1(VALU_DEP_2)
	v_add_f32_e32 v74, v74, v75
	v_cvt_i32_f32_e32 v75, v76
	v_exp_f32_e32 v74, v74
	s_waitcnt_depctr 0xfff
	v_ldexp_f32 v74, v74, v75
	s_delay_alu instid0(VALU_DEP_1) | instskip(SKIP_1) | instid1(VALU_DEP_1)
	v_cndmask_b32_e64 v74, 0, v74, s64
	v_cmp_nlt_f32_e64 s64, 0x42b17218, v32
	v_cndmask_b32_e64 v74, 0x7f800000, v74, s64
	s_delay_alu instid0(VALU_DEP_1) | instskip(NEXT) | instid1(VALU_DEP_1)
	v_dual_add_f32 v73, v73, v74 :: v_dual_mul_f32 v74, 0x3fb8aa3b, v35
	v_fma_f32 v75, 0x3fb8aa3b, v35, -v74
	v_rndne_f32_e32 v76, v74
	s_delay_alu instid0(VALU_DEP_1) | instskip(NEXT) | instid1(VALU_DEP_1)
	v_dual_fmac_f32 v75, 0x32a5705f, v35 :: v_dual_sub_f32 v74, v74, v76
	v_add_f32_e32 v74, v74, v75
	v_cvt_i32_f32_e32 v75, v76
	v_cmp_ngt_f32_e64 s64, 0xc2ce8ed0, v35
	s_delay_alu instid0(VALU_DEP_3) | instskip(SKIP_2) | instid1(VALU_DEP_1)
	v_exp_f32_e32 v74, v74
	s_waitcnt_depctr 0xfff
	v_ldexp_f32 v74, v74, v75
	v_cndmask_b32_e64 v74, 0, v74, s64
	v_cmp_nlt_f32_e64 s64, 0x42b17218, v35
	s_delay_alu instid0(VALU_DEP_1) | instskip(SKIP_1) | instid1(VALU_DEP_2)
	v_cndmask_b32_e64 v74, 0x7f800000, v74, s64
	v_cmp_ngt_f32_e64 s64, 0xc2ce8ed0, v40
	v_dual_add_f32 v73, v73, v74 :: v_dual_mul_f32 v74, 0x3fb8aa3b, v40
	s_delay_alu instid0(VALU_DEP_1) | instskip(SKIP_1) | instid1(VALU_DEP_2)
	v_fma_f32 v75, 0x3fb8aa3b, v40, -v74
	v_rndne_f32_e32 v76, v74
	v_fmac_f32_e32 v75, 0x32a5705f, v40
	s_delay_alu instid0(VALU_DEP_2) | instskip(NEXT) | instid1(VALU_DEP_1)
	v_sub_f32_e32 v74, v74, v76
	v_add_f32_e32 v74, v74, v75
	v_cvt_i32_f32_e32 v75, v76
	s_delay_alu instid0(VALU_DEP_2) | instskip(SKIP_2) | instid1(VALU_DEP_1)
	v_exp_f32_e32 v74, v74
	s_waitcnt_depctr 0xfff
	v_ldexp_f32 v74, v74, v75
	v_cndmask_b32_e64 v74, 0, v74, s64
	v_cmp_nlt_f32_e64 s64, 0x42b17218, v40
	s_delay_alu instid0(VALU_DEP_1) | instskip(SKIP_1) | instid1(VALU_DEP_2)
	v_cndmask_b32_e64 v74, 0x7f800000, v74, s64
	v_cmp_ngt_f32_e64 s64, 0xc2ce8ed0, v41
	v_dual_add_f32 v73, v73, v74 :: v_dual_mul_f32 v74, 0x3fb8aa3b, v41
	s_delay_alu instid0(VALU_DEP_1) | instskip(SKIP_1) | instid1(VALU_DEP_1)
	v_fma_f32 v75, 0x3fb8aa3b, v41, -v74
	v_rndne_f32_e32 v76, v74
	v_dual_fmac_f32 v75, 0x32a5705f, v41 :: v_dual_sub_f32 v74, v74, v76
	s_delay_alu instid0(VALU_DEP_1) | instskip(SKIP_1) | instid1(VALU_DEP_2)
	v_add_f32_e32 v74, v74, v75
	v_cvt_i32_f32_e32 v75, v76
	v_exp_f32_e32 v74, v74
	s_waitcnt_depctr 0xfff
	v_ldexp_f32 v74, v74, v75
	s_delay_alu instid0(VALU_DEP_1) | instskip(SKIP_1) | instid1(VALU_DEP_1)
	v_cndmask_b32_e64 v74, 0, v74, s64
	v_cmp_nlt_f32_e64 s64, 0x42b17218, v41
	v_cndmask_b32_e64 v74, 0x7f800000, v74, s64
	v_cmp_ngt_f32_e64 s64, 0xc2ce8ed0, v44
	s_delay_alu instid0(VALU_DEP_2) | instskip(NEXT) | instid1(VALU_DEP_1)
	v_dual_add_f32 v73, v73, v74 :: v_dual_mul_f32 v74, 0x3fb8aa3b, v44
	v_fma_f32 v75, 0x3fb8aa3b, v44, -v74
	v_rndne_f32_e32 v76, v74
	s_delay_alu instid0(VALU_DEP_2) | instskip(NEXT) | instid1(VALU_DEP_2)
	v_fmac_f32_e32 v75, 0x32a5705f, v44
	v_sub_f32_e32 v74, v74, v76
	s_delay_alu instid0(VALU_DEP_1) | instskip(SKIP_1) | instid1(VALU_DEP_2)
	v_add_f32_e32 v74, v74, v75
	v_cvt_i32_f32_e32 v75, v76
	v_exp_f32_e32 v74, v74
	s_waitcnt_depctr 0xfff
	v_ldexp_f32 v74, v74, v75
	s_delay_alu instid0(VALU_DEP_1) | instskip(SKIP_1) | instid1(VALU_DEP_1)
	v_cndmask_b32_e64 v74, 0, v74, s64
	v_cmp_nlt_f32_e64 s64, 0x42b17218, v44
	v_cndmask_b32_e64 v74, 0x7f800000, v74, s64
	s_delay_alu instid0(VALU_DEP_1) | instskip(NEXT) | instid1(VALU_DEP_1)
	v_dual_add_f32 v73, v73, v74 :: v_dual_mul_f32 v74, 0x3fb8aa3b, v45
	v_fma_f32 v75, 0x3fb8aa3b, v45, -v74
	v_rndne_f32_e32 v76, v74
	s_delay_alu instid0(VALU_DEP_1) | instskip(NEXT) | instid1(VALU_DEP_1)
	v_dual_fmac_f32 v75, 0x32a5705f, v45 :: v_dual_sub_f32 v74, v74, v76
	v_add_f32_e32 v74, v74, v75
	v_cvt_i32_f32_e32 v75, v76
	v_cmp_ngt_f32_e64 s64, 0xc2ce8ed0, v45
	s_delay_alu instid0(VALU_DEP_3) | instskip(SKIP_2) | instid1(VALU_DEP_1)
	v_exp_f32_e32 v74, v74
	s_waitcnt_depctr 0xfff
	v_ldexp_f32 v74, v74, v75
	v_cndmask_b32_e64 v74, 0, v74, s64
	v_cmp_nlt_f32_e64 s64, 0x42b17218, v45
	s_delay_alu instid0(VALU_DEP_1) | instskip(SKIP_1) | instid1(VALU_DEP_2)
	v_cndmask_b32_e64 v74, 0x7f800000, v74, s64
	v_cmp_ngt_f32_e64 s64, 0xc2ce8ed0, v46
	v_add_f32_e32 v73, v73, v74
	v_mul_f32_e32 v74, 0x3fb8aa3b, v46
	s_delay_alu instid0(VALU_DEP_1) | instskip(SKIP_1) | instid1(VALU_DEP_1)
	v_fma_f32 v75, 0x3fb8aa3b, v46, -v74
	v_rndne_f32_e32 v76, v74
	v_dual_fmac_f32 v75, 0x32a5705f, v46 :: v_dual_sub_f32 v74, v74, v76
	s_delay_alu instid0(VALU_DEP_1) | instskip(SKIP_1) | instid1(VALU_DEP_2)
	v_add_f32_e32 v74, v74, v75
	v_cvt_i32_f32_e32 v75, v76
	v_exp_f32_e32 v74, v74
	s_waitcnt_depctr 0xfff
	v_ldexp_f32 v74, v74, v75
	s_delay_alu instid0(VALU_DEP_1) | instskip(SKIP_1) | instid1(VALU_DEP_1)
	v_cndmask_b32_e64 v74, 0, v74, s64
	v_cmp_nlt_f32_e64 s64, 0x42b17218, v46
	v_cndmask_b32_e64 v74, 0x7f800000, v74, s64
	v_cmp_ngt_f32_e64 s64, 0xc2ce8ed0, v49
	s_delay_alu instid0(VALU_DEP_2) | instskip(NEXT) | instid1(VALU_DEP_1)
	v_dual_add_f32 v73, v73, v74 :: v_dual_mul_f32 v74, 0x3fb8aa3b, v49
	v_fma_f32 v75, 0x3fb8aa3b, v49, -v74
	v_rndne_f32_e32 v76, v74
	s_delay_alu instid0(VALU_DEP_1) | instskip(NEXT) | instid1(VALU_DEP_1)
	v_dual_fmac_f32 v75, 0x32a5705f, v49 :: v_dual_sub_f32 v74, v74, v76
	v_add_f32_e32 v74, v74, v75
	v_cvt_i32_f32_e32 v75, v76
	s_delay_alu instid0(VALU_DEP_2) | instskip(SKIP_2) | instid1(VALU_DEP_1)
	v_exp_f32_e32 v74, v74
	s_waitcnt_depctr 0xfff
	v_ldexp_f32 v74, v74, v75
	v_cndmask_b32_e64 v74, 0, v74, s64
	v_cmp_nlt_f32_e64 s64, 0x42b17218, v49
	s_delay_alu instid0(VALU_DEP_1) | instskip(SKIP_1) | instid1(VALU_DEP_2)
	v_cndmask_b32_e64 v74, 0x7f800000, v74, s64
	v_cmp_ngt_f32_e64 s64, 0xc2ce8ed0, v50
	v_add_f32_e32 v73, v73, v74
	v_mul_f32_e32 v74, 0x3fb8aa3b, v50
	s_delay_alu instid0(VALU_DEP_1) | instskip(SKIP_1) | instid1(VALU_DEP_1)
	v_fma_f32 v75, 0x3fb8aa3b, v50, -v74
	v_rndne_f32_e32 v76, v74
	v_dual_fmac_f32 v75, 0x32a5705f, v50 :: v_dual_sub_f32 v74, v74, v76
	s_delay_alu instid0(VALU_DEP_1) | instskip(SKIP_1) | instid1(VALU_DEP_2)
	v_add_f32_e32 v74, v74, v75
	v_cvt_i32_f32_e32 v75, v76
	v_exp_f32_e32 v74, v74
	s_waitcnt_depctr 0xfff
	v_ldexp_f32 v74, v74, v75
	s_delay_alu instid0(VALU_DEP_1) | instskip(SKIP_1) | instid1(VALU_DEP_1)
	v_cndmask_b32_e64 v74, 0, v74, s64
	v_cmp_nlt_f32_e64 s64, 0x42b17218, v50
	v_cndmask_b32_e64 v74, 0x7f800000, v74, s64
	v_cmp_ngt_f32_e64 s64, 0xc2ce8ed0, v53
	s_delay_alu instid0(VALU_DEP_2) | instskip(NEXT) | instid1(VALU_DEP_1)
	v_dual_add_f32 v73, v73, v74 :: v_dual_mul_f32 v74, 0x3fb8aa3b, v53
	v_fma_f32 v75, 0x3fb8aa3b, v53, -v74
	v_rndne_f32_e32 v76, v74
	s_delay_alu instid0(VALU_DEP_1) | instskip(NEXT) | instid1(VALU_DEP_1)
	v_dual_fmac_f32 v75, 0x32a5705f, v53 :: v_dual_sub_f32 v74, v74, v76
	v_add_f32_e32 v74, v74, v75
	v_cvt_i32_f32_e32 v75, v76
	s_delay_alu instid0(VALU_DEP_2) | instskip(SKIP_2) | instid1(VALU_DEP_1)
	v_exp_f32_e32 v74, v74
	s_waitcnt_depctr 0xfff
	v_ldexp_f32 v74, v74, v75
	v_cndmask_b32_e64 v74, 0, v74, s64
	v_cmp_nlt_f32_e64 s64, 0x42b17218, v53
	s_delay_alu instid0(VALU_DEP_1) | instskip(SKIP_1) | instid1(VALU_DEP_2)
	v_cndmask_b32_e64 v74, 0x7f800000, v74, s64
	v_cmp_ngt_f32_e64 s64, 0xc2ce8ed0, v54
	v_add_f32_e32 v73, v73, v74
	v_mul_f32_e32 v74, 0x3fb8aa3b, v54
	s_delay_alu instid0(VALU_DEP_1) | instskip(SKIP_1) | instid1(VALU_DEP_1)
	v_fma_f32 v75, 0x3fb8aa3b, v54, -v74
	v_rndne_f32_e32 v76, v74
	v_dual_fmac_f32 v75, 0x32a5705f, v54 :: v_dual_sub_f32 v74, v74, v76
	s_delay_alu instid0(VALU_DEP_1) | instskip(SKIP_1) | instid1(VALU_DEP_2)
	v_add_f32_e32 v74, v74, v75
	v_cvt_i32_f32_e32 v75, v76
	v_exp_f32_e32 v74, v74
	s_waitcnt_depctr 0xfff
	v_ldexp_f32 v74, v74, v75
	s_delay_alu instid0(VALU_DEP_1) | instskip(SKIP_1) | instid1(VALU_DEP_1)
	v_cndmask_b32_e64 v74, 0, v74, s64
	v_cmp_nlt_f32_e64 s64, 0x42b17218, v54
	v_cndmask_b32_e64 v74, 0x7f800000, v74, s64
	s_delay_alu instid0(VALU_DEP_1) | instskip(NEXT) | instid1(VALU_DEP_1)
	v_dual_add_f32 v73, v73, v74 :: v_dual_mul_f32 v74, 0x3fb8aa3b, v55
	v_fma_f32 v75, 0x3fb8aa3b, v55, -v74
	v_rndne_f32_e32 v76, v74
	s_delay_alu instid0(VALU_DEP_1) | instskip(NEXT) | instid1(VALU_DEP_1)
	v_dual_fmac_f32 v75, 0x32a5705f, v55 :: v_dual_sub_f32 v74, v74, v76
	v_add_f32_e32 v74, v74, v75
	v_cvt_i32_f32_e32 v75, v76
	v_cmp_ngt_f32_e64 s64, 0xc2ce8ed0, v55
	s_delay_alu instid0(VALU_DEP_3) | instskip(SKIP_2) | instid1(VALU_DEP_1)
	v_exp_f32_e32 v74, v74
	s_waitcnt_depctr 0xfff
	v_ldexp_f32 v74, v74, v75
	v_cndmask_b32_e64 v74, 0, v74, s64
	v_cmp_nlt_f32_e64 s64, 0x42b17218, v55
	s_delay_alu instid0(VALU_DEP_1) | instskip(SKIP_1) | instid1(VALU_DEP_2)
	v_cndmask_b32_e64 v74, 0x7f800000, v74, s64
	v_cmp_ngt_f32_e64 s64, 0xc2ce8ed0, v58
	v_add_f32_e32 v73, v73, v74
	v_mul_f32_e32 v74, 0x3fb8aa3b, v58
	s_delay_alu instid0(VALU_DEP_1) | instskip(SKIP_1) | instid1(VALU_DEP_1)
	v_fma_f32 v75, 0x3fb8aa3b, v58, -v74
	v_rndne_f32_e32 v76, v74
	v_dual_fmac_f32 v75, 0x32a5705f, v58 :: v_dual_sub_f32 v74, v74, v76
	s_delay_alu instid0(VALU_DEP_1) | instskip(SKIP_1) | instid1(VALU_DEP_2)
	v_add_f32_e32 v74, v74, v75
	v_cvt_i32_f32_e32 v75, v76
	v_exp_f32_e32 v74, v74
	s_waitcnt_depctr 0xfff
	v_ldexp_f32 v74, v74, v75
	s_delay_alu instid0(VALU_DEP_1) | instskip(SKIP_1) | instid1(VALU_DEP_1)
	v_cndmask_b32_e64 v74, 0, v74, s64
	v_cmp_nlt_f32_e64 s64, 0x42b17218, v58
	v_cndmask_b32_e64 v74, 0x7f800000, v74, s64
	v_cmp_ngt_f32_e64 s64, 0xc2ce8ed0, v59
	s_delay_alu instid0(VALU_DEP_2) | instskip(NEXT) | instid1(VALU_DEP_1)
	v_dual_add_f32 v73, v73, v74 :: v_dual_mul_f32 v74, 0x3fb8aa3b, v59
	v_fma_f32 v75, 0x3fb8aa3b, v59, -v74
	v_rndne_f32_e32 v76, v74
	s_delay_alu instid0(VALU_DEP_1) | instskip(NEXT) | instid1(VALU_DEP_1)
	v_dual_fmac_f32 v75, 0x32a5705f, v59 :: v_dual_sub_f32 v74, v74, v76
	v_add_f32_e32 v74, v74, v75
	v_cvt_i32_f32_e32 v75, v76
	s_delay_alu instid0(VALU_DEP_2) | instskip(SKIP_2) | instid1(VALU_DEP_1)
	v_exp_f32_e32 v74, v74
	s_waitcnt_depctr 0xfff
	v_ldexp_f32 v74, v74, v75
	v_cndmask_b32_e64 v74, 0, v74, s64
	v_cmp_nlt_f32_e64 s64, 0x42b17218, v59
	s_delay_alu instid0(VALU_DEP_1) | instskip(SKIP_1) | instid1(VALU_DEP_2)
	v_cndmask_b32_e64 v74, 0x7f800000, v74, s64
	v_cmp_ngt_f32_e64 s64, 0xc2ce8ed0, v62
	v_add_f32_e32 v73, v73, v74
	v_mul_f32_e32 v74, 0x3fb8aa3b, v62
	s_delay_alu instid0(VALU_DEP_1) | instskip(SKIP_1) | instid1(VALU_DEP_1)
	v_fma_f32 v75, 0x3fb8aa3b, v62, -v74
	v_rndne_f32_e32 v76, v74
	v_dual_fmac_f32 v75, 0x32a5705f, v62 :: v_dual_sub_f32 v74, v74, v76
	s_delay_alu instid0(VALU_DEP_1) | instskip(SKIP_1) | instid1(VALU_DEP_2)
	v_add_f32_e32 v74, v74, v75
	v_cvt_i32_f32_e32 v75, v76
	v_exp_f32_e32 v74, v74
	s_waitcnt_depctr 0xfff
	v_ldexp_f32 v74, v74, v75
	s_delay_alu instid0(VALU_DEP_1) | instskip(SKIP_1) | instid1(VALU_DEP_1)
	v_cndmask_b32_e64 v74, 0, v74, s64
	v_cmp_nlt_f32_e64 s64, 0x42b17218, v62
	v_cndmask_b32_e64 v74, 0x7f800000, v74, s64
	v_cmp_ngt_f32_e64 s64, 0xc2ce8ed0, v63
	s_delay_alu instid0(VALU_DEP_2) | instskip(NEXT) | instid1(VALU_DEP_1)
	v_dual_add_f32 v73, v73, v74 :: v_dual_mul_f32 v74, 0x3fb8aa3b, v63
	v_fma_f32 v75, 0x3fb8aa3b, v63, -v74
	v_rndne_f32_e32 v76, v74
	s_delay_alu instid0(VALU_DEP_1) | instskip(NEXT) | instid1(VALU_DEP_1)
	v_dual_fmac_f32 v75, 0x32a5705f, v63 :: v_dual_sub_f32 v74, v74, v76
	v_add_f32_e32 v74, v74, v75
	v_cvt_i32_f32_e32 v75, v76
	s_delay_alu instid0(VALU_DEP_2) | instskip(SKIP_2) | instid1(VALU_DEP_1)
	v_exp_f32_e32 v74, v74
	s_waitcnt_depctr 0xfff
	v_ldexp_f32 v74, v74, v75
	v_cndmask_b32_e64 v74, 0, v74, s64
	v_cmp_nlt_f32_e64 s64, 0x42b17218, v63
	s_delay_alu instid0(VALU_DEP_1) | instskip(SKIP_1) | instid1(VALU_DEP_2)
	v_cndmask_b32_e64 v74, 0x7f800000, v74, s64
	v_cmp_ngt_f32_e64 s64, 0xc2ce8ed0, v64
	v_dual_add_f32 v73, v73, v74 :: v_dual_mul_f32 v74, 0x3fb8aa3b, v64
	s_delay_alu instid0(VALU_DEP_1) | instskip(SKIP_1) | instid1(VALU_DEP_2)
	v_fma_f32 v75, 0x3fb8aa3b, v64, -v74
	v_rndne_f32_e32 v76, v74
	v_fmac_f32_e32 v75, 0x32a5705f, v64
	s_delay_alu instid0(VALU_DEP_2) | instskip(NEXT) | instid1(VALU_DEP_1)
	v_sub_f32_e32 v74, v74, v76
	v_add_f32_e32 v74, v74, v75
	v_cvt_i32_f32_e32 v75, v76
	s_delay_alu instid0(VALU_DEP_2) | instskip(SKIP_2) | instid1(VALU_DEP_1)
	v_exp_f32_e32 v74, v74
	s_waitcnt_depctr 0xfff
	v_ldexp_f32 v74, v74, v75
	v_cndmask_b32_e64 v74, 0, v74, s64
	v_cmp_nlt_f32_e64 s64, 0x42b17218, v64
	s_delay_alu instid0(VALU_DEP_1) | instskip(SKIP_1) | instid1(VALU_DEP_2)
	v_cndmask_b32_e64 v74, 0x7f800000, v74, s64
	v_cmp_ngt_f32_e64 s64, 0xc2ce8ed0, v65
	v_dual_add_f32 v73, v73, v74 :: v_dual_mul_f32 v74, 0x3fb8aa3b, v65
	s_delay_alu instid0(VALU_DEP_1) | instskip(SKIP_1) | instid1(VALU_DEP_1)
	v_fma_f32 v75, 0x3fb8aa3b, v65, -v74
	v_rndne_f32_e32 v76, v74
	v_dual_fmac_f32 v75, 0x32a5705f, v65 :: v_dual_sub_f32 v74, v74, v76
	s_delay_alu instid0(VALU_DEP_1) | instskip(SKIP_1) | instid1(VALU_DEP_2)
	v_add_f32_e32 v74, v74, v75
	v_cvt_i32_f32_e32 v75, v76
	v_exp_f32_e32 v74, v74
	s_waitcnt_depctr 0xfff
	v_ldexp_f32 v74, v74, v75
	s_delay_alu instid0(VALU_DEP_1) | instskip(SKIP_1) | instid1(VALU_DEP_1)
	v_cndmask_b32_e64 v74, 0, v74, s64
	v_cmp_nlt_f32_e64 s64, 0x42b17218, v65
	v_cndmask_b32_e64 v74, 0x7f800000, v74, s64
	v_cmp_ngt_f32_e64 s64, 0xc2ce8ed0, v66
	s_delay_alu instid0(VALU_DEP_2) | instskip(SKIP_1) | instid1(VALU_DEP_1)
	v_add_f32_e32 v73, v73, v74
	v_mul_f32_e32 v74, 0x3fb8aa3b, v66
	v_fma_f32 v75, 0x3fb8aa3b, v66, -v74
	v_rndne_f32_e32 v76, v74
	s_delay_alu instid0(VALU_DEP_1) | instskip(NEXT) | instid1(VALU_DEP_1)
	v_dual_fmac_f32 v75, 0x32a5705f, v66 :: v_dual_sub_f32 v74, v74, v76
	v_add_f32_e32 v74, v74, v75
	v_cvt_i32_f32_e32 v75, v76
	s_delay_alu instid0(VALU_DEP_2) | instskip(SKIP_2) | instid1(VALU_DEP_1)
	v_exp_f32_e32 v74, v74
	s_waitcnt_depctr 0xfff
	v_ldexp_f32 v74, v74, v75
	v_cndmask_b32_e64 v74, 0, v74, s64
	v_cmp_nlt_f32_e64 s64, 0x42b17218, v66
	s_delay_alu instid0(VALU_DEP_1) | instskip(SKIP_1) | instid1(VALU_DEP_2)
	v_cndmask_b32_e64 v74, 0x7f800000, v74, s64
	v_cmp_ngt_f32_e64 s64, 0xc2ce8ed0, v67
	v_dual_add_f32 v73, v73, v74 :: v_dual_mul_f32 v74, 0x3fb8aa3b, v67
	s_delay_alu instid0(VALU_DEP_1) | instskip(SKIP_1) | instid1(VALU_DEP_1)
	v_fma_f32 v75, 0x3fb8aa3b, v67, -v74
	v_rndne_f32_e32 v76, v74
	v_dual_fmac_f32 v75, 0x32a5705f, v67 :: v_dual_sub_f32 v74, v74, v76
	s_delay_alu instid0(VALU_DEP_1) | instskip(SKIP_1) | instid1(VALU_DEP_2)
	v_add_f32_e32 v74, v74, v75
	v_cvt_i32_f32_e32 v75, v76
	v_exp_f32_e32 v74, v74
	s_waitcnt_depctr 0xfff
	v_ldexp_f32 v74, v74, v75
	s_delay_alu instid0(VALU_DEP_1) | instskip(SKIP_1) | instid1(VALU_DEP_1)
	v_cndmask_b32_e64 v74, 0, v74, s64
	v_cmp_nlt_f32_e64 s64, 0x42b17218, v67
	v_cndmask_b32_e64 v74, 0x7f800000, v74, s64
	v_cmp_ngt_f32_e64 s64, 0xc2ce8ed0, v68
	s_delay_alu instid0(VALU_DEP_2) | instskip(NEXT) | instid1(VALU_DEP_1)
	v_dual_add_f32 v73, v73, v74 :: v_dual_mul_f32 v74, 0x3fb8aa3b, v68
	v_fma_f32 v75, 0x3fb8aa3b, v68, -v74
	v_rndne_f32_e32 v76, v74
	s_delay_alu instid0(VALU_DEP_2) | instskip(NEXT) | instid1(VALU_DEP_2)
	v_fmac_f32_e32 v75, 0x32a5705f, v68
	v_sub_f32_e32 v74, v74, v76
	s_delay_alu instid0(VALU_DEP_1) | instskip(SKIP_1) | instid1(VALU_DEP_2)
	v_add_f32_e32 v74, v74, v75
	v_cvt_i32_f32_e32 v75, v76
	v_exp_f32_e32 v74, v74
	s_waitcnt_depctr 0xfff
	v_ldexp_f32 v74, v74, v75
	s_delay_alu instid0(VALU_DEP_1) | instskip(SKIP_1) | instid1(VALU_DEP_1)
	v_cndmask_b32_e64 v74, 0, v74, s64
	v_cmp_nlt_f32_e64 s64, 0x42b17218, v68
	v_cndmask_b32_e64 v74, 0x7f800000, v74, s64
	v_cmp_ngt_f32_e64 s64, 0xc2ce8ed0, v69
	s_delay_alu instid0(VALU_DEP_2) | instskip(NEXT) | instid1(VALU_DEP_1)
	v_dual_add_f32 v73, v73, v74 :: v_dual_mul_f32 v74, 0x3fb8aa3b, v69
	v_fma_f32 v75, 0x3fb8aa3b, v69, -v74
	v_rndne_f32_e32 v76, v74
	s_delay_alu instid0(VALU_DEP_1) | instskip(NEXT) | instid1(VALU_DEP_1)
	v_dual_fmac_f32 v75, 0x32a5705f, v69 :: v_dual_sub_f32 v74, v74, v76
	v_add_f32_e32 v74, v74, v75
	v_cvt_i32_f32_e32 v75, v76
	s_delay_alu instid0(VALU_DEP_2) | instskip(SKIP_2) | instid1(VALU_DEP_1)
	v_exp_f32_e32 v74, v74
	s_waitcnt_depctr 0xfff
	v_ldexp_f32 v74, v74, v75
	v_cndmask_b32_e64 v74, 0, v74, s64
	v_cmp_nlt_f32_e64 s64, 0x42b17218, v69
	s_delay_alu instid0(VALU_DEP_1) | instskip(SKIP_1) | instid1(VALU_DEP_2)
	v_cndmask_b32_e64 v74, 0x7f800000, v74, s64
	v_cmp_ngt_f32_e64 s64, 0xc2ce8ed0, v72
	v_dual_add_f32 v73, v73, v74 :: v_dual_mul_f32 v74, 0x3fb8aa3b, v72
	s_delay_alu instid0(VALU_DEP_1) | instskip(SKIP_1) | instid1(VALU_DEP_2)
	v_fma_f32 v75, 0x3fb8aa3b, v72, -v74
	v_rndne_f32_e32 v76, v74
	v_fmac_f32_e32 v75, 0x32a5705f, v72
	s_delay_alu instid0(VALU_DEP_2) | instskip(NEXT) | instid1(VALU_DEP_1)
	v_sub_f32_e32 v74, v74, v76
	v_add_f32_e32 v74, v74, v75
	v_cvt_i32_f32_e32 v75, v76
	s_delay_alu instid0(VALU_DEP_2) | instskip(SKIP_2) | instid1(VALU_DEP_1)
	v_exp_f32_e32 v74, v74
	s_waitcnt_depctr 0xfff
	v_ldexp_f32 v74, v74, v75
	v_cndmask_b32_e64 v74, 0, v74, s64
	v_cmp_nlt_f32_e64 s64, 0x42b17218, v72
	s_delay_alu instid0(VALU_DEP_1) | instskip(SKIP_1) | instid1(VALU_DEP_2)
	v_cndmask_b32_e64 v74, 0x7f800000, v74, s64
	v_cmp_ngt_f32_e64 s64, 0xc2ce8ed0, v71
	v_dual_add_f32 v73, v73, v74 :: v_dual_mul_f32 v74, 0x3fb8aa3b, v71
	s_delay_alu instid0(VALU_DEP_1) | instskip(SKIP_1) | instid1(VALU_DEP_1)
	v_fma_f32 v75, 0x3fb8aa3b, v71, -v74
	v_rndne_f32_e32 v76, v74
	v_dual_fmac_f32 v75, 0x32a5705f, v71 :: v_dual_sub_f32 v74, v74, v76
	s_delay_alu instid0(VALU_DEP_1) | instskip(SKIP_1) | instid1(VALU_DEP_2)
	v_add_f32_e32 v74, v74, v75
	v_cvt_i32_f32_e32 v75, v76
	v_exp_f32_e32 v74, v74
	s_waitcnt_depctr 0xfff
	v_ldexp_f32 v74, v74, v75
	s_delay_alu instid0(VALU_DEP_1) | instskip(SKIP_1) | instid1(VALU_DEP_1)
	v_cndmask_b32_e64 v74, 0, v74, s64
	v_cmp_nlt_f32_e64 s64, 0x42b17218, v71
	v_cndmask_b32_e64 v74, 0x7f800000, v74, s64
	v_cmp_ngt_f32_e64 s64, 0xc2ce8ed0, v70
	s_delay_alu instid0(VALU_DEP_2) | instskip(SKIP_1) | instid1(VALU_DEP_1)
	v_add_f32_e32 v73, v73, v74
	v_mul_f32_e32 v74, 0x3fb8aa3b, v70
	v_fma_f32 v75, 0x3fb8aa3b, v70, -v74
	v_rndne_f32_e32 v76, v74
	s_delay_alu instid0(VALU_DEP_1) | instskip(NEXT) | instid1(VALU_DEP_1)
	v_dual_fmac_f32 v75, 0x32a5705f, v70 :: v_dual_sub_f32 v74, v74, v76
	v_add_f32_e32 v74, v74, v75
	v_cvt_i32_f32_e32 v75, v76
	s_delay_alu instid0(VALU_DEP_2) | instskip(SKIP_2) | instid1(VALU_DEP_1)
	v_exp_f32_e32 v74, v74
	s_waitcnt_depctr 0xfff
	v_ldexp_f32 v74, v74, v75
	v_cndmask_b32_e64 v74, 0, v74, s64
	v_cmp_nlt_f32_e64 s64, 0x42b17218, v70
	s_delay_alu instid0(VALU_DEP_1) | instskip(SKIP_1) | instid1(VALU_DEP_2)
	v_cndmask_b32_e64 v74, 0x7f800000, v74, s64
	v_cmp_ngt_f32_e64 s64, 0xc2ce8ed0, v61
	v_dual_add_f32 v73, v73, v74 :: v_dual_mul_f32 v74, 0x3fb8aa3b, v61
	s_delay_alu instid0(VALU_DEP_1) | instskip(SKIP_1) | instid1(VALU_DEP_1)
	v_fma_f32 v75, 0x3fb8aa3b, v61, -v74
	v_rndne_f32_e32 v76, v74
	v_dual_fmac_f32 v75, 0x32a5705f, v61 :: v_dual_sub_f32 v74, v74, v76
	s_delay_alu instid0(VALU_DEP_1) | instskip(SKIP_1) | instid1(VALU_DEP_2)
	v_add_f32_e32 v74, v74, v75
	v_cvt_i32_f32_e32 v75, v76
	v_exp_f32_e32 v74, v74
	s_waitcnt_depctr 0xfff
	v_ldexp_f32 v74, v74, v75
	s_delay_alu instid0(VALU_DEP_1) | instskip(SKIP_1) | instid1(VALU_DEP_1)
	v_cndmask_b32_e64 v74, 0, v74, s64
	v_cmp_nlt_f32_e64 s64, 0x42b17218, v61
	v_cndmask_b32_e64 v74, 0x7f800000, v74, s64
	v_cmp_ngt_f32_e64 s64, 0xc2ce8ed0, v60
	s_delay_alu instid0(VALU_DEP_2) | instskip(NEXT) | instid1(VALU_DEP_1)
	v_dual_add_f32 v73, v73, v74 :: v_dual_mul_f32 v74, 0x3fb8aa3b, v60
	v_fma_f32 v75, 0x3fb8aa3b, v60, -v74
	v_rndne_f32_e32 v76, v74
	s_delay_alu instid0(VALU_DEP_2) | instskip(NEXT) | instid1(VALU_DEP_2)
	v_fmac_f32_e32 v75, 0x32a5705f, v60
	v_sub_f32_e32 v74, v74, v76
	s_delay_alu instid0(VALU_DEP_1) | instskip(SKIP_1) | instid1(VALU_DEP_2)
	v_add_f32_e32 v74, v74, v75
	v_cvt_i32_f32_e32 v75, v76
	v_exp_f32_e32 v74, v74
	s_waitcnt_depctr 0xfff
	v_ldexp_f32 v74, v74, v75
	s_delay_alu instid0(VALU_DEP_1) | instskip(SKIP_1) | instid1(VALU_DEP_1)
	v_cndmask_b32_e64 v74, 0, v74, s64
	v_cmp_nlt_f32_e64 s64, 0x42b17218, v60
	v_cndmask_b32_e64 v74, 0x7f800000, v74, s64
	v_cmp_ngt_f32_e64 s64, 0xc2ce8ed0, v56
	s_delay_alu instid0(VALU_DEP_2) | instskip(NEXT) | instid1(VALU_DEP_1)
	v_dual_add_f32 v73, v73, v74 :: v_dual_mul_f32 v74, 0x3fb8aa3b, v56
	v_fma_f32 v75, 0x3fb8aa3b, v56, -v74
	v_rndne_f32_e32 v76, v74
	s_delay_alu instid0(VALU_DEP_2) | instskip(NEXT) | instid1(VALU_DEP_2)
	v_fmac_f32_e32 v75, 0x32a5705f, v56
	v_sub_f32_e32 v74, v74, v76
	s_delay_alu instid0(VALU_DEP_1) | instskip(SKIP_1) | instid1(VALU_DEP_2)
	v_add_f32_e32 v74, v74, v75
	v_cvt_i32_f32_e32 v75, v76
	v_exp_f32_e32 v74, v74
	s_waitcnt_depctr 0xfff
	v_ldexp_f32 v74, v74, v75
	s_delay_alu instid0(VALU_DEP_1) | instskip(SKIP_1) | instid1(VALU_DEP_1)
	v_cndmask_b32_e64 v74, 0, v74, s64
	v_cmp_nlt_f32_e64 s64, 0x42b17218, v56
	v_cndmask_b32_e64 v74, 0x7f800000, v74, s64
	v_cmp_ngt_f32_e64 s64, 0xc2ce8ed0, v57
	s_delay_alu instid0(VALU_DEP_2) | instskip(NEXT) | instid1(VALU_DEP_1)
	v_dual_add_f32 v73, v73, v74 :: v_dual_mul_f32 v74, 0x3fb8aa3b, v57
	v_fma_f32 v75, 0x3fb8aa3b, v57, -v74
	v_rndne_f32_e32 v76, v74
	s_delay_alu instid0(VALU_DEP_1) | instskip(NEXT) | instid1(VALU_DEP_1)
	v_dual_fmac_f32 v75, 0x32a5705f, v57 :: v_dual_sub_f32 v74, v74, v76
	v_add_f32_e32 v74, v74, v75
	v_cvt_i32_f32_e32 v75, v76
	s_delay_alu instid0(VALU_DEP_2) | instskip(SKIP_2) | instid1(VALU_DEP_1)
	v_exp_f32_e32 v74, v74
	s_waitcnt_depctr 0xfff
	v_ldexp_f32 v74, v74, v75
	v_cndmask_b32_e64 v74, 0, v74, s64
	v_cmp_nlt_f32_e64 s64, 0x42b17218, v57
	s_delay_alu instid0(VALU_DEP_1) | instskip(SKIP_1) | instid1(VALU_DEP_2)
	v_cndmask_b32_e64 v74, 0x7f800000, v74, s64
	v_cmp_ngt_f32_e64 s64, 0xc2ce8ed0, v52
	v_dual_add_f32 v73, v73, v74 :: v_dual_mul_f32 v74, 0x3fb8aa3b, v52
	s_delay_alu instid0(VALU_DEP_1) | instskip(SKIP_1) | instid1(VALU_DEP_2)
	v_fma_f32 v75, 0x3fb8aa3b, v52, -v74
	v_rndne_f32_e32 v76, v74
	v_fmac_f32_e32 v75, 0x32a5705f, v52
	s_delay_alu instid0(VALU_DEP_2) | instskip(NEXT) | instid1(VALU_DEP_1)
	v_sub_f32_e32 v74, v74, v76
	v_add_f32_e32 v74, v74, v75
	v_cvt_i32_f32_e32 v75, v76
	s_delay_alu instid0(VALU_DEP_2) | instskip(SKIP_2) | instid1(VALU_DEP_1)
	v_exp_f32_e32 v74, v74
	s_waitcnt_depctr 0xfff
	v_ldexp_f32 v74, v74, v75
	v_cndmask_b32_e64 v74, 0, v74, s64
	v_cmp_nlt_f32_e64 s64, 0x42b17218, v52
	s_delay_alu instid0(VALU_DEP_1) | instskip(SKIP_1) | instid1(VALU_DEP_2)
	v_cndmask_b32_e64 v74, 0x7f800000, v74, s64
	v_cmp_ngt_f32_e64 s64, 0xc2ce8ed0, v51
	v_dual_add_f32 v73, v73, v74 :: v_dual_mul_f32 v74, 0x3fb8aa3b, v51
	s_delay_alu instid0(VALU_DEP_1) | instskip(SKIP_1) | instid1(VALU_DEP_1)
	v_fma_f32 v75, 0x3fb8aa3b, v51, -v74
	v_rndne_f32_e32 v76, v74
	v_dual_fmac_f32 v75, 0x32a5705f, v51 :: v_dual_sub_f32 v74, v74, v76
	s_delay_alu instid0(VALU_DEP_1) | instskip(SKIP_1) | instid1(VALU_DEP_2)
	v_add_f32_e32 v74, v74, v75
	v_cvt_i32_f32_e32 v75, v76
	v_exp_f32_e32 v74, v74
	s_waitcnt_depctr 0xfff
	v_ldexp_f32 v74, v74, v75
	s_delay_alu instid0(VALU_DEP_1) | instskip(SKIP_1) | instid1(VALU_DEP_1)
	v_cndmask_b32_e64 v74, 0, v74, s64
	v_cmp_nlt_f32_e64 s64, 0x42b17218, v51
	v_cndmask_b32_e64 v74, 0x7f800000, v74, s64
	v_cmp_ngt_f32_e64 s64, 0xc2ce8ed0, v48
	s_delay_alu instid0(VALU_DEP_2) | instskip(NEXT) | instid1(VALU_DEP_1)
	v_dual_add_f32 v73, v73, v74 :: v_dual_mul_f32 v74, 0x3fb8aa3b, v48
	v_fma_f32 v75, 0x3fb8aa3b, v48, -v74
	v_rndne_f32_e32 v76, v74
	s_delay_alu instid0(VALU_DEP_2) | instskip(NEXT) | instid1(VALU_DEP_2)
	v_fmac_f32_e32 v75, 0x32a5705f, v48
	v_sub_f32_e32 v74, v74, v76
	s_delay_alu instid0(VALU_DEP_1) | instskip(SKIP_1) | instid1(VALU_DEP_2)
	v_add_f32_e32 v74, v74, v75
	v_cvt_i32_f32_e32 v75, v76
	v_exp_f32_e32 v74, v74
	s_waitcnt_depctr 0xfff
	v_ldexp_f32 v74, v74, v75
	s_delay_alu instid0(VALU_DEP_1) | instskip(SKIP_1) | instid1(VALU_DEP_1)
	v_cndmask_b32_e64 v74, 0, v74, s64
	v_cmp_nlt_f32_e64 s64, 0x42b17218, v48
	v_cndmask_b32_e64 v74, 0x7f800000, v74, s64
	v_cmp_ngt_f32_e64 s64, 0xc2ce8ed0, v47
	s_delay_alu instid0(VALU_DEP_2) | instskip(NEXT) | instid1(VALU_DEP_1)
	v_dual_add_f32 v73, v73, v74 :: v_dual_mul_f32 v74, 0x3fb8aa3b, v47
	v_fma_f32 v75, 0x3fb8aa3b, v47, -v74
	v_rndne_f32_e32 v76, v74
	s_delay_alu instid0(VALU_DEP_1) | instskip(NEXT) | instid1(VALU_DEP_1)
	v_dual_fmac_f32 v75, 0x32a5705f, v47 :: v_dual_sub_f32 v74, v74, v76
	v_add_f32_e32 v74, v74, v75
	v_cvt_i32_f32_e32 v75, v76
	s_delay_alu instid0(VALU_DEP_2) | instskip(SKIP_2) | instid1(VALU_DEP_1)
	v_exp_f32_e32 v74, v74
	s_waitcnt_depctr 0xfff
	v_ldexp_f32 v74, v74, v75
	v_cndmask_b32_e64 v74, 0, v74, s64
	v_cmp_nlt_f32_e64 s64, 0x42b17218, v47
	s_delay_alu instid0(VALU_DEP_1) | instskip(SKIP_1) | instid1(VALU_DEP_2)
	v_cndmask_b32_e64 v74, 0x7f800000, v74, s64
	v_cmp_ngt_f32_e64 s64, 0xc2ce8ed0, v42
	v_add_f32_e32 v73, v73, v74
	v_mul_f32_e32 v74, 0x3fb8aa3b, v42
	s_delay_alu instid0(VALU_DEP_1) | instskip(SKIP_1) | instid1(VALU_DEP_1)
	v_fma_f32 v75, 0x3fb8aa3b, v42, -v74
	v_rndne_f32_e32 v76, v74
	v_dual_fmac_f32 v75, 0x32a5705f, v42 :: v_dual_sub_f32 v74, v74, v76
	s_delay_alu instid0(VALU_DEP_1) | instskip(SKIP_1) | instid1(VALU_DEP_2)
	v_add_f32_e32 v74, v74, v75
	v_cvt_i32_f32_e32 v75, v76
	v_exp_f32_e32 v74, v74
	s_waitcnt_depctr 0xfff
	v_ldexp_f32 v74, v74, v75
	s_delay_alu instid0(VALU_DEP_1) | instskip(SKIP_1) | instid1(VALU_DEP_1)
	v_cndmask_b32_e64 v74, 0, v74, s64
	v_cmp_nlt_f32_e64 s64, 0x42b17218, v42
	v_cndmask_b32_e64 v74, 0x7f800000, v74, s64
	v_cmp_ngt_f32_e64 s64, 0xc2ce8ed0, v43
	s_delay_alu instid0(VALU_DEP_2) | instskip(NEXT) | instid1(VALU_DEP_1)
	v_dual_add_f32 v73, v73, v74 :: v_dual_mul_f32 v74, 0x3fb8aa3b, v43
	v_fma_f32 v75, 0x3fb8aa3b, v43, -v74
	v_rndne_f32_e32 v76, v74
	s_delay_alu instid0(VALU_DEP_1) | instskip(NEXT) | instid1(VALU_DEP_1)
	v_dual_fmac_f32 v75, 0x32a5705f, v43 :: v_dual_sub_f32 v74, v74, v76
	v_add_f32_e32 v74, v74, v75
	v_cvt_i32_f32_e32 v75, v76
	s_delay_alu instid0(VALU_DEP_2) | instskip(SKIP_2) | instid1(VALU_DEP_1)
	v_exp_f32_e32 v74, v74
	s_waitcnt_depctr 0xfff
	v_ldexp_f32 v74, v74, v75
	v_cndmask_b32_e64 v74, 0, v74, s64
	v_cmp_nlt_f32_e64 s64, 0x42b17218, v43
	s_delay_alu instid0(VALU_DEP_1) | instskip(SKIP_1) | instid1(VALU_DEP_2)
	v_cndmask_b32_e64 v74, 0x7f800000, v74, s64
	v_cmp_ngt_f32_e64 s64, 0xc2ce8ed0, v39
	v_dual_add_f32 v73, v73, v74 :: v_dual_mul_f32 v74, 0x3fb8aa3b, v39
	s_delay_alu instid0(VALU_DEP_1) | instskip(SKIP_1) | instid1(VALU_DEP_1)
	v_fma_f32 v75, 0x3fb8aa3b, v39, -v74
	v_rndne_f32_e32 v76, v74
	v_dual_fmac_f32 v75, 0x32a5705f, v39 :: v_dual_sub_f32 v74, v74, v76
	s_delay_alu instid0(VALU_DEP_1) | instskip(SKIP_1) | instid1(VALU_DEP_2)
	v_add_f32_e32 v74, v74, v75
	v_cvt_i32_f32_e32 v75, v76
	v_exp_f32_e32 v74, v74
	s_waitcnt_depctr 0xfff
	v_ldexp_f32 v74, v74, v75
	s_delay_alu instid0(VALU_DEP_1) | instskip(SKIP_1) | instid1(VALU_DEP_1)
	v_cndmask_b32_e64 v74, 0, v74, s64
	v_cmp_nlt_f32_e64 s64, 0x42b17218, v39
	v_cndmask_b32_e64 v74, 0x7f800000, v74, s64
	v_cmp_ngt_f32_e64 s64, 0xc2ce8ed0, v38
	s_delay_alu instid0(VALU_DEP_2) | instskip(SKIP_1) | instid1(VALU_DEP_1)
	v_add_f32_e32 v73, v73, v74
	v_mul_f32_e32 v74, 0x3fb8aa3b, v38
	v_fma_f32 v75, 0x3fb8aa3b, v38, -v74
	v_rndne_f32_e32 v76, v74
	s_delay_alu instid0(VALU_DEP_1) | instskip(NEXT) | instid1(VALU_DEP_1)
	v_dual_fmac_f32 v75, 0x32a5705f, v38 :: v_dual_sub_f32 v74, v74, v76
	v_add_f32_e32 v74, v74, v75
	v_cvt_i32_f32_e32 v75, v76
	s_delay_alu instid0(VALU_DEP_2) | instskip(SKIP_2) | instid1(VALU_DEP_1)
	v_exp_f32_e32 v74, v74
	s_waitcnt_depctr 0xfff
	v_ldexp_f32 v74, v74, v75
	v_cndmask_b32_e64 v74, 0, v74, s64
	v_cmp_nlt_f32_e64 s64, 0x42b17218, v38
	s_delay_alu instid0(VALU_DEP_1) | instskip(SKIP_1) | instid1(VALU_DEP_2)
	v_cndmask_b32_e64 v74, 0x7f800000, v74, s64
	v_cmp_ngt_f32_e64 s64, 0xc2ce8ed0, v37
	v_dual_add_f32 v73, v73, v74 :: v_dual_mul_f32 v74, 0x3fb8aa3b, v37
	s_delay_alu instid0(VALU_DEP_1) | instskip(SKIP_1) | instid1(VALU_DEP_1)
	v_fma_f32 v75, 0x3fb8aa3b, v37, -v74
	v_rndne_f32_e32 v76, v74
	v_dual_fmac_f32 v75, 0x32a5705f, v37 :: v_dual_sub_f32 v74, v74, v76
	s_delay_alu instid0(VALU_DEP_1) | instskip(SKIP_1) | instid1(VALU_DEP_2)
	v_add_f32_e32 v74, v74, v75
	v_cvt_i32_f32_e32 v75, v76
	v_exp_f32_e32 v74, v74
	s_waitcnt_depctr 0xfff
	v_ldexp_f32 v74, v74, v75
	s_delay_alu instid0(VALU_DEP_1) | instskip(SKIP_1) | instid1(VALU_DEP_1)
	v_cndmask_b32_e64 v74, 0, v74, s64
	v_cmp_nlt_f32_e64 s64, 0x42b17218, v37
	v_cndmask_b32_e64 v74, 0x7f800000, v74, s64
	v_cmp_ngt_f32_e64 s64, 0xc2ce8ed0, v36
	s_delay_alu instid0(VALU_DEP_2) | instskip(NEXT) | instid1(VALU_DEP_1)
	v_dual_add_f32 v73, v73, v74 :: v_dual_mul_f32 v74, 0x3fb8aa3b, v36
	v_fma_f32 v75, 0x3fb8aa3b, v36, -v74
	v_rndne_f32_e32 v76, v74
	s_delay_alu instid0(VALU_DEP_2) | instskip(NEXT) | instid1(VALU_DEP_2)
	v_fmac_f32_e32 v75, 0x32a5705f, v36
	v_sub_f32_e32 v74, v74, v76
	s_delay_alu instid0(VALU_DEP_1) | instskip(SKIP_1) | instid1(VALU_DEP_2)
	v_add_f32_e32 v74, v74, v75
	v_cvt_i32_f32_e32 v75, v76
	v_exp_f32_e32 v74, v74
	s_waitcnt_depctr 0xfff
	v_ldexp_f32 v74, v74, v75
	s_delay_alu instid0(VALU_DEP_1) | instskip(SKIP_1) | instid1(VALU_DEP_1)
	v_cndmask_b32_e64 v74, 0, v74, s64
	v_cmp_nlt_f32_e64 s64, 0x42b17218, v36
	v_cndmask_b32_e64 v74, 0x7f800000, v74, s64
	v_cmp_ngt_f32_e64 s64, 0xc2ce8ed0, v33
	s_delay_alu instid0(VALU_DEP_2) | instskip(NEXT) | instid1(VALU_DEP_1)
	v_dual_add_f32 v73, v73, v74 :: v_dual_mul_f32 v74, 0x3fb8aa3b, v33
	v_fma_f32 v75, 0x3fb8aa3b, v33, -v74
	v_rndne_f32_e32 v76, v74
	s_delay_alu instid0(VALU_DEP_1) | instskip(NEXT) | instid1(VALU_DEP_1)
	v_dual_fmac_f32 v75, 0x32a5705f, v33 :: v_dual_sub_f32 v74, v74, v76
	v_add_f32_e32 v74, v74, v75
	v_cvt_i32_f32_e32 v75, v76
	s_delay_alu instid0(VALU_DEP_2) | instskip(SKIP_2) | instid1(VALU_DEP_1)
	v_exp_f32_e32 v74, v74
	s_waitcnt_depctr 0xfff
	v_ldexp_f32 v74, v74, v75
	v_cndmask_b32_e64 v74, 0, v74, s64
	v_cmp_nlt_f32_e64 s64, 0x42b17218, v33
	s_delay_alu instid0(VALU_DEP_1) | instskip(SKIP_1) | instid1(VALU_DEP_2)
	v_cndmask_b32_e64 v74, 0x7f800000, v74, s64
	v_cmp_ngt_f32_e64 s64, 0xc2ce8ed0, v34
	v_add_f32_e32 v73, v73, v74
	v_mul_f32_e32 v74, 0x3fb8aa3b, v34
	s_delay_alu instid0(VALU_DEP_1) | instskip(SKIP_1) | instid1(VALU_DEP_1)
	v_fma_f32 v75, 0x3fb8aa3b, v34, -v74
	v_rndne_f32_e32 v76, v74
	v_dual_fmac_f32 v75, 0x32a5705f, v34 :: v_dual_sub_f32 v74, v74, v76
	s_delay_alu instid0(VALU_DEP_1) | instskip(SKIP_1) | instid1(VALU_DEP_2)
	v_add_f32_e32 v74, v74, v75
	v_cvt_i32_f32_e32 v75, v76
	v_exp_f32_e32 v74, v74
	s_waitcnt_depctr 0xfff
	v_ldexp_f32 v74, v74, v75
	s_delay_alu instid0(VALU_DEP_1) | instskip(SKIP_1) | instid1(VALU_DEP_1)
	v_cndmask_b32_e64 v74, 0, v74, s64
	v_cmp_nlt_f32_e64 s64, 0x42b17218, v34
	v_cndmask_b32_e64 v74, 0x7f800000, v74, s64
	v_cmp_ngt_f32_e64 s64, 0xc2ce8ed0, v30
	s_delay_alu instid0(VALU_DEP_2) | instskip(SKIP_1) | instid1(VALU_DEP_1)
	v_add_f32_e32 v73, v73, v74
	v_mul_f32_e32 v74, 0x3fb8aa3b, v30
	v_fma_f32 v75, 0x3fb8aa3b, v30, -v74
	v_rndne_f32_e32 v76, v74
	s_delay_alu instid0(VALU_DEP_1) | instskip(NEXT) | instid1(VALU_DEP_1)
	v_dual_fmac_f32 v75, 0x32a5705f, v30 :: v_dual_sub_f32 v74, v74, v76
	v_add_f32_e32 v74, v74, v75
	v_cvt_i32_f32_e32 v75, v76
	s_delay_alu instid0(VALU_DEP_2) | instskip(SKIP_2) | instid1(VALU_DEP_1)
	v_exp_f32_e32 v74, v74
	s_waitcnt_depctr 0xfff
	v_ldexp_f32 v74, v74, v75
	v_cndmask_b32_e64 v74, 0, v74, s64
	v_cmp_nlt_f32_e64 s64, 0x42b17218, v30
	s_delay_alu instid0(VALU_DEP_1) | instskip(SKIP_1) | instid1(VALU_DEP_2)
	v_cndmask_b32_e64 v74, 0x7f800000, v74, s64
	v_cmp_ngt_f32_e64 s64, 0xc2ce8ed0, v29
	v_dual_add_f32 v73, v73, v74 :: v_dual_mul_f32 v74, 0x3fb8aa3b, v29
	s_delay_alu instid0(VALU_DEP_1) | instskip(SKIP_1) | instid1(VALU_DEP_1)
	v_fma_f32 v75, 0x3fb8aa3b, v29, -v74
	v_rndne_f32_e32 v76, v74
	v_dual_fmac_f32 v75, 0x32a5705f, v29 :: v_dual_sub_f32 v74, v74, v76
	s_delay_alu instid0(VALU_DEP_1) | instskip(SKIP_1) | instid1(VALU_DEP_2)
	v_add_f32_e32 v74, v74, v75
	v_cvt_i32_f32_e32 v75, v76
	v_exp_f32_e32 v74, v74
	s_waitcnt_depctr 0xfff
	v_ldexp_f32 v74, v74, v75
	s_delay_alu instid0(VALU_DEP_1) | instskip(SKIP_1) | instid1(VALU_DEP_1)
	v_cndmask_b32_e64 v74, 0, v74, s64
	v_cmp_nlt_f32_e64 s64, 0x42b17218, v29
	v_cndmask_b32_e64 v74, 0x7f800000, v74, s64
	v_cmp_ngt_f32_e64 s64, 0xc2ce8ed0, v26
	s_delay_alu instid0(VALU_DEP_2) | instskip(SKIP_1) | instid1(VALU_DEP_1)
	v_add_f32_e32 v73, v73, v74
	v_mul_f32_e32 v74, 0x3fb8aa3b, v26
	v_fma_f32 v75, 0x3fb8aa3b, v26, -v74
	v_rndne_f32_e32 v76, v74
	s_delay_alu instid0(VALU_DEP_1) | instskip(NEXT) | instid1(VALU_DEP_1)
	v_dual_fmac_f32 v75, 0x32a5705f, v26 :: v_dual_sub_f32 v74, v74, v76
	v_add_f32_e32 v74, v74, v75
	v_cvt_i32_f32_e32 v75, v76
	s_delay_alu instid0(VALU_DEP_2) | instskip(SKIP_2) | instid1(VALU_DEP_1)
	v_exp_f32_e32 v74, v74
	s_waitcnt_depctr 0xfff
	v_ldexp_f32 v74, v74, v75
	v_cndmask_b32_e64 v74, 0, v74, s64
	v_cmp_nlt_f32_e64 s64, 0x42b17218, v26
	s_delay_alu instid0(VALU_DEP_1) | instskip(SKIP_1) | instid1(VALU_DEP_2)
	v_cndmask_b32_e64 v74, 0x7f800000, v74, s64
	v_cmp_ngt_f32_e64 s64, 0xc2ce8ed0, v25
	v_dual_add_f32 v73, v73, v74 :: v_dual_mul_f32 v74, 0x3fb8aa3b, v25
	s_delay_alu instid0(VALU_DEP_1) | instskip(SKIP_1) | instid1(VALU_DEP_1)
	v_fma_f32 v75, 0x3fb8aa3b, v25, -v74
	v_rndne_f32_e32 v76, v74
	v_dual_fmac_f32 v75, 0x32a5705f, v25 :: v_dual_sub_f32 v74, v74, v76
	s_delay_alu instid0(VALU_DEP_1) | instskip(SKIP_1) | instid1(VALU_DEP_2)
	v_add_f32_e32 v74, v74, v75
	v_cvt_i32_f32_e32 v75, v76
	v_exp_f32_e32 v74, v74
	s_waitcnt_depctr 0xfff
	v_ldexp_f32 v74, v74, v75
	s_delay_alu instid0(VALU_DEP_1) | instskip(SKIP_1) | instid1(VALU_DEP_1)
	v_cndmask_b32_e64 v74, 0, v74, s64
	v_cmp_nlt_f32_e64 s64, 0x42b17218, v25
	v_cndmask_b32_e64 v74, 0x7f800000, v74, s64
	v_cmp_ngt_f32_e64 s64, 0xc2ce8ed0, v21
	s_delay_alu instid0(VALU_DEP_2) | instskip(NEXT) | instid1(VALU_DEP_1)
	v_dual_add_f32 v73, v73, v74 :: v_dual_mul_f32 v74, 0x3fb8aa3b, v21
	v_fma_f32 v75, 0x3fb8aa3b, v21, -v74
	v_rndne_f32_e32 v76, v74
	s_delay_alu instid0(VALU_DEP_1) | instskip(NEXT) | instid1(VALU_DEP_1)
	v_dual_fmac_f32 v75, 0x32a5705f, v21 :: v_dual_sub_f32 v74, v74, v76
	v_add_f32_e32 v74, v74, v75
	v_cvt_i32_f32_e32 v75, v76
	s_delay_alu instid0(VALU_DEP_2) | instskip(SKIP_2) | instid1(VALU_DEP_1)
	v_exp_f32_e32 v74, v74
	s_waitcnt_depctr 0xfff
	v_ldexp_f32 v74, v74, v75
	v_cndmask_b32_e64 v74, 0, v74, s64
	v_cmp_nlt_f32_e64 s64, 0x42b17218, v21
	s_delay_alu instid0(VALU_DEP_1) | instskip(SKIP_1) | instid1(VALU_DEP_2)
	v_cndmask_b32_e64 v74, 0x7f800000, v74, s64
	v_cmp_ngt_f32_e64 s64, 0xc2ce8ed0, v22
	v_add_f32_e32 v73, v73, v74
	v_mul_f32_e32 v74, 0x3fb8aa3b, v22
	s_delay_alu instid0(VALU_DEP_1) | instskip(SKIP_1) | instid1(VALU_DEP_1)
	v_fma_f32 v75, 0x3fb8aa3b, v22, -v74
	v_rndne_f32_e32 v76, v74
	v_dual_fmac_f32 v75, 0x32a5705f, v22 :: v_dual_sub_f32 v74, v74, v76
	s_delay_alu instid0(VALU_DEP_1) | instskip(SKIP_1) | instid1(VALU_DEP_2)
	v_add_f32_e32 v74, v74, v75
	v_cvt_i32_f32_e32 v75, v76
	v_exp_f32_e32 v74, v74
	s_waitcnt_depctr 0xfff
	v_ldexp_f32 v74, v74, v75
	s_delay_alu instid0(VALU_DEP_1) | instskip(SKIP_1) | instid1(VALU_DEP_1)
	v_cndmask_b32_e64 v74, 0, v74, s64
	v_cmp_nlt_f32_e64 s64, 0x42b17218, v22
	v_cndmask_b32_e64 v74, 0x7f800000, v74, s64
	v_cmp_ngt_f32_e64 s64, 0xc2ce8ed0, v17
	s_delay_alu instid0(VALU_DEP_2) | instskip(NEXT) | instid1(VALU_DEP_1)
	v_dual_add_f32 v73, v73, v74 :: v_dual_mul_f32 v74, 0x3fb8aa3b, v17
	v_fma_f32 v75, 0x3fb8aa3b, v17, -v74
	v_rndne_f32_e32 v76, v74
	s_delay_alu instid0(VALU_DEP_1) | instskip(NEXT) | instid1(VALU_DEP_1)
	v_dual_fmac_f32 v75, 0x32a5705f, v17 :: v_dual_sub_f32 v74, v74, v76
	v_add_f32_e32 v74, v74, v75
	v_cvt_i32_f32_e32 v75, v76
	s_delay_alu instid0(VALU_DEP_2) | instskip(SKIP_2) | instid1(VALU_DEP_1)
	v_exp_f32_e32 v74, v74
	s_waitcnt_depctr 0xfff
	v_ldexp_f32 v74, v74, v75
	v_cndmask_b32_e64 v74, 0, v74, s64
	v_cmp_nlt_f32_e64 s64, 0x42b17218, v17
	s_delay_alu instid0(VALU_DEP_1) | instskip(SKIP_1) | instid1(VALU_DEP_2)
	v_cndmask_b32_e64 v74, 0x7f800000, v74, s64
	v_cmp_ngt_f32_e64 s64, 0xc2ce8ed0, v16
	v_dual_add_f32 v73, v73, v74 :: v_dual_mul_f32 v74, 0x3fb8aa3b, v16
	s_delay_alu instid0(VALU_DEP_1) | instskip(SKIP_1) | instid1(VALU_DEP_2)
	v_fma_f32 v75, 0x3fb8aa3b, v16, -v74
	v_rndne_f32_e32 v76, v74
	v_fmac_f32_e32 v75, 0x32a5705f, v16
	s_delay_alu instid0(VALU_DEP_2) | instskip(NEXT) | instid1(VALU_DEP_1)
	v_sub_f32_e32 v74, v74, v76
	v_add_f32_e32 v74, v74, v75
	v_cvt_i32_f32_e32 v75, v76
	s_delay_alu instid0(VALU_DEP_2) | instskip(SKIP_2) | instid1(VALU_DEP_1)
	v_exp_f32_e32 v74, v74
	s_waitcnt_depctr 0xfff
	v_ldexp_f32 v74, v74, v75
	v_cndmask_b32_e64 v74, 0, v74, s64
	v_cmp_nlt_f32_e64 s64, 0x42b17218, v16
	s_delay_alu instid0(VALU_DEP_1) | instskip(SKIP_1) | instid1(VALU_DEP_2)
	v_cndmask_b32_e64 v74, 0x7f800000, v74, s64
	v_cmp_ngt_f32_e64 s64, 0xc2ce8ed0, v12
	v_dual_add_f32 v73, v73, v74 :: v_dual_mul_f32 v74, 0x3fb8aa3b, v12
	s_delay_alu instid0(VALU_DEP_1) | instskip(SKIP_1) | instid1(VALU_DEP_2)
	v_fma_f32 v75, 0x3fb8aa3b, v12, -v74
	v_rndne_f32_e32 v76, v74
	v_fmac_f32_e32 v75, 0x32a5705f, v12
	s_delay_alu instid0(VALU_DEP_2) | instskip(NEXT) | instid1(VALU_DEP_1)
	v_sub_f32_e32 v74, v74, v76
	v_add_f32_e32 v74, v74, v75
	v_cvt_i32_f32_e32 v75, v76
	s_delay_alu instid0(VALU_DEP_2) | instskip(SKIP_2) | instid1(VALU_DEP_1)
	v_exp_f32_e32 v74, v74
	s_waitcnt_depctr 0xfff
	v_ldexp_f32 v74, v74, v75
	v_cndmask_b32_e64 v74, 0, v74, s64
	v_cmp_nlt_f32_e64 s64, 0x42b17218, v12
	s_delay_alu instid0(VALU_DEP_1) | instskip(NEXT) | instid1(VALU_DEP_1)
	v_cndmask_b32_e64 v74, 0x7f800000, v74, s64
	v_dual_add_f32 v73, v73, v74 :: v_dual_mul_f32 v74, 0x3fb8aa3b, v11
	s_delay_alu instid0(VALU_DEP_1) | instskip(SKIP_1) | instid1(VALU_DEP_1)
	v_fma_f32 v75, 0x3fb8aa3b, v11, -v74
	v_rndne_f32_e32 v76, v74
	v_dual_fmac_f32 v75, 0x32a5705f, v11 :: v_dual_sub_f32 v74, v74, v76
	s_delay_alu instid0(VALU_DEP_1) | instskip(SKIP_2) | instid1(VALU_DEP_3)
	v_add_f32_e32 v74, v74, v75
	v_cvt_i32_f32_e32 v75, v76
	v_cmp_ngt_f32_e64 s64, 0xc2ce8ed0, v11
	v_exp_f32_e32 v74, v74
	s_waitcnt_depctr 0xfff
	v_ldexp_f32 v74, v74, v75
	s_delay_alu instid0(VALU_DEP_1) | instskip(SKIP_1) | instid1(VALU_DEP_1)
	v_cndmask_b32_e64 v74, 0, v74, s64
	v_cmp_nlt_f32_e64 s64, 0x42b17218, v11
	v_cndmask_b32_e64 v74, 0x7f800000, v74, s64
	v_cmp_ngt_f32_e64 s64, 0xc2ce8ed0, v10
	s_delay_alu instid0(VALU_DEP_2) | instskip(SKIP_1) | instid1(VALU_DEP_1)
	v_add_f32_e32 v73, v73, v74
	v_mul_f32_e32 v74, 0x3fb8aa3b, v10
	v_fma_f32 v75, 0x3fb8aa3b, v10, -v74
	v_rndne_f32_e32 v76, v74
	s_delay_alu instid0(VALU_DEP_1) | instskip(NEXT) | instid1(VALU_DEP_1)
	v_dual_fmac_f32 v75, 0x32a5705f, v10 :: v_dual_sub_f32 v74, v74, v76
	v_add_f32_e32 v74, v74, v75
	v_cvt_i32_f32_e32 v75, v76
	s_delay_alu instid0(VALU_DEP_2) | instskip(SKIP_2) | instid1(VALU_DEP_1)
	v_exp_f32_e32 v74, v74
	s_waitcnt_depctr 0xfff
	v_ldexp_f32 v74, v74, v75
	v_cndmask_b32_e64 v74, 0, v74, s64
	v_cmp_nlt_f32_e64 s64, 0x42b17218, v10
	s_delay_alu instid0(VALU_DEP_1) | instskip(SKIP_1) | instid1(VALU_DEP_2)
	v_cndmask_b32_e64 v74, 0x7f800000, v74, s64
	v_cmp_ngt_f32_e64 s64, 0xc2ce8ed0, v9
	v_dual_add_f32 v73, v73, v74 :: v_dual_mul_f32 v74, 0x3fb8aa3b, v9
	s_delay_alu instid0(VALU_DEP_1) | instskip(SKIP_1) | instid1(VALU_DEP_1)
	v_fma_f32 v75, 0x3fb8aa3b, v9, -v74
	v_rndne_f32_e32 v76, v74
	v_dual_fmac_f32 v75, 0x32a5705f, v9 :: v_dual_sub_f32 v74, v74, v76
	s_delay_alu instid0(VALU_DEP_1) | instskip(SKIP_1) | instid1(VALU_DEP_2)
	v_add_f32_e32 v74, v74, v75
	v_cvt_i32_f32_e32 v75, v76
	v_exp_f32_e32 v74, v74
	s_waitcnt_depctr 0xfff
	v_ldexp_f32 v74, v74, v75
	s_delay_alu instid0(VALU_DEP_1) | instskip(SKIP_1) | instid1(VALU_DEP_1)
	v_cndmask_b32_e64 v74, 0, v74, s64
	v_cmp_nlt_f32_e64 s64, 0x42b17218, v9
	v_cndmask_b32_e64 v74, 0x7f800000, v74, s64
	v_cmp_ngt_f32_e64 s64, 0xc2ce8ed0, v7
	s_delay_alu instid0(VALU_DEP_2) | instskip(NEXT) | instid1(VALU_DEP_1)
	v_dual_add_f32 v73, v73, v74 :: v_dual_mul_f32 v74, 0x3fb8aa3b, v7
	v_fma_f32 v75, 0x3fb8aa3b, v7, -v74
	v_rndne_f32_e32 v76, v74
	s_delay_alu instid0(VALU_DEP_1) | instskip(NEXT) | instid1(VALU_DEP_1)
	v_dual_fmac_f32 v75, 0x32a5705f, v7 :: v_dual_sub_f32 v74, v74, v76
	v_add_f32_e32 v74, v74, v75
	v_cvt_i32_f32_e32 v75, v76
	s_delay_alu instid0(VALU_DEP_2) | instskip(SKIP_2) | instid1(VALU_DEP_1)
	v_exp_f32_e32 v74, v74
	s_waitcnt_depctr 0xfff
	v_ldexp_f32 v74, v74, v75
	v_cndmask_b32_e64 v74, 0, v74, s64
	v_cmp_nlt_f32_e64 s64, 0x42b17218, v7
	s_delay_alu instid0(VALU_DEP_1) | instskip(SKIP_1) | instid1(VALU_DEP_2)
	v_cndmask_b32_e64 v74, 0x7f800000, v74, s64
	v_cmp_ngt_f32_e64 s64, 0xc2ce8ed0, v8
	v_dual_add_f32 v73, v73, v74 :: v_dual_mul_f32 v74, 0x3fb8aa3b, v8
	s_delay_alu instid0(VALU_DEP_1) | instskip(SKIP_1) | instid1(VALU_DEP_2)
	v_fma_f32 v75, 0x3fb8aa3b, v8, -v74
	v_rndne_f32_e32 v76, v74
	v_fmac_f32_e32 v75, 0x32a5705f, v8
	s_delay_alu instid0(VALU_DEP_2) | instskip(NEXT) | instid1(VALU_DEP_1)
	v_sub_f32_e32 v74, v74, v76
	v_add_f32_e32 v74, v74, v75
	v_cvt_i32_f32_e32 v75, v76
	s_delay_alu instid0(VALU_DEP_2) | instskip(SKIP_3) | instid1(VALU_DEP_2)
	v_exp_f32_e32 v74, v74
	s_waitcnt_depctr 0xfff
	v_ldexp_f32 v74, v74, v75
	v_rndne_f32_e32 v75, v24
	v_cndmask_b32_e64 v74, 0, v74, s64
	v_cmp_nlt_f32_e64 s64, 0x42b17218, v8
	s_delay_alu instid0(VALU_DEP_1) | instskip(SKIP_1) | instid1(VALU_DEP_2)
	v_cndmask_b32_e64 v74, 0x7f800000, v74, s64
	v_cmp_ngt_f32_e64 s64, 0xc2ce8ed0, v6
	v_add_f32_e32 v73, v73, v74
	v_fma_f32 v74, 0x3fb8aa3b, v6, -v24
	v_sub_f32_e32 v24, v24, v75
	s_delay_alu instid0(VALU_DEP_2) | instskip(NEXT) | instid1(VALU_DEP_1)
	v_fmac_f32_e32 v74, 0x32a5705f, v6
	v_add_f32_e32 v24, v24, v74
	v_cvt_i32_f32_e32 v74, v75
	s_delay_alu instid0(VALU_DEP_2) | instskip(SKIP_2) | instid1(VALU_DEP_1)
	v_exp_f32_e32 v24, v24
	s_waitcnt_depctr 0xfff
	v_ldexp_f32 v24, v24, v74
	v_cndmask_b32_e64 v24, 0, v24, s64
	v_cmp_nlt_f32_e64 s64, 0x42b17218, v6
	s_delay_alu instid0(VALU_DEP_1) | instskip(NEXT) | instid1(VALU_DEP_1)
	v_cndmask_b32_e64 v24, 0x7f800000, v24, s64
	v_add_f32_e32 v24, v73, v24
	ds_bpermute_b32 v2, v2, v24
	s_waitcnt lgkmcnt(0)
	v_add_f32_e32 v2, v24, v2
	ds_bpermute_b32 v4, v4, v2
	s_waitcnt lgkmcnt(0)
	;; [unrolled: 3-line block ×4, first 2 shown]
	v_add_f32_e32 v2, v2, v4
	ds_bpermute_b32 v4, v18, v2
	v_cmpx_lt_i32_e32 0, v5
	s_cbranch_execz .LBB189_194
; %bb.129:
	s_and_b32 exec_lo, exec_lo, s0
	s_cbranch_execz .LBB189_194
; %bb.130:
	s_waitcnt lgkmcnt(0)
	v_add_f32_e32 v2, v2, v4
	v_lshlrev_b64 v[0:1], 2, v[0:1]
	s_delay_alu instid0(VALU_DEP_2) | instskip(NEXT) | instid1(VALU_DEP_1)
	v_cmp_gt_f32_e64 s0, 0x800000, v2
	v_cndmask_b32_e64 v4, 1.0, 0x4f800000, s0
	s_delay_alu instid0(VALU_DEP_1) | instskip(NEXT) | instid1(VALU_DEP_1)
	v_mul_f32_e32 v2, v2, v4
	v_log_f32_e32 v2, v2
	s_waitcnt_depctr 0xfff
	v_mul_f32_e32 v4, 0x3f317217, v2
	v_cmp_gt_f32_e64 s64, 0x7f800000, |v2|
	s_delay_alu instid0(VALU_DEP_2) | instskip(NEXT) | instid1(VALU_DEP_1)
	v_fma_f32 v5, 0x3f317217, v2, -v4
	v_fmamk_f32 v5, v2, 0x3377d1cf, v5
	s_delay_alu instid0(VALU_DEP_1) | instskip(NEXT) | instid1(VALU_DEP_1)
	v_add_f32_e32 v4, v4, v5
	v_cndmask_b32_e64 v2, v2, v4, s64
	v_cndmask_b32_e64 v4, 0, 0x41b17218, s0
	v_add_co_u32 v0, s0, s68, v0
	s_delay_alu instid0(VALU_DEP_1) | instskip(NEXT) | instid1(VALU_DEP_3)
	v_add_co_ci_u32_e64 v1, s0, s69, v1, s0
	v_sub_f32_e32 v2, v2, v4
	s_delay_alu instid0(VALU_DEP_1)
	v_sub_f32_e32 v3, v3, v2
	global_store_b32 v[0:1], v3, off
	s_and_b32 exec_lo, exec_lo, vcc_lo
	s_cbranch_execz .LBB189_194
; %bb.131:
	v_sub_f32_e32 v3, v15, v2
	global_store_b32 v[0:1], v3, off offset:128
	s_and_b32 exec_lo, exec_lo, s1
	s_cbranch_execz .LBB189_194
; %bb.132:
	v_sub_f32_e32 v3, v19, v2
	global_store_b32 v[0:1], v3, off offset:256
	s_and_b32 exec_lo, exec_lo, s2
	;; [unrolled: 5-line block ×31, first 2 shown]
	s_cbranch_execz .LBB189_194
; %bb.162:
	v_add_co_u32 v0, vcc_lo, 0x1000, v0
	v_sub_f32_e32 v3, v70, v2
	v_add_co_ci_u32_e32 v1, vcc_lo, 0, v1, vcc_lo
	global_store_b32 v[0:1], v3, off
	s_and_b32 exec_lo, exec_lo, s33
	s_cbranch_execz .LBB189_194
; %bb.163:
	v_sub_f32_e32 v3, v61, v2
	global_store_b32 v[0:1], v3, off offset:128
	s_and_b32 exec_lo, exec_lo, s34
	s_cbranch_execz .LBB189_194
; %bb.164:
	v_sub_f32_e32 v3, v60, v2
	global_store_b32 v[0:1], v3, off offset:256
	s_and_b32 exec_lo, exec_lo, s35
	s_cbranch_execz .LBB189_194
; %bb.165:
	v_sub_f32_e32 v3, v56, v2
	global_store_b32 v[0:1], v3, off offset:384
	s_and_b32 exec_lo, exec_lo, s36
	s_cbranch_execz .LBB189_194
; %bb.166:
	v_sub_f32_e32 v3, v57, v2
	global_store_b32 v[0:1], v3, off offset:512
	s_and_b32 exec_lo, exec_lo, s37
	s_cbranch_execz .LBB189_194
; %bb.167:
	v_sub_f32_e32 v3, v52, v2
	global_store_b32 v[0:1], v3, off offset:640
	s_and_b32 exec_lo, exec_lo, s38
	s_cbranch_execz .LBB189_194
; %bb.168:
	v_sub_f32_e32 v3, v51, v2
	global_store_b32 v[0:1], v3, off offset:768
	s_and_b32 exec_lo, exec_lo, s39
	s_cbranch_execz .LBB189_194
; %bb.169:
	v_sub_f32_e32 v3, v48, v2
	global_store_b32 v[0:1], v3, off offset:896
	s_and_b32 exec_lo, exec_lo, s40
	s_cbranch_execz .LBB189_194
; %bb.170:
	v_sub_f32_e32 v3, v47, v2
	global_store_b32 v[0:1], v3, off offset:1024
	s_and_b32 exec_lo, exec_lo, s41
	s_cbranch_execz .LBB189_194
; %bb.171:
	v_sub_f32_e32 v3, v42, v2
	global_store_b32 v[0:1], v3, off offset:1152
	s_and_b32 exec_lo, exec_lo, s42
	s_cbranch_execz .LBB189_194
; %bb.172:
	v_sub_f32_e32 v3, v43, v2
	global_store_b32 v[0:1], v3, off offset:1280
	s_and_b32 exec_lo, exec_lo, s43
	s_cbranch_execz .LBB189_194
; %bb.173:
	v_sub_f32_e32 v3, v39, v2
	global_store_b32 v[0:1], v3, off offset:1408
	s_and_b32 exec_lo, exec_lo, s44
	s_cbranch_execz .LBB189_194
; %bb.174:
	v_sub_f32_e32 v3, v38, v2
	global_store_b32 v[0:1], v3, off offset:1536
	s_and_b32 exec_lo, exec_lo, s45
	s_cbranch_execz .LBB189_194
; %bb.175:
	v_sub_f32_e32 v3, v37, v2
	global_store_b32 v[0:1], v3, off offset:1664
	s_and_b32 exec_lo, exec_lo, s46
	s_cbranch_execz .LBB189_194
; %bb.176:
	v_sub_f32_e32 v3, v36, v2
	global_store_b32 v[0:1], v3, off offset:1792
	s_and_b32 exec_lo, exec_lo, s47
	s_cbranch_execz .LBB189_194
; %bb.177:
	v_sub_f32_e32 v3, v33, v2
	global_store_b32 v[0:1], v3, off offset:1920
	s_and_b32 exec_lo, exec_lo, s48
	s_cbranch_execz .LBB189_194
; %bb.178:
	v_sub_f32_e32 v3, v34, v2
	global_store_b32 v[0:1], v3, off offset:2048
	s_and_b32 exec_lo, exec_lo, s49
	s_cbranch_execz .LBB189_194
; %bb.179:
	v_sub_f32_e32 v3, v30, v2
	global_store_b32 v[0:1], v3, off offset:2176
	s_and_b32 exec_lo, exec_lo, s50
	s_cbranch_execz .LBB189_194
; %bb.180:
	v_sub_f32_e32 v3, v29, v2
	global_store_b32 v[0:1], v3, off offset:2304
	s_and_b32 exec_lo, exec_lo, s51
	s_cbranch_execz .LBB189_194
; %bb.181:
	v_sub_f32_e32 v3, v26, v2
	global_store_b32 v[0:1], v3, off offset:2432
	s_and_b32 exec_lo, exec_lo, s52
	s_cbranch_execz .LBB189_194
; %bb.182:
	v_sub_f32_e32 v3, v25, v2
	global_store_b32 v[0:1], v3, off offset:2560
	s_and_b32 exec_lo, exec_lo, s53
	s_cbranch_execz .LBB189_194
; %bb.183:
	v_sub_f32_e32 v3, v21, v2
	global_store_b32 v[0:1], v3, off offset:2688
	s_and_b32 exec_lo, exec_lo, s54
	s_cbranch_execz .LBB189_194
; %bb.184:
	v_sub_f32_e32 v3, v22, v2
	global_store_b32 v[0:1], v3, off offset:2816
	s_and_b32 exec_lo, exec_lo, s55
	s_cbranch_execz .LBB189_194
; %bb.185:
	v_sub_f32_e32 v3, v17, v2
	global_store_b32 v[0:1], v3, off offset:2944
	s_and_b32 exec_lo, exec_lo, s56
	s_cbranch_execz .LBB189_194
; %bb.186:
	v_sub_f32_e32 v3, v16, v2
	global_store_b32 v[0:1], v3, off offset:3072
	s_and_b32 exec_lo, exec_lo, s57
	s_cbranch_execz .LBB189_194
; %bb.187:
	v_sub_f32_e32 v3, v12, v2
	global_store_b32 v[0:1], v3, off offset:3200
	s_and_b32 exec_lo, exec_lo, s58
	s_cbranch_execz .LBB189_194
; %bb.188:
	v_sub_f32_e32 v3, v11, v2
	global_store_b32 v[0:1], v3, off offset:3328
	s_and_b32 exec_lo, exec_lo, s59
	s_cbranch_execz .LBB189_194
; %bb.189:
	v_sub_f32_e32 v3, v10, v2
	global_store_b32 v[0:1], v3, off offset:3456
	s_and_b32 exec_lo, exec_lo, s60
	s_cbranch_execz .LBB189_194
; %bb.190:
	v_sub_f32_e32 v3, v9, v2
	global_store_b32 v[0:1], v3, off offset:3584
	s_and_b32 exec_lo, exec_lo, s61
	s_cbranch_execz .LBB189_194
; %bb.191:
	v_sub_f32_e32 v3, v7, v2
	global_store_b32 v[0:1], v3, off offset:3712
	s_and_b32 exec_lo, exec_lo, s62
	s_cbranch_execz .LBB189_194
; %bb.192:
	v_sub_f32_e32 v3, v8, v2
	global_store_b32 v[0:1], v3, off offset:3840
	s_and_b32 exec_lo, exec_lo, s63
	s_cbranch_execz .LBB189_194
; %bb.193:
	v_sub_f32_e32 v2, v6, v2
	global_store_b32 v[0:1], v2, off offset:3968
.LBB189_194:
	s_nop 0
	s_sendmsg sendmsg(MSG_DEALLOC_VGPRS)
	s_endpgm
	.section	.rodata,"a",@progbits
	.p2align	6, 0x0
	.amdhsa_kernel _ZN12_GLOBAL__N_120softmax_warp_forwardIN3c108BFloat16EffLi11ELb1ELb0ELi32EEEvPT0_PKT_iiiPKbib
		.amdhsa_group_segment_fixed_size 0
		.amdhsa_private_segment_fixed_size 0
		.amdhsa_kernarg_size 304
		.amdhsa_user_sgpr_count 15
		.amdhsa_user_sgpr_dispatch_ptr 0
		.amdhsa_user_sgpr_queue_ptr 0
		.amdhsa_user_sgpr_kernarg_segment_ptr 1
		.amdhsa_user_sgpr_dispatch_id 0
		.amdhsa_user_sgpr_private_segment_size 0
		.amdhsa_wavefront_size32 1
		.amdhsa_uses_dynamic_stack 0
		.amdhsa_enable_private_segment 0
		.amdhsa_system_sgpr_workgroup_id_x 1
		.amdhsa_system_sgpr_workgroup_id_y 0
		.amdhsa_system_sgpr_workgroup_id_z 0
		.amdhsa_system_sgpr_workgroup_info 0
		.amdhsa_system_vgpr_workitem_id 1
		.amdhsa_next_free_vgpr 77
		.amdhsa_next_free_sgpr 76
		.amdhsa_reserve_vcc 1
		.amdhsa_float_round_mode_32 0
		.amdhsa_float_round_mode_16_64 0
		.amdhsa_float_denorm_mode_32 3
		.amdhsa_float_denorm_mode_16_64 3
		.amdhsa_dx10_clamp 1
		.amdhsa_ieee_mode 1
		.amdhsa_fp16_overflow 0
		.amdhsa_workgroup_processor_mode 1
		.amdhsa_memory_ordered 1
		.amdhsa_forward_progress 0
		.amdhsa_shared_vgpr_count 0
		.amdhsa_exception_fp_ieee_invalid_op 0
		.amdhsa_exception_fp_denorm_src 0
		.amdhsa_exception_fp_ieee_div_zero 0
		.amdhsa_exception_fp_ieee_overflow 0
		.amdhsa_exception_fp_ieee_underflow 0
		.amdhsa_exception_fp_ieee_inexact 0
		.amdhsa_exception_int_div_zero 0
	.end_amdhsa_kernel
	.section	.text._ZN12_GLOBAL__N_120softmax_warp_forwardIN3c108BFloat16EffLi11ELb1ELb0ELi32EEEvPT0_PKT_iiiPKbib,"axG",@progbits,_ZN12_GLOBAL__N_120softmax_warp_forwardIN3c108BFloat16EffLi11ELb1ELb0ELi32EEEvPT0_PKT_iiiPKbib,comdat
.Lfunc_end189:
	.size	_ZN12_GLOBAL__N_120softmax_warp_forwardIN3c108BFloat16EffLi11ELb1ELb0ELi32EEEvPT0_PKT_iiiPKbib, .Lfunc_end189-_ZN12_GLOBAL__N_120softmax_warp_forwardIN3c108BFloat16EffLi11ELb1ELb0ELi32EEEvPT0_PKT_iiiPKbib
                                        ; -- End function
	.section	.AMDGPU.csdata,"",@progbits
; Kernel info:
; codeLenInByte = 15276
; NumSgprs: 78
; NumVgprs: 77
; ScratchSize: 0
; MemoryBound: 0
; FloatMode: 240
; IeeeMode: 1
; LDSByteSize: 0 bytes/workgroup (compile time only)
; SGPRBlocks: 9
; VGPRBlocks: 9
; NumSGPRsForWavesPerEU: 78
; NumVGPRsForWavesPerEU: 77
; Occupancy: 16
; WaveLimiterHint : 0
; COMPUTE_PGM_RSRC2:SCRATCH_EN: 0
; COMPUTE_PGM_RSRC2:USER_SGPR: 15
; COMPUTE_PGM_RSRC2:TRAP_HANDLER: 0
; COMPUTE_PGM_RSRC2:TGID_X_EN: 1
; COMPUTE_PGM_RSRC2:TGID_Y_EN: 0
; COMPUTE_PGM_RSRC2:TGID_Z_EN: 0
; COMPUTE_PGM_RSRC2:TIDIG_COMP_CNT: 1
	.section	.text._ZN2at6native12_GLOBAL__N_123cunn_SoftMaxForwardSmemILi8EN3c108BFloat16EffNS1_25LogSoftMaxForwardEpilogueElEEvPT2_PKT0_T4_,"axG",@progbits,_ZN2at6native12_GLOBAL__N_123cunn_SoftMaxForwardSmemILi8EN3c108BFloat16EffNS1_25LogSoftMaxForwardEpilogueElEEvPT2_PKT0_T4_,comdat
	.globl	_ZN2at6native12_GLOBAL__N_123cunn_SoftMaxForwardSmemILi8EN3c108BFloat16EffNS1_25LogSoftMaxForwardEpilogueElEEvPT2_PKT0_T4_ ; -- Begin function _ZN2at6native12_GLOBAL__N_123cunn_SoftMaxForwardSmemILi8EN3c108BFloat16EffNS1_25LogSoftMaxForwardEpilogueElEEvPT2_PKT0_T4_
	.p2align	8
	.type	_ZN2at6native12_GLOBAL__N_123cunn_SoftMaxForwardSmemILi8EN3c108BFloat16EffNS1_25LogSoftMaxForwardEpilogueElEEvPT2_PKT0_T4_,@function
_ZN2at6native12_GLOBAL__N_123cunn_SoftMaxForwardSmemILi8EN3c108BFloat16EffNS1_25LogSoftMaxForwardEpilogueElEEvPT2_PKT0_T4_: ; @_ZN2at6native12_GLOBAL__N_123cunn_SoftMaxForwardSmemILi8EN3c108BFloat16EffNS1_25LogSoftMaxForwardEpilogueElEEvPT2_PKT0_T4_
; %bb.0:
	s_clause 0x1
	s_load_b64 s[6:7], s[0:1], 0x10
	s_load_b128 s[8:11], s[0:1], 0x0
	v_dual_mov_b32 v1, 0 :: v_dual_lshlrev_b32 v2, 3, v0
	s_mov_b32 s4, 0
	s_delay_alu instid0(VALU_DEP_1) | instskip(SKIP_1) | instid1(VALU_DEP_1)
	v_dual_mov_b32 v8, 0xff7fffff :: v_dual_mov_b32 v3, v1
	s_waitcnt lgkmcnt(0)
	v_cmp_gt_i64_e32 vcc_lo, s[6:7], v[2:3]
	s_mul_i32 s5, s7, s15
	s_mul_hi_u32 s14, s6, s15
	s_mul_i32 s12, s6, s15
	s_and_saveexec_b32 s15, vcc_lo
	s_cbranch_execz .LBB190_4
; %bb.1:
	s_load_b32 s2, s[0:1], 0x24
	s_add_i32 s13, s14, s5
	v_lshlrev_b32_e32 v2, 4, v0
	v_mov_b32_e32 v8, 0xff7fffff
	s_delay_alu instid0(VALU_DEP_2)
	v_add_nc_u32_e32 v6, 0, v2
	s_waitcnt lgkmcnt(0)
	s_and_b32 s16, s2, 0xffff
	s_lshl_b64 s[2:3], s[12:13], 1
	s_lshl_b32 s13, s16, 4
	s_add_u32 s2, s10, s2
	s_addc_u32 s3, s11, s3
	v_add_co_u32 v3, s2, s2, v2
	s_delay_alu instid0(VALU_DEP_1) | instskip(NEXT) | instid1(VALU_DEP_2)
	v_add_co_ci_u32_e64 v4, null, s3, 0, s2
	v_add_co_u32 v2, s2, v3, 8
	s_delay_alu instid0(VALU_DEP_1)
	v_add_co_ci_u32_e64 v3, s2, 0, v4, s2
	v_dual_mov_b32 v5, v1 :: v_dual_mov_b32 v4, v0
	s_set_inst_prefetch_distance 0x1
	.p2align	6
.LBB190_2:                              ; =>This Inner Loop Header: Depth=1
	global_load_b128 v[9:12], v[2:3], off offset:-8
	v_add_co_u32 v4, s2, v4, s16
	s_delay_alu instid0(VALU_DEP_1) | instskip(SKIP_1) | instid1(VALU_DEP_1)
	v_add_co_ci_u32_e64 v5, s2, 0, v5, s2
	v_add_co_u32 v2, s2, v2, s13
	v_add_co_ci_u32_e64 v3, s2, 0, v3, s2
	s_waitcnt vmcnt(0)
	v_lshlrev_b32_e32 v7, 16, v9
	v_and_b32_e32 v13, 0xffff0000, v9
	v_lshlrev_b32_e32 v14, 16, v10
	v_and_b32_e32 v15, 0xffff0000, v10
	v_lshlrev_b32_e32 v16, 16, v11
	v_and_b32_e32 v17, 0xffff0000, v11
	v_max3_f32 v13, v8, v7, v13
	v_lshlrev_b64 v[7:8], 3, v[4:5]
	ds_store_b128 v6, v[9:12]
	v_add_nc_u32_e32 v6, s13, v6
	v_max3_f32 v13, v13, v14, v15
	v_cmp_le_i64_e64 s3, s[6:7], v[7:8]
	v_lshlrev_b32_e32 v7, 16, v12
	v_and_b32_e32 v8, 0xffff0000, v12
	s_delay_alu instid0(VALU_DEP_4) | instskip(NEXT) | instid1(VALU_DEP_4)
	v_max3_f32 v13, v13, v16, v17
	s_or_b32 s4, s3, s4
	s_delay_alu instid0(VALU_DEP_1)
	v_max3_f32 v8, v13, v7, v8
	s_and_not1_b32 exec_lo, exec_lo, s4
	s_cbranch_execnz .LBB190_2
; %bb.3:
	s_set_inst_prefetch_distance 0x2
	s_or_b32 exec_lo, exec_lo, s4
.LBB190_4:
	s_delay_alu instid0(SALU_CYCLE_1)
	s_or_b32 exec_lo, exec_lo, s15
	v_mbcnt_lo_u32_b32 v2, -1, 0
	v_lshrrev_b32_e32 v11, 3, v0
	s_lshl_b32 s3, s6, 1
	s_waitcnt lgkmcnt(0)
	s_add_i32 s11, s3, 0
	v_cmp_gt_u32_e64 s2, 16, v2
	s_barrier
	buffer_gl0_inv
	v_cndmask_b32_e64 v3, 0, 1, s2
	v_cmp_gt_u32_e64 s2, 24, v2
	s_delay_alu instid0(VALU_DEP_2) | instskip(NEXT) | instid1(VALU_DEP_2)
	v_lshlrev_b32_e32 v3, 4, v3
	v_cndmask_b32_e64 v4, 0, 1, s2
	s_delay_alu instid0(VALU_DEP_2) | instskip(NEXT) | instid1(VALU_DEP_2)
	v_add_lshl_u32 v6, v3, v2, 2
	v_lshlrev_b32_e32 v4, 3, v4
	ds_bpermute_b32 v3, v6, v8
	v_add_lshl_u32 v7, v4, v2, 2
	s_waitcnt lgkmcnt(0)
	v_cmp_lt_f32_e64 s2, v8, v3
	s_delay_alu instid0(VALU_DEP_1) | instskip(SKIP_3) | instid1(VALU_DEP_1)
	v_cndmask_b32_e64 v3, v8, v3, s2
	v_cmp_gt_u32_e64 s2, 28, v2
	ds_bpermute_b32 v4, v7, v3
	v_cndmask_b32_e64 v5, 0, 1, s2
	v_lshlrev_b32_e32 v5, 2, v5
	s_delay_alu instid0(VALU_DEP_1) | instskip(SKIP_2) | instid1(VALU_DEP_1)
	v_add_lshl_u32 v8, v5, v2, 2
	s_waitcnt lgkmcnt(0)
	v_cmp_lt_f32_e64 s2, v3, v4
	v_cndmask_b32_e64 v3, v3, v4, s2
	v_cmp_gt_u32_e64 s2, 30, v2
	ds_bpermute_b32 v4, v8, v3
	v_cndmask_b32_e64 v5, 0, 1, s2
	s_delay_alu instid0(VALU_DEP_1) | instskip(NEXT) | instid1(VALU_DEP_1)
	v_lshlrev_b32_e32 v5, 1, v5
	v_add_lshl_u32 v9, v5, v2, 2
	s_waitcnt lgkmcnt(0)
	v_cmp_lt_f32_e64 s2, v3, v4
	s_delay_alu instid0(VALU_DEP_1) | instskip(SKIP_3) | instid1(VALU_DEP_1)
	v_cndmask_b32_e64 v3, v3, v4, s2
	v_cmp_ne_u32_e64 s2, 31, v2
	ds_bpermute_b32 v4, v9, v3
	v_add_co_ci_u32_e64 v5, s2, 0, v2, s2
	v_lshlrev_b32_e32 v10, 2, v5
	s_waitcnt lgkmcnt(0)
	v_cmp_lt_f32_e64 s2, v3, v4
	s_delay_alu instid0(VALU_DEP_1) | instskip(SKIP_3) | instid1(VALU_DEP_1)
	v_cndmask_b32_e64 v2, v3, v4, s2
	v_and_b32_e32 v3, 31, v0
	ds_bpermute_b32 v4, v10, v2
	v_cmp_eq_u32_e64 s2, 0, v3
	s_and_saveexec_b32 s4, s2
	s_cbranch_execz .LBB190_6
; %bb.5:
	s_waitcnt lgkmcnt(0)
	v_cmp_lt_f32_e64 s3, v2, v4
	v_add_nc_u32_e32 v5, s11, v11
	s_delay_alu instid0(VALU_DEP_2)
	v_cndmask_b32_e64 v2, v2, v4, s3
	ds_store_b32 v5, v2
.LBB190_6:
	s_or_b32 exec_lo, exec_lo, s4
	s_waitcnt lgkmcnt(0)
	s_barrier
	buffer_gl0_inv
	s_load_b32 s4, s[0:1], 0x24
	v_mov_b32_e32 v2, 0xff7fffff
	v_lshl_add_u32 v12, v3, 2, s11
	s_waitcnt lgkmcnt(0)
	s_bfe_u32 s0, s4, 0xb0005
	s_delay_alu instid0(SALU_CYCLE_1) | instskip(NEXT) | instid1(VALU_DEP_1)
	v_cmp_gt_u32_e64 s0, s0, v0
	s_and_saveexec_b32 s1, s0
	s_cbranch_execnz .LBB190_24
; %bb.7:
	s_or_b32 exec_lo, exec_lo, s1
	v_cmp_gt_u32_e64 s1, 32, v0
	s_delay_alu instid0(VALU_DEP_1)
	s_and_saveexec_b32 s10, s1
	s_cbranch_execnz .LBB190_25
.LBB190_8:
	s_or_b32 exec_lo, exec_lo, s10
	v_cmp_eq_u32_e64 s3, 0, v0
	s_delay_alu instid0(VALU_DEP_1)
	s_and_saveexec_b32 s10, s3
	s_cbranch_execz .LBB190_10
.LBB190_9:
	v_mov_b32_e32 v3, s11
	s_waitcnt lgkmcnt(0)
	ds_store_b32 v3, v2
.LBB190_10:
	s_or_b32 exec_lo, exec_lo, s10
	s_waitcnt lgkmcnt(0)
	v_mov_b32_e32 v2, s11
	s_barrier
	buffer_gl0_inv
	v_mov_b32_e32 v14, 0
	ds_load_b32 v4, v2
	v_lshl_add_u32 v5, v0, 4, 0
	s_and_b32 s10, s4, 0xffff
	s_and_saveexec_b32 s13, vcc_lo
	s_cbranch_execz .LBB190_14
; %bb.11:
	v_dual_mov_b32 v14, 0 :: v_dual_mov_b32 v3, v1
	v_lshl_add_u32 v13, v0, 4, 0
	v_mov_b32_e32 v2, v0
	s_mov_b32 s15, 0
	s_lshl_b32 s16, s10, 4
.LBB190_12:                             ; =>This Inner Loop Header: Depth=1
	ds_load_b128 v[15:18], v13
	v_add_co_u32 v2, s4, v2, s10
	s_delay_alu instid0(VALU_DEP_1) | instskip(SKIP_1) | instid1(VALU_DEP_2)
	v_add_co_ci_u32_e64 v3, s4, 0, v3, s4
	v_add_nc_u32_e32 v13, s16, v13
	v_lshlrev_b64 v[19:20], 3, v[2:3]
	s_waitcnt lgkmcnt(0)
	v_lshlrev_b32_e32 v22, 16, v16
	s_delay_alu instid0(VALU_DEP_1) | instskip(NEXT) | instid1(VALU_DEP_1)
	v_dual_sub_f32 v22, v22, v4 :: v_dual_lshlrev_b32 v21, 16, v15
	v_dual_sub_f32 v21, v21, v4 :: v_dual_lshlrev_b32 v24, 16, v18
	s_delay_alu instid0(VALU_DEP_1) | instskip(NEXT) | instid1(VALU_DEP_2)
	v_dual_sub_f32 v24, v24, v4 :: v_dual_lshlrev_b32 v23, 16, v17
	v_mul_f32_e32 v25, 0x3fb8aa3b, v21
	v_cmp_ngt_f32_e64 s4, 0xc2ce8ed0, v21
	s_delay_alu instid0(VALU_DEP_2) | instskip(SKIP_2) | instid1(VALU_DEP_3)
	v_rndne_f32_e32 v34, v25
	v_and_b32_e32 v16, 0xffff0000, v16
	v_fma_f32 v33, 0x3fb8aa3b, v21, -v25
	v_sub_f32_e32 v25, v25, v34
	s_delay_alu instid0(VALU_DEP_3) | instskip(SKIP_3) | instid1(VALU_DEP_4)
	v_dual_sub_f32 v16, v16, v4 :: v_dual_and_b32 v15, 0xffff0000, v15
	v_and_b32_e32 v18, 0xffff0000, v18
	v_mul_f32_e32 v27, 0x3fb8aa3b, v22
	v_cvt_i32_f32_e32 v34, v34
	v_sub_f32_e32 v15, v15, v4
	v_mul_f32_e32 v28, 0x3fb8aa3b, v16
	v_sub_f32_e32 v23, v23, v4
	v_dual_sub_f32 v18, v18, v4 :: v_dual_and_b32 v17, 0xffff0000, v17
	s_delay_alu instid0(VALU_DEP_4) | instskip(NEXT) | instid1(VALU_DEP_4)
	v_mul_f32_e32 v26, 0x3fb8aa3b, v15
	v_rndne_f32_e32 v40, v28
	v_fma_f32 v37, 0x3fb8aa3b, v22, -v27
	s_delay_alu instid0(VALU_DEP_4) | instskip(NEXT) | instid1(VALU_DEP_4)
	v_dual_sub_f32 v17, v17, v4 :: v_dual_mul_f32 v32, 0x3fb8aa3b, v18
	v_fma_f32 v35, 0x3fb8aa3b, v15, -v26
	v_rndne_f32_e32 v36, v26
	v_fmac_f32_e32 v33, 0x32a5705f, v21
	s_delay_alu instid0(VALU_DEP_4) | instskip(NEXT) | instid1(VALU_DEP_3)
	v_dual_mul_f32 v29, 0x3fb8aa3b, v23 :: v_dual_mul_f32 v30, 0x3fb8aa3b, v17
	v_dual_fmac_f32 v35, 0x32a5705f, v15 :: v_dual_sub_f32 v26, v26, v36
	s_delay_alu instid0(VALU_DEP_3)
	v_add_f32_e32 v25, v25, v33
	v_rndne_f32_e32 v38, v27
	v_fma_f32 v39, 0x3fb8aa3b, v16, -v28
	v_sub_f32_e32 v28, v28, v40
	v_dual_mul_f32 v31, 0x3fb8aa3b, v24 :: v_dual_add_f32 v26, v26, v35
	v_exp_f32_e32 v25, v25
	v_rndne_f32_e32 v44, v30
	v_fma_f32 v47, 0x3fb8aa3b, v18, -v32
	v_rndne_f32_e32 v48, v32
	v_fmac_f32_e32 v37, 0x32a5705f, v22
	v_sub_f32_e32 v27, v27, v38
	v_exp_f32_e32 v26, v26
	v_fma_f32 v43, 0x3fb8aa3b, v17, -v30
	v_sub_f32_e32 v32, v32, v48
	v_cvt_i32_f32_e32 v36, v36
	v_dual_sub_f32 v30, v30, v44 :: v_dual_fmac_f32 v47, 0x32a5705f, v18
	v_add_f32_e32 v27, v27, v37
	v_ldexp_f32 v25, v25, v34
	v_rndne_f32_e32 v42, v29
	s_delay_alu instid0(VALU_DEP_4) | instskip(SKIP_3) | instid1(VALU_DEP_3)
	v_dual_fmac_f32 v43, 0x32a5705f, v17 :: v_dual_add_f32 v32, v32, v47
	v_fmac_f32_e32 v39, 0x32a5705f, v16
	v_exp_f32_e32 v27, v27
	v_ldexp_f32 v26, v26, v36
	v_add_f32_e32 v30, v30, v43
	v_cndmask_b32_e64 v25, 0, v25, s4
	v_cmp_ngt_f32_e64 s4, 0xc2ce8ed0, v15
	v_fma_f32 v41, 0x3fb8aa3b, v23, -v29
	v_cvt_i32_f32_e32 v38, v38
	v_dual_sub_f32 v29, v29, v42 :: v_dual_add_f32 v28, v28, v39
	s_delay_alu instid0(VALU_DEP_4) | instskip(SKIP_1) | instid1(VALU_DEP_4)
	v_cndmask_b32_e64 v26, 0, v26, s4
	v_cmp_nlt_f32_e64 s4, 0x42b17218, v21
	v_ldexp_f32 v27, v27, v38
	v_cvt_i32_f32_e32 v40, v40
	v_exp_f32_e32 v28, v28
	v_cvt_i32_f32_e32 v42, v42
	v_cndmask_b32_e64 v21, 0x7f800000, v25, s4
	v_fmac_f32_e32 v41, 0x32a5705f, v23
	v_cmp_ngt_f32_e64 s4, 0xc2ce8ed0, v22
	v_fma_f32 v45, 0x3fb8aa3b, v24, -v31
	v_rndne_f32_e32 v46, v31
	v_add_f32_e32 v14, v14, v21
	v_add_f32_e32 v29, v29, v41
	v_cndmask_b32_e64 v25, 0, v27, s4
	v_cmp_nlt_f32_e64 s4, 0x42b17218, v15
	v_ldexp_f32 v28, v28, v40
	v_exp_f32_e32 v30, v30
	v_exp_f32_e32 v29, v29
	v_cvt_i32_f32_e32 v44, v44
	v_cndmask_b32_e64 v15, 0x7f800000, v26, s4
	v_cmp_ngt_f32_e64 s4, 0xc2ce8ed0, v16
	v_fmac_f32_e32 v45, 0x32a5705f, v24
	v_exp_f32_e32 v32, v32
	v_cvt_i32_f32_e32 v48, v48
	v_add_f32_e32 v14, v14, v15
	v_cndmask_b32_e64 v21, 0, v28, s4
	v_cmp_nlt_f32_e64 s4, 0x42b17218, v22
	v_ldexp_f32 v29, v29, v42
	v_ldexp_f32 v30, v30, v44
	s_delay_alu instid0(VALU_DEP_3) | instskip(SKIP_1) | instid1(TRANS32_DEP_1)
	v_cndmask_b32_e64 v22, 0x7f800000, v25, s4
	v_cmp_ngt_f32_e64 s4, 0xc2ce8ed0, v23
	v_ldexp_f32 v32, v32, v48
	s_delay_alu instid0(VALU_DEP_3) | instskip(NEXT) | instid1(VALU_DEP_3)
	v_add_f32_e32 v14, v14, v22
	v_cndmask_b32_e64 v15, 0, v29, s4
	v_cmp_nlt_f32_e64 s4, 0x42b17218, v16
	s_delay_alu instid0(VALU_DEP_1) | instskip(SKIP_3) | instid1(VALU_DEP_3)
	v_cndmask_b32_e64 v16, 0x7f800000, v21, s4
	v_sub_f32_e32 v31, v31, v46
	v_cmp_ngt_f32_e64 s4, 0xc2ce8ed0, v17
	v_cvt_i32_f32_e32 v46, v46
	v_dual_add_f32 v14, v14, v16 :: v_dual_add_f32 v31, v31, v45
	s_delay_alu instid0(VALU_DEP_3) | instskip(SKIP_1) | instid1(VALU_DEP_3)
	v_cndmask_b32_e64 v21, 0, v30, s4
	v_cmp_nlt_f32_e64 s4, 0x42b17218, v23
	v_exp_f32_e32 v31, v31
	s_delay_alu instid0(VALU_DEP_1) | instskip(SKIP_1) | instid1(VALU_DEP_2)
	v_cndmask_b32_e64 v15, 0x7f800000, v15, s4
	v_cmp_ngt_f32_e64 s4, 0xc2ce8ed0, v24
	v_add_f32_e32 v14, v14, v15
	s_waitcnt_depctr 0xfff
	v_ldexp_f32 v31, v31, v46
	s_delay_alu instid0(VALU_DEP_1) | instskip(SKIP_1) | instid1(VALU_DEP_1)
	v_cndmask_b32_e64 v16, 0, v31, s4
	v_cmp_nlt_f32_e64 s4, 0x42b17218, v17
	v_cndmask_b32_e64 v17, 0x7f800000, v21, s4
	v_cmp_ngt_f32_e64 s4, 0xc2ce8ed0, v18
	s_delay_alu instid0(VALU_DEP_2) | instskip(NEXT) | instid1(VALU_DEP_2)
	v_add_f32_e32 v14, v14, v17
	v_cndmask_b32_e64 v15, 0, v32, s4
	v_cmp_nlt_f32_e64 s4, 0x42b17218, v24
	s_delay_alu instid0(VALU_DEP_1) | instskip(SKIP_1) | instid1(VALU_DEP_2)
	v_cndmask_b32_e64 v16, 0x7f800000, v16, s4
	v_cmp_nlt_f32_e64 s4, 0x42b17218, v18
	v_add_f32_e32 v14, v14, v16
	s_delay_alu instid0(VALU_DEP_2) | instskip(SKIP_1) | instid1(VALU_DEP_2)
	v_cndmask_b32_e64 v15, 0x7f800000, v15, s4
	v_cmp_le_i64_e64 s4, s[6:7], v[19:20]
	v_add_f32_e32 v14, v14, v15
	s_delay_alu instid0(VALU_DEP_2) | instskip(NEXT) | instid1(SALU_CYCLE_1)
	s_or_b32 s15, s4, s15
	s_and_not1_b32 exec_lo, exec_lo, s15
	s_cbranch_execnz .LBB190_12
; %bb.13:
	s_or_b32 exec_lo, exec_lo, s15
.LBB190_14:
	s_delay_alu instid0(SALU_CYCLE_1)
	s_or_b32 exec_lo, exec_lo, s13
	ds_bpermute_b32 v2, v6, v14
	s_waitcnt lgkmcnt(0)
	s_barrier
	buffer_gl0_inv
	v_add_f32_e32 v2, v14, v2
	ds_bpermute_b32 v3, v7, v2
	s_waitcnt lgkmcnt(0)
	v_add_f32_e32 v2, v2, v3
	ds_bpermute_b32 v3, v8, v2
	s_waitcnt lgkmcnt(0)
	;; [unrolled: 3-line block ×3, first 2 shown]
	v_add_f32_e32 v2, v2, v3
	ds_bpermute_b32 v3, v10, v2
	s_and_saveexec_b32 s4, s2
	s_cbranch_execz .LBB190_16
; %bb.15:
	v_add_nc_u32_e32 v11, s11, v11
	s_waitcnt lgkmcnt(0)
	v_add_f32_e32 v2, v2, v3
	ds_store_b32 v11, v2
.LBB190_16:
	s_or_b32 exec_lo, exec_lo, s4
	v_mov_b32_e32 v2, 0
	s_waitcnt lgkmcnt(0)
	s_barrier
	buffer_gl0_inv
	s_and_saveexec_b32 s2, s0
	s_cbranch_execnz .LBB190_26
; %bb.17:
	s_or_b32 exec_lo, exec_lo, s2
	s_and_saveexec_b32 s0, s1
	s_cbranch_execnz .LBB190_27
.LBB190_18:
	s_or_b32 exec_lo, exec_lo, s0
	s_and_saveexec_b32 s0, s3
	s_cbranch_execz .LBB190_20
.LBB190_19:
	v_mov_b32_e32 v3, s11
	s_waitcnt lgkmcnt(0)
	ds_store_b32 v3, v2
.LBB190_20:
	s_or_b32 exec_lo, exec_lo, s0
	s_waitcnt lgkmcnt(0)
	s_barrier
	buffer_gl0_inv
	s_and_saveexec_b32 s0, vcc_lo
	s_cbranch_execz .LBB190_23
; %bb.21:
	v_dual_mov_b32 v2, s11 :: v_dual_lshlrev_b32 v7, 5, v0
	s_add_i32 s13, s14, s5
	s_lshl_b32 s1, s10, 4
	s_lshl_b64 s[2:3], s[12:13], 2
	ds_load_b32 v2, v2
	s_add_u32 s0, s8, s2
	s_addc_u32 s2, s9, s3
	s_lshl_b32 s3, s10, 5
	s_waitcnt lgkmcnt(0)
	v_cmp_gt_f32_e32 vcc_lo, 0x800000, v2
	v_cndmask_b32_e64 v3, 1.0, 0x4f800000, vcc_lo
	s_delay_alu instid0(VALU_DEP_1) | instskip(NEXT) | instid1(VALU_DEP_1)
	v_mul_f32_e32 v2, v2, v3
	v_log_f32_e32 v2, v2
	s_waitcnt_depctr 0xfff
	v_mul_f32_e32 v3, 0x3f317217, v2
	s_delay_alu instid0(VALU_DEP_1) | instskip(NEXT) | instid1(VALU_DEP_1)
	v_fma_f32 v6, 0x3f317217, v2, -v3
	v_fmamk_f32 v6, v2, 0x3377d1cf, v6
	s_delay_alu instid0(VALU_DEP_1) | instskip(SKIP_2) | instid1(VALU_DEP_3)
	v_add_f32_e32 v3, v3, v6
	v_cndmask_b32_e64 v6, 0, 0x41b17218, vcc_lo
	v_cmp_gt_f32_e64 vcc_lo, 0x7f800000, |v2|
	v_cndmask_b32_e32 v2, v2, v3, vcc_lo
	v_add_co_u32 v3, s0, s0, v7
	s_delay_alu instid0(VALU_DEP_1) | instskip(NEXT) | instid1(VALU_DEP_3)
	v_add_co_ci_u32_e64 v7, null, s2, 0, s0
	v_sub_f32_e32 v6, v2, v6
	s_delay_alu instid0(VALU_DEP_3) | instskip(NEXT) | instid1(VALU_DEP_3)
	v_add_co_u32 v2, vcc_lo, v3, 28
	v_add_co_ci_u32_e32 v3, vcc_lo, 0, v7, vcc_lo
	s_mov_b32 s2, 0
	s_set_inst_prefetch_distance 0x1
	.p2align	6
.LBB190_22:                             ; =>This Inner Loop Header: Depth=1
	ds_load_b128 v[7:10], v5
	v_add_co_u32 v0, vcc_lo, v0, s10
	v_add_co_ci_u32_e32 v1, vcc_lo, 0, v1, vcc_lo
	s_delay_alu instid0(VALU_DEP_1) | instskip(NEXT) | instid1(VALU_DEP_1)
	v_lshlrev_b64 v[11:12], 3, v[0:1]
	v_cmp_le_i64_e32 vcc_lo, s[6:7], v[11:12]
	s_or_b32 s2, vcc_lo, s2
	s_waitcnt lgkmcnt(0)
	v_lshlrev_b32_e32 v12, 16, v8
	v_and_b32_e32 v8, 0xffff0000, v8
	s_delay_alu instid0(VALU_DEP_1) | instskip(NEXT) | instid1(VALU_DEP_1)
	v_dual_sub_f32 v16, v8, v4 :: v_dual_lshlrev_b32 v11, 16, v7
	v_dual_sub_f32 v11, v11, v4 :: v_dual_lshlrev_b32 v14, 16, v10
	s_delay_alu instid0(VALU_DEP_1) | instskip(NEXT) | instid1(VALU_DEP_1)
	v_dual_sub_f32 v14, v14, v4 :: v_dual_and_b32 v7, 0xffff0000, v7
	v_dual_sub_f32 v15, v7, v4 :: v_dual_and_b32 v10, 0xffff0000, v10
	v_lshlrev_b32_e32 v13, 16, v9
	v_and_b32_e32 v9, 0xffff0000, v9
	v_sub_f32_e32 v7, v11, v6
	v_dual_sub_f32 v12, v12, v4 :: v_dual_add_nc_u32 v5, s1, v5
	v_sub_f32_e32 v18, v10, v4
	v_dual_sub_f32 v13, v13, v4 :: v_dual_sub_f32 v10, v16, v6
	v_dual_sub_f32 v8, v15, v6 :: v_dual_sub_f32 v17, v9, v4
	s_delay_alu instid0(VALU_DEP_4) | instskip(NEXT) | instid1(VALU_DEP_3)
	v_sub_f32_e32 v9, v12, v6
	v_sub_f32_e32 v11, v13, v6
	;; [unrolled: 1-line block ×5, first 2 shown]
	s_clause 0x1
	global_store_b128 v[2:3], v[7:10], off offset:-28
	global_store_b128 v[2:3], v[11:14], off offset:-12
	v_add_co_u32 v2, s0, v2, s3
	s_delay_alu instid0(VALU_DEP_1)
	v_add_co_ci_u32_e64 v3, s0, 0, v3, s0
	s_and_not1_b32 exec_lo, exec_lo, s2
	s_cbranch_execnz .LBB190_22
.LBB190_23:
	s_set_inst_prefetch_distance 0x2
	s_nop 0
	s_sendmsg sendmsg(MSG_DEALLOC_VGPRS)
	s_endpgm
.LBB190_24:
	ds_load_b32 v2, v12
	s_or_b32 exec_lo, exec_lo, s1
	v_cmp_gt_u32_e64 s1, 32, v0
	s_delay_alu instid0(VALU_DEP_1)
	s_and_saveexec_b32 s10, s1
	s_cbranch_execz .LBB190_8
.LBB190_25:
	s_waitcnt lgkmcnt(0)
	ds_bpermute_b32 v3, v6, v2
	s_waitcnt lgkmcnt(0)
	v_cmp_lt_f32_e64 s3, v2, v3
	s_delay_alu instid0(VALU_DEP_1) | instskip(SKIP_3) | instid1(VALU_DEP_1)
	v_cndmask_b32_e64 v2, v2, v3, s3
	ds_bpermute_b32 v3, v7, v2
	s_waitcnt lgkmcnt(0)
	v_cmp_lt_f32_e64 s3, v2, v3
	v_cndmask_b32_e64 v2, v2, v3, s3
	ds_bpermute_b32 v3, v8, v2
	s_waitcnt lgkmcnt(0)
	v_cmp_lt_f32_e64 s3, v2, v3
	s_delay_alu instid0(VALU_DEP_1) | instskip(SKIP_3) | instid1(VALU_DEP_1)
	v_cndmask_b32_e64 v2, v2, v3, s3
	ds_bpermute_b32 v3, v9, v2
	s_waitcnt lgkmcnt(0)
	v_cmp_lt_f32_e64 s3, v2, v3
	v_cndmask_b32_e64 v2, v2, v3, s3
	ds_bpermute_b32 v3, v10, v2
	s_waitcnt lgkmcnt(0)
	v_cmp_lt_f32_e64 s3, v2, v3
	s_delay_alu instid0(VALU_DEP_1) | instskip(SKIP_2) | instid1(VALU_DEP_1)
	v_cndmask_b32_e64 v2, v2, v3, s3
	s_or_b32 exec_lo, exec_lo, s10
	v_cmp_eq_u32_e64 s3, 0, v0
	s_and_saveexec_b32 s10, s3
	s_cbranch_execnz .LBB190_9
	s_branch .LBB190_10
.LBB190_26:
	ds_load_b32 v2, v12
	s_or_b32 exec_lo, exec_lo, s2
	s_and_saveexec_b32 s0, s1
	s_cbranch_execz .LBB190_18
.LBB190_27:
	s_waitcnt lgkmcnt(0)
	ds_bpermute_b32 v3, v6, v2
	s_waitcnt lgkmcnt(0)
	v_add_f32_e32 v2, v2, v3
	ds_bpermute_b32 v3, v7, v2
	s_waitcnt lgkmcnt(0)
	v_add_f32_e32 v2, v2, v3
	;; [unrolled: 3-line block ×5, first 2 shown]
	s_or_b32 exec_lo, exec_lo, s0
	s_and_saveexec_b32 s0, s3
	s_cbranch_execnz .LBB190_19
	s_branch .LBB190_20
	.section	.rodata,"a",@progbits
	.p2align	6, 0x0
	.amdhsa_kernel _ZN2at6native12_GLOBAL__N_123cunn_SoftMaxForwardSmemILi8EN3c108BFloat16EffNS1_25LogSoftMaxForwardEpilogueElEEvPT2_PKT0_T4_
		.amdhsa_group_segment_fixed_size 0
		.amdhsa_private_segment_fixed_size 0
		.amdhsa_kernarg_size 280
		.amdhsa_user_sgpr_count 15
		.amdhsa_user_sgpr_dispatch_ptr 0
		.amdhsa_user_sgpr_queue_ptr 0
		.amdhsa_user_sgpr_kernarg_segment_ptr 1
		.amdhsa_user_sgpr_dispatch_id 0
		.amdhsa_user_sgpr_private_segment_size 0
		.amdhsa_wavefront_size32 1
		.amdhsa_uses_dynamic_stack 0
		.amdhsa_enable_private_segment 0
		.amdhsa_system_sgpr_workgroup_id_x 1
		.amdhsa_system_sgpr_workgroup_id_y 0
		.amdhsa_system_sgpr_workgroup_id_z 0
		.amdhsa_system_sgpr_workgroup_info 0
		.amdhsa_system_vgpr_workitem_id 0
		.amdhsa_next_free_vgpr 49
		.amdhsa_next_free_sgpr 17
		.amdhsa_reserve_vcc 1
		.amdhsa_float_round_mode_32 0
		.amdhsa_float_round_mode_16_64 0
		.amdhsa_float_denorm_mode_32 3
		.amdhsa_float_denorm_mode_16_64 3
		.amdhsa_dx10_clamp 1
		.amdhsa_ieee_mode 1
		.amdhsa_fp16_overflow 0
		.amdhsa_workgroup_processor_mode 1
		.amdhsa_memory_ordered 1
		.amdhsa_forward_progress 0
		.amdhsa_shared_vgpr_count 0
		.amdhsa_exception_fp_ieee_invalid_op 0
		.amdhsa_exception_fp_denorm_src 0
		.amdhsa_exception_fp_ieee_div_zero 0
		.amdhsa_exception_fp_ieee_overflow 0
		.amdhsa_exception_fp_ieee_underflow 0
		.amdhsa_exception_fp_ieee_inexact 0
		.amdhsa_exception_int_div_zero 0
	.end_amdhsa_kernel
	.section	.text._ZN2at6native12_GLOBAL__N_123cunn_SoftMaxForwardSmemILi8EN3c108BFloat16EffNS1_25LogSoftMaxForwardEpilogueElEEvPT2_PKT0_T4_,"axG",@progbits,_ZN2at6native12_GLOBAL__N_123cunn_SoftMaxForwardSmemILi8EN3c108BFloat16EffNS1_25LogSoftMaxForwardEpilogueElEEvPT2_PKT0_T4_,comdat
.Lfunc_end190:
	.size	_ZN2at6native12_GLOBAL__N_123cunn_SoftMaxForwardSmemILi8EN3c108BFloat16EffNS1_25LogSoftMaxForwardEpilogueElEEvPT2_PKT0_T4_, .Lfunc_end190-_ZN2at6native12_GLOBAL__N_123cunn_SoftMaxForwardSmemILi8EN3c108BFloat16EffNS1_25LogSoftMaxForwardEpilogueElEEvPT2_PKT0_T4_
                                        ; -- End function
	.section	.AMDGPU.csdata,"",@progbits
; Kernel info:
; codeLenInByte = 3024
; NumSgprs: 19
; NumVgprs: 49
; ScratchSize: 0
; MemoryBound: 0
; FloatMode: 240
; IeeeMode: 1
; LDSByteSize: 0 bytes/workgroup (compile time only)
; SGPRBlocks: 2
; VGPRBlocks: 6
; NumSGPRsForWavesPerEU: 19
; NumVGPRsForWavesPerEU: 49
; Occupancy: 16
; WaveLimiterHint : 0
; COMPUTE_PGM_RSRC2:SCRATCH_EN: 0
; COMPUTE_PGM_RSRC2:USER_SGPR: 15
; COMPUTE_PGM_RSRC2:TRAP_HANDLER: 0
; COMPUTE_PGM_RSRC2:TGID_X_EN: 1
; COMPUTE_PGM_RSRC2:TGID_Y_EN: 0
; COMPUTE_PGM_RSRC2:TGID_Z_EN: 0
; COMPUTE_PGM_RSRC2:TIDIG_COMP_CNT: 0
	.section	.text._ZN2at6native12_GLOBAL__N_119cunn_SoftMaxForwardILi8EN3c108BFloat16EffNS1_25LogSoftMaxForwardEpilogueEEEvPT2_PKT0_i,"axG",@progbits,_ZN2at6native12_GLOBAL__N_119cunn_SoftMaxForwardILi8EN3c108BFloat16EffNS1_25LogSoftMaxForwardEpilogueEEEvPT2_PKT0_i,comdat
	.globl	_ZN2at6native12_GLOBAL__N_119cunn_SoftMaxForwardILi8EN3c108BFloat16EffNS1_25LogSoftMaxForwardEpilogueEEEvPT2_PKT0_i ; -- Begin function _ZN2at6native12_GLOBAL__N_119cunn_SoftMaxForwardILi8EN3c108BFloat16EffNS1_25LogSoftMaxForwardEpilogueEEEvPT2_PKT0_i
	.p2align	8
	.type	_ZN2at6native12_GLOBAL__N_119cunn_SoftMaxForwardILi8EN3c108BFloat16EffNS1_25LogSoftMaxForwardEpilogueEEEvPT2_PKT0_i,@function
_ZN2at6native12_GLOBAL__N_119cunn_SoftMaxForwardILi8EN3c108BFloat16EffNS1_25LogSoftMaxForwardEpilogueEEEvPT2_PKT0_i: ; @_ZN2at6native12_GLOBAL__N_119cunn_SoftMaxForwardILi8EN3c108BFloat16EffNS1_25LogSoftMaxForwardEpilogueEEEvPT2_PKT0_i
; %bb.0:
	s_clause 0x1
	s_load_b32 s14, s[0:1], 0x10
	s_load_b128 s[8:11], s[0:1], 0x0
	s_waitcnt lgkmcnt(0)
	s_ashr_i32 s2, s14, 31
	s_mul_hi_u32 s3, s14, s15
	s_mul_i32 s2, s2, s15
	s_mul_i32 s12, s14, s15
	s_add_i32 s13, s3, s2
	s_delay_alu instid0(SALU_CYCLE_1) | instskip(NEXT) | instid1(SALU_CYCLE_1)
	s_lshl_b64 s[2:3], s[12:13], 1
	s_add_u32 s6, s10, s2
	s_addc_u32 s7, s11, s3
	s_bfe_u32 s10, s6, 0x30001
	s_mov_b32 s11, 0
	s_cmp_lg_u32 s10, 0
	s_cselect_b32 s18, -1, 0
	s_delay_alu instid0(SALU_CYCLE_1)
	s_and_b32 vcc_lo, exec_lo, s18
	s_cbranch_vccz .LBB191_25
; %bb.1:
	s_lshl_b64 s[2:3], s[10:11], 1
	v_cmp_le_u32_e32 vcc_lo, s10, v0
	s_sub_u32 s16, s6, s2
	s_subb_u32 s17, s7, s3
	s_add_i32 s3, s10, s14
	v_mov_b32_e32 v4, 0xff7fffff
	v_cmp_gt_i32_e64 s2, s3, v0
	s_delay_alu instid0(VALU_DEP_1) | instskip(NEXT) | instid1(SALU_CYCLE_1)
	s_and_b32 s4, vcc_lo, s2
	s_and_saveexec_b32 s2, s4
	s_cbranch_execz .LBB191_3
; %bb.2:
	v_lshlrev_b32_e32 v1, 1, v0
	global_load_u16 v1, v1, s[16:17]
	s_waitcnt vmcnt(0)
	v_lshlrev_b32_e32 v1, 16, v1
	s_delay_alu instid0(VALU_DEP_1) | instskip(NEXT) | instid1(VALU_DEP_1)
	v_max_f32_e32 v1, v1, v1
	v_max_f32_e32 v4, 0xff7fffff, v1
.LBB191_3:
	s_or_b32 exec_lo, exec_lo, s2
	s_load_b32 s2, s[0:1], 0x24
	s_add_u32 s4, s0, 24
	s_addc_u32 s5, s1, 0
	s_waitcnt lgkmcnt(0)
	s_and_b32 s2, s2, 0xffff
	s_delay_alu instid0(SALU_CYCLE_1) | instskip(SKIP_1) | instid1(SALU_CYCLE_1)
	v_sub_nc_u32_e64 v1, s3, s2 clamp
	s_lshl_b32 s2, s2, 1
	s_add_u32 s2, s16, s2
	s_addc_u32 s3, s17, 0
	s_delay_alu instid0(VALU_DEP_1)
	v_readfirstlane_b32 s11, v1
	s_branch .LBB191_5
.LBB191_4:
	v_mov_b32_e32 v4, 0xff7fffff
	s_add_u32 s4, s0, 24
	s_addc_u32 s5, s1, 0
	s_mov_b32 s11, s14
	s_mov_b64 s[2:3], s[6:7]
.LBB191_5:
	s_load_b32 s16, s[4:5], 0x0
	v_mov_b32_e32 v1, 0
	v_lshlrev_b32_e32 v3, 3, v0
	s_waitcnt lgkmcnt(0)
	s_cmp_lt_u32 s15, s16
	s_cselect_b32 s16, 12, 18
	s_delay_alu instid0(SALU_CYCLE_1) | instskip(SKIP_4) | instid1(VALU_DEP_1)
	s_add_u32 s4, s4, s16
	s_addc_u32 s5, s5, 0
	global_load_u16 v5, v1, s[4:5]
	s_waitcnt vmcnt(0)
	v_readfirstlane_b32 s4, v5
	s_lshl_b32 s4, s4, 3
	s_delay_alu instid0(SALU_CYCLE_1) | instskip(SKIP_1) | instid1(VALU_DEP_1)
	v_cvt_f32_u32_e32 v1, s4
	s_sub_i32 s16, 0, s4
	v_rcp_iflag_f32_e32 v1, v1
	s_waitcnt_depctr 0xfff
	v_mul_f32_e32 v1, 0x4f7ffffe, v1
	s_delay_alu instid0(VALU_DEP_1) | instskip(NEXT) | instid1(VALU_DEP_1)
	v_cvt_u32_f32_e32 v1, v1
	v_readfirstlane_b32 s5, v1
	s_delay_alu instid0(VALU_DEP_1) | instskip(NEXT) | instid1(SALU_CYCLE_1)
	s_mul_i32 s16, s16, s5
	s_mul_hi_u32 s16, s5, s16
	s_delay_alu instid0(SALU_CYCLE_1) | instskip(NEXT) | instid1(SALU_CYCLE_1)
	s_add_i32 s5, s5, s16
	s_mul_hi_u32 s5, s11, s5
	s_delay_alu instid0(SALU_CYCLE_1) | instskip(NEXT) | instid1(SALU_CYCLE_1)
	s_mul_i32 s5, s5, s4
	s_sub_i32 s5, s11, s5
	s_delay_alu instid0(SALU_CYCLE_1) | instskip(SKIP_2) | instid1(SALU_CYCLE_1)
	s_sub_i32 s16, s5, s4
	s_cmp_ge_u32 s5, s4
	s_cselect_b32 s5, s16, s5
	s_sub_i32 s16, s5, s4
	s_cmp_ge_u32 s5, s4
	s_cselect_b32 s4, s16, s5
	s_mov_b32 s16, 0
	s_sub_i32 s4, s11, s4
	s_mov_b32 s5, exec_lo
	v_cmpx_gt_i32_e64 s4, v3
	s_cbranch_execz .LBB191_9
; %bb.6:
	v_mov_b32_e32 v1, v0
	s_set_inst_prefetch_distance 0x1
	.p2align	6
.LBB191_7:                              ; =>This Inner Loop Header: Depth=1
	s_delay_alu instid0(VALU_DEP_1) | instskip(NEXT) | instid1(VALU_DEP_1)
	v_ashrrev_i32_e32 v2, 31, v1
	v_lshlrev_b64 v[6:7], 4, v[1:2]
	v_add_nc_u32_e32 v1, v1, v5
	s_delay_alu instid0(VALU_DEP_2) | instskip(NEXT) | instid1(VALU_DEP_3)
	v_add_co_u32 v6, vcc_lo, s2, v6
	v_add_co_ci_u32_e32 v7, vcc_lo, s3, v7, vcc_lo
	global_load_b128 v[6:9], v[6:7], off
	s_waitcnt vmcnt(0)
	v_lshlrev_b32_e32 v2, 16, v6
	v_and_b32_e32 v6, 0xffff0000, v6
	v_lshlrev_b32_e32 v10, 16, v7
	v_and_b32_e32 v7, 0xffff0000, v7
	s_delay_alu instid0(VALU_DEP_3)
	v_max3_f32 v2, v4, v2, v6
	v_lshlrev_b32_e32 v4, 16, v8
	v_and_b32_e32 v6, 0xffff0000, v8
	v_lshlrev_b32_e32 v8, 16, v9
	v_and_b32_e32 v9, 0xffff0000, v9
	v_max3_f32 v2, v2, v10, v7
	v_lshlrev_b32_e32 v7, 3, v1
	s_delay_alu instid0(VALU_DEP_2) | instskip(NEXT) | instid1(VALU_DEP_2)
	v_max3_f32 v2, v2, v4, v6
	v_cmp_le_i32_e32 vcc_lo, s4, v7
	s_delay_alu instid0(VALU_DEP_2) | instskip(SKIP_1) | instid1(SALU_CYCLE_1)
	v_max3_f32 v4, v2, v8, v9
	s_or_b32 s16, vcc_lo, s16
	s_and_not1_b32 exec_lo, exec_lo, s16
	s_cbranch_execnz .LBB191_7
; %bb.8:
	s_set_inst_prefetch_distance 0x2
	s_or_b32 exec_lo, exec_lo, s16
.LBB191_9:
	s_delay_alu instid0(SALU_CYCLE_1) | instskip(SKIP_2) | instid1(VALU_DEP_1)
	s_or_b32 exec_lo, exec_lo, s5
	v_add_nc_u32_e32 v1, s4, v0
	s_mov_b32 s4, exec_lo
	v_cmpx_gt_i32_e64 s11, v1
	s_cbranch_execz .LBB191_13
; %bb.10:
	s_mov_b32 s5, 0
	.p2align	6
.LBB191_11:                             ; =>This Inner Loop Header: Depth=1
	v_ashrrev_i32_e32 v2, 31, v1
	s_delay_alu instid0(VALU_DEP_2) | instskip(NEXT) | instid1(VALU_DEP_2)
	v_max_f32_e32 v4, v4, v4
	v_lshlrev_b64 v[6:7], 1, v[1:2]
	v_add_nc_u32_e32 v1, v1, v5
	s_delay_alu instid0(VALU_DEP_2) | instskip(NEXT) | instid1(VALU_DEP_3)
	v_add_co_u32 v6, vcc_lo, s2, v6
	v_add_co_ci_u32_e32 v7, vcc_lo, s3, v7, vcc_lo
	s_delay_alu instid0(VALU_DEP_3) | instskip(SKIP_4) | instid1(VALU_DEP_1)
	v_cmp_le_i32_e32 vcc_lo, s11, v1
	global_load_u16 v2, v[6:7], off
	s_or_b32 s5, vcc_lo, s5
	s_waitcnt vmcnt(0)
	v_lshlrev_b32_e32 v2, 16, v2
	v_max_f32_e32 v2, v2, v2
	s_delay_alu instid0(VALU_DEP_1)
	v_max_f32_e32 v4, v4, v2
	s_and_not1_b32 exec_lo, exec_lo, s5
	s_cbranch_execnz .LBB191_11
; %bb.12:
	s_or_b32 exec_lo, exec_lo, s5
.LBB191_13:
	s_delay_alu instid0(SALU_CYCLE_1)
	s_or_b32 exec_lo, exec_lo, s4
	v_mbcnt_lo_u32_b32 v1, -1, 0
	v_lshrrev_b32_e32 v12, 3, v0
	s_barrier
	buffer_gl0_inv
	v_cmp_gt_u32_e32 vcc_lo, 16, v1
	v_cndmask_b32_e64 v2, 0, 1, vcc_lo
	v_cmp_gt_u32_e32 vcc_lo, 24, v1
	s_delay_alu instid0(VALU_DEP_2) | instskip(SKIP_1) | instid1(VALU_DEP_2)
	v_lshlrev_b32_e32 v2, 4, v2
	v_cndmask_b32_e64 v5, 0, 1, vcc_lo
	v_add_lshl_u32 v6, v2, v1, 2
	ds_bpermute_b32 v2, v6, v4
	s_waitcnt lgkmcnt(0)
	v_cmp_lt_f32_e32 vcc_lo, v4, v2
	v_dual_cndmask_b32 v2, v4, v2 :: v_dual_lshlrev_b32 v5, 3, v5
	s_delay_alu instid0(VALU_DEP_1)
	v_add_lshl_u32 v7, v5, v1, 2
	v_cmp_gt_u32_e32 vcc_lo, 28, v1
	ds_bpermute_b32 v4, v7, v2
	v_cndmask_b32_e64 v5, 0, 1, vcc_lo
	s_waitcnt lgkmcnt(0)
	v_cmp_lt_f32_e32 vcc_lo, v2, v4
	s_delay_alu instid0(VALU_DEP_2) | instskip(NEXT) | instid1(VALU_DEP_1)
	v_dual_cndmask_b32 v2, v2, v4 :: v_dual_lshlrev_b32 v5, 2, v5
	v_add_lshl_u32 v8, v5, v1, 2
	v_cmp_gt_u32_e32 vcc_lo, 30, v1
	ds_bpermute_b32 v4, v8, v2
	v_cndmask_b32_e64 v5, 0, 1, vcc_lo
	s_waitcnt lgkmcnt(0)
	v_cmp_lt_f32_e32 vcc_lo, v2, v4
	s_delay_alu instid0(VALU_DEP_2) | instskip(NEXT) | instid1(VALU_DEP_1)
	v_dual_cndmask_b32 v2, v2, v4 :: v_dual_lshlrev_b32 v5, 1, v5
	v_add_lshl_u32 v10, v5, v1, 2
	v_cmp_ne_u32_e32 vcc_lo, 31, v1
	ds_bpermute_b32 v4, v10, v2
	v_add_co_ci_u32_e32 v5, vcc_lo, 0, v1, vcc_lo
	s_delay_alu instid0(VALU_DEP_1)
	v_lshlrev_b32_e32 v11, 2, v5
	s_waitcnt lgkmcnt(0)
	v_cmp_lt_f32_e32 vcc_lo, v2, v4
	v_cndmask_b32_e32 v1, v2, v4, vcc_lo
	v_and_b32_e32 v2, 31, v0
	ds_bpermute_b32 v4, v11, v1
	v_cmp_eq_u32_e64 s2, 0, v2
	s_delay_alu instid0(VALU_DEP_1)
	s_and_saveexec_b32 s3, s2
	s_cbranch_execz .LBB191_15
; %bb.14:
	s_waitcnt lgkmcnt(0)
	v_cmp_lt_f32_e32 vcc_lo, v1, v4
	v_add_nc_u32_e32 v5, 0, v12
	v_cndmask_b32_e32 v1, v1, v4, vcc_lo
	ds_store_b32 v5, v1
.LBB191_15:
	s_or_b32 exec_lo, exec_lo, s3
	s_waitcnt lgkmcnt(0)
	s_barrier
	buffer_gl0_inv
	s_load_b32 s4, s[0:1], 0x24
	s_add_u32 s16, s0, 24
	s_addc_u32 s17, s1, 0
	v_mov_b32_e32 v1, 0xff7fffff
	v_lshl_add_u32 v13, v2, 2, 0
	s_waitcnt lgkmcnt(0)
	s_bfe_u32 s0, s4, 0xb0005
	s_delay_alu instid0(SALU_CYCLE_1) | instskip(NEXT) | instid1(VALU_DEP_1)
	v_cmp_gt_u32_e64 s0, s0, v0
	s_and_saveexec_b32 s1, s0
	s_cbranch_execnz .LBB191_23
; %bb.16:
	s_or_b32 exec_lo, exec_lo, s1
	v_cmp_gt_u32_e64 s1, 32, v0
	s_delay_alu instid0(VALU_DEP_1)
	s_and_saveexec_b32 s3, s1
	s_cbranch_execnz .LBB191_24
.LBB191_17:
	s_or_b32 exec_lo, exec_lo, s3
	v_cmp_eq_u32_e64 s3, 0, v0
	s_delay_alu instid0(VALU_DEP_1)
	s_and_saveexec_b32 s5, s3
	s_cbranch_execz .LBB191_19
.LBB191_18:
	v_mov_b32_e32 v2, 0
	s_waitcnt lgkmcnt(0)
	ds_store_b32 v2, v1
.LBB191_19:
	s_or_b32 exec_lo, exec_lo, s5
	v_mov_b32_e32 v14, 0
	s_waitcnt lgkmcnt(0)
	s_barrier
	buffer_gl0_inv
	v_cndmask_b32_e64 v9, 0, 1, s18
	ds_load_b32 v4, v14
	s_and_b32 s20, s4, 0xffff
	s_and_not1_b32 vcc_lo, exec_lo, s18
	s_mov_b32 s11, 0
	s_cbranch_vccnz .LBB191_26
; %bb.20:
	s_lshl_b64 s[4:5], s[10:11], 1
	v_cmp_le_u32_e32 vcc_lo, s10, v0
	s_sub_u32 s18, s6, s4
	s_subb_u32 s19, s7, s5
	s_add_i32 s5, s10, s14
	v_mov_b32_e32 v14, 0
	v_cmp_gt_i32_e64 s4, s5, v0
	s_delay_alu instid0(VALU_DEP_1) | instskip(NEXT) | instid1(SALU_CYCLE_1)
	s_and_b32 s11, vcc_lo, s4
	s_and_saveexec_b32 s4, s11
	s_cbranch_execz .LBB191_22
; %bb.21:
	v_lshlrev_b32_e32 v1, 1, v0
	global_load_u16 v1, v1, s[18:19]
	s_waitcnt vmcnt(0)
	v_lshlrev_b32_e32 v1, 16, v1
	s_waitcnt lgkmcnt(0)
	s_delay_alu instid0(VALU_DEP_1) | instskip(NEXT) | instid1(VALU_DEP_1)
	v_sub_f32_e32 v1, v1, v4
	v_mul_f32_e32 v2, 0x3fb8aa3b, v1
	s_delay_alu instid0(VALU_DEP_1) | instskip(SKIP_1) | instid1(VALU_DEP_1)
	v_fma_f32 v5, 0x3fb8aa3b, v1, -v2
	v_rndne_f32_e32 v14, v2
	v_dual_fmamk_f32 v5, v1, 0x32a5705f, v5 :: v_dual_sub_f32 v2, v2, v14
	s_delay_alu instid0(VALU_DEP_1) | instskip(SKIP_2) | instid1(VALU_DEP_3)
	v_add_f32_e32 v2, v2, v5
	v_cvt_i32_f32_e32 v5, v14
	v_cmp_ngt_f32_e32 vcc_lo, 0xc2ce8ed0, v1
	v_exp_f32_e32 v2, v2
	s_waitcnt_depctr 0xfff
	v_ldexp_f32 v2, v2, v5
	s_delay_alu instid0(VALU_DEP_1) | instskip(SKIP_1) | instid1(VALU_DEP_2)
	v_cndmask_b32_e32 v2, 0, v2, vcc_lo
	v_cmp_nlt_f32_e32 vcc_lo, 0x42b17218, v1
	v_cndmask_b32_e32 v14, 0x7f800000, v2, vcc_lo
.LBB191_22:
	s_or_b32 exec_lo, exec_lo, s4
	v_sub_nc_u32_e64 v1, s5, s20 clamp
	s_lshl_b32 s4, s20, 1
	s_delay_alu instid0(SALU_CYCLE_1) | instskip(SKIP_1) | instid1(VALU_DEP_1)
	s_add_u32 s4, s18, s4
	s_addc_u32 s5, s19, 0
	v_readfirstlane_b32 s11, v1
	s_branch .LBB191_27
.LBB191_23:
	ds_load_b32 v1, v13
	s_or_b32 exec_lo, exec_lo, s1
	v_cmp_gt_u32_e64 s1, 32, v0
	s_delay_alu instid0(VALU_DEP_1)
	s_and_saveexec_b32 s3, s1
	s_cbranch_execz .LBB191_17
.LBB191_24:
	s_waitcnt lgkmcnt(0)
	ds_bpermute_b32 v2, v6, v1
	s_waitcnt lgkmcnt(0)
	v_cmp_lt_f32_e32 vcc_lo, v1, v2
	v_cndmask_b32_e32 v1, v1, v2, vcc_lo
	ds_bpermute_b32 v2, v7, v1
	s_waitcnt lgkmcnt(0)
	v_cmp_lt_f32_e32 vcc_lo, v1, v2
	v_cndmask_b32_e32 v1, v1, v2, vcc_lo
	;; [unrolled: 4-line block ×5, first 2 shown]
	s_or_b32 exec_lo, exec_lo, s3
	v_cmp_eq_u32_e64 s3, 0, v0
	s_delay_alu instid0(VALU_DEP_1)
	s_and_saveexec_b32 s5, s3
	s_cbranch_execnz .LBB191_18
	s_branch .LBB191_19
.LBB191_25:
                                        ; implicit-def: $sgpr2_sgpr3
                                        ; implicit-def: $sgpr11
                                        ; implicit-def: $vgpr4
                                        ; implicit-def: $sgpr4_sgpr5
	s_cbranch_execnz .LBB191_4
	s_branch .LBB191_5
.LBB191_26:
	s_mov_b64 s[4:5], s[6:7]
	s_mov_b32 s11, s14
.LBB191_27:
	s_load_b32 s18, s[16:17], 0x0
	v_mov_b32_e32 v1, 0
	s_mov_b32 s19, 0
	s_waitcnt lgkmcnt(0)
	s_cmp_lt_u32 s15, s18
	s_cselect_b32 s15, 12, 18
	s_delay_alu instid0(SALU_CYCLE_1) | instskip(SKIP_4) | instid1(VALU_DEP_1)
	s_add_u32 s16, s16, s15
	s_addc_u32 s17, s17, 0
	global_load_u16 v5, v1, s[16:17]
	s_waitcnt vmcnt(0)
	v_readfirstlane_b32 s15, v5
	s_lshl_b32 s15, s15, 3
	s_delay_alu instid0(SALU_CYCLE_1) | instskip(SKIP_1) | instid1(VALU_DEP_1)
	v_cvt_f32_u32_e32 v1, s15
	s_sub_i32 s17, 0, s15
	v_rcp_iflag_f32_e32 v1, v1
	s_waitcnt_depctr 0xfff
	v_mul_f32_e32 v1, 0x4f7ffffe, v1
	s_delay_alu instid0(VALU_DEP_1) | instskip(NEXT) | instid1(VALU_DEP_1)
	v_cvt_u32_f32_e32 v1, v1
	v_readfirstlane_b32 s16, v1
	s_delay_alu instid0(VALU_DEP_1) | instskip(NEXT) | instid1(SALU_CYCLE_1)
	s_mul_i32 s17, s17, s16
	s_mul_hi_u32 s17, s16, s17
	s_delay_alu instid0(SALU_CYCLE_1) | instskip(NEXT) | instid1(SALU_CYCLE_1)
	s_add_i32 s16, s16, s17
	s_mul_hi_u32 s17, s11, s16
	s_delay_alu instid0(SALU_CYCLE_1) | instskip(NEXT) | instid1(SALU_CYCLE_1)
	s_mul_i32 s17, s17, s15
	s_sub_i32 s17, s11, s17
	s_delay_alu instid0(SALU_CYCLE_1) | instskip(SKIP_2) | instid1(SALU_CYCLE_1)
	s_sub_i32 s18, s17, s15
	s_cmp_ge_u32 s17, s15
	s_cselect_b32 s17, s18, s17
	s_sub_i32 s18, s17, s15
	s_cmp_ge_u32 s17, s15
	s_cselect_b32 s17, s18, s17
	s_mov_b32 s18, exec_lo
	s_sub_i32 s17, s11, s17
	s_delay_alu instid0(SALU_CYCLE_1)
	v_cmpx_gt_i32_e64 s17, v3
	s_cbranch_execz .LBB191_31
; %bb.28:
	v_mov_b32_e32 v1, v0
.LBB191_29:                             ; =>This Inner Loop Header: Depth=1
	s_delay_alu instid0(VALU_DEP_1) | instskip(NEXT) | instid1(VALU_DEP_1)
	v_ashrrev_i32_e32 v2, 31, v1
	v_lshlrev_b64 v[15:16], 4, v[1:2]
	s_delay_alu instid0(VALU_DEP_1) | instskip(NEXT) | instid1(VALU_DEP_2)
	v_add_co_u32 v15, vcc_lo, s4, v15
	v_add_co_ci_u32_e32 v16, vcc_lo, s5, v16, vcc_lo
	global_load_b128 v[15:18], v[15:16], off
	s_waitcnt vmcnt(0)
	v_lshlrev_b32_e32 v2, 16, v15
	v_lshlrev_b32_e32 v19, 16, v16
	v_and_b32_e32 v16, 0xffff0000, v16
	v_and_b32_e32 v15, 0xffff0000, v15
	s_delay_alu instid0(VALU_DEP_2) | instskip(NEXT) | instid1(VALU_DEP_2)
	v_dual_sub_f32 v16, v16, v4 :: v_dual_lshlrev_b32 v21, 16, v18
	v_sub_f32_e32 v15, v15, v4
	v_dual_sub_f32 v2, v2, v4 :: v_dual_add_nc_u32 v1, v1, v5
	s_delay_alu instid0(VALU_DEP_1) | instskip(SKIP_3) | instid1(VALU_DEP_4)
	v_mul_f32_e32 v22, 0x3fb8aa3b, v2
	v_dual_sub_f32 v19, v19, v4 :: v_dual_lshlrev_b32 v20, 16, v17
	v_and_b32_e32 v17, 0xffff0000, v17
	v_cmp_ngt_f32_e32 vcc_lo, 0xc2ce8ed0, v2
	v_fma_f32 v30, 0x3fb8aa3b, v2, -v22
	s_delay_alu instid0(VALU_DEP_4) | instskip(NEXT) | instid1(VALU_DEP_4)
	v_sub_f32_e32 v20, v20, v4
	v_dual_sub_f32 v17, v17, v4 :: v_dual_and_b32 v18, 0xffff0000, v18
	v_mul_f32_e32 v23, 0x3fb8aa3b, v15
	v_mul_f32_e32 v24, 0x3fb8aa3b, v19
	s_delay_alu instid0(VALU_DEP_4) | instskip(NEXT) | instid1(VALU_DEP_4)
	v_mul_f32_e32 v26, 0x3fb8aa3b, v20
	v_sub_f32_e32 v18, v18, v4
	v_sub_f32_e32 v21, v21, v4
	v_mul_f32_e32 v25, 0x3fb8aa3b, v16
	v_rndne_f32_e32 v31, v22
	v_mul_f32_e32 v27, 0x3fb8aa3b, v17
	v_fma_f32 v32, 0x3fb8aa3b, v15, -v23
	v_mul_f32_e32 v28, 0x3fb8aa3b, v21
	v_rndne_f32_e32 v33, v23
	v_sub_f32_e32 v22, v22, v31
	v_rndne_f32_e32 v37, v25
	v_fmac_f32_e32 v30, 0x32a5705f, v2
	v_fma_f32 v36, 0x3fb8aa3b, v16, -v25
	v_rndne_f32_e32 v39, v26
	v_rndne_f32_e32 v41, v27
	v_dual_sub_f32 v25, v25, v37 :: v_dual_fmac_f32 v32, 0x32a5705f, v15
	v_dual_sub_f32 v23, v23, v33 :: v_dual_add_f32 v22, v22, v30
	v_fma_f32 v34, 0x3fb8aa3b, v19, -v24
	v_rndne_f32_e32 v35, v24
	v_mul_f32_e32 v29, 0x3fb8aa3b, v18
	v_fma_f32 v38, 0x3fb8aa3b, v20, -v26
	v_fma_f32 v40, 0x3fb8aa3b, v17, -v27
	s_delay_alu instid0(VALU_DEP_4)
	v_dual_sub_f32 v27, v27, v41 :: v_dual_sub_f32 v24, v24, v35
	v_dual_sub_f32 v26, v26, v39 :: v_dual_add_f32 v23, v23, v32
	v_exp_f32_e32 v22, v22
	v_rndne_f32_e32 v45, v29
	v_cvt_i32_f32_e32 v31, v31
	v_fmac_f32_e32 v34, 0x32a5705f, v19
	v_exp_f32_e32 v23, v23
	v_fma_f32 v44, 0x3fb8aa3b, v18, -v29
	v_sub_f32_e32 v29, v29, v45
	v_cvt_i32_f32_e32 v33, v33
	v_add_f32_e32 v24, v24, v34
	v_cvt_i32_f32_e32 v35, v35
	v_ldexp_f32 v22, v22, v31
	v_cvt_i32_f32_e32 v37, v37
	v_fma_f32 v42, 0x3fb8aa3b, v21, -v28
	v_exp_f32_e32 v24, v24
	v_ldexp_f32 v23, v23, v33
	v_cndmask_b32_e32 v22, 0, v22, vcc_lo
	v_cmp_ngt_f32_e32 vcc_lo, 0xc2ce8ed0, v15
	v_fmac_f32_e32 v36, 0x32a5705f, v16
	v_rndne_f32_e32 v43, v28
	v_cvt_i32_f32_e32 v39, v39
	v_dual_fmac_f32 v44, 0x32a5705f, v18 :: v_dual_cndmask_b32 v23, 0, v23
	s_delay_alu instid0(VALU_DEP_4) | instskip(SKIP_2) | instid1(VALU_DEP_3)
	v_dual_fmac_f32 v40, 0x32a5705f, v17 :: v_dual_add_f32 v25, v25, v36
	v_cmp_nlt_f32_e32 vcc_lo, 0x42b17218, v2
	v_ldexp_f32 v24, v24, v35
	v_dual_fmac_f32 v42, 0x32a5705f, v21 :: v_dual_add_f32 v27, v27, v40
	s_delay_alu instid0(VALU_DEP_4) | instskip(SKIP_4) | instid1(VALU_DEP_3)
	v_exp_f32_e32 v25, v25
	v_cndmask_b32_e32 v2, 0x7f800000, v22, vcc_lo
	v_cmp_ngt_f32_e32 vcc_lo, 0xc2ce8ed0, v19
	v_dual_sub_f32 v28, v28, v43 :: v_dual_add_f32 v29, v29, v44
	v_exp_f32_e32 v27, v27
	v_add_f32_e32 v2, v14, v2
	v_cndmask_b32_e32 v22, 0, v24, vcc_lo
	v_cmp_nlt_f32_e32 vcc_lo, 0x42b17218, v15
	v_cvt_i32_f32_e32 v41, v41
	s_delay_alu instid0(TRANS32_DEP_2)
	v_ldexp_f32 v25, v25, v37
	v_add_f32_e32 v28, v28, v42
	v_cvt_i32_f32_e32 v43, v43
	v_cndmask_b32_e32 v15, 0x7f800000, v23, vcc_lo
	v_cmp_ngt_f32_e32 vcc_lo, 0xc2ce8ed0, v16
	v_ldexp_f32 v27, v27, v41
	v_exp_f32_e32 v28, v28
	v_exp_f32_e32 v29, v29
	v_add_f32_e32 v2, v2, v15
	v_cndmask_b32_e32 v14, 0, v25, vcc_lo
	v_cmp_nlt_f32_e32 vcc_lo, 0x42b17218, v19
	v_cvt_i32_f32_e32 v45, v45
	v_cndmask_b32_e32 v19, 0x7f800000, v22, vcc_lo
	v_cmp_ngt_f32_e32 vcc_lo, 0xc2ce8ed0, v20
	v_fmac_f32_e32 v38, 0x32a5705f, v20
	s_delay_alu instid0(TRANS32_DEP_2) | instskip(NEXT) | instid1(TRANS32_DEP_1)
	v_ldexp_f32 v28, v28, v43
	v_ldexp_f32 v29, v29, v45
	v_add_f32_e32 v2, v2, v19
	s_delay_alu instid0(VALU_DEP_4) | instskip(NEXT) | instid1(VALU_DEP_1)
	v_add_f32_e32 v26, v26, v38
	v_exp_f32_e32 v26, v26
	s_waitcnt_depctr 0xfff
	v_ldexp_f32 v26, v26, v39
	s_delay_alu instid0(VALU_DEP_1) | instskip(SKIP_3) | instid1(VALU_DEP_2)
	v_cndmask_b32_e32 v15, 0, v26, vcc_lo
	v_cmp_nlt_f32_e32 vcc_lo, 0x42b17218, v16
	v_cndmask_b32_e32 v14, 0x7f800000, v14, vcc_lo
	v_cmp_ngt_f32_e32 vcc_lo, 0xc2ce8ed0, v17
	v_add_f32_e32 v2, v2, v14
	v_cndmask_b32_e32 v16, 0, v27, vcc_lo
	v_cmp_nlt_f32_e32 vcc_lo, 0x42b17218, v20
	v_cndmask_b32_e32 v15, 0x7f800000, v15, vcc_lo
	v_cmp_ngt_f32_e32 vcc_lo, 0xc2ce8ed0, v21
	s_delay_alu instid0(VALU_DEP_2) | instskip(SKIP_4) | instid1(VALU_DEP_2)
	v_add_f32_e32 v2, v2, v15
	v_cndmask_b32_e32 v14, 0, v28, vcc_lo
	v_cmp_nlt_f32_e32 vcc_lo, 0x42b17218, v17
	v_cndmask_b32_e32 v16, 0x7f800000, v16, vcc_lo
	v_cmp_ngt_f32_e32 vcc_lo, 0xc2ce8ed0, v18
	v_dual_add_f32 v2, v2, v16 :: v_dual_cndmask_b32 v15, 0, v29
	v_cmp_nlt_f32_e32 vcc_lo, 0x42b17218, v21
	v_lshlrev_b32_e32 v16, 3, v1
	v_cndmask_b32_e32 v14, 0x7f800000, v14, vcc_lo
	v_cmp_nlt_f32_e32 vcc_lo, 0x42b17218, v18
	s_delay_alu instid0(VALU_DEP_2) | instskip(NEXT) | instid1(VALU_DEP_4)
	v_dual_add_f32 v2, v2, v14 :: v_dual_cndmask_b32 v15, 0x7f800000, v15
	v_cmp_le_i32_e32 vcc_lo, s17, v16
	s_delay_alu instid0(VALU_DEP_2) | instskip(SKIP_1) | instid1(SALU_CYCLE_1)
	v_add_f32_e32 v14, v2, v15
	s_or_b32 s19, vcc_lo, s19
	s_and_not1_b32 exec_lo, exec_lo, s19
	s_cbranch_execnz .LBB191_29
; %bb.30:
	s_or_b32 exec_lo, exec_lo, s19
.LBB191_31:
	s_delay_alu instid0(SALU_CYCLE_1) | instskip(SKIP_2) | instid1(VALU_DEP_1)
	s_or_b32 exec_lo, exec_lo, s18
	v_add_nc_u32_e32 v1, s17, v0
	s_mov_b32 s17, exec_lo
	v_cmpx_gt_i32_e64 s11, v1
	s_cbranch_execz .LBB191_35
; %bb.32:
	s_mov_b32 s18, 0
	s_set_inst_prefetch_distance 0x1
	.p2align	6
.LBB191_33:                             ; =>This Inner Loop Header: Depth=1
	v_ashrrev_i32_e32 v2, 31, v1
	s_delay_alu instid0(VALU_DEP_1) | instskip(SKIP_1) | instid1(VALU_DEP_2)
	v_lshlrev_b64 v[15:16], 1, v[1:2]
	v_add_nc_u32_e32 v1, v1, v5
	v_add_co_u32 v15, vcc_lo, s4, v15
	s_delay_alu instid0(VALU_DEP_3) | instskip(SKIP_3) | instid1(VALU_DEP_1)
	v_add_co_ci_u32_e32 v16, vcc_lo, s5, v16, vcc_lo
	global_load_u16 v2, v[15:16], off
	s_waitcnt vmcnt(0)
	v_lshlrev_b32_e32 v2, 16, v2
	v_sub_f32_e32 v2, v2, v4
	s_delay_alu instid0(VALU_DEP_1) | instskip(SKIP_1) | instid1(VALU_DEP_2)
	v_mul_f32_e32 v15, 0x3fb8aa3b, v2
	v_cmp_ngt_f32_e32 vcc_lo, 0xc2ce8ed0, v2
	v_fma_f32 v16, 0x3fb8aa3b, v2, -v15
	v_rndne_f32_e32 v17, v15
	s_delay_alu instid0(VALU_DEP_1) | instskip(NEXT) | instid1(VALU_DEP_1)
	v_dual_fmac_f32 v16, 0x32a5705f, v2 :: v_dual_sub_f32 v15, v15, v17
	v_add_f32_e32 v15, v15, v16
	v_cvt_i32_f32_e32 v16, v17
	s_delay_alu instid0(VALU_DEP_2) | instskip(SKIP_2) | instid1(VALU_DEP_1)
	v_exp_f32_e32 v15, v15
	s_waitcnt_depctr 0xfff
	v_ldexp_f32 v15, v15, v16
	v_cndmask_b32_e32 v15, 0, v15, vcc_lo
	v_cmp_nlt_f32_e32 vcc_lo, 0x42b17218, v2
	s_delay_alu instid0(VALU_DEP_2) | instskip(SKIP_1) | instid1(VALU_DEP_2)
	v_cndmask_b32_e32 v2, 0x7f800000, v15, vcc_lo
	v_cmp_le_i32_e32 vcc_lo, s11, v1
	v_add_f32_e32 v14, v14, v2
	s_or_b32 s18, vcc_lo, s18
	s_delay_alu instid0(SALU_CYCLE_1)
	s_and_not1_b32 exec_lo, exec_lo, s18
	s_cbranch_execnz .LBB191_33
; %bb.34:
	s_set_inst_prefetch_distance 0x2
	s_or_b32 exec_lo, exec_lo, s18
.LBB191_35:
	s_delay_alu instid0(SALU_CYCLE_1)
	s_or_b32 exec_lo, exec_lo, s17
	ds_bpermute_b32 v1, v6, v14
	s_waitcnt lgkmcnt(0)
	s_barrier
	buffer_gl0_inv
	v_add_f32_e32 v1, v14, v1
	ds_bpermute_b32 v2, v7, v1
	s_waitcnt lgkmcnt(0)
	v_add_f32_e32 v1, v1, v2
	ds_bpermute_b32 v2, v8, v1
	s_waitcnt lgkmcnt(0)
	v_add_f32_e32 v1, v1, v2
	ds_bpermute_b32 v2, v10, v1
	s_waitcnt lgkmcnt(0)
	v_add_f32_e32 v1, v1, v2
	ds_bpermute_b32 v2, v11, v1
	s_and_saveexec_b32 s4, s2
	s_cbranch_execz .LBB191_37
; %bb.36:
	s_waitcnt lgkmcnt(0)
	v_dual_add_f32 v1, v1, v2 :: v_dual_add_nc_u32 v12, 0, v12
	ds_store_b32 v12, v1
.LBB191_37:
	s_or_b32 exec_lo, exec_lo, s4
	v_mov_b32_e32 v1, 0
	s_waitcnt lgkmcnt(0)
	s_barrier
	buffer_gl0_inv
	s_and_saveexec_b32 s2, s0
	s_cbranch_execnz .LBB191_58
; %bb.38:
	s_or_b32 exec_lo, exec_lo, s2
	s_and_saveexec_b32 s0, s1
	s_cbranch_execnz .LBB191_59
.LBB191_39:
	s_or_b32 exec_lo, exec_lo, s0
	s_and_saveexec_b32 s0, s3
	s_cbranch_execz .LBB191_41
.LBB191_40:
	v_mov_b32_e32 v2, 0
	s_waitcnt lgkmcnt(0)
	ds_store_b32 v2, v1
.LBB191_41:
	s_or_b32 exec_lo, exec_lo, s0
	s_waitcnt lgkmcnt(0)
	v_mov_b32_e32 v1, 0
	s_barrier
	buffer_gl0_inv
	s_lshl_b64 s[2:3], s[12:13], 2
	ds_load_b32 v1, v1
	s_add_u32 s1, s8, s2
	s_addc_u32 s3, s9, s3
	s_waitcnt lgkmcnt(0)
	v_cmp_gt_f32_e32 vcc_lo, 0x800000, v1
	v_cndmask_b32_e64 v2, 1.0, 0x4f800000, vcc_lo
	s_delay_alu instid0(VALU_DEP_1) | instskip(NEXT) | instid1(VALU_DEP_1)
	v_mul_f32_e32 v1, v1, v2
	v_log_f32_e32 v1, v1
	s_waitcnt_depctr 0xfff
	v_mul_f32_e32 v2, 0x3f317217, v1
	v_cmp_gt_f32_e64 s0, 0x7f800000, |v1|
	s_delay_alu instid0(VALU_DEP_2) | instskip(NEXT) | instid1(VALU_DEP_1)
	v_fma_f32 v6, 0x3f317217, v1, -v2
	v_fmamk_f32 v6, v1, 0x3377d1cf, v6
	s_delay_alu instid0(VALU_DEP_1) | instskip(NEXT) | instid1(VALU_DEP_1)
	v_add_f32_e32 v2, v2, v6
	v_cndmask_b32_e64 v1, v1, v2, s0
	v_cndmask_b32_e64 v2, 0, 0x41b17218, vcc_lo
	s_bfe_u32 s0, s1, 0x20002
	s_delay_alu instid0(SALU_CYCLE_1) | instskip(SKIP_1) | instid1(VALU_DEP_1)
	s_cmp_lg_u32 s10, s0
	s_mov_b32 s0, -1
	v_sub_f32_e32 v6, v1, v2
	s_cbranch_scc0 .LBB191_46
; %bb.42:
	s_mov_b32 s2, exec_lo
	v_cmpx_gt_i32_e64 s14, v0
	s_cbranch_execz .LBB191_45
; %bb.43:
	v_mov_b32_e32 v1, v0
	s_mov_b32 s4, 0
	.p2align	6
.LBB191_44:                             ; =>This Inner Loop Header: Depth=1
	s_delay_alu instid0(VALU_DEP_1) | instskip(NEXT) | instid1(VALU_DEP_1)
	v_ashrrev_i32_e32 v2, 31, v1
	v_lshlrev_b64 v[7:8], 1, v[1:2]
	s_delay_alu instid0(VALU_DEP_1) | instskip(NEXT) | instid1(VALU_DEP_2)
	v_add_co_u32 v7, vcc_lo, s6, v7
	v_add_co_ci_u32_e32 v8, vcc_lo, s7, v8, vcc_lo
	global_load_u16 v7, v[7:8], off
	s_waitcnt vmcnt(0)
	v_lshlrev_b32_e32 v10, 16, v7
	v_lshlrev_b64 v[7:8], 2, v[1:2]
	s_delay_alu instid0(VALU_DEP_2) | instskip(NEXT) | instid1(VALU_DEP_1)
	v_dual_sub_f32 v2, v10, v4 :: v_dual_add_nc_u32 v1, s20, v1
	v_cmp_le_i32_e32 vcc_lo, s14, v1
	s_delay_alu instid0(VALU_DEP_3) | instskip(NEXT) | instid1(VALU_DEP_3)
	v_add_co_u32 v7, s0, s1, v7
	v_sub_f32_e32 v2, v2, v6
	v_add_co_ci_u32_e64 v8, s0, s3, v8, s0
	s_or_b32 s4, vcc_lo, s4
	global_store_b32 v[7:8], v2, off
	s_and_not1_b32 exec_lo, exec_lo, s4
	s_cbranch_execnz .LBB191_44
.LBB191_45:
	s_or_b32 exec_lo, exec_lo, s2
	s_mov_b32 s0, 0
.LBB191_46:
	s_delay_alu instid0(SALU_CYCLE_1)
	s_and_not1_b32 vcc_lo, exec_lo, s0
	s_cbranch_vccnz .LBB191_57
; %bb.47:
	v_cmp_ne_u32_e32 vcc_lo, 1, v9
	s_cbranch_vccnz .LBB191_51
; %bb.48:
	s_mov_b32 s11, 0
	v_cmp_le_u32_e32 vcc_lo, s10, v0
	s_lshl_b64 s[4:5], s[10:11], 1
	s_delay_alu instid0(SALU_CYCLE_1) | instskip(SKIP_2) | instid1(SALU_CYCLE_1)
	s_sub_u32 s4, s6, s4
	s_subb_u32 s5, s7, s5
	s_lshl_b64 s[6:7], s[10:11], 2
	s_sub_u32 s2, s1, s6
	s_subb_u32 s3, s3, s7
	s_add_i32 s1, s10, s14
	s_delay_alu instid0(SALU_CYCLE_1) | instskip(NEXT) | instid1(VALU_DEP_1)
	v_cmp_gt_i32_e64 s0, s1, v0
	s_and_b32 s6, vcc_lo, s0
	s_delay_alu instid0(SALU_CYCLE_1)
	s_and_saveexec_b32 s0, s6
	s_cbranch_execz .LBB191_50
; %bb.49:
	v_lshlrev_b32_e32 v1, 1, v0
	v_lshlrev_b32_e32 v2, 2, v0
	global_load_u16 v1, v1, s[4:5]
	s_waitcnt vmcnt(0)
	v_lshlrev_b32_e32 v1, 16, v1
	s_delay_alu instid0(VALU_DEP_1) | instskip(NEXT) | instid1(VALU_DEP_1)
	v_sub_f32_e32 v1, v1, v4
	v_sub_f32_e32 v1, v1, v6
	global_store_b32 v2, v1, s[2:3]
.LBB191_50:
	s_or_b32 exec_lo, exec_lo, s0
	v_sub_nc_u32_e64 v1, s1, s20 clamp
	s_lshl_b32 s0, s20, 1
	s_delay_alu instid0(SALU_CYCLE_1) | instskip(SKIP_1) | instid1(VALU_DEP_1)
	s_add_u32 s6, s4, s0
	s_addc_u32 s7, s5, 0
	v_readfirstlane_b32 s14, v1
	s_lshl_b32 s0, s20, 2
	s_delay_alu instid0(SALU_CYCLE_1)
	s_add_u32 s1, s2, s0
	s_addc_u32 s3, s3, 0
.LBB191_51:
	s_delay_alu instid0(VALU_DEP_1) | instskip(NEXT) | instid1(SALU_CYCLE_1)
	s_mul_hi_u32 s0, s14, s16
	s_mul_i32 s0, s0, s15
	s_delay_alu instid0(SALU_CYCLE_1) | instskip(NEXT) | instid1(SALU_CYCLE_1)
	s_sub_i32 s0, s14, s0
	s_sub_i32 s2, s0, s15
	s_cmp_ge_u32 s0, s15
	s_cselect_b32 s0, s2, s0
	s_delay_alu instid0(SALU_CYCLE_1) | instskip(SKIP_4) | instid1(SALU_CYCLE_1)
	s_sub_i32 s2, s0, s15
	s_cmp_ge_u32 s0, s15
	s_cselect_b32 s0, s2, s0
	s_mov_b32 s2, exec_lo
	s_sub_i32 s0, s14, s0
	v_cmpx_gt_i32_e64 s0, v3
	s_cbranch_execz .LBB191_54
; %bb.52:
	v_mov_b32_e32 v1, v0
	s_mov_b32 s4, 0
.LBB191_53:                             ; =>This Inner Loop Header: Depth=1
	s_delay_alu instid0(VALU_DEP_1) | instskip(NEXT) | instid1(VALU_DEP_1)
	v_ashrrev_i32_e32 v2, 31, v1
	v_lshlrev_b64 v[7:8], 4, v[1:2]
	v_lshlrev_b64 v[2:3], 5, v[1:2]
	s_delay_alu instid0(VALU_DEP_2) | instskip(NEXT) | instid1(VALU_DEP_3)
	v_add_co_u32 v7, vcc_lo, s6, v7
	v_add_co_ci_u32_e32 v8, vcc_lo, s7, v8, vcc_lo
	s_delay_alu instid0(VALU_DEP_3) | instskip(NEXT) | instid1(VALU_DEP_4)
	v_add_co_u32 v2, vcc_lo, s1, v2
	v_add_co_ci_u32_e32 v3, vcc_lo, s3, v3, vcc_lo
	global_load_b128 v[7:10], v[7:8], off
	s_waitcnt vmcnt(0)
	v_lshlrev_b32_e32 v12, 16, v8
	v_add_nc_u32_e32 v1, v1, v5
	v_lshlrev_b32_e32 v13, 16, v9
	v_and_b32_e32 v9, 0xffff0000, v9
	v_lshlrev_b32_e32 v14, 16, v10
	v_sub_f32_e32 v12, v12, v4
	v_and_b32_e32 v8, 0xffff0000, v8
	s_delay_alu instid0(VALU_DEP_4) | instskip(NEXT) | instid1(VALU_DEP_3)
	v_dual_sub_f32 v17, v9, v4 :: v_dual_and_b32 v10, 0xffff0000, v10
	v_dual_sub_f32 v14, v14, v4 :: v_dual_sub_f32 v9, v12, v6
	s_delay_alu instid0(VALU_DEP_3) | instskip(NEXT) | instid1(VALU_DEP_3)
	v_dual_sub_f32 v16, v8, v4 :: v_dual_lshlrev_b32 v11, 3, v1
	v_sub_f32_e32 v18, v10, v4
	s_delay_alu instid0(VALU_DEP_4) | instskip(NEXT) | instid1(VALU_DEP_3)
	v_sub_f32_e32 v12, v17, v6
	v_cmp_le_i32_e32 vcc_lo, s0, v11
	v_lshlrev_b32_e32 v11, 16, v7
	v_dual_sub_f32 v10, v16, v6 :: v_dual_and_b32 v7, 0xffff0000, v7
	s_or_b32 s4, vcc_lo, s4
	s_delay_alu instid0(VALU_DEP_2) | instskip(NEXT) | instid1(VALU_DEP_2)
	v_sub_f32_e32 v11, v11, v4
	v_sub_f32_e32 v15, v7, v4
	s_delay_alu instid0(VALU_DEP_2) | instskip(NEXT) | instid1(VALU_DEP_2)
	v_sub_f32_e32 v7, v11, v6
	v_dual_sub_f32 v8, v15, v6 :: v_dual_sub_f32 v13, v13, v4
	s_delay_alu instid0(VALU_DEP_1)
	v_sub_f32_e32 v11, v13, v6
	v_sub_f32_e32 v13, v14, v6
	;; [unrolled: 1-line block ×3, first 2 shown]
	s_clause 0x1
	global_store_b128 v[2:3], v[7:10], off
	global_store_b128 v[2:3], v[11:14], off offset:16
	s_and_not1_b32 exec_lo, exec_lo, s4
	s_cbranch_execnz .LBB191_53
.LBB191_54:
	s_or_b32 exec_lo, exec_lo, s2
	v_add_nc_u32_e32 v0, s0, v0
	s_mov_b32 s0, exec_lo
	s_delay_alu instid0(VALU_DEP_1)
	v_cmpx_gt_i32_e64 s14, v0
	s_cbranch_execz .LBB191_57
; %bb.55:
	s_mov_b32 s2, 0
	.p2align	6
.LBB191_56:                             ; =>This Inner Loop Header: Depth=1
	v_ashrrev_i32_e32 v1, 31, v0
	s_delay_alu instid0(VALU_DEP_1) | instskip(NEXT) | instid1(VALU_DEP_1)
	v_lshlrev_b64 v[2:3], 1, v[0:1]
	v_add_co_u32 v2, vcc_lo, s6, v2
	s_delay_alu instid0(VALU_DEP_2) | instskip(SKIP_4) | instid1(VALU_DEP_2)
	v_add_co_ci_u32_e32 v3, vcc_lo, s7, v3, vcc_lo
	global_load_u16 v2, v[2:3], off
	s_waitcnt vmcnt(0)
	v_lshlrev_b32_e32 v3, 16, v2
	v_lshlrev_b64 v[1:2], 2, v[0:1]
	v_dual_sub_f32 v3, v3, v4 :: v_dual_add_nc_u32 v0, v0, v5
	s_delay_alu instid0(VALU_DEP_1) | instskip(NEXT) | instid1(VALU_DEP_3)
	v_cmp_le_i32_e32 vcc_lo, s14, v0
	v_add_co_u32 v1, s0, s1, v1
	s_delay_alu instid0(VALU_DEP_3)
	v_sub_f32_e32 v3, v3, v6
	v_add_co_ci_u32_e64 v2, s0, s3, v2, s0
	s_or_b32 s2, vcc_lo, s2
	global_store_b32 v[1:2], v3, off
	s_and_not1_b32 exec_lo, exec_lo, s2
	s_cbranch_execnz .LBB191_56
.LBB191_57:
	s_nop 0
	s_sendmsg sendmsg(MSG_DEALLOC_VGPRS)
	s_endpgm
.LBB191_58:
	ds_load_b32 v1, v13
	s_or_b32 exec_lo, exec_lo, s2
	s_and_saveexec_b32 s0, s1
	s_cbranch_execz .LBB191_39
.LBB191_59:
	s_waitcnt lgkmcnt(0)
	ds_bpermute_b32 v2, v6, v1
	s_waitcnt lgkmcnt(0)
	v_add_f32_e32 v1, v1, v2
	ds_bpermute_b32 v2, v7, v1
	s_waitcnt lgkmcnt(0)
	v_add_f32_e32 v1, v1, v2
	;; [unrolled: 3-line block ×5, first 2 shown]
	s_or_b32 exec_lo, exec_lo, s0
	s_and_saveexec_b32 s0, s3
	s_cbranch_execnz .LBB191_40
	s_branch .LBB191_41
	.section	.rodata,"a",@progbits
	.p2align	6, 0x0
	.amdhsa_kernel _ZN2at6native12_GLOBAL__N_119cunn_SoftMaxForwardILi8EN3c108BFloat16EffNS1_25LogSoftMaxForwardEpilogueEEEvPT2_PKT0_i
		.amdhsa_group_segment_fixed_size 0
		.amdhsa_private_segment_fixed_size 0
		.amdhsa_kernarg_size 280
		.amdhsa_user_sgpr_count 15
		.amdhsa_user_sgpr_dispatch_ptr 0
		.amdhsa_user_sgpr_queue_ptr 0
		.amdhsa_user_sgpr_kernarg_segment_ptr 1
		.amdhsa_user_sgpr_dispatch_id 0
		.amdhsa_user_sgpr_private_segment_size 0
		.amdhsa_wavefront_size32 1
		.amdhsa_uses_dynamic_stack 0
		.amdhsa_enable_private_segment 0
		.amdhsa_system_sgpr_workgroup_id_x 1
		.amdhsa_system_sgpr_workgroup_id_y 0
		.amdhsa_system_sgpr_workgroup_id_z 0
		.amdhsa_system_sgpr_workgroup_info 0
		.amdhsa_system_vgpr_workitem_id 0
		.amdhsa_next_free_vgpr 46
		.amdhsa_next_free_sgpr 21
		.amdhsa_reserve_vcc 1
		.amdhsa_float_round_mode_32 0
		.amdhsa_float_round_mode_16_64 0
		.amdhsa_float_denorm_mode_32 3
		.amdhsa_float_denorm_mode_16_64 3
		.amdhsa_dx10_clamp 1
		.amdhsa_ieee_mode 1
		.amdhsa_fp16_overflow 0
		.amdhsa_workgroup_processor_mode 1
		.amdhsa_memory_ordered 1
		.amdhsa_forward_progress 0
		.amdhsa_shared_vgpr_count 0
		.amdhsa_exception_fp_ieee_invalid_op 0
		.amdhsa_exception_fp_denorm_src 0
		.amdhsa_exception_fp_ieee_div_zero 0
		.amdhsa_exception_fp_ieee_overflow 0
		.amdhsa_exception_fp_ieee_underflow 0
		.amdhsa_exception_fp_ieee_inexact 0
		.amdhsa_exception_int_div_zero 0
	.end_amdhsa_kernel
	.section	.text._ZN2at6native12_GLOBAL__N_119cunn_SoftMaxForwardILi8EN3c108BFloat16EffNS1_25LogSoftMaxForwardEpilogueEEEvPT2_PKT0_i,"axG",@progbits,_ZN2at6native12_GLOBAL__N_119cunn_SoftMaxForwardILi8EN3c108BFloat16EffNS1_25LogSoftMaxForwardEpilogueEEEvPT2_PKT0_i,comdat
.Lfunc_end191:
	.size	_ZN2at6native12_GLOBAL__N_119cunn_SoftMaxForwardILi8EN3c108BFloat16EffNS1_25LogSoftMaxForwardEpilogueEEEvPT2_PKT0_i, .Lfunc_end191-_ZN2at6native12_GLOBAL__N_119cunn_SoftMaxForwardILi8EN3c108BFloat16EffNS1_25LogSoftMaxForwardEpilogueEEEvPT2_PKT0_i
                                        ; -- End function
	.section	.AMDGPU.csdata,"",@progbits
; Kernel info:
; codeLenInByte = 4304
; NumSgprs: 23
; NumVgprs: 46
; ScratchSize: 0
; MemoryBound: 0
; FloatMode: 240
; IeeeMode: 1
; LDSByteSize: 0 bytes/workgroup (compile time only)
; SGPRBlocks: 2
; VGPRBlocks: 5
; NumSGPRsForWavesPerEU: 23
; NumVGPRsForWavesPerEU: 46
; Occupancy: 16
; WaveLimiterHint : 0
; COMPUTE_PGM_RSRC2:SCRATCH_EN: 0
; COMPUTE_PGM_RSRC2:USER_SGPR: 15
; COMPUTE_PGM_RSRC2:TRAP_HANDLER: 0
; COMPUTE_PGM_RSRC2:TGID_X_EN: 1
; COMPUTE_PGM_RSRC2:TGID_Y_EN: 0
; COMPUTE_PGM_RSRC2:TGID_Z_EN: 0
; COMPUTE_PGM_RSRC2:TIDIG_COMP_CNT: 0
	.section	.text._ZN2at6native12_GLOBAL__N_126cunn_SpatialSoftMaxForwardIdddiNS1_25LogSoftMaxForwardEpilogueEEEvPT1_PKT_T2_S9_S9_,"axG",@progbits,_ZN2at6native12_GLOBAL__N_126cunn_SpatialSoftMaxForwardIdddiNS1_25LogSoftMaxForwardEpilogueEEEvPT1_PKT_T2_S9_S9_,comdat
	.globl	_ZN2at6native12_GLOBAL__N_126cunn_SpatialSoftMaxForwardIdddiNS1_25LogSoftMaxForwardEpilogueEEEvPT1_PKT_T2_S9_S9_ ; -- Begin function _ZN2at6native12_GLOBAL__N_126cunn_SpatialSoftMaxForwardIdddiNS1_25LogSoftMaxForwardEpilogueEEEvPT1_PKT_T2_S9_S9_
	.p2align	8
	.type	_ZN2at6native12_GLOBAL__N_126cunn_SpatialSoftMaxForwardIdddiNS1_25LogSoftMaxForwardEpilogueEEEvPT1_PKT_T2_S9_S9_,@function
_ZN2at6native12_GLOBAL__N_126cunn_SpatialSoftMaxForwardIdddiNS1_25LogSoftMaxForwardEpilogueEEEvPT1_PKT_T2_S9_S9_: ; @_ZN2at6native12_GLOBAL__N_126cunn_SpatialSoftMaxForwardIdddiNS1_25LogSoftMaxForwardEpilogueEEEvPT1_PKT_T2_S9_S9_
; %bb.0:
	s_load_b128 s[4:7], s[0:1], 0x10
	s_waitcnt lgkmcnt(0)
	s_cmp_ge_i32 s14, s4
	s_cbranch_scc1 .LBB192_40
; %bb.1:
	s_load_b32 s2, s[0:1], 0x2c
	v_and_b32_e32 v1, 0x3ff, v0
	s_clause 0x1
	s_load_b128 s[8:11], s[0:1], 0x0
	s_load_b64 s[16:17], s[0:1], 0x20
	s_add_u32 s12, s0, 32
	v_bfe_u32 v0, v0, 10, 10
	s_addc_u32 s13, s1, 0
	v_mad_u64_u32 v[2:3], null, s14, s5, v[1:2]
	s_mov_b32 s18, -1
	s_mov_b32 s20, 0x652b82fe
	s_mov_b32 s22, 0xfefa39ef
	;; [unrolled: 1-line block ×5, first 2 shown]
	s_delay_alu instid0(VALU_DEP_1)
	v_mul_lo_u32 v2, s6, v2
	s_mov_b32 s30, 0x623fde64
	s_mov_b32 s34, 0x7c89e6b0
	;; [unrolled: 1-line block ×5, first 2 shown]
	s_waitcnt lgkmcnt(0)
	s_lshr_b32 s1, s2, 16
	s_mov_b32 s42, 0x555502a1
	s_mul_i32 s2, s15, s1
	s_mul_i32 s7, s17, s1
	v_add_nc_u32_e32 v12, s2, v0
	v_add3_u32 v13, v0, v2, s2
	v_mov_b32_e32 v2, 0
	v_cmp_gt_i32_e64 s0, s5, v1
	s_mul_i32 s15, s16, s6
	v_cmp_gt_i32_e64 s1, s6, v12
	s_mov_b32 s44, 0x55555511
	s_mov_b32 s46, 11
	;; [unrolled: 1-line block ×14, first 2 shown]
	s_mul_i32 s15, s15, s5
	s_mov_b32 s29, 0x3e5ade15
	s_mov_b32 s31, 0x3ec71dee
	;; [unrolled: 1-line block ×19, first 2 shown]
	s_branch .LBB192_3
.LBB192_2:                              ;   in Loop: Header=BB192_3 Depth=1
	s_or_b32 exec_lo, exec_lo, s17
	v_add_nc_u32_e32 v13, s15, v13
	s_add_i32 s14, s16, s14
	s_delay_alu instid0(SALU_CYCLE_1)
	s_cmp_ge_i32 s14, s4
	s_cbranch_scc1 .LBB192_40
.LBB192_3:                              ; =>This Loop Header: Depth=1
                                        ;     Child Loop BB192_7 Depth 2
                                        ;       Child Loop BB192_10 Depth 3
                                        ;       Child Loop BB192_14 Depth 3
	;; [unrolled: 1-line block ×8, first 2 shown]
	s_and_saveexec_b32 s17, s1
	s_cbranch_execz .LBB192_2
; %bb.4:                                ;   in Loop: Header=BB192_3 Depth=1
	s_load_b32 s2, s[12:13], 0xc
	v_mov_b32_e32 v15, v13
	v_mov_b32_e32 v17, v12
	s_mov_b32 s68, 0
	s_waitcnt lgkmcnt(0)
	s_and_b32 s33, s2, 0xffff
	s_delay_alu instid0(SALU_CYCLE_1) | instskip(SKIP_3) | instid1(VALU_DEP_1)
	v_mul_u32_u24_e32 v3, s33, v0
	s_cmp_lt_u32 s33, 2
	s_mul_i32 s67, s6, s33
	s_cselect_b32 s66, -1, 0
	v_lshl_add_u32 v14, v3, 3, 0
	s_delay_alu instid0(VALU_DEP_1)
	v_lshl_add_u32 v16, v1, 3, v14
	s_branch .LBB192_7
.LBB192_5:                              ;   in Loop: Header=BB192_7 Depth=2
	s_or_b32 exec_lo, exec_lo, s69
.LBB192_6:                              ;   in Loop: Header=BB192_7 Depth=2
	v_add_nc_u32_e32 v17, s7, v17
	v_add_nc_u32_e32 v15, s7, v15
	s_delay_alu instid0(VALU_DEP_2) | instskip(SKIP_1) | instid1(SALU_CYCLE_1)
	v_cmp_le_i32_e32 vcc_lo, s6, v17
	s_or_b32 s68, vcc_lo, s68
	s_and_not1_b32 exec_lo, exec_lo, s68
	s_cbranch_execz .LBB192_2
.LBB192_7:                              ;   Parent Loop BB192_3 Depth=1
                                        ; =>  This Loop Header: Depth=2
                                        ;       Child Loop BB192_10 Depth 3
                                        ;       Child Loop BB192_14 Depth 3
	;; [unrolled: 1-line block ×8, first 2 shown]
	s_and_b32 vcc_lo, exec_lo, s66
	s_mov_b32 s2, -1
	s_cbranch_vccz .LBB192_20
; %bb.8:                                ;   in Loop: Header=BB192_7 Depth=2
	v_dual_mov_b32 v4, s18 :: v_dual_mov_b32 v5, s19
	s_and_saveexec_b32 s63, s0
	s_cbranch_execz .LBB192_12
; %bb.9:                                ;   in Loop: Header=BB192_7 Depth=2
	v_dual_mov_b32 v4, s18 :: v_dual_mov_b32 v5, s19
	v_dual_mov_b32 v6, v15 :: v_dual_mov_b32 v3, v1
	s_mov_b32 s64, 0
	.p2align	6
.LBB192_10:                             ;   Parent Loop BB192_3 Depth=1
                                        ;     Parent Loop BB192_7 Depth=2
                                        ; =>    This Inner Loop Header: Depth=3
	s_delay_alu instid0(VALU_DEP_1) | instskip(NEXT) | instid1(VALU_DEP_2)
	v_ashrrev_i32_e32 v7, 31, v6
	v_add_nc_u32_e32 v3, s33, v3
	s_delay_alu instid0(VALU_DEP_2) | instskip(NEXT) | instid1(VALU_DEP_2)
	v_lshlrev_b64 v[7:8], 3, v[6:7]
	v_cmp_le_i32_e64 s2, s5, v3
	s_delay_alu instid0(VALU_DEP_1) | instskip(NEXT) | instid1(VALU_DEP_2)
	s_or_b32 s64, s2, s64
	v_add_co_u32 v7, vcc_lo, s10, v7
	s_delay_alu instid0(VALU_DEP_3)
	v_add_co_ci_u32_e32 v8, vcc_lo, s11, v8, vcc_lo
	global_load_b64 v[7:8], v[7:8], off
	s_waitcnt vmcnt(0)
	v_cmp_lt_f64_e32 vcc_lo, v[4:5], v[7:8]
	v_dual_cndmask_b32 v5, v5, v8 :: v_dual_add_nc_u32 v6, s67, v6
	v_cndmask_b32_e32 v4, v4, v7, vcc_lo
	s_and_not1_b32 exec_lo, exec_lo, s64
	s_cbranch_execnz .LBB192_10
; %bb.11:                               ;   in Loop: Header=BB192_7 Depth=2
	s_or_b32 exec_lo, exec_lo, s64
.LBB192_12:                             ;   in Loop: Header=BB192_7 Depth=2
	s_delay_alu instid0(SALU_CYCLE_1)
	s_or_b32 exec_lo, exec_lo, s63
	v_mov_b32_e32 v6, 0
	v_mov_b32_e32 v7, 0
	s_and_saveexec_b32 s63, s0
	s_cbranch_execz .LBB192_16
; %bb.13:                               ;   in Loop: Header=BB192_7 Depth=2
	v_dual_mov_b32 v6, 0 :: v_dual_mov_b32 v3, v1
	v_dual_mov_b32 v7, 0 :: v_dual_mov_b32 v8, v15
	s_mov_b32 s64, 0
.LBB192_14:                             ;   Parent Loop BB192_3 Depth=1
                                        ;     Parent Loop BB192_7 Depth=2
                                        ; =>    This Inner Loop Header: Depth=3
	s_delay_alu instid0(VALU_DEP_1) | instskip(NEXT) | instid1(VALU_DEP_3)
	v_ashrrev_i32_e32 v9, 31, v8
	v_add_nc_u32_e32 v3, s33, v3
	s_delay_alu instid0(VALU_DEP_2) | instskip(SKIP_1) | instid1(VALU_DEP_2)
	v_lshlrev_b64 v[9:10], 3, v[8:9]
	v_add_nc_u32_e32 v8, s67, v8
	v_add_co_u32 v9, vcc_lo, s10, v9
	s_delay_alu instid0(VALU_DEP_3) | instskip(SKIP_3) | instid1(VALU_DEP_1)
	v_add_co_ci_u32_e32 v10, vcc_lo, s11, v10, vcc_lo
	global_load_b64 v[9:10], v[9:10], off
	s_waitcnt vmcnt(0)
	v_add_f64 v[9:10], v[9:10], -v[4:5]
	v_mul_f64 v[18:19], v[9:10], s[20:21]
	v_cmp_nlt_f64_e32 vcc_lo, 0x40900000, v[9:10]
	v_cmp_ngt_f64_e64 s2, 0xc090cc00, v[9:10]
	s_delay_alu instid0(VALU_DEP_3) | instskip(NEXT) | instid1(VALU_DEP_1)
	v_rndne_f64_e32 v[18:19], v[18:19]
	v_fma_f64 v[20:21], v[18:19], s[22:23], v[9:10]
	v_cvt_i32_f64_e32 v11, v[18:19]
	s_delay_alu instid0(VALU_DEP_2) | instskip(NEXT) | instid1(VALU_DEP_1)
	v_fma_f64 v[20:21], v[18:19], s[24:25], v[20:21]
	v_fma_f64 v[22:23], v[20:21], s[28:29], s[26:27]
	s_delay_alu instid0(VALU_DEP_1) | instskip(NEXT) | instid1(VALU_DEP_1)
	v_fma_f64 v[22:23], v[20:21], v[22:23], s[30:31]
	v_fma_f64 v[22:23], v[20:21], v[22:23], s[34:35]
	s_delay_alu instid0(VALU_DEP_1) | instskip(NEXT) | instid1(VALU_DEP_1)
	;; [unrolled: 3-line block ×5, first 2 shown]
	v_fma_f64 v[22:23], v[20:21], v[22:23], 1.0
	v_fma_f64 v[18:19], v[20:21], v[22:23], 1.0
	s_delay_alu instid0(VALU_DEP_1) | instskip(NEXT) | instid1(VALU_DEP_1)
	v_ldexp_f64 v[18:19], v[18:19], v11
	v_cndmask_b32_e32 v11, 0x7ff00000, v19, vcc_lo
	s_and_b32 vcc_lo, s2, vcc_lo
	s_delay_alu instid0(VALU_DEP_2) | instskip(SKIP_1) | instid1(VALU_DEP_3)
	v_cndmask_b32_e32 v9, 0, v18, vcc_lo
	v_cmp_le_i32_e32 vcc_lo, s5, v3
	v_cndmask_b32_e64 v10, 0, v11, s2
	s_or_b32 s64, vcc_lo, s64
	s_delay_alu instid0(VALU_DEP_1)
	v_add_f64 v[6:7], v[6:7], v[9:10]
	s_and_not1_b32 exec_lo, exec_lo, s64
	s_cbranch_execnz .LBB192_14
; %bb.15:                               ;   in Loop: Header=BB192_7 Depth=2
	s_or_b32 exec_lo, exec_lo, s64
.LBB192_16:                             ;   in Loop: Header=BB192_7 Depth=2
	s_delay_alu instid0(SALU_CYCLE_1)
	s_or_b32 exec_lo, exec_lo, s63
	s_and_saveexec_b32 s69, s0
	s_cbranch_execz .LBB192_19
; %bb.17:                               ;   in Loop: Header=BB192_7 Depth=2
	s_delay_alu instid0(VALU_DEP_1) | instskip(SKIP_3) | instid1(VALU_DEP_1)
	v_frexp_mant_f64_e32 v[8:9], v[6:7]
	s_mov_b32 s63, s49
	s_mov_b32 s2, s22
	;; [unrolled: 1-line block ×3, first 2 shown]
	v_cmp_gt_f64_e32 vcc_lo, s[48:49], v[8:9]
	v_cndmask_b32_e64 v3, 0x3ff00000, 2.0, vcc_lo
	s_delay_alu instid0(VALU_DEP_1) | instskip(SKIP_1) | instid1(VALU_DEP_2)
	v_mul_f64 v[8:9], v[8:9], v[2:3]
	v_frexp_exp_i32_f64_e32 v3, v[6:7]
	v_add_f64 v[10:11], v[8:9], 1.0
	v_add_f64 v[22:23], v[8:9], -1.0
	s_delay_alu instid0(VALU_DEP_3) | instskip(SKIP_1) | instid1(VALU_DEP_4)
	v_subrev_co_ci_u32_e32 v3, vcc_lo, 0, v3, vcc_lo
	v_cmp_class_f64_e64 vcc_lo, v[6:7], 0x204
	v_rcp_f64_e32 v[18:19], v[10:11]
	v_add_f64 v[24:25], v[10:11], -1.0
	s_delay_alu instid0(VALU_DEP_1) | instskip(SKIP_2) | instid1(VALU_DEP_1)
	v_add_f64 v[8:9], v[8:9], -v[24:25]
	s_waitcnt_depctr 0xfff
	v_fma_f64 v[20:21], -v[10:11], v[18:19], 1.0
	v_fma_f64 v[18:19], v[20:21], v[18:19], v[18:19]
	s_delay_alu instid0(VALU_DEP_1) | instskip(NEXT) | instid1(VALU_DEP_1)
	v_fma_f64 v[20:21], -v[10:11], v[18:19], 1.0
	v_fma_f64 v[18:19], v[20:21], v[18:19], v[18:19]
	s_delay_alu instid0(VALU_DEP_1) | instskip(NEXT) | instid1(VALU_DEP_1)
	v_mul_f64 v[20:21], v[22:23], v[18:19]
	v_mul_f64 v[26:27], v[10:11], v[20:21]
	s_delay_alu instid0(VALU_DEP_1) | instskip(NEXT) | instid1(VALU_DEP_1)
	v_fma_f64 v[10:11], v[20:21], v[10:11], -v[26:27]
	v_fma_f64 v[8:9], v[20:21], v[8:9], v[10:11]
	s_delay_alu instid0(VALU_DEP_1) | instskip(NEXT) | instid1(VALU_DEP_1)
	v_add_f64 v[10:11], v[26:27], v[8:9]
	v_add_f64 v[24:25], v[22:23], -v[10:11]
	v_add_f64 v[26:27], v[10:11], -v[26:27]
	s_delay_alu instid0(VALU_DEP_2) | instskip(NEXT) | instid1(VALU_DEP_2)
	v_add_f64 v[22:23], v[22:23], -v[24:25]
	v_add_f64 v[8:9], v[26:27], -v[8:9]
	s_delay_alu instid0(VALU_DEP_2) | instskip(NEXT) | instid1(VALU_DEP_1)
	v_add_f64 v[10:11], v[22:23], -v[10:11]
	v_add_f64 v[8:9], v[8:9], v[10:11]
	s_delay_alu instid0(VALU_DEP_1) | instskip(NEXT) | instid1(VALU_DEP_1)
	v_add_f64 v[8:9], v[24:25], v[8:9]
	v_mul_f64 v[8:9], v[18:19], v[8:9]
	s_delay_alu instid0(VALU_DEP_1) | instskip(NEXT) | instid1(VALU_DEP_1)
	v_add_f64 v[10:11], v[20:21], v[8:9]
	v_mul_f64 v[18:19], v[10:11], v[10:11]
	s_delay_alu instid0(VALU_DEP_1) | instskip(SKIP_1) | instid1(VALU_DEP_2)
	v_fma_f64 v[22:23], v[18:19], s[52:53], s[50:51]
	v_mul_f64 v[24:25], v[10:11], v[18:19]
	v_fma_f64 v[22:23], v[18:19], v[22:23], s[54:55]
	s_delay_alu instid0(VALU_DEP_1) | instskip(NEXT) | instid1(VALU_DEP_1)
	v_fma_f64 v[22:23], v[18:19], v[22:23], s[56:57]
	v_fma_f64 v[22:23], v[18:19], v[22:23], s[58:59]
	s_delay_alu instid0(VALU_DEP_1) | instskip(NEXT) | instid1(VALU_DEP_1)
	v_fma_f64 v[22:23], v[18:19], v[22:23], s[60:61]
	v_fma_f64 v[18:19], v[18:19], v[22:23], s[62:63]
	v_ldexp_f64 v[22:23], v[10:11], 1
	v_add_f64 v[10:11], v[10:11], -v[20:21]
	s_mov_b32 s63, 0
	s_delay_alu instid0(VALU_DEP_3) | instskip(SKIP_1) | instid1(VALU_DEP_3)
	v_mul_f64 v[18:19], v[24:25], v[18:19]
	v_cvt_f64_i32_e32 v[24:25], v3
	v_add_f64 v[8:9], v[8:9], -v[10:11]
	s_delay_alu instid0(VALU_DEP_3) | instskip(NEXT) | instid1(VALU_DEP_3)
	v_add_f64 v[20:21], v[22:23], v[18:19]
	v_mul_f64 v[26:27], v[24:25], s[2:3]
	s_delay_alu instid0(VALU_DEP_3) | instskip(NEXT) | instid1(VALU_DEP_3)
	v_ldexp_f64 v[8:9], v[8:9], 1
	v_add_f64 v[10:11], v[20:21], -v[22:23]
	s_delay_alu instid0(VALU_DEP_3) | instskip(NEXT) | instid1(VALU_DEP_2)
	v_fma_f64 v[22:23], v[24:25], s[2:3], -v[26:27]
	v_add_f64 v[10:11], v[18:19], -v[10:11]
	s_delay_alu instid0(VALU_DEP_2) | instskip(NEXT) | instid1(VALU_DEP_2)
	v_fma_f64 v[18:19], v[24:25], s[64:65], v[22:23]
	v_add_f64 v[8:9], v[8:9], v[10:11]
	s_delay_alu instid0(VALU_DEP_2) | instskip(NEXT) | instid1(VALU_DEP_2)
	v_add_f64 v[10:11], v[26:27], v[18:19]
	v_add_f64 v[22:23], v[20:21], v[8:9]
	s_delay_alu instid0(VALU_DEP_2) | instskip(NEXT) | instid1(VALU_DEP_2)
	v_add_f64 v[26:27], v[10:11], -v[26:27]
	v_add_f64 v[24:25], v[10:11], v[22:23]
	v_add_f64 v[20:21], v[22:23], -v[20:21]
	s_delay_alu instid0(VALU_DEP_3) | instskip(NEXT) | instid1(VALU_DEP_3)
	v_add_f64 v[18:19], v[18:19], -v[26:27]
	v_add_f64 v[28:29], v[24:25], -v[10:11]
	s_delay_alu instid0(VALU_DEP_3) | instskip(NEXT) | instid1(VALU_DEP_2)
	v_add_f64 v[8:9], v[8:9], -v[20:21]
	v_add_f64 v[30:31], v[24:25], -v[28:29]
	;; [unrolled: 1-line block ×3, first 2 shown]
	s_delay_alu instid0(VALU_DEP_3) | instskip(NEXT) | instid1(VALU_DEP_3)
	v_add_f64 v[22:23], v[18:19], v[8:9]
	v_add_f64 v[10:11], v[10:11], -v[30:31]
	s_delay_alu instid0(VALU_DEP_1) | instskip(NEXT) | instid1(VALU_DEP_3)
	v_add_f64 v[10:11], v[20:21], v[10:11]
	v_add_f64 v[20:21], v[22:23], -v[18:19]
	s_delay_alu instid0(VALU_DEP_2) | instskip(NEXT) | instid1(VALU_DEP_2)
	v_add_f64 v[10:11], v[22:23], v[10:11]
	v_add_f64 v[22:23], v[22:23], -v[20:21]
	v_add_f64 v[8:9], v[8:9], -v[20:21]
	s_delay_alu instid0(VALU_DEP_3) | instskip(NEXT) | instid1(VALU_DEP_3)
	v_add_f64 v[26:27], v[24:25], v[10:11]
	v_add_f64 v[18:19], v[18:19], -v[22:23]
	s_delay_alu instid0(VALU_DEP_2) | instskip(NEXT) | instid1(VALU_DEP_2)
	v_add_f64 v[20:21], v[26:27], -v[24:25]
	v_add_f64 v[8:9], v[8:9], v[18:19]
	s_delay_alu instid0(VALU_DEP_2) | instskip(NEXT) | instid1(VALU_DEP_1)
	v_add_f64 v[10:11], v[10:11], -v[20:21]
	v_add_f64 v[8:9], v[8:9], v[10:11]
	s_delay_alu instid0(VALU_DEP_1) | instskip(NEXT) | instid1(VALU_DEP_1)
	v_add_f64 v[8:9], v[26:27], v[8:9]
	v_dual_cndmask_b32 v3, v8, v6 :: v_dual_cndmask_b32 v8, v9, v7
	v_cmp_ngt_f64_e32 vcc_lo, 0, v[6:7]
	s_delay_alu instid0(VALU_DEP_2) | instskip(SKIP_1) | instid1(VALU_DEP_4)
	v_dual_cndmask_b32 v9, 0x7ff80000, v8 :: v_dual_mov_b32 v8, v15
	v_cmp_nge_f64_e32 vcc_lo, 0, v[6:7]
	v_dual_cndmask_b32 v10, 0, v3 :: v_dual_mov_b32 v3, v1
	v_cmp_neq_f64_e32 vcc_lo, 0, v[6:7]
	s_delay_alu instid0(VALU_DEP_4)
	v_cndmask_b32_e32 v11, 0xfff00000, v9, vcc_lo
	.p2align	6
.LBB192_18:                             ;   Parent Loop BB192_3 Depth=1
                                        ;     Parent Loop BB192_7 Depth=2
                                        ; =>    This Inner Loop Header: Depth=3
	v_ashrrev_i32_e32 v9, 31, v8
	s_delay_alu instid0(VALU_DEP_4) | instskip(NEXT) | instid1(VALU_DEP_2)
	v_add_nc_u32_e32 v3, s33, v3
	v_lshlrev_b64 v[6:7], 3, v[8:9]
	v_add_nc_u32_e32 v8, s67, v8
	s_delay_alu instid0(VALU_DEP_2) | instskip(NEXT) | instid1(VALU_DEP_3)
	v_add_co_u32 v18, vcc_lo, s10, v6
	v_add_co_ci_u32_e32 v19, vcc_lo, s11, v7, vcc_lo
	v_cmp_le_i32_e32 vcc_lo, s5, v3
	v_add_co_u32 v6, s2, s8, v6
	global_load_b64 v[18:19], v[18:19], off
	v_add_co_ci_u32_e64 v7, s2, s9, v7, s2
	s_or_b32 s63, vcc_lo, s63
	s_waitcnt vmcnt(0)
	v_add_f64 v[18:19], v[18:19], -v[4:5]
	s_delay_alu instid0(VALU_DEP_1)
	v_add_f64 v[18:19], v[18:19], -v[10:11]
	global_store_b64 v[6:7], v[18:19], off
	s_and_not1_b32 exec_lo, exec_lo, s63
	s_cbranch_execnz .LBB192_18
.LBB192_19:                             ;   in Loop: Header=BB192_7 Depth=2
	s_or_b32 exec_lo, exec_lo, s69
	s_mov_b32 s2, 0
.LBB192_20:                             ;   in Loop: Header=BB192_7 Depth=2
	s_delay_alu instid0(SALU_CYCLE_1)
	s_and_b32 vcc_lo, exec_lo, s2
	s_cbranch_vccz .LBB192_6
; %bb.21:                               ;   in Loop: Header=BB192_7 Depth=2
	v_dual_mov_b32 v3, s18 :: v_dual_mov_b32 v4, s19
	s_and_saveexec_b32 s63, s0
	s_cbranch_execz .LBB192_25
; %bb.22:                               ;   in Loop: Header=BB192_7 Depth=2
	v_dual_mov_b32 v3, s18 :: v_dual_mov_b32 v4, s19
	v_mov_b32_e32 v5, v15
	v_mov_b32_e32 v7, v1
	s_mov_b32 s64, 0
	.p2align	6
.LBB192_23:                             ;   Parent Loop BB192_3 Depth=1
                                        ;     Parent Loop BB192_7 Depth=2
                                        ; =>    This Inner Loop Header: Depth=3
	s_delay_alu instid0(VALU_DEP_2) | instskip(NEXT) | instid1(VALU_DEP_1)
	v_ashrrev_i32_e32 v6, 31, v5
	v_lshlrev_b64 v[8:9], 3, v[5:6]
	v_add_nc_u32_e32 v5, s67, v5
	s_delay_alu instid0(VALU_DEP_2) | instskip(NEXT) | instid1(VALU_DEP_3)
	v_add_co_u32 v8, vcc_lo, s10, v8
	v_add_co_ci_u32_e32 v9, vcc_lo, s11, v9, vcc_lo
	global_load_b64 v[8:9], v[8:9], off
	s_waitcnt vmcnt(0)
	v_cmp_lt_f64_e32 vcc_lo, v[3:4], v[8:9]
	v_dual_cndmask_b32 v4, v4, v9 :: v_dual_add_nc_u32 v7, s33, v7
	s_delay_alu instid0(VALU_DEP_1) | instskip(SKIP_1) | instid1(VALU_DEP_2)
	v_cmp_le_i32_e64 s2, s5, v7
	v_cndmask_b32_e32 v3, v3, v8, vcc_lo
	s_or_b32 s64, s2, s64
	s_delay_alu instid0(SALU_CYCLE_1)
	s_and_not1_b32 exec_lo, exec_lo, s64
	s_cbranch_execnz .LBB192_23
; %bb.24:                               ;   in Loop: Header=BB192_7 Depth=2
	s_or_b32 exec_lo, exec_lo, s64
.LBB192_25:                             ;   in Loop: Header=BB192_7 Depth=2
	s_delay_alu instid0(SALU_CYCLE_1)
	s_or_b32 exec_lo, exec_lo, s63
	s_mov_b32 s2, s33
	s_waitcnt_vscnt null, 0x0
	s_barrier
	buffer_gl0_inv
	ds_store_b64 v16, v[3:4]
	s_branch .LBB192_27
	.p2align	6
.LBB192_26:                             ;   in Loop: Header=BB192_27 Depth=3
	s_or_b32 exec_lo, exec_lo, s64
	s_cmp_gt_u32 s2, 3
	s_mov_b32 s2, s63
	s_cbranch_scc0 .LBB192_29
.LBB192_27:                             ;   Parent Loop BB192_3 Depth=1
                                        ;     Parent Loop BB192_7 Depth=2
                                        ; =>    This Inner Loop Header: Depth=3
	s_lshr_b32 s63, s2, 1
	s_mov_b32 s64, exec_lo
	s_waitcnt lgkmcnt(0)
	s_barrier
	buffer_gl0_inv
	v_cmpx_gt_u32_e64 s63, v1
	s_cbranch_execz .LBB192_26
; %bb.28:                               ;   in Loop: Header=BB192_27 Depth=3
	v_lshl_add_u32 v5, s63, 3, v16
	ds_load_b64 v[3:4], v16
	ds_load_b64 v[5:6], v5
	s_waitcnt lgkmcnt(0)
	v_cmp_lt_f64_e32 vcc_lo, v[3:4], v[5:6]
	v_dual_cndmask_b32 v4, v4, v6 :: v_dual_cndmask_b32 v3, v3, v5
	ds_store_b64 v16, v[3:4]
	s_branch .LBB192_26
.LBB192_29:                             ;   in Loop: Header=BB192_7 Depth=2
	s_waitcnt lgkmcnt(0)
	s_barrier
	buffer_gl0_inv
	ds_load_b64 v[4:5], v14
	v_mov_b32_e32 v6, 0
	v_mov_b32_e32 v7, 0
	s_and_saveexec_b32 s63, s0
	s_cbranch_execz .LBB192_33
; %bb.30:                               ;   in Loop: Header=BB192_7 Depth=2
	v_dual_mov_b32 v6, 0 :: v_dual_mov_b32 v3, v1
	v_dual_mov_b32 v7, 0 :: v_dual_mov_b32 v8, v15
	s_mov_b32 s64, 0
.LBB192_31:                             ;   Parent Loop BB192_3 Depth=1
                                        ;     Parent Loop BB192_7 Depth=2
                                        ; =>    This Inner Loop Header: Depth=3
	s_delay_alu instid0(VALU_DEP_1) | instskip(NEXT) | instid1(VALU_DEP_3)
	v_ashrrev_i32_e32 v9, 31, v8
	v_add_nc_u32_e32 v3, s33, v3
	s_delay_alu instid0(VALU_DEP_2) | instskip(SKIP_1) | instid1(VALU_DEP_2)
	v_lshlrev_b64 v[9:10], 3, v[8:9]
	v_add_nc_u32_e32 v8, s67, v8
	v_add_co_u32 v9, vcc_lo, s10, v9
	s_delay_alu instid0(VALU_DEP_3) | instskip(SKIP_3) | instid1(VALU_DEP_1)
	v_add_co_ci_u32_e32 v10, vcc_lo, s11, v10, vcc_lo
	global_load_b64 v[9:10], v[9:10], off
	s_waitcnt vmcnt(0) lgkmcnt(0)
	v_add_f64 v[9:10], v[9:10], -v[4:5]
	v_mul_f64 v[18:19], v[9:10], s[20:21]
	v_cmp_nlt_f64_e32 vcc_lo, 0x40900000, v[9:10]
	v_cmp_ngt_f64_e64 s2, 0xc090cc00, v[9:10]
	s_delay_alu instid0(VALU_DEP_3) | instskip(NEXT) | instid1(VALU_DEP_1)
	v_rndne_f64_e32 v[18:19], v[18:19]
	v_fma_f64 v[20:21], v[18:19], s[22:23], v[9:10]
	v_cvt_i32_f64_e32 v11, v[18:19]
	s_delay_alu instid0(VALU_DEP_2) | instskip(NEXT) | instid1(VALU_DEP_1)
	v_fma_f64 v[20:21], v[18:19], s[24:25], v[20:21]
	v_fma_f64 v[22:23], v[20:21], s[28:29], s[26:27]
	s_delay_alu instid0(VALU_DEP_1) | instskip(NEXT) | instid1(VALU_DEP_1)
	v_fma_f64 v[22:23], v[20:21], v[22:23], s[30:31]
	v_fma_f64 v[22:23], v[20:21], v[22:23], s[34:35]
	s_delay_alu instid0(VALU_DEP_1) | instskip(NEXT) | instid1(VALU_DEP_1)
	;; [unrolled: 3-line block ×5, first 2 shown]
	v_fma_f64 v[22:23], v[20:21], v[22:23], 1.0
	v_fma_f64 v[18:19], v[20:21], v[22:23], 1.0
	s_delay_alu instid0(VALU_DEP_1) | instskip(NEXT) | instid1(VALU_DEP_1)
	v_ldexp_f64 v[18:19], v[18:19], v11
	v_cndmask_b32_e32 v11, 0x7ff00000, v19, vcc_lo
	s_and_b32 vcc_lo, s2, vcc_lo
	s_delay_alu instid0(VALU_DEP_2) | instskip(SKIP_1) | instid1(VALU_DEP_3)
	v_cndmask_b32_e32 v9, 0, v18, vcc_lo
	v_cmp_le_i32_e32 vcc_lo, s5, v3
	v_cndmask_b32_e64 v10, 0, v11, s2
	s_or_b32 s64, vcc_lo, s64
	s_delay_alu instid0(VALU_DEP_1)
	v_add_f64 v[6:7], v[6:7], v[9:10]
	s_and_not1_b32 exec_lo, exec_lo, s64
	s_cbranch_execnz .LBB192_31
; %bb.32:                               ;   in Loop: Header=BB192_7 Depth=2
	s_or_b32 exec_lo, exec_lo, s64
.LBB192_33:                             ;   in Loop: Header=BB192_7 Depth=2
	s_delay_alu instid0(SALU_CYCLE_1)
	s_or_b32 exec_lo, exec_lo, s63
	s_mov_b32 s2, s33
	s_waitcnt lgkmcnt(0)
	s_barrier
	buffer_gl0_inv
	ds_store_b64 v16, v[6:7]
	s_branch .LBB192_35
	.p2align	6
.LBB192_34:                             ;   in Loop: Header=BB192_35 Depth=3
	s_or_b32 exec_lo, exec_lo, s64
	s_cmp_gt_u32 s2, 3
	s_mov_b32 s2, s63
	s_cbranch_scc0 .LBB192_37
.LBB192_35:                             ;   Parent Loop BB192_3 Depth=1
                                        ;     Parent Loop BB192_7 Depth=2
                                        ; =>    This Inner Loop Header: Depth=3
	s_lshr_b32 s63, s2, 1
	s_mov_b32 s64, exec_lo
	s_waitcnt lgkmcnt(0)
	s_barrier
	buffer_gl0_inv
	v_cmpx_gt_u32_e64 s63, v1
	s_cbranch_execz .LBB192_34
; %bb.36:                               ;   in Loop: Header=BB192_35 Depth=3
	v_lshl_add_u32 v3, s63, 3, v16
	ds_load_b64 v[6:7], v16
	ds_load_b64 v[8:9], v3
	s_waitcnt lgkmcnt(0)
	v_add_f64 v[6:7], v[6:7], v[8:9]
	ds_store_b64 v16, v[6:7]
	s_branch .LBB192_34
.LBB192_37:                             ;   in Loop: Header=BB192_7 Depth=2
	s_waitcnt lgkmcnt(0)
	s_barrier
	buffer_gl0_inv
	s_and_saveexec_b32 s69, s0
	s_cbranch_execz .LBB192_5
; %bb.38:                               ;   in Loop: Header=BB192_7 Depth=2
	ds_load_b64 v[9:10], v14
	s_mov_b32 s63, s49
	s_mov_b32 s2, s22
	;; [unrolled: 1-line block ×3, first 2 shown]
	s_waitcnt lgkmcnt(0)
	v_frexp_mant_f64_e32 v[6:7], v[9:10]
	s_delay_alu instid0(VALU_DEP_1) | instskip(SKIP_1) | instid1(VALU_DEP_1)
	v_cmp_gt_f64_e32 vcc_lo, s[48:49], v[6:7]
	v_cndmask_b32_e64 v3, 0x3ff00000, 2.0, vcc_lo
	v_mul_f64 v[6:7], v[6:7], v[2:3]
	v_frexp_exp_i32_f64_e32 v3, v[9:10]
	s_delay_alu instid0(VALU_DEP_2) | instskip(SKIP_1) | instid1(VALU_DEP_3)
	v_add_f64 v[18:19], v[6:7], 1.0
	v_add_f64 v[24:25], v[6:7], -1.0
	v_subrev_co_ci_u32_e32 v3, vcc_lo, 0, v3, vcc_lo
	v_cmp_class_f64_e64 vcc_lo, v[9:10], 0x204
	s_delay_alu instid0(VALU_DEP_4) | instskip(SKIP_1) | instid1(VALU_DEP_1)
	v_rcp_f64_e32 v[20:21], v[18:19]
	v_add_f64 v[26:27], v[18:19], -1.0
	v_add_f64 v[6:7], v[6:7], -v[26:27]
	s_waitcnt_depctr 0xfff
	v_fma_f64 v[22:23], -v[18:19], v[20:21], 1.0
	s_delay_alu instid0(VALU_DEP_1) | instskip(NEXT) | instid1(VALU_DEP_1)
	v_fma_f64 v[20:21], v[22:23], v[20:21], v[20:21]
	v_fma_f64 v[22:23], -v[18:19], v[20:21], 1.0
	s_delay_alu instid0(VALU_DEP_1) | instskip(NEXT) | instid1(VALU_DEP_1)
	v_fma_f64 v[20:21], v[22:23], v[20:21], v[20:21]
	v_mul_f64 v[22:23], v[24:25], v[20:21]
	s_delay_alu instid0(VALU_DEP_1) | instskip(NEXT) | instid1(VALU_DEP_1)
	v_mul_f64 v[28:29], v[18:19], v[22:23]
	v_fma_f64 v[18:19], v[22:23], v[18:19], -v[28:29]
	s_delay_alu instid0(VALU_DEP_1) | instskip(NEXT) | instid1(VALU_DEP_1)
	v_fma_f64 v[6:7], v[22:23], v[6:7], v[18:19]
	v_add_f64 v[18:19], v[28:29], v[6:7]
	s_delay_alu instid0(VALU_DEP_1) | instskip(SKIP_1) | instid1(VALU_DEP_2)
	v_add_f64 v[26:27], v[24:25], -v[18:19]
	v_add_f64 v[28:29], v[18:19], -v[28:29]
	;; [unrolled: 1-line block ×3, first 2 shown]
	s_delay_alu instid0(VALU_DEP_2) | instskip(NEXT) | instid1(VALU_DEP_2)
	v_add_f64 v[6:7], v[28:29], -v[6:7]
	v_add_f64 v[18:19], v[24:25], -v[18:19]
	s_delay_alu instid0(VALU_DEP_1) | instskip(NEXT) | instid1(VALU_DEP_1)
	v_add_f64 v[6:7], v[6:7], v[18:19]
	v_add_f64 v[6:7], v[26:27], v[6:7]
	s_delay_alu instid0(VALU_DEP_1) | instskip(NEXT) | instid1(VALU_DEP_1)
	v_mul_f64 v[6:7], v[20:21], v[6:7]
	v_add_f64 v[18:19], v[22:23], v[6:7]
	s_delay_alu instid0(VALU_DEP_1) | instskip(NEXT) | instid1(VALU_DEP_1)
	v_mul_f64 v[20:21], v[18:19], v[18:19]
	v_fma_f64 v[24:25], v[20:21], s[52:53], s[50:51]
	v_mul_f64 v[26:27], v[18:19], v[20:21]
	s_delay_alu instid0(VALU_DEP_2) | instskip(NEXT) | instid1(VALU_DEP_1)
	v_fma_f64 v[24:25], v[20:21], v[24:25], s[54:55]
	v_fma_f64 v[24:25], v[20:21], v[24:25], s[56:57]
	s_delay_alu instid0(VALU_DEP_1) | instskip(NEXT) | instid1(VALU_DEP_1)
	v_fma_f64 v[24:25], v[20:21], v[24:25], s[58:59]
	v_fma_f64 v[24:25], v[20:21], v[24:25], s[60:61]
	s_delay_alu instid0(VALU_DEP_1) | instskip(SKIP_3) | instid1(VALU_DEP_3)
	v_fma_f64 v[20:21], v[20:21], v[24:25], s[62:63]
	v_ldexp_f64 v[24:25], v[18:19], 1
	v_add_f64 v[18:19], v[18:19], -v[22:23]
	s_mov_b32 s63, 0
	v_mul_f64 v[20:21], v[26:27], v[20:21]
	v_cvt_f64_i32_e32 v[26:27], v3
	s_delay_alu instid0(VALU_DEP_3) | instskip(NEXT) | instid1(VALU_DEP_3)
	v_add_f64 v[6:7], v[6:7], -v[18:19]
	v_add_f64 v[22:23], v[24:25], v[20:21]
	s_delay_alu instid0(VALU_DEP_3) | instskip(NEXT) | instid1(VALU_DEP_3)
	v_mul_f64 v[28:29], v[26:27], s[2:3]
	v_ldexp_f64 v[6:7], v[6:7], 1
	s_delay_alu instid0(VALU_DEP_3) | instskip(NEXT) | instid1(VALU_DEP_3)
	v_add_f64 v[18:19], v[22:23], -v[24:25]
	v_fma_f64 v[24:25], v[26:27], s[2:3], -v[28:29]
	s_delay_alu instid0(VALU_DEP_2) | instskip(NEXT) | instid1(VALU_DEP_2)
	v_add_f64 v[18:19], v[20:21], -v[18:19]
	v_fma_f64 v[20:21], v[26:27], s[64:65], v[24:25]
	s_delay_alu instid0(VALU_DEP_2) | instskip(NEXT) | instid1(VALU_DEP_2)
	v_add_f64 v[6:7], v[6:7], v[18:19]
	v_add_f64 v[18:19], v[28:29], v[20:21]
	s_delay_alu instid0(VALU_DEP_2) | instskip(NEXT) | instid1(VALU_DEP_2)
	v_add_f64 v[24:25], v[22:23], v[6:7]
	v_add_f64 v[28:29], v[18:19], -v[28:29]
	s_delay_alu instid0(VALU_DEP_2) | instskip(SKIP_1) | instid1(VALU_DEP_3)
	v_add_f64 v[26:27], v[18:19], v[24:25]
	v_add_f64 v[22:23], v[24:25], -v[22:23]
	v_add_f64 v[20:21], v[20:21], -v[28:29]
	s_delay_alu instid0(VALU_DEP_3) | instskip(NEXT) | instid1(VALU_DEP_3)
	v_add_f64 v[30:31], v[26:27], -v[18:19]
	v_add_f64 v[6:7], v[6:7], -v[22:23]
	s_delay_alu instid0(VALU_DEP_2) | instskip(SKIP_1) | instid1(VALU_DEP_3)
	v_add_f64 v[32:33], v[26:27], -v[30:31]
	v_add_f64 v[22:23], v[24:25], -v[30:31]
	v_add_f64 v[24:25], v[20:21], v[6:7]
	s_delay_alu instid0(VALU_DEP_3) | instskip(NEXT) | instid1(VALU_DEP_1)
	v_add_f64 v[18:19], v[18:19], -v[32:33]
	v_add_f64 v[18:19], v[22:23], v[18:19]
	s_delay_alu instid0(VALU_DEP_3) | instskip(NEXT) | instid1(VALU_DEP_2)
	v_add_f64 v[22:23], v[24:25], -v[20:21]
	v_add_f64 v[18:19], v[24:25], v[18:19]
	s_delay_alu instid0(VALU_DEP_2) | instskip(SKIP_1) | instid1(VALU_DEP_3)
	v_add_f64 v[24:25], v[24:25], -v[22:23]
	v_add_f64 v[6:7], v[6:7], -v[22:23]
	v_add_f64 v[28:29], v[26:27], v[18:19]
	s_delay_alu instid0(VALU_DEP_3) | instskip(NEXT) | instid1(VALU_DEP_2)
	v_add_f64 v[20:21], v[20:21], -v[24:25]
	v_add_f64 v[22:23], v[28:29], -v[26:27]
	s_delay_alu instid0(VALU_DEP_2) | instskip(NEXT) | instid1(VALU_DEP_2)
	v_add_f64 v[6:7], v[6:7], v[20:21]
	v_add_f64 v[18:19], v[18:19], -v[22:23]
	s_delay_alu instid0(VALU_DEP_1) | instskip(NEXT) | instid1(VALU_DEP_1)
	v_add_f64 v[6:7], v[6:7], v[18:19]
	v_add_f64 v[6:7], v[28:29], v[6:7]
	s_delay_alu instid0(VALU_DEP_1) | instskip(SKIP_1) | instid1(VALU_DEP_2)
	v_dual_cndmask_b32 v3, v6, v9 :: v_dual_cndmask_b32 v6, v7, v10
	v_cmp_ngt_f64_e32 vcc_lo, 0, v[9:10]
	v_dual_cndmask_b32 v7, 0x7ff80000, v6 :: v_dual_mov_b32 v6, v15
	v_cmp_nge_f64_e32 vcc_lo, 0, v[9:10]
	s_delay_alu instid0(VALU_DEP_4) | instskip(SKIP_1) | instid1(VALU_DEP_4)
	v_dual_cndmask_b32 v8, 0, v3 :: v_dual_mov_b32 v3, v1
	v_cmp_neq_f64_e32 vcc_lo, 0, v[9:10]
	v_cndmask_b32_e32 v9, 0xfff00000, v7, vcc_lo
	.p2align	6
.LBB192_39:                             ;   Parent Loop BB192_3 Depth=1
                                        ;     Parent Loop BB192_7 Depth=2
                                        ; =>    This Inner Loop Header: Depth=3
	v_ashrrev_i32_e32 v7, 31, v6
	s_delay_alu instid0(VALU_DEP_4) | instskip(NEXT) | instid1(VALU_DEP_2)
	v_add_nc_u32_e32 v3, s33, v3
	v_lshlrev_b64 v[10:11], 3, v[6:7]
	v_add_nc_u32_e32 v6, s67, v6
	s_delay_alu instid0(VALU_DEP_2) | instskip(NEXT) | instid1(VALU_DEP_3)
	v_add_co_u32 v18, vcc_lo, s10, v10
	v_add_co_ci_u32_e32 v19, vcc_lo, s11, v11, vcc_lo
	v_cmp_le_i32_e32 vcc_lo, s5, v3
	v_add_co_u32 v10, s2, s8, v10
	global_load_b64 v[18:19], v[18:19], off
	v_add_co_ci_u32_e64 v11, s2, s9, v11, s2
	s_or_b32 s63, vcc_lo, s63
	s_waitcnt vmcnt(0)
	v_add_f64 v[18:19], v[18:19], -v[4:5]
	s_delay_alu instid0(VALU_DEP_1)
	v_add_f64 v[18:19], v[18:19], -v[8:9]
	global_store_b64 v[10:11], v[18:19], off
	s_and_not1_b32 exec_lo, exec_lo, s63
	s_cbranch_execnz .LBB192_39
	s_branch .LBB192_5
.LBB192_40:
	s_nop 0
	s_sendmsg sendmsg(MSG_DEALLOC_VGPRS)
	s_endpgm
	.section	.rodata,"a",@progbits
	.p2align	6, 0x0
	.amdhsa_kernel _ZN2at6native12_GLOBAL__N_126cunn_SpatialSoftMaxForwardIdddiNS1_25LogSoftMaxForwardEpilogueEEEvPT1_PKT_T2_S9_S9_
		.amdhsa_group_segment_fixed_size 0
		.amdhsa_private_segment_fixed_size 0
		.amdhsa_kernarg_size 288
		.amdhsa_user_sgpr_count 14
		.amdhsa_user_sgpr_dispatch_ptr 0
		.amdhsa_user_sgpr_queue_ptr 0
		.amdhsa_user_sgpr_kernarg_segment_ptr 1
		.amdhsa_user_sgpr_dispatch_id 0
		.amdhsa_user_sgpr_private_segment_size 0
		.amdhsa_wavefront_size32 1
		.amdhsa_uses_dynamic_stack 0
		.amdhsa_enable_private_segment 0
		.amdhsa_system_sgpr_workgroup_id_x 1
		.amdhsa_system_sgpr_workgroup_id_y 1
		.amdhsa_system_sgpr_workgroup_id_z 0
		.amdhsa_system_sgpr_workgroup_info 0
		.amdhsa_system_vgpr_workitem_id 1
		.amdhsa_next_free_vgpr 34
		.amdhsa_next_free_sgpr 70
		.amdhsa_reserve_vcc 1
		.amdhsa_float_round_mode_32 0
		.amdhsa_float_round_mode_16_64 0
		.amdhsa_float_denorm_mode_32 3
		.amdhsa_float_denorm_mode_16_64 3
		.amdhsa_dx10_clamp 1
		.amdhsa_ieee_mode 1
		.amdhsa_fp16_overflow 0
		.amdhsa_workgroup_processor_mode 1
		.amdhsa_memory_ordered 1
		.amdhsa_forward_progress 0
		.amdhsa_shared_vgpr_count 0
		.amdhsa_exception_fp_ieee_invalid_op 0
		.amdhsa_exception_fp_denorm_src 0
		.amdhsa_exception_fp_ieee_div_zero 0
		.amdhsa_exception_fp_ieee_overflow 0
		.amdhsa_exception_fp_ieee_underflow 0
		.amdhsa_exception_fp_ieee_inexact 0
		.amdhsa_exception_int_div_zero 0
	.end_amdhsa_kernel
	.section	.text._ZN2at6native12_GLOBAL__N_126cunn_SpatialSoftMaxForwardIdddiNS1_25LogSoftMaxForwardEpilogueEEEvPT1_PKT_T2_S9_S9_,"axG",@progbits,_ZN2at6native12_GLOBAL__N_126cunn_SpatialSoftMaxForwardIdddiNS1_25LogSoftMaxForwardEpilogueEEEvPT1_PKT_T2_S9_S9_,comdat
.Lfunc_end192:
	.size	_ZN2at6native12_GLOBAL__N_126cunn_SpatialSoftMaxForwardIdddiNS1_25LogSoftMaxForwardEpilogueEEEvPT1_PKT_T2_S9_S9_, .Lfunc_end192-_ZN2at6native12_GLOBAL__N_126cunn_SpatialSoftMaxForwardIdddiNS1_25LogSoftMaxForwardEpilogueEEEvPT1_PKT_T2_S9_S9_
                                        ; -- End function
	.section	.AMDGPU.csdata,"",@progbits
; Kernel info:
; codeLenInByte = 3792
; NumSgprs: 72
; NumVgprs: 34
; ScratchSize: 0
; MemoryBound: 0
; FloatMode: 240
; IeeeMode: 1
; LDSByteSize: 0 bytes/workgroup (compile time only)
; SGPRBlocks: 8
; VGPRBlocks: 4
; NumSGPRsForWavesPerEU: 72
; NumVGPRsForWavesPerEU: 34
; Occupancy: 16
; WaveLimiterHint : 0
; COMPUTE_PGM_RSRC2:SCRATCH_EN: 0
; COMPUTE_PGM_RSRC2:USER_SGPR: 14
; COMPUTE_PGM_RSRC2:TRAP_HANDLER: 0
; COMPUTE_PGM_RSRC2:TGID_X_EN: 1
; COMPUTE_PGM_RSRC2:TGID_Y_EN: 1
; COMPUTE_PGM_RSRC2:TGID_Z_EN: 0
; COMPUTE_PGM_RSRC2:TIDIG_COMP_CNT: 1
	.section	.text._ZN2at6native12_GLOBAL__N_126cunn_SpatialSoftMaxForwardIdddlNS1_25LogSoftMaxForwardEpilogueEEEvPT1_PKT_T2_S9_S9_,"axG",@progbits,_ZN2at6native12_GLOBAL__N_126cunn_SpatialSoftMaxForwardIdddlNS1_25LogSoftMaxForwardEpilogueEEEvPT1_PKT_T2_S9_S9_,comdat
	.globl	_ZN2at6native12_GLOBAL__N_126cunn_SpatialSoftMaxForwardIdddlNS1_25LogSoftMaxForwardEpilogueEEEvPT1_PKT_T2_S9_S9_ ; -- Begin function _ZN2at6native12_GLOBAL__N_126cunn_SpatialSoftMaxForwardIdddlNS1_25LogSoftMaxForwardEpilogueEEEvPT1_PKT_T2_S9_S9_
	.p2align	8
	.type	_ZN2at6native12_GLOBAL__N_126cunn_SpatialSoftMaxForwardIdddlNS1_25LogSoftMaxForwardEpilogueEEEvPT1_PKT_T2_S9_S9_,@function
_ZN2at6native12_GLOBAL__N_126cunn_SpatialSoftMaxForwardIdddlNS1_25LogSoftMaxForwardEpilogueEEEvPT1_PKT_T2_S9_S9_: ; @_ZN2at6native12_GLOBAL__N_126cunn_SpatialSoftMaxForwardIdddlNS1_25LogSoftMaxForwardEpilogueEEEvPT1_PKT_T2_S9_S9_
; %bb.0:
	s_load_b256 s[4:11], s[0:1], 0x0
	s_mov_b32 s2, s15
	s_mov_b32 s15, 0
	s_waitcnt lgkmcnt(0)
	v_cmp_ge_i64_e64 s3, s[14:15], s[8:9]
	s_delay_alu instid0(VALU_DEP_1)
	s_and_b32 vcc_lo, exec_lo, s3
	s_cbranch_vccnz .LBB193_40
; %bb.1:
	s_clause 0x1
	s_load_b32 s3, s[0:1], 0x34
	s_load_b128 s[16:19], s[0:1], 0x20
	v_mov_b32_e32 v1, 0
	v_and_b32_e32 v3, 0x3ff, v0
	v_bfe_u32 v0, v0, 10, 10
	s_add_u32 s12, s0, 40
	s_addc_u32 s13, s1, 0
	v_mov_b32_e32 v4, v1
	s_mov_b32 s21, s15
	s_mov_b32 s22, -1
	s_mov_b32 s30, 0xfefa39ef
	s_mov_b32 s34, 0x3b39803f
	v_mad_u64_u32 v[7:8], null, s10, s14, v[3:4]
	v_cmp_gt_i64_e64 s0, s[10:11], v[3:4]
	s_mov_b32 s36, 0xfca7ab0c
	s_mov_b32 s38, 0x6a5dcb37
	;; [unrolled: 1-line block ×5, first 2 shown]
	s_waitcnt lgkmcnt(0)
	s_lshr_b32 s1, s3, 16
	v_mov_b32_e32 v2, v8
	v_mad_u64_u32 v[5:6], null, s2, s1, v[0:1]
	v_mov_b32_e32 v6, v1
	s_mul_i32 s26, s16, s10
	v_mad_u64_u32 v[8:9], null, s16, v3, 0
	v_mad_u64_u32 v[12:13], null, s11, s14, v[2:3]
	s_delay_alu instid0(VALU_DEP_3)
	v_mad_u64_u32 v[10:11], null, s26, s14, v[5:6]
	s_mul_i32 s2, s16, s11
	s_mul_hi_u32 s3, s16, s10
	s_mul_i32 s20, s17, s10
	s_add_i32 s2, s3, s2
	v_mul_lo_u32 v17, s17, v7
	s_add_i32 s3, s2, s20
	s_delay_alu instid0(VALU_DEP_2)
	v_mad_u64_u32 v[13:14], null, s17, v3, v[9:10]
	v_mov_b32_e32 v2, v11
	s_mul_i32 s20, s19, s1
	s_mul_hi_u32 s1, s26, s18
	s_mul_i32 s2, s26, s18
	s_mov_b32 s46, 0x1852b7b0
	s_mov_b32 s48, 0x11122322
	s_delay_alu instid0(VALU_DEP_2)
	v_mov_b32_e32 v9, v13
	v_mad_u64_u32 v[14:15], null, s3, s14, v[2:3]
	v_mul_lo_u32 v2, s16, v12
	s_mul_i32 s3, s3, s18
	s_mov_b32 s50, 0x555502a1
	s_add_i32 s3, s1, s3
	s_mov_b32 s52, 0x55555511
	s_mov_b32 s54, 11
	s_delay_alu instid0(VALU_DEP_2) | instskip(SKIP_3) | instid1(VALU_DEP_4)
	v_mov_b32_e32 v11, v14
	v_mad_u64_u32 v[15:16], null, s16, v7, v[5:6]
	v_lshlrev_b64 v[7:8], 3, v[8:9]
	v_cmp_gt_i64_e64 s1, s[16:17], v[5:6]
	v_lshlrev_b64 v[9:10], 3, v[10:11]
	s_mov_b32 s56, 0x55555555
	s_mov_b32 s58, 0x6b47b09a
	;; [unrolled: 1-line block ×3, first 2 shown]
	s_delay_alu instid0(VALU_DEP_4) | instskip(SKIP_3) | instid1(VALU_DEP_3)
	v_add3_u32 v16, v17, v16, v2
	s_mov_b32 s62, 0xd7f4df2e
	v_add_co_u32 v2, vcc_lo, v7, v9
	v_add_co_ci_u32_e32 v10, vcc_lo, v8, v10, vcc_lo
	v_lshlrev_b64 v[11:12], 3, v[15:16]
	s_mov_b32 s64, 0x16291751
	s_mov_b32 s66, 0x9b27acf1
	;; [unrolled: 1-line block ×4, first 2 shown]
	s_lshl_b64 s[24:25], s[16:17], 3
	v_add_co_u32 v7, vcc_lo, s6, v11
	v_add_co_ci_u32_e32 v8, vcc_lo, s7, v12, vcc_lo
	v_add_co_u32 v9, vcc_lo, s6, v2
	v_add_co_ci_u32_e32 v10, vcc_lo, s7, v10, vcc_lo
	;; [unrolled: 2-line block ×3, first 2 shown]
	s_mov_b32 s6, 0x652b82fe
	s_lshl_b64 s[26:27], s[20:21], 3
	s_lshl_b64 s[28:29], s[2:3], 3
	s_mov_b32 s7, 0x3ff71547
	s_mov_b32 s31, 0xbfe62e42
	;; [unrolled: 1-line block ×23, first 2 shown]
	s_branch .LBB193_3
.LBB193_2:                              ;   in Loop: Header=BB193_3 Depth=1
	s_or_b32 exec_lo, exec_lo, s19
	v_add_co_u32 v9, vcc_lo, v9, s28
	s_add_u32 s14, s14, s18
	v_add_co_ci_u32_e32 v10, vcc_lo, s29, v10, vcc_lo
	s_addc_u32 s15, s15, 0
	v_add_co_u32 v7, vcc_lo, v7, s28
	v_cmp_ge_i64_e64 s2, s[14:15], s[8:9]
	v_add_co_ci_u32_e32 v8, vcc_lo, s29, v8, vcc_lo
	v_add_co_u32 v11, vcc_lo, v11, s28
	v_add_co_ci_u32_e32 v12, vcc_lo, s29, v12, vcc_lo
	s_delay_alu instid0(VALU_DEP_4)
	s_and_b32 vcc_lo, exec_lo, s2
	s_cbranch_vccnz .LBB193_40
.LBB193_3:                              ; =>This Loop Header: Depth=1
                                        ;     Child Loop BB193_7 Depth 2
                                        ;       Child Loop BB193_10 Depth 3
                                        ;       Child Loop BB193_14 Depth 3
	;; [unrolled: 1-line block ×8, first 2 shown]
	s_and_saveexec_b32 s19, s1
	s_cbranch_execz .LBB193_2
; %bb.4:                                ;   in Loop: Header=BB193_3 Depth=1
	s_load_b32 s2, s[12:13], 0xc
	v_dual_mov_b32 v14, v12 :: v_dual_mov_b32 v13, v11
	v_dual_mov_b32 v16, v8 :: v_dual_mov_b32 v15, v7
	;; [unrolled: 1-line block ×4, first 2 shown]
	s_mov_b32 s78, 0
	s_waitcnt lgkmcnt(0)
	s_and_b32 s21, s2, 0xffff
	v_cmp_lt_u16_e64 s33, s2, 2
	v_mul_u32_u24_e32 v2, s21, v0
	s_mul_i32 s2, s25, s21
	s_mul_hi_u32 s3, s24, s21
	s_mul_i32 s77, s24, s21
	s_add_i32 s76, s3, s2
	v_lshl_add_u32 v29, v2, 3, 0
	s_delay_alu instid0(VALU_DEP_1)
	v_lshl_add_u32 v30, v3, 3, v29
	s_branch .LBB193_7
.LBB193_5:                              ;   in Loop: Header=BB193_7 Depth=2
	s_or_b32 exec_lo, exec_lo, s3
.LBB193_6:                              ;   in Loop: Header=BB193_7 Depth=2
	v_add_co_u32 v19, vcc_lo, v19, s20
	v_add_co_ci_u32_e32 v20, vcc_lo, 0, v20, vcc_lo
	v_add_co_u32 v17, vcc_lo, v17, s26
	v_add_co_ci_u32_e32 v18, vcc_lo, s27, v18, vcc_lo
	;; [unrolled: 2-line block ×3, first 2 shown]
	v_cmp_le_i64_e32 vcc_lo, s[16:17], v[19:20]
	v_add_co_u32 v13, s2, v13, s26
	s_delay_alu instid0(VALU_DEP_1) | instskip(SKIP_1) | instid1(SALU_CYCLE_1)
	v_add_co_ci_u32_e64 v14, s2, s27, v14, s2
	s_or_b32 s78, vcc_lo, s78
	s_and_not1_b32 exec_lo, exec_lo, s78
	s_cbranch_execz .LBB193_2
.LBB193_7:                              ;   Parent Loop BB193_3 Depth=1
                                        ; =>  This Loop Header: Depth=2
                                        ;       Child Loop BB193_10 Depth 3
                                        ;       Child Loop BB193_14 Depth 3
	;; [unrolled: 1-line block ×8, first 2 shown]
	s_and_b32 vcc_lo, exec_lo, s33
	s_mov_b32 s2, -1
	s_cbranch_vccz .LBB193_20
; %bb.8:                                ;   in Loop: Header=BB193_7 Depth=2
	v_dual_mov_b32 v21, s22 :: v_dual_mov_b32 v22, s23
	s_and_saveexec_b32 s5, s0
	s_cbranch_execz .LBB193_12
; %bb.9:                                ;   in Loop: Header=BB193_7 Depth=2
	v_dual_mov_b32 v21, s22 :: v_dual_mov_b32 v22, s23
	v_dual_mov_b32 v24, v18 :: v_dual_mov_b32 v23, v17
	;; [unrolled: 1-line block ×3, first 2 shown]
	s_mov_b32 s70, 0
	.p2align	6
.LBB193_10:                             ;   Parent Loop BB193_3 Depth=1
                                        ;     Parent Loop BB193_7 Depth=2
                                        ; =>    This Inner Loop Header: Depth=3
	global_load_b64 v[27:28], v[23:24], off
	v_add_co_u32 v25, s2, v25, s21
	s_delay_alu instid0(VALU_DEP_1) | instskip(SKIP_1) | instid1(VALU_DEP_1)
	v_add_co_ci_u32_e64 v26, s2, 0, v26, s2
	v_add_co_u32 v23, s2, v23, s77
	v_add_co_ci_u32_e64 v24, s2, s76, v24, s2
	s_delay_alu instid0(VALU_DEP_3) | instskip(NEXT) | instid1(VALU_DEP_1)
	v_cmp_le_i64_e64 s3, s[10:11], v[25:26]
	s_or_b32 s70, s3, s70
	s_waitcnt vmcnt(0)
	v_cmp_lt_f64_e32 vcc_lo, v[21:22], v[27:28]
	v_dual_cndmask_b32 v22, v22, v28 :: v_dual_cndmask_b32 v21, v21, v27
	s_and_not1_b32 exec_lo, exec_lo, s70
	s_cbranch_execnz .LBB193_10
; %bb.11:                               ;   in Loop: Header=BB193_7 Depth=2
	s_or_b32 exec_lo, exec_lo, s70
.LBB193_12:                             ;   in Loop: Header=BB193_7 Depth=2
	s_delay_alu instid0(SALU_CYCLE_1)
	s_or_b32 exec_lo, exec_lo, s5
	v_mov_b32_e32 v23, 0
	v_mov_b32_e32 v24, 0
	s_and_saveexec_b32 s3, s0
	s_cbranch_execz .LBB193_16
; %bb.13:                               ;   in Loop: Header=BB193_7 Depth=2
	v_dual_mov_b32 v23, 0 :: v_dual_mov_b32 v26, v18
	v_dual_mov_b32 v24, 0 :: v_dual_mov_b32 v25, v17
	;; [unrolled: 1-line block ×3, first 2 shown]
	s_mov_b32 s5, 0
.LBB193_14:                             ;   Parent Loop BB193_3 Depth=1
                                        ;     Parent Loop BB193_7 Depth=2
                                        ; =>    This Inner Loop Header: Depth=3
	global_load_b64 v[31:32], v[25:26], off
	s_waitcnt vmcnt(0)
	v_add_f64 v[31:32], v[31:32], -v[21:22]
	s_delay_alu instid0(VALU_DEP_1) | instskip(SKIP_2) | instid1(VALU_DEP_3)
	v_mul_f64 v[33:34], v[31:32], s[6:7]
	v_cmp_nlt_f64_e32 vcc_lo, 0x40900000, v[31:32]
	v_cmp_ngt_f64_e64 s2, 0xc090cc00, v[31:32]
	v_rndne_f64_e32 v[33:34], v[33:34]
	s_delay_alu instid0(VALU_DEP_1) | instskip(SKIP_1) | instid1(VALU_DEP_2)
	v_fma_f64 v[35:36], v[33:34], s[30:31], v[31:32]
	v_cvt_i32_f64_e32 v2, v[33:34]
	v_fma_f64 v[35:36], v[33:34], s[34:35], v[35:36]
	s_delay_alu instid0(VALU_DEP_1) | instskip(NEXT) | instid1(VALU_DEP_1)
	v_fma_f64 v[37:38], v[35:36], s[38:39], s[36:37]
	v_fma_f64 v[37:38], v[35:36], v[37:38], s[40:41]
	s_delay_alu instid0(VALU_DEP_1) | instskip(NEXT) | instid1(VALU_DEP_1)
	v_fma_f64 v[37:38], v[35:36], v[37:38], s[42:43]
	;; [unrolled: 3-line block ×5, first 2 shown]
	v_fma_f64 v[37:38], v[35:36], v[37:38], 1.0
	s_delay_alu instid0(VALU_DEP_1) | instskip(NEXT) | instid1(VALU_DEP_1)
	v_fma_f64 v[33:34], v[35:36], v[37:38], 1.0
	v_ldexp_f64 v[33:34], v[33:34], v2
	s_delay_alu instid0(VALU_DEP_1) | instskip(SKIP_1) | instid1(VALU_DEP_2)
	v_cndmask_b32_e32 v2, 0x7ff00000, v34, vcc_lo
	s_and_b32 vcc_lo, s2, vcc_lo
	v_cndmask_b32_e32 v31, 0, v33, vcc_lo
	v_add_co_u32 v27, vcc_lo, v27, s21
	s_delay_alu instid0(VALU_DEP_3) | instskip(SKIP_2) | instid1(VALU_DEP_3)
	v_cndmask_b32_e64 v32, 0, v2, s2
	v_add_co_ci_u32_e32 v28, vcc_lo, 0, v28, vcc_lo
	v_add_co_u32 v25, s2, v25, s77
	v_add_f64 v[23:24], v[23:24], v[31:32]
	s_delay_alu instid0(VALU_DEP_3) | instskip(SKIP_2) | instid1(SALU_CYCLE_1)
	v_cmp_le_i64_e32 vcc_lo, s[10:11], v[27:28]
	v_add_co_ci_u32_e64 v26, s2, s76, v26, s2
	s_or_b32 s5, vcc_lo, s5
	s_and_not1_b32 exec_lo, exec_lo, s5
	s_cbranch_execnz .LBB193_14
; %bb.15:                               ;   in Loop: Header=BB193_7 Depth=2
	s_or_b32 exec_lo, exec_lo, s5
.LBB193_16:                             ;   in Loop: Header=BB193_7 Depth=2
	s_delay_alu instid0(SALU_CYCLE_1)
	s_or_b32 exec_lo, exec_lo, s3
	s_and_saveexec_b32 s3, s0
	s_cbranch_execz .LBB193_19
; %bb.17:                               ;   in Loop: Header=BB193_7 Depth=2
	s_delay_alu instid0(VALU_DEP_1) | instskip(SKIP_4) | instid1(VALU_DEP_1)
	v_frexp_mant_f64_e32 v[25:26], v[23:24]
	s_mov_b32 s5, s57
	s_mov_b32 s70, s30
	;; [unrolled: 1-line block ×3, first 2 shown]
	s_mov_b64 s[74:75], 0
	v_cmp_gt_f64_e32 vcc_lo, s[56:57], v[25:26]
	v_cndmask_b32_e64 v2, 0x3ff00000, 2.0, vcc_lo
	s_delay_alu instid0(VALU_DEP_1) | instskip(SKIP_1) | instid1(VALU_DEP_2)
	v_mul_f64 v[25:26], v[25:26], v[1:2]
	v_frexp_exp_i32_f64_e32 v2, v[23:24]
	v_add_f64 v[27:28], v[25:26], 1.0
	v_add_f64 v[35:36], v[25:26], -1.0
	s_delay_alu instid0(VALU_DEP_3) | instskip(SKIP_1) | instid1(VALU_DEP_4)
	v_subrev_co_ci_u32_e32 v2, vcc_lo, 0, v2, vcc_lo
	v_cmp_class_f64_e64 vcc_lo, v[23:24], 0x204
	v_rcp_f64_e32 v[31:32], v[27:28]
	v_add_f64 v[37:38], v[27:28], -1.0
	s_delay_alu instid0(VALU_DEP_1) | instskip(SKIP_2) | instid1(VALU_DEP_1)
	v_add_f64 v[25:26], v[25:26], -v[37:38]
	s_waitcnt_depctr 0xfff
	v_fma_f64 v[33:34], -v[27:28], v[31:32], 1.0
	v_fma_f64 v[31:32], v[33:34], v[31:32], v[31:32]
	s_delay_alu instid0(VALU_DEP_1) | instskip(NEXT) | instid1(VALU_DEP_1)
	v_fma_f64 v[33:34], -v[27:28], v[31:32], 1.0
	v_fma_f64 v[31:32], v[33:34], v[31:32], v[31:32]
	s_delay_alu instid0(VALU_DEP_1) | instskip(NEXT) | instid1(VALU_DEP_1)
	v_mul_f64 v[33:34], v[35:36], v[31:32]
	v_mul_f64 v[39:40], v[27:28], v[33:34]
	s_delay_alu instid0(VALU_DEP_1) | instskip(NEXT) | instid1(VALU_DEP_1)
	v_fma_f64 v[27:28], v[33:34], v[27:28], -v[39:40]
	v_fma_f64 v[25:26], v[33:34], v[25:26], v[27:28]
	s_delay_alu instid0(VALU_DEP_1) | instskip(NEXT) | instid1(VALU_DEP_1)
	v_add_f64 v[27:28], v[39:40], v[25:26]
	v_add_f64 v[37:38], v[35:36], -v[27:28]
	v_add_f64 v[39:40], v[27:28], -v[39:40]
	s_delay_alu instid0(VALU_DEP_2) | instskip(NEXT) | instid1(VALU_DEP_2)
	v_add_f64 v[35:36], v[35:36], -v[37:38]
	v_add_f64 v[25:26], v[39:40], -v[25:26]
	s_delay_alu instid0(VALU_DEP_2) | instskip(NEXT) | instid1(VALU_DEP_1)
	v_add_f64 v[27:28], v[35:36], -v[27:28]
	v_add_f64 v[25:26], v[25:26], v[27:28]
	s_delay_alu instid0(VALU_DEP_1) | instskip(NEXT) | instid1(VALU_DEP_1)
	v_add_f64 v[25:26], v[37:38], v[25:26]
	v_mul_f64 v[25:26], v[31:32], v[25:26]
	s_delay_alu instid0(VALU_DEP_1) | instskip(NEXT) | instid1(VALU_DEP_1)
	v_add_f64 v[27:28], v[33:34], v[25:26]
	v_mul_f64 v[31:32], v[27:28], v[27:28]
	s_delay_alu instid0(VALU_DEP_1) | instskip(SKIP_1) | instid1(VALU_DEP_2)
	v_fma_f64 v[35:36], v[31:32], s[60:61], s[58:59]
	v_mul_f64 v[37:38], v[27:28], v[31:32]
	v_fma_f64 v[35:36], v[31:32], v[35:36], s[62:63]
	s_delay_alu instid0(VALU_DEP_1) | instskip(NEXT) | instid1(VALU_DEP_1)
	v_fma_f64 v[35:36], v[31:32], v[35:36], s[64:65]
	v_fma_f64 v[35:36], v[31:32], v[35:36], s[66:67]
	s_delay_alu instid0(VALU_DEP_1) | instskip(NEXT) | instid1(VALU_DEP_1)
	v_fma_f64 v[35:36], v[31:32], v[35:36], s[68:69]
	v_fma_f64 v[31:32], v[31:32], v[35:36], s[4:5]
	v_ldexp_f64 v[35:36], v[27:28], 1
	v_add_f64 v[27:28], v[27:28], -v[33:34]
	s_mov_b32 s5, 0
	s_delay_alu instid0(VALU_DEP_3) | instskip(SKIP_1) | instid1(VALU_DEP_3)
	v_mul_f64 v[31:32], v[37:38], v[31:32]
	v_cvt_f64_i32_e32 v[37:38], v2
	v_add_f64 v[25:26], v[25:26], -v[27:28]
	s_delay_alu instid0(VALU_DEP_3) | instskip(NEXT) | instid1(VALU_DEP_3)
	v_add_f64 v[33:34], v[35:36], v[31:32]
	v_mul_f64 v[39:40], v[37:38], s[70:71]
	s_delay_alu instid0(VALU_DEP_3) | instskip(NEXT) | instid1(VALU_DEP_3)
	v_ldexp_f64 v[25:26], v[25:26], 1
	v_add_f64 v[27:28], v[33:34], -v[35:36]
	s_delay_alu instid0(VALU_DEP_3) | instskip(NEXT) | instid1(VALU_DEP_2)
	v_fma_f64 v[35:36], v[37:38], s[70:71], -v[39:40]
	v_add_f64 v[27:28], v[31:32], -v[27:28]
	s_delay_alu instid0(VALU_DEP_2) | instskip(NEXT) | instid1(VALU_DEP_2)
	v_fma_f64 v[31:32], v[37:38], s[72:73], v[35:36]
	v_add_f64 v[25:26], v[25:26], v[27:28]
	s_delay_alu instid0(VALU_DEP_2) | instskip(NEXT) | instid1(VALU_DEP_2)
	v_add_f64 v[27:28], v[39:40], v[31:32]
	v_add_f64 v[35:36], v[33:34], v[25:26]
	s_delay_alu instid0(VALU_DEP_2) | instskip(NEXT) | instid1(VALU_DEP_2)
	v_add_f64 v[39:40], v[27:28], -v[39:40]
	v_add_f64 v[37:38], v[27:28], v[35:36]
	v_add_f64 v[33:34], v[35:36], -v[33:34]
	s_delay_alu instid0(VALU_DEP_3) | instskip(NEXT) | instid1(VALU_DEP_3)
	v_add_f64 v[31:32], v[31:32], -v[39:40]
	v_add_f64 v[41:42], v[37:38], -v[27:28]
	s_delay_alu instid0(VALU_DEP_3) | instskip(NEXT) | instid1(VALU_DEP_2)
	v_add_f64 v[25:26], v[25:26], -v[33:34]
	v_add_f64 v[43:44], v[37:38], -v[41:42]
	;; [unrolled: 1-line block ×3, first 2 shown]
	s_delay_alu instid0(VALU_DEP_3) | instskip(NEXT) | instid1(VALU_DEP_3)
	v_add_f64 v[35:36], v[31:32], v[25:26]
	v_add_f64 v[27:28], v[27:28], -v[43:44]
	s_delay_alu instid0(VALU_DEP_1) | instskip(NEXT) | instid1(VALU_DEP_3)
	v_add_f64 v[27:28], v[33:34], v[27:28]
	v_add_f64 v[33:34], v[35:36], -v[31:32]
	s_delay_alu instid0(VALU_DEP_2) | instskip(NEXT) | instid1(VALU_DEP_2)
	v_add_f64 v[27:28], v[35:36], v[27:28]
	v_add_f64 v[35:36], v[35:36], -v[33:34]
	v_add_f64 v[25:26], v[25:26], -v[33:34]
	s_delay_alu instid0(VALU_DEP_3) | instskip(NEXT) | instid1(VALU_DEP_3)
	v_add_f64 v[39:40], v[37:38], v[27:28]
	v_add_f64 v[31:32], v[31:32], -v[35:36]
	s_delay_alu instid0(VALU_DEP_2) | instskip(NEXT) | instid1(VALU_DEP_2)
	v_add_f64 v[33:34], v[39:40], -v[37:38]
	v_add_f64 v[25:26], v[25:26], v[31:32]
	s_delay_alu instid0(VALU_DEP_2) | instskip(NEXT) | instid1(VALU_DEP_1)
	v_add_f64 v[27:28], v[27:28], -v[33:34]
	v_add_f64 v[25:26], v[25:26], v[27:28]
	s_delay_alu instid0(VALU_DEP_1) | instskip(NEXT) | instid1(VALU_DEP_1)
	v_add_f64 v[25:26], v[39:40], v[25:26]
	v_dual_cndmask_b32 v2, v25, v23 :: v_dual_cndmask_b32 v25, v26, v24
	v_cmp_ngt_f64_e32 vcc_lo, 0, v[23:24]
	s_delay_alu instid0(VALU_DEP_2) | instskip(SKIP_1) | instid1(VALU_DEP_4)
	v_cndmask_b32_e32 v26, 0x7ff80000, v25, vcc_lo
	v_cmp_nge_f64_e32 vcc_lo, 0, v[23:24]
	v_cndmask_b32_e32 v25, 0, v2, vcc_lo
	v_cmp_neq_f64_e32 vcc_lo, 0, v[23:24]
	v_dual_mov_b32 v24, v4 :: v_dual_mov_b32 v23, v3
	v_cndmask_b32_e32 v26, 0xfff00000, v26, vcc_lo
	.p2align	6
.LBB193_18:                             ;   Parent Loop BB193_3 Depth=1
                                        ;     Parent Loop BB193_7 Depth=2
                                        ; =>    This Inner Loop Header: Depth=3
	v_add_co_u32 v27, vcc_lo, v15, s74
	v_add_co_ci_u32_e32 v28, vcc_lo, s75, v16, vcc_lo
	s_delay_alu instid0(VALU_DEP_4)
	v_add_co_u32 v23, vcc_lo, v23, s21
	v_add_co_ci_u32_e32 v24, vcc_lo, 0, v24, vcc_lo
	global_load_b64 v[27:28], v[27:28], off
	v_add_co_u32 v31, s2, v13, s74
	v_cmp_le_i64_e32 vcc_lo, s[10:11], v[23:24]
	v_add_co_ci_u32_e64 v32, s2, s75, v14, s2
	s_add_u32 s74, s74, s77
	s_addc_u32 s75, s75, s76
	s_or_b32 s5, vcc_lo, s5
	s_waitcnt vmcnt(0)
	v_add_f64 v[27:28], v[27:28], -v[21:22]
	s_delay_alu instid0(VALU_DEP_1)
	v_add_f64 v[27:28], v[27:28], -v[25:26]
	global_store_b64 v[31:32], v[27:28], off
	s_and_not1_b32 exec_lo, exec_lo, s5
	s_cbranch_execnz .LBB193_18
.LBB193_19:                             ;   in Loop: Header=BB193_7 Depth=2
	s_or_b32 exec_lo, exec_lo, s3
	s_mov_b32 s2, 0
.LBB193_20:                             ;   in Loop: Header=BB193_7 Depth=2
	s_delay_alu instid0(SALU_CYCLE_1)
	s_and_b32 vcc_lo, exec_lo, s2
	s_cbranch_vccz .LBB193_6
; %bb.21:                               ;   in Loop: Header=BB193_7 Depth=2
	v_dual_mov_b32 v21, s22 :: v_dual_mov_b32 v22, s23
	s_and_saveexec_b32 s5, s0
	s_cbranch_execz .LBB193_25
; %bb.22:                               ;   in Loop: Header=BB193_7 Depth=2
	v_dual_mov_b32 v21, s22 :: v_dual_mov_b32 v22, s23
	v_dual_mov_b32 v24, v18 :: v_dual_mov_b32 v23, v17
	;; [unrolled: 1-line block ×3, first 2 shown]
	s_mov_b32 s70, 0
	.p2align	6
.LBB193_23:                             ;   Parent Loop BB193_3 Depth=1
                                        ;     Parent Loop BB193_7 Depth=2
                                        ; =>    This Inner Loop Header: Depth=3
	global_load_b64 v[27:28], v[23:24], off
	v_add_co_u32 v25, s2, v25, s21
	s_delay_alu instid0(VALU_DEP_1) | instskip(SKIP_1) | instid1(VALU_DEP_1)
	v_add_co_ci_u32_e64 v26, s2, 0, v26, s2
	v_add_co_u32 v23, s2, v23, s77
	v_add_co_ci_u32_e64 v24, s2, s76, v24, s2
	s_delay_alu instid0(VALU_DEP_3) | instskip(NEXT) | instid1(VALU_DEP_1)
	v_cmp_le_i64_e64 s3, s[10:11], v[25:26]
	s_or_b32 s70, s3, s70
	s_waitcnt vmcnt(0)
	v_cmp_lt_f64_e32 vcc_lo, v[21:22], v[27:28]
	v_dual_cndmask_b32 v22, v22, v28 :: v_dual_cndmask_b32 v21, v21, v27
	s_and_not1_b32 exec_lo, exec_lo, s70
	s_cbranch_execnz .LBB193_23
; %bb.24:                               ;   in Loop: Header=BB193_7 Depth=2
	s_or_b32 exec_lo, exec_lo, s70
.LBB193_25:                             ;   in Loop: Header=BB193_7 Depth=2
	s_delay_alu instid0(SALU_CYCLE_1)
	s_or_b32 exec_lo, exec_lo, s5
	s_mov_b32 s2, s21
	s_waitcnt_vscnt null, 0x0
	s_barrier
	buffer_gl0_inv
	ds_store_b64 v30, v[21:22]
	s_branch .LBB193_27
	.p2align	6
.LBB193_26:                             ;   in Loop: Header=BB193_27 Depth=3
	s_or_b32 exec_lo, exec_lo, s5
	s_cmp_gt_u32 s2, 3
	s_mov_b32 s2, s3
	s_cbranch_scc0 .LBB193_29
.LBB193_27:                             ;   Parent Loop BB193_3 Depth=1
                                        ;     Parent Loop BB193_7 Depth=2
                                        ; =>    This Inner Loop Header: Depth=3
	s_lshr_b32 s3, s2, 1
	s_mov_b32 s5, exec_lo
	s_waitcnt lgkmcnt(0)
	s_barrier
	buffer_gl0_inv
	v_cmpx_gt_u32_e64 s3, v3
	s_cbranch_execz .LBB193_26
; %bb.28:                               ;   in Loop: Header=BB193_27 Depth=3
	v_lshl_add_u32 v2, s3, 3, v30
	ds_load_b64 v[21:22], v30
	ds_load_b64 v[23:24], v2
	s_waitcnt lgkmcnt(0)
	v_cmp_lt_f64_e32 vcc_lo, v[21:22], v[23:24]
	v_dual_cndmask_b32 v22, v22, v24 :: v_dual_cndmask_b32 v21, v21, v23
	ds_store_b64 v30, v[21:22]
	s_branch .LBB193_26
.LBB193_29:                             ;   in Loop: Header=BB193_7 Depth=2
	s_waitcnt lgkmcnt(0)
	s_barrier
	buffer_gl0_inv
	ds_load_b64 v[21:22], v29
	v_mov_b32_e32 v23, 0
	v_mov_b32_e32 v24, 0
	s_and_saveexec_b32 s3, s0
	s_cbranch_execz .LBB193_33
; %bb.30:                               ;   in Loop: Header=BB193_7 Depth=2
	v_dual_mov_b32 v23, 0 :: v_dual_mov_b32 v26, v18
	v_dual_mov_b32 v24, 0 :: v_dual_mov_b32 v25, v17
	;; [unrolled: 1-line block ×3, first 2 shown]
	s_mov_b32 s5, 0
.LBB193_31:                             ;   Parent Loop BB193_3 Depth=1
                                        ;     Parent Loop BB193_7 Depth=2
                                        ; =>    This Inner Loop Header: Depth=3
	global_load_b64 v[31:32], v[25:26], off
	s_waitcnt vmcnt(0) lgkmcnt(0)
	v_add_f64 v[31:32], v[31:32], -v[21:22]
	s_delay_alu instid0(VALU_DEP_1) | instskip(SKIP_2) | instid1(VALU_DEP_3)
	v_mul_f64 v[33:34], v[31:32], s[6:7]
	v_cmp_nlt_f64_e32 vcc_lo, 0x40900000, v[31:32]
	v_cmp_ngt_f64_e64 s2, 0xc090cc00, v[31:32]
	v_rndne_f64_e32 v[33:34], v[33:34]
	s_delay_alu instid0(VALU_DEP_1) | instskip(SKIP_1) | instid1(VALU_DEP_2)
	v_fma_f64 v[35:36], v[33:34], s[30:31], v[31:32]
	v_cvt_i32_f64_e32 v2, v[33:34]
	v_fma_f64 v[35:36], v[33:34], s[34:35], v[35:36]
	s_delay_alu instid0(VALU_DEP_1) | instskip(NEXT) | instid1(VALU_DEP_1)
	v_fma_f64 v[37:38], v[35:36], s[38:39], s[36:37]
	v_fma_f64 v[37:38], v[35:36], v[37:38], s[40:41]
	s_delay_alu instid0(VALU_DEP_1) | instskip(NEXT) | instid1(VALU_DEP_1)
	v_fma_f64 v[37:38], v[35:36], v[37:38], s[42:43]
	;; [unrolled: 3-line block ×5, first 2 shown]
	v_fma_f64 v[37:38], v[35:36], v[37:38], 1.0
	s_delay_alu instid0(VALU_DEP_1) | instskip(NEXT) | instid1(VALU_DEP_1)
	v_fma_f64 v[33:34], v[35:36], v[37:38], 1.0
	v_ldexp_f64 v[33:34], v[33:34], v2
	s_delay_alu instid0(VALU_DEP_1) | instskip(SKIP_1) | instid1(VALU_DEP_2)
	v_cndmask_b32_e32 v2, 0x7ff00000, v34, vcc_lo
	s_and_b32 vcc_lo, s2, vcc_lo
	v_cndmask_b32_e32 v31, 0, v33, vcc_lo
	v_add_co_u32 v27, vcc_lo, v27, s21
	s_delay_alu instid0(VALU_DEP_3) | instskip(SKIP_2) | instid1(VALU_DEP_3)
	v_cndmask_b32_e64 v32, 0, v2, s2
	v_add_co_ci_u32_e32 v28, vcc_lo, 0, v28, vcc_lo
	v_add_co_u32 v25, s2, v25, s77
	v_add_f64 v[23:24], v[23:24], v[31:32]
	s_delay_alu instid0(VALU_DEP_3) | instskip(SKIP_2) | instid1(SALU_CYCLE_1)
	v_cmp_le_i64_e32 vcc_lo, s[10:11], v[27:28]
	v_add_co_ci_u32_e64 v26, s2, s76, v26, s2
	s_or_b32 s5, vcc_lo, s5
	s_and_not1_b32 exec_lo, exec_lo, s5
	s_cbranch_execnz .LBB193_31
; %bb.32:                               ;   in Loop: Header=BB193_7 Depth=2
	s_or_b32 exec_lo, exec_lo, s5
.LBB193_33:                             ;   in Loop: Header=BB193_7 Depth=2
	s_delay_alu instid0(SALU_CYCLE_1)
	s_or_b32 exec_lo, exec_lo, s3
	s_mov_b32 s2, s21
	s_waitcnt lgkmcnt(0)
	s_barrier
	buffer_gl0_inv
	ds_store_b64 v30, v[23:24]
	s_branch .LBB193_35
	.p2align	6
.LBB193_34:                             ;   in Loop: Header=BB193_35 Depth=3
	s_or_b32 exec_lo, exec_lo, s5
	s_cmp_gt_u32 s2, 3
	s_mov_b32 s2, s3
	s_cbranch_scc0 .LBB193_37
.LBB193_35:                             ;   Parent Loop BB193_3 Depth=1
                                        ;     Parent Loop BB193_7 Depth=2
                                        ; =>    This Inner Loop Header: Depth=3
	s_lshr_b32 s3, s2, 1
	s_mov_b32 s5, exec_lo
	s_waitcnt lgkmcnt(0)
	s_barrier
	buffer_gl0_inv
	v_cmpx_gt_u32_e64 s3, v3
	s_cbranch_execz .LBB193_34
; %bb.36:                               ;   in Loop: Header=BB193_35 Depth=3
	v_lshl_add_u32 v2, s3, 3, v30
	ds_load_b64 v[23:24], v30
	ds_load_b64 v[25:26], v2
	s_waitcnt lgkmcnt(0)
	v_add_f64 v[23:24], v[23:24], v[25:26]
	ds_store_b64 v30, v[23:24]
	s_branch .LBB193_34
.LBB193_37:                             ;   in Loop: Header=BB193_7 Depth=2
	s_waitcnt lgkmcnt(0)
	s_barrier
	buffer_gl0_inv
	s_and_saveexec_b32 s3, s0
	s_cbranch_execz .LBB193_5
; %bb.38:                               ;   in Loop: Header=BB193_7 Depth=2
	ds_load_b64 v[24:25], v29
	s_mov_b32 s5, s57
	s_mov_b32 s70, s30
	;; [unrolled: 1-line block ×3, first 2 shown]
	s_mov_b64 s[74:75], 0
	s_waitcnt lgkmcnt(0)
	v_frexp_mant_f64_e32 v[26:27], v[24:25]
	s_delay_alu instid0(VALU_DEP_1) | instskip(SKIP_1) | instid1(VALU_DEP_1)
	v_cmp_gt_f64_e32 vcc_lo, s[56:57], v[26:27]
	v_cndmask_b32_e64 v2, 0x3ff00000, 2.0, vcc_lo
	v_mul_f64 v[26:27], v[26:27], v[1:2]
	v_frexp_exp_i32_f64_e32 v2, v[24:25]
	s_delay_alu instid0(VALU_DEP_2) | instskip(SKIP_1) | instid1(VALU_DEP_3)
	v_add_f64 v[31:32], v[26:27], 1.0
	v_add_f64 v[37:38], v[26:27], -1.0
	v_subrev_co_ci_u32_e32 v2, vcc_lo, 0, v2, vcc_lo
	v_cmp_class_f64_e64 vcc_lo, v[24:25], 0x204
	s_delay_alu instid0(VALU_DEP_4) | instskip(SKIP_1) | instid1(VALU_DEP_1)
	v_rcp_f64_e32 v[33:34], v[31:32]
	v_add_f64 v[39:40], v[31:32], -1.0
	v_add_f64 v[26:27], v[26:27], -v[39:40]
	s_waitcnt_depctr 0xfff
	v_fma_f64 v[35:36], -v[31:32], v[33:34], 1.0
	s_delay_alu instid0(VALU_DEP_1) | instskip(NEXT) | instid1(VALU_DEP_1)
	v_fma_f64 v[33:34], v[35:36], v[33:34], v[33:34]
	v_fma_f64 v[35:36], -v[31:32], v[33:34], 1.0
	s_delay_alu instid0(VALU_DEP_1) | instskip(NEXT) | instid1(VALU_DEP_1)
	v_fma_f64 v[33:34], v[35:36], v[33:34], v[33:34]
	v_mul_f64 v[35:36], v[37:38], v[33:34]
	s_delay_alu instid0(VALU_DEP_1) | instskip(NEXT) | instid1(VALU_DEP_1)
	v_mul_f64 v[41:42], v[31:32], v[35:36]
	v_fma_f64 v[31:32], v[35:36], v[31:32], -v[41:42]
	s_delay_alu instid0(VALU_DEP_1) | instskip(NEXT) | instid1(VALU_DEP_1)
	v_fma_f64 v[26:27], v[35:36], v[26:27], v[31:32]
	v_add_f64 v[31:32], v[41:42], v[26:27]
	s_delay_alu instid0(VALU_DEP_1) | instskip(SKIP_1) | instid1(VALU_DEP_2)
	v_add_f64 v[39:40], v[37:38], -v[31:32]
	v_add_f64 v[41:42], v[31:32], -v[41:42]
	;; [unrolled: 1-line block ×3, first 2 shown]
	s_delay_alu instid0(VALU_DEP_2) | instskip(NEXT) | instid1(VALU_DEP_2)
	v_add_f64 v[26:27], v[41:42], -v[26:27]
	v_add_f64 v[31:32], v[37:38], -v[31:32]
	s_delay_alu instid0(VALU_DEP_1) | instskip(NEXT) | instid1(VALU_DEP_1)
	v_add_f64 v[26:27], v[26:27], v[31:32]
	v_add_f64 v[26:27], v[39:40], v[26:27]
	s_delay_alu instid0(VALU_DEP_1) | instskip(NEXT) | instid1(VALU_DEP_1)
	v_mul_f64 v[26:27], v[33:34], v[26:27]
	v_add_f64 v[31:32], v[35:36], v[26:27]
	s_delay_alu instid0(VALU_DEP_1) | instskip(NEXT) | instid1(VALU_DEP_1)
	v_mul_f64 v[33:34], v[31:32], v[31:32]
	v_fma_f64 v[37:38], v[33:34], s[60:61], s[58:59]
	v_mul_f64 v[39:40], v[31:32], v[33:34]
	s_delay_alu instid0(VALU_DEP_2) | instskip(NEXT) | instid1(VALU_DEP_1)
	v_fma_f64 v[37:38], v[33:34], v[37:38], s[62:63]
	v_fma_f64 v[37:38], v[33:34], v[37:38], s[64:65]
	s_delay_alu instid0(VALU_DEP_1) | instskip(NEXT) | instid1(VALU_DEP_1)
	v_fma_f64 v[37:38], v[33:34], v[37:38], s[66:67]
	v_fma_f64 v[37:38], v[33:34], v[37:38], s[68:69]
	s_delay_alu instid0(VALU_DEP_1) | instskip(SKIP_3) | instid1(VALU_DEP_3)
	v_fma_f64 v[33:34], v[33:34], v[37:38], s[4:5]
	v_ldexp_f64 v[37:38], v[31:32], 1
	v_add_f64 v[31:32], v[31:32], -v[35:36]
	s_mov_b32 s5, 0
	v_mul_f64 v[33:34], v[39:40], v[33:34]
	v_cvt_f64_i32_e32 v[39:40], v2
	s_delay_alu instid0(VALU_DEP_3) | instskip(NEXT) | instid1(VALU_DEP_3)
	v_add_f64 v[26:27], v[26:27], -v[31:32]
	v_add_f64 v[35:36], v[37:38], v[33:34]
	s_delay_alu instid0(VALU_DEP_3) | instskip(NEXT) | instid1(VALU_DEP_3)
	v_mul_f64 v[41:42], v[39:40], s[70:71]
	v_ldexp_f64 v[26:27], v[26:27], 1
	s_delay_alu instid0(VALU_DEP_3) | instskip(NEXT) | instid1(VALU_DEP_3)
	v_add_f64 v[31:32], v[35:36], -v[37:38]
	v_fma_f64 v[37:38], v[39:40], s[70:71], -v[41:42]
	s_delay_alu instid0(VALU_DEP_2) | instskip(NEXT) | instid1(VALU_DEP_2)
	v_add_f64 v[31:32], v[33:34], -v[31:32]
	v_fma_f64 v[33:34], v[39:40], s[72:73], v[37:38]
	s_delay_alu instid0(VALU_DEP_2) | instskip(NEXT) | instid1(VALU_DEP_2)
	v_add_f64 v[26:27], v[26:27], v[31:32]
	v_add_f64 v[31:32], v[41:42], v[33:34]
	s_delay_alu instid0(VALU_DEP_2) | instskip(NEXT) | instid1(VALU_DEP_2)
	v_add_f64 v[37:38], v[35:36], v[26:27]
	v_add_f64 v[41:42], v[31:32], -v[41:42]
	s_delay_alu instid0(VALU_DEP_2) | instskip(SKIP_1) | instid1(VALU_DEP_3)
	v_add_f64 v[39:40], v[31:32], v[37:38]
	v_add_f64 v[35:36], v[37:38], -v[35:36]
	v_add_f64 v[33:34], v[33:34], -v[41:42]
	s_delay_alu instid0(VALU_DEP_3) | instskip(NEXT) | instid1(VALU_DEP_3)
	v_add_f64 v[43:44], v[39:40], -v[31:32]
	v_add_f64 v[26:27], v[26:27], -v[35:36]
	s_delay_alu instid0(VALU_DEP_2) | instskip(SKIP_1) | instid1(VALU_DEP_3)
	v_add_f64 v[45:46], v[39:40], -v[43:44]
	v_add_f64 v[35:36], v[37:38], -v[43:44]
	v_add_f64 v[37:38], v[33:34], v[26:27]
	s_delay_alu instid0(VALU_DEP_3) | instskip(NEXT) | instid1(VALU_DEP_1)
	v_add_f64 v[31:32], v[31:32], -v[45:46]
	v_add_f64 v[31:32], v[35:36], v[31:32]
	s_delay_alu instid0(VALU_DEP_3) | instskip(NEXT) | instid1(VALU_DEP_2)
	v_add_f64 v[35:36], v[37:38], -v[33:34]
	v_add_f64 v[31:32], v[37:38], v[31:32]
	s_delay_alu instid0(VALU_DEP_2) | instskip(SKIP_1) | instid1(VALU_DEP_3)
	v_add_f64 v[37:38], v[37:38], -v[35:36]
	v_add_f64 v[26:27], v[26:27], -v[35:36]
	v_add_f64 v[41:42], v[39:40], v[31:32]
	s_delay_alu instid0(VALU_DEP_3) | instskip(NEXT) | instid1(VALU_DEP_2)
	v_add_f64 v[33:34], v[33:34], -v[37:38]
	v_add_f64 v[35:36], v[41:42], -v[39:40]
	s_delay_alu instid0(VALU_DEP_2) | instskip(NEXT) | instid1(VALU_DEP_2)
	v_add_f64 v[26:27], v[26:27], v[33:34]
	v_add_f64 v[31:32], v[31:32], -v[35:36]
	s_delay_alu instid0(VALU_DEP_1) | instskip(NEXT) | instid1(VALU_DEP_1)
	v_add_f64 v[26:27], v[26:27], v[31:32]
	v_add_f64 v[26:27], v[41:42], v[26:27]
	s_delay_alu instid0(VALU_DEP_1) | instskip(SKIP_1) | instid1(VALU_DEP_2)
	v_dual_cndmask_b32 v2, v26, v24 :: v_dual_cndmask_b32 v23, v27, v25
	v_cmp_ngt_f64_e32 vcc_lo, 0, v[24:25]
	v_cndmask_b32_e32 v26, 0x7ff80000, v23, vcc_lo
	v_cmp_nge_f64_e32 vcc_lo, 0, v[24:25]
	s_delay_alu instid0(VALU_DEP_4) | instskip(SKIP_1) | instid1(VALU_DEP_4)
	v_cndmask_b32_e32 v23, 0, v2, vcc_lo
	v_cmp_neq_f64_e32 vcc_lo, 0, v[24:25]
	v_cndmask_b32_e32 v24, 0xfff00000, v26, vcc_lo
	v_dual_mov_b32 v26, v4 :: v_dual_mov_b32 v25, v3
	.p2align	6
.LBB193_39:                             ;   Parent Loop BB193_3 Depth=1
                                        ;     Parent Loop BB193_7 Depth=2
                                        ; =>    This Inner Loop Header: Depth=3
	v_add_co_u32 v27, vcc_lo, v15, s74
	v_add_co_ci_u32_e32 v28, vcc_lo, s75, v16, vcc_lo
	s_delay_alu instid0(VALU_DEP_3) | instskip(NEXT) | instid1(VALU_DEP_4)
	v_add_co_u32 v25, vcc_lo, v25, s21
	v_add_co_ci_u32_e32 v26, vcc_lo, 0, v26, vcc_lo
	global_load_b64 v[27:28], v[27:28], off
	v_add_co_u32 v31, s2, v13, s74
	v_cmp_le_i64_e32 vcc_lo, s[10:11], v[25:26]
	v_add_co_ci_u32_e64 v32, s2, s75, v14, s2
	s_add_u32 s74, s74, s77
	s_addc_u32 s75, s75, s76
	s_or_b32 s5, vcc_lo, s5
	s_waitcnt vmcnt(0)
	v_add_f64 v[27:28], v[27:28], -v[21:22]
	s_delay_alu instid0(VALU_DEP_1)
	v_add_f64 v[27:28], v[27:28], -v[23:24]
	global_store_b64 v[31:32], v[27:28], off
	s_and_not1_b32 exec_lo, exec_lo, s5
	s_cbranch_execnz .LBB193_39
	s_branch .LBB193_5
.LBB193_40:
	s_nop 0
	s_sendmsg sendmsg(MSG_DEALLOC_VGPRS)
	s_endpgm
	.section	.rodata,"a",@progbits
	.p2align	6, 0x0
	.amdhsa_kernel _ZN2at6native12_GLOBAL__N_126cunn_SpatialSoftMaxForwardIdddlNS1_25LogSoftMaxForwardEpilogueEEEvPT1_PKT_T2_S9_S9_
		.amdhsa_group_segment_fixed_size 0
		.amdhsa_private_segment_fixed_size 0
		.amdhsa_kernarg_size 296
		.amdhsa_user_sgpr_count 14
		.amdhsa_user_sgpr_dispatch_ptr 0
		.amdhsa_user_sgpr_queue_ptr 0
		.amdhsa_user_sgpr_kernarg_segment_ptr 1
		.amdhsa_user_sgpr_dispatch_id 0
		.amdhsa_user_sgpr_private_segment_size 0
		.amdhsa_wavefront_size32 1
		.amdhsa_uses_dynamic_stack 0
		.amdhsa_enable_private_segment 0
		.amdhsa_system_sgpr_workgroup_id_x 1
		.amdhsa_system_sgpr_workgroup_id_y 1
		.amdhsa_system_sgpr_workgroup_id_z 0
		.amdhsa_system_sgpr_workgroup_info 0
		.amdhsa_system_vgpr_workitem_id 1
		.amdhsa_next_free_vgpr 47
		.amdhsa_next_free_sgpr 79
		.amdhsa_reserve_vcc 1
		.amdhsa_float_round_mode_32 0
		.amdhsa_float_round_mode_16_64 0
		.amdhsa_float_denorm_mode_32 3
		.amdhsa_float_denorm_mode_16_64 3
		.amdhsa_dx10_clamp 1
		.amdhsa_ieee_mode 1
		.amdhsa_fp16_overflow 0
		.amdhsa_workgroup_processor_mode 1
		.amdhsa_memory_ordered 1
		.amdhsa_forward_progress 0
		.amdhsa_shared_vgpr_count 0
		.amdhsa_exception_fp_ieee_invalid_op 0
		.amdhsa_exception_fp_denorm_src 0
		.amdhsa_exception_fp_ieee_div_zero 0
		.amdhsa_exception_fp_ieee_overflow 0
		.amdhsa_exception_fp_ieee_underflow 0
		.amdhsa_exception_fp_ieee_inexact 0
		.amdhsa_exception_int_div_zero 0
	.end_amdhsa_kernel
	.section	.text._ZN2at6native12_GLOBAL__N_126cunn_SpatialSoftMaxForwardIdddlNS1_25LogSoftMaxForwardEpilogueEEEvPT1_PKT_T2_S9_S9_,"axG",@progbits,_ZN2at6native12_GLOBAL__N_126cunn_SpatialSoftMaxForwardIdddlNS1_25LogSoftMaxForwardEpilogueEEEvPT1_PKT_T2_S9_S9_,comdat
.Lfunc_end193:
	.size	_ZN2at6native12_GLOBAL__N_126cunn_SpatialSoftMaxForwardIdddlNS1_25LogSoftMaxForwardEpilogueEEEvPT1_PKT_T2_S9_S9_, .Lfunc_end193-_ZN2at6native12_GLOBAL__N_126cunn_SpatialSoftMaxForwardIdddlNS1_25LogSoftMaxForwardEpilogueEEEvPT1_PKT_T2_S9_S9_
                                        ; -- End function
	.section	.AMDGPU.csdata,"",@progbits
; Kernel info:
; codeLenInByte = 4128
; NumSgprs: 81
; NumVgprs: 47
; ScratchSize: 0
; MemoryBound: 0
; FloatMode: 240
; IeeeMode: 1
; LDSByteSize: 0 bytes/workgroup (compile time only)
; SGPRBlocks: 10
; VGPRBlocks: 5
; NumSGPRsForWavesPerEU: 81
; NumVGPRsForWavesPerEU: 47
; Occupancy: 16
; WaveLimiterHint : 0
; COMPUTE_PGM_RSRC2:SCRATCH_EN: 0
; COMPUTE_PGM_RSRC2:USER_SGPR: 14
; COMPUTE_PGM_RSRC2:TRAP_HANDLER: 0
; COMPUTE_PGM_RSRC2:TGID_X_EN: 1
; COMPUTE_PGM_RSRC2:TGID_Y_EN: 1
; COMPUTE_PGM_RSRC2:TGID_Z_EN: 0
; COMPUTE_PGM_RSRC2:TIDIG_COMP_CNT: 1
	.section	.text._ZN2at6native12_GLOBAL__N_126cunn_SpatialSoftMaxForwardIfffiNS1_25LogSoftMaxForwardEpilogueEEEvPT1_PKT_T2_S9_S9_,"axG",@progbits,_ZN2at6native12_GLOBAL__N_126cunn_SpatialSoftMaxForwardIfffiNS1_25LogSoftMaxForwardEpilogueEEEvPT1_PKT_T2_S9_S9_,comdat
	.globl	_ZN2at6native12_GLOBAL__N_126cunn_SpatialSoftMaxForwardIfffiNS1_25LogSoftMaxForwardEpilogueEEEvPT1_PKT_T2_S9_S9_ ; -- Begin function _ZN2at6native12_GLOBAL__N_126cunn_SpatialSoftMaxForwardIfffiNS1_25LogSoftMaxForwardEpilogueEEEvPT1_PKT_T2_S9_S9_
	.p2align	8
	.type	_ZN2at6native12_GLOBAL__N_126cunn_SpatialSoftMaxForwardIfffiNS1_25LogSoftMaxForwardEpilogueEEEvPT1_PKT_T2_S9_S9_,@function
_ZN2at6native12_GLOBAL__N_126cunn_SpatialSoftMaxForwardIfffiNS1_25LogSoftMaxForwardEpilogueEEEvPT1_PKT_T2_S9_S9_: ; @_ZN2at6native12_GLOBAL__N_126cunn_SpatialSoftMaxForwardIfffiNS1_25LogSoftMaxForwardEpilogueEEEvPT1_PKT_T2_S9_S9_
; %bb.0:
	s_load_b128 s[4:7], s[0:1], 0x10
	s_waitcnt lgkmcnt(0)
	s_cmp_ge_i32 s14, s4
	s_cbranch_scc1 .LBB194_40
; %bb.1:
	s_load_b32 s2, s[0:1], 0x2c
	v_and_b32_e32 v1, 0x3ff, v0
	s_clause 0x1
	s_load_b64 s[12:13], s[0:1], 0x20
	s_load_b128 s[8:11], s[0:1], 0x0
	s_add_u32 s16, s0, 32
	v_bfe_u32 v0, v0, 10, 10
	v_mad_u64_u32 v[2:3], null, s14, s5, v[1:2]
	s_addc_u32 s17, s1, 0
	v_cmp_gt_i32_e64 s0, s5, v1
	s_delay_alu instid0(VALU_DEP_2)
	v_mul_lo_u32 v2, s6, v2
	s_waitcnt lgkmcnt(0)
	s_lshr_b32 s2, s2, 16
	s_mul_i32 s7, s12, s6
	s_mul_i32 s15, s15, s2
	;; [unrolled: 1-line block ×3, first 2 shown]
	v_add_nc_u32_e32 v4, s15, v0
	s_delay_alu instid0(VALU_DEP_2) | instskip(SKIP_1) | instid1(VALU_DEP_2)
	v_add3_u32 v5, v0, v2, s15
	s_mul_i32 s7, s7, s5
	v_cmp_gt_i32_e64 s1, s6, v4
	s_branch .LBB194_3
.LBB194_2:                              ;   in Loop: Header=BB194_3 Depth=1
	s_or_b32 exec_lo, exec_lo, s13
	v_add_nc_u32_e32 v5, s7, v5
	s_add_i32 s14, s12, s14
	s_delay_alu instid0(SALU_CYCLE_1)
	s_cmp_ge_i32 s14, s4
	s_cbranch_scc1 .LBB194_40
.LBB194_3:                              ; =>This Loop Header: Depth=1
                                        ;     Child Loop BB194_7 Depth 2
                                        ;       Child Loop BB194_12 Depth 3
                                        ;       Child Loop BB194_15 Depth 3
	;; [unrolled: 1-line block ×8, first 2 shown]
	s_delay_alu instid0(VALU_DEP_1)
	s_and_saveexec_b32 s13, s1
	s_cbranch_execz .LBB194_2
; %bb.4:                                ;   in Loop: Header=BB194_3 Depth=1
	s_load_b32 s2, s[16:17], 0xc
	v_mov_b32_e32 v7, v5
	v_mov_b32_e32 v9, v4
	s_mov_b32 s20, 0
	s_waitcnt lgkmcnt(0)
	s_and_b32 s15, s2, 0xffff
	s_delay_alu instid0(SALU_CYCLE_1) | instskip(SKIP_3) | instid1(VALU_DEP_1)
	v_mul_u32_u24_e32 v2, s15, v0
	s_cmp_lt_u32 s15, 2
	s_mul_i32 s19, s6, s15
	s_cselect_b32 s18, -1, 0
	v_lshl_add_u32 v6, v2, 2, 0
	s_delay_alu instid0(VALU_DEP_1)
	v_lshl_add_u32 v8, v1, 2, v6
	s_branch .LBB194_7
.LBB194_5:                              ;   in Loop: Header=BB194_7 Depth=2
	s_or_b32 exec_lo, exec_lo, s21
.LBB194_6:                              ;   in Loop: Header=BB194_7 Depth=2
	v_add_nc_u32_e32 v9, s3, v9
	v_add_nc_u32_e32 v7, s3, v7
	s_delay_alu instid0(VALU_DEP_2) | instskip(SKIP_1) | instid1(SALU_CYCLE_1)
	v_cmp_le_i32_e32 vcc_lo, s6, v9
	s_or_b32 s20, vcc_lo, s20
	s_and_not1_b32 exec_lo, exec_lo, s20
	s_cbranch_execz .LBB194_2
.LBB194_7:                              ;   Parent Loop BB194_3 Depth=1
                                        ; =>  This Loop Header: Depth=2
                                        ;       Child Loop BB194_12 Depth 3
                                        ;       Child Loop BB194_15 Depth 3
	;; [unrolled: 1-line block ×8, first 2 shown]
	s_and_b32 vcc_lo, exec_lo, s18
	s_mov_b32 s2, -1
	s_cbranch_vccz .LBB194_20
; %bb.8:                                ;   in Loop: Header=BB194_7 Depth=2
	v_mov_b32_e32 v10, 0xff7fffff
	s_and_saveexec_b32 s21, s0
	s_cbranch_execnz .LBB194_11
; %bb.9:                                ;   in Loop: Header=BB194_7 Depth=2
	s_or_b32 exec_lo, exec_lo, s21
	v_mov_b32_e32 v11, 0
	s_and_saveexec_b32 s2, s0
	s_cbranch_execnz .LBB194_14
.LBB194_10:                             ;   in Loop: Header=BB194_7 Depth=2
	s_or_b32 exec_lo, exec_lo, s2
	s_and_saveexec_b32 s21, s0
	s_cbranch_execnz .LBB194_17
	s_branch .LBB194_19
.LBB194_11:                             ;   in Loop: Header=BB194_7 Depth=2
	v_dual_mov_b32 v10, 0xff7fffff :: v_dual_mov_b32 v11, v1
	v_mov_b32_e32 v2, v7
	s_mov_b32 s22, 0
	.p2align	6
.LBB194_12:                             ;   Parent Loop BB194_3 Depth=1
                                        ;     Parent Loop BB194_7 Depth=2
                                        ; =>    This Inner Loop Header: Depth=3
	s_delay_alu instid0(VALU_DEP_1) | instskip(NEXT) | instid1(VALU_DEP_3)
	v_ashrrev_i32_e32 v3, 31, v2
	v_add_nc_u32_e32 v11, s15, v11
	s_delay_alu instid0(VALU_DEP_2) | instskip(SKIP_1) | instid1(VALU_DEP_2)
	v_lshlrev_b64 v[12:13], 2, v[2:3]
	v_add_nc_u32_e32 v2, s19, v2
	v_add_co_u32 v12, vcc_lo, s10, v12
	s_delay_alu instid0(VALU_DEP_3)
	v_add_co_ci_u32_e32 v13, vcc_lo, s11, v13, vcc_lo
	v_cmp_le_i32_e32 vcc_lo, s5, v11
	global_load_b32 v3, v[12:13], off
	s_or_b32 s22, vcc_lo, s22
	s_waitcnt vmcnt(0)
	v_cmp_lt_f32_e64 s2, v10, v3
	s_delay_alu instid0(VALU_DEP_1)
	v_cndmask_b32_e64 v10, v10, v3, s2
	s_and_not1_b32 exec_lo, exec_lo, s22
	s_cbranch_execnz .LBB194_12
; %bb.13:                               ;   in Loop: Header=BB194_7 Depth=2
	s_or_b32 exec_lo, exec_lo, s22
	s_delay_alu instid0(SALU_CYCLE_1)
	s_or_b32 exec_lo, exec_lo, s21
	v_mov_b32_e32 v11, 0
	s_and_saveexec_b32 s2, s0
	s_cbranch_execz .LBB194_10
.LBB194_14:                             ;   in Loop: Header=BB194_7 Depth=2
	v_dual_mov_b32 v11, 0 :: v_dual_mov_b32 v2, v7
	v_mov_b32_e32 v12, v1
	s_mov_b32 s21, 0
	s_set_inst_prefetch_distance 0x1
	.p2align	6
.LBB194_15:                             ;   Parent Loop BB194_3 Depth=1
                                        ;     Parent Loop BB194_7 Depth=2
                                        ; =>    This Inner Loop Header: Depth=3
	s_delay_alu instid0(VALU_DEP_2) | instskip(NEXT) | instid1(VALU_DEP_2)
	v_ashrrev_i32_e32 v3, 31, v2
	v_add_nc_u32_e32 v12, s15, v12
	s_delay_alu instid0(VALU_DEP_2) | instskip(SKIP_1) | instid1(VALU_DEP_2)
	v_lshlrev_b64 v[13:14], 2, v[2:3]
	v_add_nc_u32_e32 v2, s19, v2
	v_add_co_u32 v13, vcc_lo, s10, v13
	s_delay_alu instid0(VALU_DEP_3) | instskip(SKIP_3) | instid1(VALU_DEP_1)
	v_add_co_ci_u32_e32 v14, vcc_lo, s11, v14, vcc_lo
	global_load_b32 v3, v[13:14], off
	s_waitcnt vmcnt(0)
	v_sub_f32_e32 v3, v3, v10
	v_mul_f32_e32 v13, 0x3fb8aa3b, v3
	v_cmp_ngt_f32_e32 vcc_lo, 0xc2ce8ed0, v3
	s_delay_alu instid0(VALU_DEP_2) | instskip(SKIP_1) | instid1(VALU_DEP_2)
	v_fma_f32 v14, 0x3fb8aa3b, v3, -v13
	v_rndne_f32_e32 v15, v13
	v_fmac_f32_e32 v14, 0x32a5705f, v3
	s_delay_alu instid0(VALU_DEP_2) | instskip(NEXT) | instid1(VALU_DEP_1)
	v_sub_f32_e32 v13, v13, v15
	v_add_f32_e32 v13, v13, v14
	v_cvt_i32_f32_e32 v14, v15
	s_delay_alu instid0(VALU_DEP_2) | instskip(SKIP_2) | instid1(VALU_DEP_1)
	v_exp_f32_e32 v13, v13
	s_waitcnt_depctr 0xfff
	v_ldexp_f32 v13, v13, v14
	v_cndmask_b32_e32 v13, 0, v13, vcc_lo
	v_cmp_nlt_f32_e32 vcc_lo, 0x42b17218, v3
	s_delay_alu instid0(VALU_DEP_2) | instskip(SKIP_1) | instid1(VALU_DEP_2)
	v_cndmask_b32_e32 v3, 0x7f800000, v13, vcc_lo
	v_cmp_le_i32_e32 vcc_lo, s5, v12
	v_add_f32_e32 v11, v11, v3
	s_or_b32 s21, vcc_lo, s21
	s_delay_alu instid0(SALU_CYCLE_1)
	s_and_not1_b32 exec_lo, exec_lo, s21
	s_cbranch_execnz .LBB194_15
; %bb.16:                               ;   in Loop: Header=BB194_7 Depth=2
	s_set_inst_prefetch_distance 0x2
	s_or_b32 exec_lo, exec_lo, s21
	s_delay_alu instid0(SALU_CYCLE_1)
	s_or_b32 exec_lo, exec_lo, s2
	s_and_saveexec_b32 s21, s0
	s_cbranch_execz .LBB194_19
.LBB194_17:                             ;   in Loop: Header=BB194_7 Depth=2
	v_cmp_gt_f32_e32 vcc_lo, 0x800000, v11
	s_mov_b32 s22, 0
	v_mov_b32_e32 v12, v1
	v_cndmask_b32_e64 v2, 1.0, 0x4f800000, vcc_lo
	s_delay_alu instid0(VALU_DEP_1) | instskip(NEXT) | instid1(VALU_DEP_1)
	v_mul_f32_e32 v2, v11, v2
	v_log_f32_e32 v2, v2
	s_waitcnt_depctr 0xfff
	v_mul_f32_e32 v3, 0x3f317217, v2
	s_delay_alu instid0(VALU_DEP_1) | instskip(NEXT) | instid1(VALU_DEP_1)
	v_fma_f32 v11, 0x3f317217, v2, -v3
	v_fmac_f32_e32 v11, 0x3377d1cf, v2
	s_delay_alu instid0(VALU_DEP_1) | instskip(SKIP_2) | instid1(VALU_DEP_3)
	v_add_f32_e32 v3, v3, v11
	v_cndmask_b32_e64 v11, 0, 0x41b17218, vcc_lo
	v_cmp_gt_f32_e64 vcc_lo, 0x7f800000, |v2|
	v_dual_cndmask_b32 v3, v2, v3 :: v_dual_mov_b32 v2, v7
	s_delay_alu instid0(VALU_DEP_1)
	v_sub_f32_e32 v11, v3, v11
	.p2align	6
.LBB194_18:                             ;   Parent Loop BB194_3 Depth=1
                                        ;     Parent Loop BB194_7 Depth=2
                                        ; =>    This Inner Loop Header: Depth=3
	s_delay_alu instid0(VALU_DEP_2) | instskip(NEXT) | instid1(VALU_DEP_1)
	v_ashrrev_i32_e32 v3, 31, v2
	v_lshlrev_b64 v[13:14], 2, v[2:3]
	v_add_nc_u32_e32 v2, s19, v2
	s_delay_alu instid0(VALU_DEP_2) | instskip(NEXT) | instid1(VALU_DEP_3)
	v_add_co_u32 v15, vcc_lo, s10, v13
	v_add_co_ci_u32_e32 v16, vcc_lo, s11, v14, vcc_lo
	v_add_co_u32 v13, s2, s8, v13
	s_delay_alu instid0(VALU_DEP_1) | instskip(SKIP_3) | instid1(VALU_DEP_1)
	v_add_co_ci_u32_e64 v14, s2, s9, v14, s2
	global_load_b32 v3, v[15:16], off
	s_waitcnt vmcnt(0)
	v_dual_sub_f32 v3, v3, v10 :: v_dual_add_nc_u32 v12, s15, v12
	v_cmp_le_i32_e32 vcc_lo, s5, v12
	s_delay_alu instid0(VALU_DEP_2)
	v_sub_f32_e32 v3, v3, v11
	s_or_b32 s22, vcc_lo, s22
	global_store_b32 v[13:14], v3, off
	s_and_not1_b32 exec_lo, exec_lo, s22
	s_cbranch_execnz .LBB194_18
.LBB194_19:                             ;   in Loop: Header=BB194_7 Depth=2
	s_or_b32 exec_lo, exec_lo, s21
	s_mov_b32 s2, 0
.LBB194_20:                             ;   in Loop: Header=BB194_7 Depth=2
	s_delay_alu instid0(SALU_CYCLE_1)
	s_and_b32 vcc_lo, exec_lo, s2
	s_cbranch_vccz .LBB194_6
; %bb.21:                               ;   in Loop: Header=BB194_7 Depth=2
	v_mov_b32_e32 v10, 0xff7fffff
	s_and_saveexec_b32 s21, s0
	s_cbranch_execz .LBB194_25
; %bb.22:                               ;   in Loop: Header=BB194_7 Depth=2
	v_dual_mov_b32 v10, 0xff7fffff :: v_dual_mov_b32 v11, v1
	v_mov_b32_e32 v2, v7
	s_mov_b32 s22, 0
	.p2align	6
.LBB194_23:                             ;   Parent Loop BB194_3 Depth=1
                                        ;     Parent Loop BB194_7 Depth=2
                                        ; =>    This Inner Loop Header: Depth=3
	s_delay_alu instid0(VALU_DEP_1) | instskip(NEXT) | instid1(VALU_DEP_3)
	v_ashrrev_i32_e32 v3, 31, v2
	v_add_nc_u32_e32 v11, s15, v11
	s_delay_alu instid0(VALU_DEP_2) | instskip(SKIP_1) | instid1(VALU_DEP_2)
	v_lshlrev_b64 v[12:13], 2, v[2:3]
	v_add_nc_u32_e32 v2, s19, v2
	v_add_co_u32 v12, vcc_lo, s10, v12
	s_delay_alu instid0(VALU_DEP_3)
	v_add_co_ci_u32_e32 v13, vcc_lo, s11, v13, vcc_lo
	v_cmp_le_i32_e32 vcc_lo, s5, v11
	global_load_b32 v3, v[12:13], off
	s_or_b32 s22, vcc_lo, s22
	s_waitcnt vmcnt(0)
	v_cmp_lt_f32_e64 s2, v10, v3
	s_delay_alu instid0(VALU_DEP_1)
	v_cndmask_b32_e64 v10, v10, v3, s2
	s_and_not1_b32 exec_lo, exec_lo, s22
	s_cbranch_execnz .LBB194_23
; %bb.24:                               ;   in Loop: Header=BB194_7 Depth=2
	s_or_b32 exec_lo, exec_lo, s22
.LBB194_25:                             ;   in Loop: Header=BB194_7 Depth=2
	s_delay_alu instid0(SALU_CYCLE_1)
	s_or_b32 exec_lo, exec_lo, s21
	s_mov_b32 s2, s15
	s_waitcnt_vscnt null, 0x0
	s_barrier
	buffer_gl0_inv
	ds_store_b32 v8, v10
	s_branch .LBB194_27
	.p2align	6
.LBB194_26:                             ;   in Loop: Header=BB194_27 Depth=3
	s_or_b32 exec_lo, exec_lo, s22
	s_cmp_gt_u32 s2, 3
	s_mov_b32 s2, s21
	s_cbranch_scc0 .LBB194_29
.LBB194_27:                             ;   Parent Loop BB194_3 Depth=1
                                        ;     Parent Loop BB194_7 Depth=2
                                        ; =>    This Inner Loop Header: Depth=3
	s_lshr_b32 s21, s2, 1
	s_mov_b32 s22, exec_lo
	s_waitcnt lgkmcnt(0)
	s_barrier
	buffer_gl0_inv
	v_cmpx_gt_u32_e64 s21, v1
	s_cbranch_execz .LBB194_26
; %bb.28:                               ;   in Loop: Header=BB194_27 Depth=3
	v_lshl_add_u32 v2, s21, 2, v8
	ds_load_b32 v3, v8
	ds_load_b32 v2, v2
	s_waitcnt lgkmcnt(0)
	v_cmp_lt_f32_e32 vcc_lo, v3, v2
	v_cndmask_b32_e32 v2, v3, v2, vcc_lo
	ds_store_b32 v8, v2
	s_branch .LBB194_26
.LBB194_29:                             ;   in Loop: Header=BB194_7 Depth=2
	s_waitcnt lgkmcnt(0)
	s_barrier
	buffer_gl0_inv
	ds_load_b32 v10, v6
	v_mov_b32_e32 v11, 0
	s_and_saveexec_b32 s2, s0
	s_cbranch_execz .LBB194_33
; %bb.30:                               ;   in Loop: Header=BB194_7 Depth=2
	v_dual_mov_b32 v11, 0 :: v_dual_mov_b32 v2, v7
	v_mov_b32_e32 v12, v1
	s_mov_b32 s21, 0
	s_set_inst_prefetch_distance 0x1
	.p2align	6
.LBB194_31:                             ;   Parent Loop BB194_3 Depth=1
                                        ;     Parent Loop BB194_7 Depth=2
                                        ; =>    This Inner Loop Header: Depth=3
	s_delay_alu instid0(VALU_DEP_2) | instskip(NEXT) | instid1(VALU_DEP_2)
	v_ashrrev_i32_e32 v3, 31, v2
	v_add_nc_u32_e32 v12, s15, v12
	s_delay_alu instid0(VALU_DEP_2) | instskip(SKIP_1) | instid1(VALU_DEP_2)
	v_lshlrev_b64 v[13:14], 2, v[2:3]
	v_add_nc_u32_e32 v2, s19, v2
	v_add_co_u32 v13, vcc_lo, s10, v13
	s_delay_alu instid0(VALU_DEP_3) | instskip(SKIP_3) | instid1(VALU_DEP_1)
	v_add_co_ci_u32_e32 v14, vcc_lo, s11, v14, vcc_lo
	global_load_b32 v3, v[13:14], off
	s_waitcnt vmcnt(0) lgkmcnt(0)
	v_sub_f32_e32 v3, v3, v10
	v_mul_f32_e32 v13, 0x3fb8aa3b, v3
	v_cmp_ngt_f32_e32 vcc_lo, 0xc2ce8ed0, v3
	s_delay_alu instid0(VALU_DEP_2) | instskip(SKIP_1) | instid1(VALU_DEP_2)
	v_fma_f32 v14, 0x3fb8aa3b, v3, -v13
	v_rndne_f32_e32 v15, v13
	v_fmac_f32_e32 v14, 0x32a5705f, v3
	s_delay_alu instid0(VALU_DEP_2) | instskip(NEXT) | instid1(VALU_DEP_1)
	v_sub_f32_e32 v13, v13, v15
	v_add_f32_e32 v13, v13, v14
	v_cvt_i32_f32_e32 v14, v15
	s_delay_alu instid0(VALU_DEP_2) | instskip(SKIP_2) | instid1(VALU_DEP_1)
	v_exp_f32_e32 v13, v13
	s_waitcnt_depctr 0xfff
	v_ldexp_f32 v13, v13, v14
	v_cndmask_b32_e32 v13, 0, v13, vcc_lo
	v_cmp_nlt_f32_e32 vcc_lo, 0x42b17218, v3
	s_delay_alu instid0(VALU_DEP_2) | instskip(SKIP_1) | instid1(VALU_DEP_2)
	v_cndmask_b32_e32 v3, 0x7f800000, v13, vcc_lo
	v_cmp_le_i32_e32 vcc_lo, s5, v12
	v_add_f32_e32 v11, v11, v3
	s_or_b32 s21, vcc_lo, s21
	s_delay_alu instid0(SALU_CYCLE_1)
	s_and_not1_b32 exec_lo, exec_lo, s21
	s_cbranch_execnz .LBB194_31
; %bb.32:                               ;   in Loop: Header=BB194_7 Depth=2
	s_set_inst_prefetch_distance 0x2
	s_or_b32 exec_lo, exec_lo, s21
.LBB194_33:                             ;   in Loop: Header=BB194_7 Depth=2
	s_delay_alu instid0(SALU_CYCLE_1)
	s_or_b32 exec_lo, exec_lo, s2
	s_mov_b32 s2, s15
	s_waitcnt lgkmcnt(0)
	s_barrier
	buffer_gl0_inv
	ds_store_b32 v8, v11
	s_branch .LBB194_35
	.p2align	6
.LBB194_34:                             ;   in Loop: Header=BB194_35 Depth=3
	s_or_b32 exec_lo, exec_lo, s22
	s_cmp_gt_u32 s2, 3
	s_mov_b32 s2, s21
	s_cbranch_scc0 .LBB194_37
.LBB194_35:                             ;   Parent Loop BB194_3 Depth=1
                                        ;     Parent Loop BB194_7 Depth=2
                                        ; =>    This Inner Loop Header: Depth=3
	s_lshr_b32 s21, s2, 1
	s_mov_b32 s22, exec_lo
	s_waitcnt lgkmcnt(0)
	s_barrier
	buffer_gl0_inv
	v_cmpx_gt_u32_e64 s21, v1
	s_cbranch_execz .LBB194_34
; %bb.36:                               ;   in Loop: Header=BB194_35 Depth=3
	v_lshl_add_u32 v2, s21, 2, v8
	ds_load_b32 v3, v8
	ds_load_b32 v2, v2
	s_waitcnt lgkmcnt(0)
	v_add_f32_e32 v2, v3, v2
	ds_store_b32 v8, v2
	s_branch .LBB194_34
.LBB194_37:                             ;   in Loop: Header=BB194_7 Depth=2
	s_waitcnt lgkmcnt(0)
	s_barrier
	buffer_gl0_inv
	s_and_saveexec_b32 s21, s0
	s_cbranch_execz .LBB194_5
; %bb.38:                               ;   in Loop: Header=BB194_7 Depth=2
	ds_load_b32 v2, v6
	s_mov_b32 s22, 0
	v_mov_b32_e32 v12, v1
	s_waitcnt lgkmcnt(0)
	v_cmp_gt_f32_e32 vcc_lo, 0x800000, v2
	v_cndmask_b32_e64 v3, 1.0, 0x4f800000, vcc_lo
	s_delay_alu instid0(VALU_DEP_1) | instskip(NEXT) | instid1(VALU_DEP_1)
	v_mul_f32_e32 v2, v2, v3
	v_log_f32_e32 v2, v2
	s_waitcnt_depctr 0xfff
	v_mul_f32_e32 v3, 0x3f317217, v2
	s_delay_alu instid0(VALU_DEP_1) | instskip(NEXT) | instid1(VALU_DEP_1)
	v_fma_f32 v11, 0x3f317217, v2, -v3
	v_fmac_f32_e32 v11, 0x3377d1cf, v2
	s_delay_alu instid0(VALU_DEP_1) | instskip(SKIP_2) | instid1(VALU_DEP_3)
	v_add_f32_e32 v3, v3, v11
	v_cndmask_b32_e64 v11, 0, 0x41b17218, vcc_lo
	v_cmp_gt_f32_e64 vcc_lo, 0x7f800000, |v2|
	v_dual_cndmask_b32 v3, v2, v3 :: v_dual_mov_b32 v2, v7
	s_delay_alu instid0(VALU_DEP_1)
	v_sub_f32_e32 v11, v3, v11
	.p2align	6
.LBB194_39:                             ;   Parent Loop BB194_3 Depth=1
                                        ;     Parent Loop BB194_7 Depth=2
                                        ; =>    This Inner Loop Header: Depth=3
	s_delay_alu instid0(VALU_DEP_2) | instskip(NEXT) | instid1(VALU_DEP_1)
	v_ashrrev_i32_e32 v3, 31, v2
	v_lshlrev_b64 v[13:14], 2, v[2:3]
	v_add_nc_u32_e32 v2, s19, v2
	s_delay_alu instid0(VALU_DEP_2) | instskip(NEXT) | instid1(VALU_DEP_3)
	v_add_co_u32 v15, vcc_lo, s10, v13
	v_add_co_ci_u32_e32 v16, vcc_lo, s11, v14, vcc_lo
	v_add_co_u32 v13, s2, s8, v13
	s_delay_alu instid0(VALU_DEP_1) | instskip(SKIP_3) | instid1(VALU_DEP_1)
	v_add_co_ci_u32_e64 v14, s2, s9, v14, s2
	global_load_b32 v3, v[15:16], off
	s_waitcnt vmcnt(0)
	v_dual_sub_f32 v3, v3, v10 :: v_dual_add_nc_u32 v12, s15, v12
	v_cmp_le_i32_e32 vcc_lo, s5, v12
	s_delay_alu instid0(VALU_DEP_2)
	v_sub_f32_e32 v3, v3, v11
	s_or_b32 s22, vcc_lo, s22
	global_store_b32 v[13:14], v3, off
	s_and_not1_b32 exec_lo, exec_lo, s22
	s_cbranch_execnz .LBB194_39
	s_branch .LBB194_5
.LBB194_40:
	s_nop 0
	s_sendmsg sendmsg(MSG_DEALLOC_VGPRS)
	s_endpgm
	.section	.rodata,"a",@progbits
	.p2align	6, 0x0
	.amdhsa_kernel _ZN2at6native12_GLOBAL__N_126cunn_SpatialSoftMaxForwardIfffiNS1_25LogSoftMaxForwardEpilogueEEEvPT1_PKT_T2_S9_S9_
		.amdhsa_group_segment_fixed_size 0
		.amdhsa_private_segment_fixed_size 0
		.amdhsa_kernarg_size 288
		.amdhsa_user_sgpr_count 14
		.amdhsa_user_sgpr_dispatch_ptr 0
		.amdhsa_user_sgpr_queue_ptr 0
		.amdhsa_user_sgpr_kernarg_segment_ptr 1
		.amdhsa_user_sgpr_dispatch_id 0
		.amdhsa_user_sgpr_private_segment_size 0
		.amdhsa_wavefront_size32 1
		.amdhsa_uses_dynamic_stack 0
		.amdhsa_enable_private_segment 0
		.amdhsa_system_sgpr_workgroup_id_x 1
		.amdhsa_system_sgpr_workgroup_id_y 1
		.amdhsa_system_sgpr_workgroup_id_z 0
		.amdhsa_system_sgpr_workgroup_info 0
		.amdhsa_system_vgpr_workitem_id 1
		.amdhsa_next_free_vgpr 17
		.amdhsa_next_free_sgpr 23
		.amdhsa_reserve_vcc 1
		.amdhsa_float_round_mode_32 0
		.amdhsa_float_round_mode_16_64 0
		.amdhsa_float_denorm_mode_32 3
		.amdhsa_float_denorm_mode_16_64 3
		.amdhsa_dx10_clamp 1
		.amdhsa_ieee_mode 1
		.amdhsa_fp16_overflow 0
		.amdhsa_workgroup_processor_mode 1
		.amdhsa_memory_ordered 1
		.amdhsa_forward_progress 0
		.amdhsa_shared_vgpr_count 0
		.amdhsa_exception_fp_ieee_invalid_op 0
		.amdhsa_exception_fp_denorm_src 0
		.amdhsa_exception_fp_ieee_div_zero 0
		.amdhsa_exception_fp_ieee_overflow 0
		.amdhsa_exception_fp_ieee_underflow 0
		.amdhsa_exception_fp_ieee_inexact 0
		.amdhsa_exception_int_div_zero 0
	.end_amdhsa_kernel
	.section	.text._ZN2at6native12_GLOBAL__N_126cunn_SpatialSoftMaxForwardIfffiNS1_25LogSoftMaxForwardEpilogueEEEvPT1_PKT_T2_S9_S9_,"axG",@progbits,_ZN2at6native12_GLOBAL__N_126cunn_SpatialSoftMaxForwardIfffiNS1_25LogSoftMaxForwardEpilogueEEEvPT1_PKT_T2_S9_S9_,comdat
.Lfunc_end194:
	.size	_ZN2at6native12_GLOBAL__N_126cunn_SpatialSoftMaxForwardIfffiNS1_25LogSoftMaxForwardEpilogueEEEvPT1_PKT_T2_S9_S9_, .Lfunc_end194-_ZN2at6native12_GLOBAL__N_126cunn_SpatialSoftMaxForwardIfffiNS1_25LogSoftMaxForwardEpilogueEEEvPT1_PKT_T2_S9_S9_
                                        ; -- End function
	.section	.AMDGPU.csdata,"",@progbits
; Kernel info:
; codeLenInByte = 1920
; NumSgprs: 25
; NumVgprs: 17
; ScratchSize: 0
; MemoryBound: 0
; FloatMode: 240
; IeeeMode: 1
; LDSByteSize: 0 bytes/workgroup (compile time only)
; SGPRBlocks: 3
; VGPRBlocks: 2
; NumSGPRsForWavesPerEU: 25
; NumVGPRsForWavesPerEU: 17
; Occupancy: 16
; WaveLimiterHint : 0
; COMPUTE_PGM_RSRC2:SCRATCH_EN: 0
; COMPUTE_PGM_RSRC2:USER_SGPR: 14
; COMPUTE_PGM_RSRC2:TRAP_HANDLER: 0
; COMPUTE_PGM_RSRC2:TGID_X_EN: 1
; COMPUTE_PGM_RSRC2:TGID_Y_EN: 1
; COMPUTE_PGM_RSRC2:TGID_Z_EN: 0
; COMPUTE_PGM_RSRC2:TIDIG_COMP_CNT: 1
	.section	.text._ZN2at6native12_GLOBAL__N_126cunn_SpatialSoftMaxForwardIffflNS1_25LogSoftMaxForwardEpilogueEEEvPT1_PKT_T2_S9_S9_,"axG",@progbits,_ZN2at6native12_GLOBAL__N_126cunn_SpatialSoftMaxForwardIffflNS1_25LogSoftMaxForwardEpilogueEEEvPT1_PKT_T2_S9_S9_,comdat
	.globl	_ZN2at6native12_GLOBAL__N_126cunn_SpatialSoftMaxForwardIffflNS1_25LogSoftMaxForwardEpilogueEEEvPT1_PKT_T2_S9_S9_ ; -- Begin function _ZN2at6native12_GLOBAL__N_126cunn_SpatialSoftMaxForwardIffflNS1_25LogSoftMaxForwardEpilogueEEEvPT1_PKT_T2_S9_S9_
	.p2align	8
	.type	_ZN2at6native12_GLOBAL__N_126cunn_SpatialSoftMaxForwardIffflNS1_25LogSoftMaxForwardEpilogueEEEvPT1_PKT_T2_S9_S9_,@function
_ZN2at6native12_GLOBAL__N_126cunn_SpatialSoftMaxForwardIffflNS1_25LogSoftMaxForwardEpilogueEEEvPT1_PKT_T2_S9_S9_: ; @_ZN2at6native12_GLOBAL__N_126cunn_SpatialSoftMaxForwardIffflNS1_25LogSoftMaxForwardEpilogueEEEvPT1_PKT_T2_S9_S9_
; %bb.0:
	s_load_b256 s[4:11], s[0:1], 0x0
	s_mov_b32 s2, s15
	s_mov_b32 s15, 0
	s_waitcnt lgkmcnt(0)
	v_cmp_ge_i64_e64 s3, s[14:15], s[8:9]
	s_delay_alu instid0(VALU_DEP_1)
	s_and_b32 vcc_lo, exec_lo, s3
	s_cbranch_vccnz .LBB195_40
; %bb.1:
	s_clause 0x1
	s_load_b32 s3, s[0:1], 0x34
	s_load_b128 s[16:19], s[0:1], 0x20
	v_bfe_u32 v1, v0, 10, 10
	v_and_b32_e32 v2, 0x3ff, v0
	s_add_u32 s12, s0, 40
	s_addc_u32 s13, s1, 0
	s_mov_b32 s21, s15
	s_waitcnt lgkmcnt(0)
	s_lshr_b32 s0, s3, 16
	s_mul_i32 s1, s16, s10
	v_mad_u64_u32 v[4:5], null, s2, s0, v[1:2]
	v_mov_b32_e32 v5, 0
	v_mad_u64_u32 v[6:7], null, s16, v2, 0
	s_mul_i32 s2, s16, s11
	s_mul_hi_u32 s3, s16, s10
	s_delay_alu instid0(VALU_DEP_2) | instskip(NEXT) | instid1(VALU_DEP_4)
	v_mov_b32_e32 v3, v5
	v_mad_u64_u32 v[8:9], null, s1, s14, v[4:5]
	s_mul_i32 s20, s17, s10
	s_delay_alu instid0(VALU_DEP_3) | instskip(NEXT) | instid1(VALU_DEP_3)
	v_mov_b32_e32 v0, v7
	v_mad_u64_u32 v[10:11], null, s10, s14, v[2:3]
	s_add_i32 s2, s3, s2
	s_lshl_b64 s[22:23], s[16:17], 2
	s_delay_alu instid0(VALU_DEP_3) | instskip(SKIP_2) | instid1(VALU_DEP_3)
	v_mov_b32_e32 v7, v9
	v_mad_u64_u32 v[12:13], null, s17, v2, v[0:1]
	s_add_i32 s3, s2, s20
	v_mov_b32_e32 v0, v11
	s_delay_alu instid0(VALU_DEP_3) | instskip(SKIP_2) | instid1(VALU_DEP_2)
	v_mad_u64_u32 v[13:14], null, s3, s14, v[7:8]
	s_mul_i32 s20, s19, s0
	s_mul_hi_u32 s0, s1, s18
	v_mad_u64_u32 v[14:15], null, s11, s14, v[0:1]
	s_delay_alu instid0(VALU_DEP_4) | instskip(SKIP_3) | instid1(VALU_DEP_4)
	v_mov_b32_e32 v7, v12
	v_mad_u64_u32 v[11:12], null, s16, v10, v[4:5]
	v_mul_lo_u32 v0, s17, v10
	v_mov_b32_e32 v9, v13
	v_lshlrev_b64 v[6:7], 2, v[6:7]
	v_mul_lo_u32 v10, s16, v14
	s_mul_i32 s3, s3, s18
	s_mul_i32 s2, s1, s18
	v_lshlrev_b64 v[8:9], 2, v[8:9]
	s_add_i32 s3, s0, s3
	v_cmp_gt_i64_e64 s0, s[16:17], v[4:5]
	v_cmp_gt_i64_e64 s1, s[10:11], v[2:3]
	s_delay_alu instid0(VALU_DEP_4) | instskip(NEXT) | instid1(VALU_DEP_4)
	v_add3_u32 v12, v0, v12, v10
	v_add_co_u32 v0, vcc_lo, v6, v8
	v_add_co_ci_u32_e32 v7, vcc_lo, v7, v9, vcc_lo
	s_delay_alu instid0(VALU_DEP_3) | instskip(NEXT) | instid1(VALU_DEP_3)
	v_lshlrev_b64 v[10:11], 2, v[11:12]
	v_add_co_u32 v6, vcc_lo, s6, v0
	s_delay_alu instid0(VALU_DEP_3) | instskip(NEXT) | instid1(VALU_DEP_3)
	v_add_co_ci_u32_e32 v7, vcc_lo, s7, v7, vcc_lo
	v_add_co_u32 v8, vcc_lo, s6, v10
	s_delay_alu instid0(VALU_DEP_4)
	v_add_co_ci_u32_e32 v9, vcc_lo, s7, v11, vcc_lo
	v_add_co_u32 v10, vcc_lo, s4, v10
	v_add_co_ci_u32_e32 v11, vcc_lo, s5, v11, vcc_lo
	s_lshl_b64 s[4:5], s[2:3], 2
	s_lshl_b64 s[6:7], s[20:21], 2
	s_branch .LBB195_3
.LBB195_2:                              ;   in Loop: Header=BB195_3 Depth=1
	s_or_b32 exec_lo, exec_lo, s3
	v_add_co_u32 v6, vcc_lo, v6, s4
	s_add_u32 s14, s14, s18
	v_add_co_ci_u32_e32 v7, vcc_lo, s5, v7, vcc_lo
	s_addc_u32 s15, s15, 0
	v_add_co_u32 v8, vcc_lo, v8, s4
	v_cmp_ge_i64_e64 s2, s[14:15], s[8:9]
	v_add_co_ci_u32_e32 v9, vcc_lo, s5, v9, vcc_lo
	v_add_co_u32 v10, vcc_lo, v10, s4
	v_add_co_ci_u32_e32 v11, vcc_lo, s5, v11, vcc_lo
	s_delay_alu instid0(VALU_DEP_4)
	s_and_b32 vcc_lo, exec_lo, s2
	s_cbranch_vccnz .LBB195_40
.LBB195_3:                              ; =>This Loop Header: Depth=1
                                        ;     Child Loop BB195_7 Depth 2
                                        ;       Child Loop BB195_12 Depth 3
                                        ;       Child Loop BB195_15 Depth 3
	;; [unrolled: 1-line block ×8, first 2 shown]
	s_and_saveexec_b32 s3, s0
	s_cbranch_execz .LBB195_2
; %bb.4:                                ;   in Loop: Header=BB195_3 Depth=1
	s_load_b32 s2, s[12:13], 0xc
	v_dual_mov_b32 v13, v11 :: v_dual_mov_b32 v12, v10
	v_dual_mov_b32 v15, v9 :: v_dual_mov_b32 v14, v8
	v_dual_mov_b32 v17, v7 :: v_dual_mov_b32 v16, v6
	v_dual_mov_b32 v19, v5 :: v_dual_mov_b32 v18, v4
	s_mov_b32 s28, 0
	s_waitcnt lgkmcnt(0)
	s_and_b32 s19, s2, 0xffff
	v_cmp_lt_u16_e64 s21, s2, 2
	v_mul_u32_u24_e32 v0, s19, v1
	s_mul_i32 s2, s23, s19
	s_mul_hi_u32 s24, s22, s19
	s_mul_i32 s27, s22, s19
	s_add_i32 s26, s24, s2
	v_lshl_add_u32 v0, v0, 2, 0
	s_delay_alu instid0(VALU_DEP_1)
	v_lshl_add_u32 v24, v2, 2, v0
	s_branch .LBB195_7
.LBB195_5:                              ;   in Loop: Header=BB195_7 Depth=2
	s_or_b32 exec_lo, exec_lo, s29
.LBB195_6:                              ;   in Loop: Header=BB195_7 Depth=2
	v_add_co_u32 v18, vcc_lo, v18, s20
	v_add_co_ci_u32_e32 v19, vcc_lo, 0, v19, vcc_lo
	v_add_co_u32 v16, vcc_lo, v16, s6
	v_add_co_ci_u32_e32 v17, vcc_lo, s7, v17, vcc_lo
	;; [unrolled: 2-line block ×3, first 2 shown]
	v_cmp_le_i64_e32 vcc_lo, s[16:17], v[18:19]
	v_add_co_u32 v12, s2, v12, s6
	s_delay_alu instid0(VALU_DEP_1) | instskip(SKIP_1) | instid1(SALU_CYCLE_1)
	v_add_co_ci_u32_e64 v13, s2, s7, v13, s2
	s_or_b32 s28, vcc_lo, s28
	s_and_not1_b32 exec_lo, exec_lo, s28
	s_cbranch_execz .LBB195_2
.LBB195_7:                              ;   Parent Loop BB195_3 Depth=1
                                        ; =>  This Loop Header: Depth=2
                                        ;       Child Loop BB195_12 Depth 3
                                        ;       Child Loop BB195_15 Depth 3
	;; [unrolled: 1-line block ×8, first 2 shown]
	s_and_b32 vcc_lo, exec_lo, s21
	s_mov_b32 s2, -1
	s_cbranch_vccz .LBB195_20
; %bb.8:                                ;   in Loop: Header=BB195_7 Depth=2
	v_mov_b32_e32 v25, 0xff7fffff
	s_and_saveexec_b32 s24, s1
	s_cbranch_execnz .LBB195_11
; %bb.9:                                ;   in Loop: Header=BB195_7 Depth=2
	s_or_b32 exec_lo, exec_lo, s24
	v_mov_b32_e32 v26, 0
	s_and_saveexec_b32 s24, s1
	s_cbranch_execnz .LBB195_14
.LBB195_10:                             ;   in Loop: Header=BB195_7 Depth=2
	s_or_b32 exec_lo, exec_lo, s24
	s_and_saveexec_b32 s29, s1
	s_cbranch_execnz .LBB195_17
	s_branch .LBB195_19
.LBB195_11:                             ;   in Loop: Header=BB195_7 Depth=2
	v_mov_b32_e32 v21, v17
	v_dual_mov_b32 v23, v3 :: v_dual_mov_b32 v22, v2
	v_dual_mov_b32 v25, 0xff7fffff :: v_dual_mov_b32 v20, v16
	s_mov_b32 s25, 0
.LBB195_12:                             ;   Parent Loop BB195_3 Depth=1
                                        ;     Parent Loop BB195_7 Depth=2
                                        ; =>    This Inner Loop Header: Depth=3
	global_load_b32 v26, v[20:21], off
	v_add_co_u32 v22, vcc_lo, v22, s19
	v_add_co_ci_u32_e32 v23, vcc_lo, 0, v23, vcc_lo
	v_add_co_u32 v20, vcc_lo, v20, s27
	v_add_co_ci_u32_e32 v21, vcc_lo, s26, v21, vcc_lo
	s_delay_alu instid0(VALU_DEP_3) | instskip(NEXT) | instid1(VALU_DEP_1)
	v_cmp_le_i64_e64 s2, s[10:11], v[22:23]
	s_or_b32 s25, s2, s25
	s_waitcnt vmcnt(0)
	v_cmp_lt_f32_e32 vcc_lo, v25, v26
	v_cndmask_b32_e32 v25, v25, v26, vcc_lo
	s_and_not1_b32 exec_lo, exec_lo, s25
	s_cbranch_execnz .LBB195_12
; %bb.13:                               ;   in Loop: Header=BB195_7 Depth=2
	s_or_b32 exec_lo, exec_lo, s25
	s_delay_alu instid0(SALU_CYCLE_1)
	s_or_b32 exec_lo, exec_lo, s24
	v_mov_b32_e32 v26, 0
	s_and_saveexec_b32 s24, s1
	s_cbranch_execz .LBB195_10
.LBB195_14:                             ;   in Loop: Header=BB195_7 Depth=2
	v_dual_mov_b32 v26, 0 :: v_dual_mov_b32 v21, v17
	v_dual_mov_b32 v20, v16 :: v_dual_mov_b32 v23, v3
	v_mov_b32_e32 v22, v2
	s_mov_b32 s25, 0
	s_set_inst_prefetch_distance 0x1
	.p2align	6
.LBB195_15:                             ;   Parent Loop BB195_3 Depth=1
                                        ;     Parent Loop BB195_7 Depth=2
                                        ; =>    This Inner Loop Header: Depth=3
	global_load_b32 v27, v[20:21], off
	v_add_co_u32 v22, vcc_lo, v22, s19
	v_add_co_ci_u32_e32 v23, vcc_lo, 0, v23, vcc_lo
	s_delay_alu instid0(VALU_DEP_1) | instskip(SKIP_3) | instid1(VALU_DEP_1)
	v_cmp_le_i64_e32 vcc_lo, s[10:11], v[22:23]
	s_or_b32 s25, vcc_lo, s25
	s_waitcnt vmcnt(0)
	v_sub_f32_e32 v27, v27, v25
	v_mul_f32_e32 v28, 0x3fb8aa3b, v27
	s_delay_alu instid0(VALU_DEP_1) | instskip(SKIP_1) | instid1(VALU_DEP_1)
	v_fma_f32 v29, 0x3fb8aa3b, v27, -v28
	v_rndne_f32_e32 v30, v28
	v_dual_sub_f32 v28, v28, v30 :: v_dual_fmac_f32 v29, 0x32a5705f, v27
	v_cmp_ngt_f32_e64 s2, 0xc2ce8ed0, v27
	s_delay_alu instid0(VALU_DEP_2) | instskip(SKIP_1) | instid1(VALU_DEP_2)
	v_add_f32_e32 v28, v28, v29
	v_cvt_i32_f32_e32 v29, v30
	v_exp_f32_e32 v28, v28
	s_waitcnt_depctr 0xfff
	v_ldexp_f32 v28, v28, v29
	s_delay_alu instid0(VALU_DEP_1) | instskip(SKIP_1) | instid1(VALU_DEP_1)
	v_cndmask_b32_e64 v28, 0, v28, s2
	v_cmp_nlt_f32_e64 s2, 0x42b17218, v27
	v_cndmask_b32_e64 v27, 0x7f800000, v28, s2
	v_add_co_u32 v20, s2, v20, s27
	s_delay_alu instid0(VALU_DEP_1) | instskip(NEXT) | instid1(VALU_DEP_3)
	v_add_co_ci_u32_e64 v21, s2, s26, v21, s2
	v_add_f32_e32 v26, v26, v27
	s_and_not1_b32 exec_lo, exec_lo, s25
	s_cbranch_execnz .LBB195_15
; %bb.16:                               ;   in Loop: Header=BB195_7 Depth=2
	s_set_inst_prefetch_distance 0x2
	s_or_b32 exec_lo, exec_lo, s25
	s_delay_alu instid0(SALU_CYCLE_1)
	s_or_b32 exec_lo, exec_lo, s24
	s_and_saveexec_b32 s29, s1
	s_cbranch_execz .LBB195_19
.LBB195_17:                             ;   in Loop: Header=BB195_7 Depth=2
	v_cmp_gt_f32_e32 vcc_lo, 0x800000, v26
	s_mov_b64 s[24:25], 0
	s_mov_b32 s30, 0
	v_cndmask_b32_e64 v20, 1.0, 0x4f800000, vcc_lo
	s_delay_alu instid0(VALU_DEP_1) | instskip(NEXT) | instid1(VALU_DEP_1)
	v_mul_f32_e32 v20, v26, v20
	v_log_f32_e32 v20, v20
	s_waitcnt_depctr 0xfff
	v_mul_f32_e32 v21, 0x3f317217, v20
	s_delay_alu instid0(VALU_DEP_1) | instskip(NEXT) | instid1(VALU_DEP_1)
	v_fma_f32 v22, 0x3f317217, v20, -v21
	v_fmac_f32_e32 v22, 0x3377d1cf, v20
	s_delay_alu instid0(VALU_DEP_1) | instskip(SKIP_2) | instid1(VALU_DEP_3)
	v_add_f32_e32 v21, v21, v22
	v_cndmask_b32_e64 v22, 0, 0x41b17218, vcc_lo
	v_cmp_gt_f32_e64 vcc_lo, 0x7f800000, |v20|
	v_cndmask_b32_e32 v20, v20, v21, vcc_lo
	s_delay_alu instid0(VALU_DEP_1)
	v_dual_sub_f32 v22, v20, v22 :: v_dual_mov_b32 v21, v3
	v_mov_b32_e32 v20, v2
	.p2align	6
.LBB195_18:                             ;   Parent Loop BB195_3 Depth=1
                                        ;     Parent Loop BB195_7 Depth=2
                                        ; =>    This Inner Loop Header: Depth=3
	v_add_co_u32 v26, vcc_lo, v14, s24
	v_add_co_ci_u32_e32 v27, vcc_lo, s25, v15, vcc_lo
	s_delay_alu instid0(VALU_DEP_3)
	v_add_co_u32 v20, vcc_lo, v20, s19
	v_add_co_ci_u32_e32 v21, vcc_lo, 0, v21, vcc_lo
	global_load_b32 v23, v[26:27], off
	v_add_co_u32 v26, vcc_lo, v12, s24
	v_cmp_le_i64_e64 s2, s[10:11], v[20:21]
	v_add_co_ci_u32_e32 v27, vcc_lo, s25, v13, vcc_lo
	s_add_u32 s24, s24, s27
	s_addc_u32 s25, s25, s26
	s_delay_alu instid0(VALU_DEP_2) | instskip(SKIP_2) | instid1(VALU_DEP_1)
	s_or_b32 s30, s2, s30
	s_waitcnt vmcnt(0)
	v_sub_f32_e32 v23, v23, v25
	v_sub_f32_e32 v23, v23, v22
	global_store_b32 v[26:27], v23, off
	s_and_not1_b32 exec_lo, exec_lo, s30
	s_cbranch_execnz .LBB195_18
.LBB195_19:                             ;   in Loop: Header=BB195_7 Depth=2
	s_or_b32 exec_lo, exec_lo, s29
	s_mov_b32 s2, 0
.LBB195_20:                             ;   in Loop: Header=BB195_7 Depth=2
	s_delay_alu instid0(SALU_CYCLE_1)
	s_and_b32 vcc_lo, exec_lo, s2
	s_cbranch_vccz .LBB195_6
; %bb.21:                               ;   in Loop: Header=BB195_7 Depth=2
	v_mov_b32_e32 v25, 0xff7fffff
	s_and_saveexec_b32 s24, s1
	s_cbranch_execz .LBB195_25
; %bb.22:                               ;   in Loop: Header=BB195_7 Depth=2
	v_mov_b32_e32 v21, v17
	v_dual_mov_b32 v23, v3 :: v_dual_mov_b32 v22, v2
	v_dual_mov_b32 v25, 0xff7fffff :: v_dual_mov_b32 v20, v16
	s_mov_b32 s25, 0
.LBB195_23:                             ;   Parent Loop BB195_3 Depth=1
                                        ;     Parent Loop BB195_7 Depth=2
                                        ; =>    This Inner Loop Header: Depth=3
	global_load_b32 v26, v[20:21], off
	v_add_co_u32 v22, vcc_lo, v22, s19
	v_add_co_ci_u32_e32 v23, vcc_lo, 0, v23, vcc_lo
	v_add_co_u32 v20, vcc_lo, v20, s27
	v_add_co_ci_u32_e32 v21, vcc_lo, s26, v21, vcc_lo
	s_delay_alu instid0(VALU_DEP_3) | instskip(NEXT) | instid1(VALU_DEP_1)
	v_cmp_le_i64_e64 s2, s[10:11], v[22:23]
	s_or_b32 s25, s2, s25
	s_waitcnt vmcnt(0)
	v_cmp_lt_f32_e32 vcc_lo, v25, v26
	v_cndmask_b32_e32 v25, v25, v26, vcc_lo
	s_and_not1_b32 exec_lo, exec_lo, s25
	s_cbranch_execnz .LBB195_23
; %bb.24:                               ;   in Loop: Header=BB195_7 Depth=2
	s_or_b32 exec_lo, exec_lo, s25
.LBB195_25:                             ;   in Loop: Header=BB195_7 Depth=2
	s_delay_alu instid0(SALU_CYCLE_1)
	s_or_b32 exec_lo, exec_lo, s24
	s_mov_b32 s2, s19
	s_waitcnt_vscnt null, 0x0
	s_barrier
	buffer_gl0_inv
	ds_store_b32 v24, v25
	s_branch .LBB195_27
	.p2align	6
.LBB195_26:                             ;   in Loop: Header=BB195_27 Depth=3
	s_or_b32 exec_lo, exec_lo, s25
	s_cmp_gt_u32 s2, 3
	s_mov_b32 s2, s24
	s_cbranch_scc0 .LBB195_29
.LBB195_27:                             ;   Parent Loop BB195_3 Depth=1
                                        ;     Parent Loop BB195_7 Depth=2
                                        ; =>    This Inner Loop Header: Depth=3
	s_lshr_b32 s24, s2, 1
	s_mov_b32 s25, exec_lo
	s_waitcnt lgkmcnt(0)
	s_barrier
	buffer_gl0_inv
	v_cmpx_gt_u32_e64 s24, v2
	s_cbranch_execz .LBB195_26
; %bb.28:                               ;   in Loop: Header=BB195_27 Depth=3
	v_lshl_add_u32 v20, s24, 2, v24
	ds_load_b32 v21, v24
	ds_load_b32 v20, v20
	s_waitcnt lgkmcnt(0)
	v_cmp_lt_f32_e32 vcc_lo, v21, v20
	v_cndmask_b32_e32 v20, v21, v20, vcc_lo
	ds_store_b32 v24, v20
	s_branch .LBB195_26
.LBB195_29:                             ;   in Loop: Header=BB195_7 Depth=2
	s_waitcnt lgkmcnt(0)
	s_barrier
	buffer_gl0_inv
	ds_load_b32 v25, v0
	v_mov_b32_e32 v26, 0
	s_and_saveexec_b32 s24, s1
	s_cbranch_execz .LBB195_33
; %bb.30:                               ;   in Loop: Header=BB195_7 Depth=2
	v_dual_mov_b32 v26, 0 :: v_dual_mov_b32 v21, v17
	v_dual_mov_b32 v20, v16 :: v_dual_mov_b32 v23, v3
	v_mov_b32_e32 v22, v2
	s_mov_b32 s25, 0
	s_set_inst_prefetch_distance 0x1
	.p2align	6
.LBB195_31:                             ;   Parent Loop BB195_3 Depth=1
                                        ;     Parent Loop BB195_7 Depth=2
                                        ; =>    This Inner Loop Header: Depth=3
	global_load_b32 v27, v[20:21], off
	v_add_co_u32 v22, vcc_lo, v22, s19
	v_add_co_ci_u32_e32 v23, vcc_lo, 0, v23, vcc_lo
	s_delay_alu instid0(VALU_DEP_1) | instskip(SKIP_3) | instid1(VALU_DEP_1)
	v_cmp_le_i64_e32 vcc_lo, s[10:11], v[22:23]
	s_or_b32 s25, vcc_lo, s25
	s_waitcnt vmcnt(0) lgkmcnt(0)
	v_sub_f32_e32 v27, v27, v25
	v_mul_f32_e32 v28, 0x3fb8aa3b, v27
	s_delay_alu instid0(VALU_DEP_1) | instskip(SKIP_1) | instid1(VALU_DEP_1)
	v_fma_f32 v29, 0x3fb8aa3b, v27, -v28
	v_rndne_f32_e32 v30, v28
	v_dual_sub_f32 v28, v28, v30 :: v_dual_fmac_f32 v29, 0x32a5705f, v27
	v_cmp_ngt_f32_e64 s2, 0xc2ce8ed0, v27
	s_delay_alu instid0(VALU_DEP_2) | instskip(SKIP_1) | instid1(VALU_DEP_2)
	v_add_f32_e32 v28, v28, v29
	v_cvt_i32_f32_e32 v29, v30
	v_exp_f32_e32 v28, v28
	s_waitcnt_depctr 0xfff
	v_ldexp_f32 v28, v28, v29
	s_delay_alu instid0(VALU_DEP_1) | instskip(SKIP_1) | instid1(VALU_DEP_1)
	v_cndmask_b32_e64 v28, 0, v28, s2
	v_cmp_nlt_f32_e64 s2, 0x42b17218, v27
	v_cndmask_b32_e64 v27, 0x7f800000, v28, s2
	v_add_co_u32 v20, s2, v20, s27
	s_delay_alu instid0(VALU_DEP_1) | instskip(NEXT) | instid1(VALU_DEP_3)
	v_add_co_ci_u32_e64 v21, s2, s26, v21, s2
	v_add_f32_e32 v26, v26, v27
	s_and_not1_b32 exec_lo, exec_lo, s25
	s_cbranch_execnz .LBB195_31
; %bb.32:                               ;   in Loop: Header=BB195_7 Depth=2
	s_set_inst_prefetch_distance 0x2
	s_or_b32 exec_lo, exec_lo, s25
.LBB195_33:                             ;   in Loop: Header=BB195_7 Depth=2
	s_delay_alu instid0(SALU_CYCLE_1)
	s_or_b32 exec_lo, exec_lo, s24
	s_mov_b32 s2, s19
	s_waitcnt lgkmcnt(0)
	s_barrier
	buffer_gl0_inv
	ds_store_b32 v24, v26
	s_branch .LBB195_35
	.p2align	6
.LBB195_34:                             ;   in Loop: Header=BB195_35 Depth=3
	s_or_b32 exec_lo, exec_lo, s25
	s_cmp_gt_u32 s2, 3
	s_mov_b32 s2, s24
	s_cbranch_scc0 .LBB195_37
.LBB195_35:                             ;   Parent Loop BB195_3 Depth=1
                                        ;     Parent Loop BB195_7 Depth=2
                                        ; =>    This Inner Loop Header: Depth=3
	s_lshr_b32 s24, s2, 1
	s_mov_b32 s25, exec_lo
	s_waitcnt lgkmcnt(0)
	s_barrier
	buffer_gl0_inv
	v_cmpx_gt_u32_e64 s24, v2
	s_cbranch_execz .LBB195_34
; %bb.36:                               ;   in Loop: Header=BB195_35 Depth=3
	v_lshl_add_u32 v20, s24, 2, v24
	ds_load_b32 v21, v24
	ds_load_b32 v20, v20
	s_waitcnt lgkmcnt(0)
	v_add_f32_e32 v20, v21, v20
	ds_store_b32 v24, v20
	s_branch .LBB195_34
.LBB195_37:                             ;   in Loop: Header=BB195_7 Depth=2
	s_waitcnt lgkmcnt(0)
	s_barrier
	buffer_gl0_inv
	s_and_saveexec_b32 s29, s1
	s_cbranch_execz .LBB195_5
; %bb.38:                               ;   in Loop: Header=BB195_7 Depth=2
	ds_load_b32 v20, v0
	s_mov_b64 s[24:25], 0
	s_mov_b32 s30, 0
	s_waitcnt lgkmcnt(0)
	v_cmp_gt_f32_e32 vcc_lo, 0x800000, v20
	v_cndmask_b32_e64 v21, 1.0, 0x4f800000, vcc_lo
	s_delay_alu instid0(VALU_DEP_1) | instskip(NEXT) | instid1(VALU_DEP_1)
	v_mul_f32_e32 v20, v20, v21
	v_log_f32_e32 v20, v20
	s_waitcnt_depctr 0xfff
	v_mul_f32_e32 v21, 0x3f317217, v20
	s_delay_alu instid0(VALU_DEP_1) | instskip(NEXT) | instid1(VALU_DEP_1)
	v_fma_f32 v22, 0x3f317217, v20, -v21
	v_fmac_f32_e32 v22, 0x3377d1cf, v20
	s_delay_alu instid0(VALU_DEP_1) | instskip(SKIP_2) | instid1(VALU_DEP_3)
	v_add_f32_e32 v21, v21, v22
	v_cndmask_b32_e64 v22, 0, 0x41b17218, vcc_lo
	v_cmp_gt_f32_e64 vcc_lo, 0x7f800000, |v20|
	v_cndmask_b32_e32 v20, v20, v21, vcc_lo
	s_delay_alu instid0(VALU_DEP_1)
	v_dual_sub_f32 v22, v20, v22 :: v_dual_mov_b32 v21, v3
	v_mov_b32_e32 v20, v2
	.p2align	6
.LBB195_39:                             ;   Parent Loop BB195_3 Depth=1
                                        ;     Parent Loop BB195_7 Depth=2
                                        ; =>    This Inner Loop Header: Depth=3
	v_add_co_u32 v26, vcc_lo, v14, s24
	v_add_co_ci_u32_e32 v27, vcc_lo, s25, v15, vcc_lo
	s_delay_alu instid0(VALU_DEP_3)
	v_add_co_u32 v20, vcc_lo, v20, s19
	v_add_co_ci_u32_e32 v21, vcc_lo, 0, v21, vcc_lo
	global_load_b32 v23, v[26:27], off
	v_add_co_u32 v26, vcc_lo, v12, s24
	v_cmp_le_i64_e64 s2, s[10:11], v[20:21]
	v_add_co_ci_u32_e32 v27, vcc_lo, s25, v13, vcc_lo
	s_add_u32 s24, s24, s27
	s_addc_u32 s25, s25, s26
	s_delay_alu instid0(VALU_DEP_2) | instskip(SKIP_2) | instid1(VALU_DEP_1)
	s_or_b32 s30, s2, s30
	s_waitcnt vmcnt(0)
	v_sub_f32_e32 v23, v23, v25
	v_sub_f32_e32 v23, v23, v22
	global_store_b32 v[26:27], v23, off
	s_and_not1_b32 exec_lo, exec_lo, s30
	s_cbranch_execnz .LBB195_39
	s_branch .LBB195_5
.LBB195_40:
	s_nop 0
	s_sendmsg sendmsg(MSG_DEALLOC_VGPRS)
	s_endpgm
	.section	.rodata,"a",@progbits
	.p2align	6, 0x0
	.amdhsa_kernel _ZN2at6native12_GLOBAL__N_126cunn_SpatialSoftMaxForwardIffflNS1_25LogSoftMaxForwardEpilogueEEEvPT1_PKT_T2_S9_S9_
		.amdhsa_group_segment_fixed_size 0
		.amdhsa_private_segment_fixed_size 0
		.amdhsa_kernarg_size 296
		.amdhsa_user_sgpr_count 14
		.amdhsa_user_sgpr_dispatch_ptr 0
		.amdhsa_user_sgpr_queue_ptr 0
		.amdhsa_user_sgpr_kernarg_segment_ptr 1
		.amdhsa_user_sgpr_dispatch_id 0
		.amdhsa_user_sgpr_private_segment_size 0
		.amdhsa_wavefront_size32 1
		.amdhsa_uses_dynamic_stack 0
		.amdhsa_enable_private_segment 0
		.amdhsa_system_sgpr_workgroup_id_x 1
		.amdhsa_system_sgpr_workgroup_id_y 1
		.amdhsa_system_sgpr_workgroup_id_z 0
		.amdhsa_system_sgpr_workgroup_info 0
		.amdhsa_system_vgpr_workitem_id 1
		.amdhsa_next_free_vgpr 31
		.amdhsa_next_free_sgpr 31
		.amdhsa_reserve_vcc 1
		.amdhsa_float_round_mode_32 0
		.amdhsa_float_round_mode_16_64 0
		.amdhsa_float_denorm_mode_32 3
		.amdhsa_float_denorm_mode_16_64 3
		.amdhsa_dx10_clamp 1
		.amdhsa_ieee_mode 1
		.amdhsa_fp16_overflow 0
		.amdhsa_workgroup_processor_mode 1
		.amdhsa_memory_ordered 1
		.amdhsa_forward_progress 0
		.amdhsa_shared_vgpr_count 0
		.amdhsa_exception_fp_ieee_invalid_op 0
		.amdhsa_exception_fp_denorm_src 0
		.amdhsa_exception_fp_ieee_div_zero 0
		.amdhsa_exception_fp_ieee_overflow 0
		.amdhsa_exception_fp_ieee_underflow 0
		.amdhsa_exception_fp_ieee_inexact 0
		.amdhsa_exception_int_div_zero 0
	.end_amdhsa_kernel
	.section	.text._ZN2at6native12_GLOBAL__N_126cunn_SpatialSoftMaxForwardIffflNS1_25LogSoftMaxForwardEpilogueEEEvPT1_PKT_T2_S9_S9_,"axG",@progbits,_ZN2at6native12_GLOBAL__N_126cunn_SpatialSoftMaxForwardIffflNS1_25LogSoftMaxForwardEpilogueEEEvPT1_PKT_T2_S9_S9_,comdat
.Lfunc_end195:
	.size	_ZN2at6native12_GLOBAL__N_126cunn_SpatialSoftMaxForwardIffflNS1_25LogSoftMaxForwardEpilogueEEEvPT1_PKT_T2_S9_S9_, .Lfunc_end195-_ZN2at6native12_GLOBAL__N_126cunn_SpatialSoftMaxForwardIffflNS1_25LogSoftMaxForwardEpilogueEEEvPT1_PKT_T2_S9_S9_
                                        ; -- End function
	.section	.AMDGPU.csdata,"",@progbits
; Kernel info:
; codeLenInByte = 2256
; NumSgprs: 33
; NumVgprs: 31
; ScratchSize: 0
; MemoryBound: 0
; FloatMode: 240
; IeeeMode: 1
; LDSByteSize: 0 bytes/workgroup (compile time only)
; SGPRBlocks: 4
; VGPRBlocks: 3
; NumSGPRsForWavesPerEU: 33
; NumVGPRsForWavesPerEU: 31
; Occupancy: 16
; WaveLimiterHint : 0
; COMPUTE_PGM_RSRC2:SCRATCH_EN: 0
; COMPUTE_PGM_RSRC2:USER_SGPR: 14
; COMPUTE_PGM_RSRC2:TRAP_HANDLER: 0
; COMPUTE_PGM_RSRC2:TGID_X_EN: 1
; COMPUTE_PGM_RSRC2:TGID_Y_EN: 1
; COMPUTE_PGM_RSRC2:TGID_Z_EN: 0
; COMPUTE_PGM_RSRC2:TIDIG_COMP_CNT: 1
	.section	.text._ZN2at6native12_GLOBAL__N_126cunn_SpatialSoftMaxForwardIN3c104HalfEfS4_iNS1_25LogSoftMaxForwardEpilogueEEEvPT1_PKT_T2_SB_SB_,"axG",@progbits,_ZN2at6native12_GLOBAL__N_126cunn_SpatialSoftMaxForwardIN3c104HalfEfS4_iNS1_25LogSoftMaxForwardEpilogueEEEvPT1_PKT_T2_SB_SB_,comdat
	.globl	_ZN2at6native12_GLOBAL__N_126cunn_SpatialSoftMaxForwardIN3c104HalfEfS4_iNS1_25LogSoftMaxForwardEpilogueEEEvPT1_PKT_T2_SB_SB_ ; -- Begin function _ZN2at6native12_GLOBAL__N_126cunn_SpatialSoftMaxForwardIN3c104HalfEfS4_iNS1_25LogSoftMaxForwardEpilogueEEEvPT1_PKT_T2_SB_SB_
	.p2align	8
	.type	_ZN2at6native12_GLOBAL__N_126cunn_SpatialSoftMaxForwardIN3c104HalfEfS4_iNS1_25LogSoftMaxForwardEpilogueEEEvPT1_PKT_T2_SB_SB_,@function
_ZN2at6native12_GLOBAL__N_126cunn_SpatialSoftMaxForwardIN3c104HalfEfS4_iNS1_25LogSoftMaxForwardEpilogueEEEvPT1_PKT_T2_SB_SB_: ; @_ZN2at6native12_GLOBAL__N_126cunn_SpatialSoftMaxForwardIN3c104HalfEfS4_iNS1_25LogSoftMaxForwardEpilogueEEEvPT1_PKT_T2_SB_SB_
; %bb.0:
	s_load_b128 s[4:7], s[0:1], 0x10
	s_waitcnt lgkmcnt(0)
	s_cmp_ge_i32 s14, s4
	s_cbranch_scc1 .LBB196_40
; %bb.1:
	s_load_b32 s2, s[0:1], 0x2c
	v_and_b32_e32 v1, 0x3ff, v0
	s_clause 0x1
	s_load_b64 s[12:13], s[0:1], 0x20
	s_load_b128 s[8:11], s[0:1], 0x0
	s_add_u32 s16, s0, 32
	v_bfe_u32 v0, v0, 10, 10
	v_mad_u64_u32 v[2:3], null, s14, s5, v[1:2]
	s_addc_u32 s17, s1, 0
	v_cmp_gt_i32_e64 s0, s5, v1
	s_delay_alu instid0(VALU_DEP_2)
	v_mul_lo_u32 v2, s6, v2
	s_waitcnt lgkmcnt(0)
	s_lshr_b32 s2, s2, 16
	s_mul_i32 s7, s12, s6
	s_mul_i32 s15, s15, s2
	;; [unrolled: 1-line block ×3, first 2 shown]
	v_add_nc_u32_e32 v4, s15, v0
	s_delay_alu instid0(VALU_DEP_2) | instskip(SKIP_1) | instid1(VALU_DEP_2)
	v_add3_u32 v5, v0, v2, s15
	s_mul_i32 s7, s7, s5
	v_cmp_gt_i32_e64 s1, s6, v4
	s_branch .LBB196_3
.LBB196_2:                              ;   in Loop: Header=BB196_3 Depth=1
	s_or_b32 exec_lo, exec_lo, s13
	v_add_nc_u32_e32 v5, s7, v5
	s_add_i32 s14, s12, s14
	s_delay_alu instid0(SALU_CYCLE_1)
	s_cmp_ge_i32 s14, s4
	s_cbranch_scc1 .LBB196_40
.LBB196_3:                              ; =>This Loop Header: Depth=1
                                        ;     Child Loop BB196_7 Depth 2
                                        ;       Child Loop BB196_12 Depth 3
                                        ;       Child Loop BB196_15 Depth 3
                                        ;       Child Loop BB196_18 Depth 3
                                        ;       Child Loop BB196_23 Depth 3
                                        ;       Child Loop BB196_27 Depth 3
                                        ;       Child Loop BB196_31 Depth 3
                                        ;       Child Loop BB196_35 Depth 3
                                        ;       Child Loop BB196_39 Depth 3
	s_delay_alu instid0(VALU_DEP_1)
	s_and_saveexec_b32 s13, s1
	s_cbranch_execz .LBB196_2
; %bb.4:                                ;   in Loop: Header=BB196_3 Depth=1
	s_load_b32 s2, s[16:17], 0xc
	v_mov_b32_e32 v7, v5
	v_mov_b32_e32 v9, v4
	s_mov_b32 s20, 0
	s_waitcnt lgkmcnt(0)
	s_and_b32 s15, s2, 0xffff
	s_delay_alu instid0(SALU_CYCLE_1) | instskip(SKIP_3) | instid1(VALU_DEP_1)
	v_mul_u32_u24_e32 v2, s15, v0
	s_cmp_lt_u32 s15, 2
	s_mul_i32 s19, s6, s15
	s_cselect_b32 s18, -1, 0
	v_lshl_add_u32 v6, v2, 2, 0
	s_delay_alu instid0(VALU_DEP_1)
	v_lshl_add_u32 v8, v1, 2, v6
	s_branch .LBB196_7
.LBB196_5:                              ;   in Loop: Header=BB196_7 Depth=2
	s_or_b32 exec_lo, exec_lo, s21
.LBB196_6:                              ;   in Loop: Header=BB196_7 Depth=2
	v_add_nc_u32_e32 v9, s3, v9
	v_add_nc_u32_e32 v7, s3, v7
	s_delay_alu instid0(VALU_DEP_2) | instskip(SKIP_1) | instid1(SALU_CYCLE_1)
	v_cmp_le_i32_e32 vcc_lo, s6, v9
	s_or_b32 s20, vcc_lo, s20
	s_and_not1_b32 exec_lo, exec_lo, s20
	s_cbranch_execz .LBB196_2
.LBB196_7:                              ;   Parent Loop BB196_3 Depth=1
                                        ; =>  This Loop Header: Depth=2
                                        ;       Child Loop BB196_12 Depth 3
                                        ;       Child Loop BB196_15 Depth 3
	;; [unrolled: 1-line block ×8, first 2 shown]
	s_and_b32 vcc_lo, exec_lo, s18
	s_mov_b32 s2, -1
	s_cbranch_vccz .LBB196_20
; %bb.8:                                ;   in Loop: Header=BB196_7 Depth=2
	v_mov_b32_e32 v10, 0xff7fffff
	s_and_saveexec_b32 s21, s0
	s_cbranch_execnz .LBB196_11
; %bb.9:                                ;   in Loop: Header=BB196_7 Depth=2
	s_or_b32 exec_lo, exec_lo, s21
	v_mov_b32_e32 v11, 0
	s_and_saveexec_b32 s2, s0
	s_cbranch_execnz .LBB196_14
.LBB196_10:                             ;   in Loop: Header=BB196_7 Depth=2
	s_or_b32 exec_lo, exec_lo, s2
	s_and_saveexec_b32 s21, s0
	s_cbranch_execnz .LBB196_17
	s_branch .LBB196_19
.LBB196_11:                             ;   in Loop: Header=BB196_7 Depth=2
	v_dual_mov_b32 v10, 0xff7fffff :: v_dual_mov_b32 v11, v1
	v_mov_b32_e32 v2, v7
	s_mov_b32 s22, 0
	.p2align	6
.LBB196_12:                             ;   Parent Loop BB196_3 Depth=1
                                        ;     Parent Loop BB196_7 Depth=2
                                        ; =>    This Inner Loop Header: Depth=3
	s_delay_alu instid0(VALU_DEP_1) | instskip(NEXT) | instid1(VALU_DEP_3)
	v_ashrrev_i32_e32 v3, 31, v2
	v_add_nc_u32_e32 v11, s15, v11
	s_delay_alu instid0(VALU_DEP_2) | instskip(SKIP_1) | instid1(VALU_DEP_2)
	v_lshlrev_b64 v[12:13], 1, v[2:3]
	v_add_nc_u32_e32 v2, s19, v2
	v_add_co_u32 v12, vcc_lo, s10, v12
	s_delay_alu instid0(VALU_DEP_3)
	v_add_co_ci_u32_e32 v13, vcc_lo, s11, v13, vcc_lo
	v_cmp_le_i32_e32 vcc_lo, s5, v11
	global_load_u16 v3, v[12:13], off
	s_or_b32 s22, vcc_lo, s22
	s_waitcnt vmcnt(0)
	v_cvt_f32_f16_e32 v3, v3
	s_delay_alu instid0(VALU_DEP_1) | instskip(NEXT) | instid1(VALU_DEP_1)
	v_cmp_lt_f32_e64 s2, v10, v3
	v_cndmask_b32_e64 v10, v10, v3, s2
	s_and_not1_b32 exec_lo, exec_lo, s22
	s_cbranch_execnz .LBB196_12
; %bb.13:                               ;   in Loop: Header=BB196_7 Depth=2
	s_or_b32 exec_lo, exec_lo, s22
	s_delay_alu instid0(SALU_CYCLE_1)
	s_or_b32 exec_lo, exec_lo, s21
	v_mov_b32_e32 v11, 0
	s_and_saveexec_b32 s2, s0
	s_cbranch_execz .LBB196_10
.LBB196_14:                             ;   in Loop: Header=BB196_7 Depth=2
	v_dual_mov_b32 v11, 0 :: v_dual_mov_b32 v2, v7
	v_mov_b32_e32 v12, v1
	s_mov_b32 s21, 0
	s_set_inst_prefetch_distance 0x1
	.p2align	6
.LBB196_15:                             ;   Parent Loop BB196_3 Depth=1
                                        ;     Parent Loop BB196_7 Depth=2
                                        ; =>    This Inner Loop Header: Depth=3
	s_delay_alu instid0(VALU_DEP_2) | instskip(NEXT) | instid1(VALU_DEP_2)
	v_ashrrev_i32_e32 v3, 31, v2
	v_add_nc_u32_e32 v12, s15, v12
	s_delay_alu instid0(VALU_DEP_2) | instskip(SKIP_1) | instid1(VALU_DEP_2)
	v_lshlrev_b64 v[13:14], 1, v[2:3]
	v_add_nc_u32_e32 v2, s19, v2
	v_add_co_u32 v13, vcc_lo, s10, v13
	s_delay_alu instid0(VALU_DEP_3) | instskip(SKIP_3) | instid1(VALU_DEP_1)
	v_add_co_ci_u32_e32 v14, vcc_lo, s11, v14, vcc_lo
	global_load_u16 v3, v[13:14], off
	s_waitcnt vmcnt(0)
	v_cvt_f32_f16_e32 v3, v3
	v_sub_f32_e32 v3, v3, v10
	s_delay_alu instid0(VALU_DEP_1) | instskip(SKIP_1) | instid1(VALU_DEP_2)
	v_mul_f32_e32 v13, 0x3fb8aa3b, v3
	v_cmp_ngt_f32_e32 vcc_lo, 0xc2ce8ed0, v3
	v_fma_f32 v14, 0x3fb8aa3b, v3, -v13
	v_rndne_f32_e32 v15, v13
	s_delay_alu instid0(VALU_DEP_2) | instskip(NEXT) | instid1(VALU_DEP_2)
	v_fmac_f32_e32 v14, 0x32a5705f, v3
	v_sub_f32_e32 v13, v13, v15
	s_delay_alu instid0(VALU_DEP_1) | instskip(SKIP_1) | instid1(VALU_DEP_2)
	v_add_f32_e32 v13, v13, v14
	v_cvt_i32_f32_e32 v14, v15
	v_exp_f32_e32 v13, v13
	s_waitcnt_depctr 0xfff
	v_ldexp_f32 v13, v13, v14
	s_delay_alu instid0(VALU_DEP_1) | instskip(SKIP_1) | instid1(VALU_DEP_2)
	v_cndmask_b32_e32 v13, 0, v13, vcc_lo
	v_cmp_nlt_f32_e32 vcc_lo, 0x42b17218, v3
	v_cndmask_b32_e32 v3, 0x7f800000, v13, vcc_lo
	v_cmp_le_i32_e32 vcc_lo, s5, v12
	s_delay_alu instid0(VALU_DEP_2) | instskip(SKIP_1) | instid1(SALU_CYCLE_1)
	v_add_f32_e32 v11, v11, v3
	s_or_b32 s21, vcc_lo, s21
	s_and_not1_b32 exec_lo, exec_lo, s21
	s_cbranch_execnz .LBB196_15
; %bb.16:                               ;   in Loop: Header=BB196_7 Depth=2
	s_set_inst_prefetch_distance 0x2
	s_or_b32 exec_lo, exec_lo, s21
	s_delay_alu instid0(SALU_CYCLE_1)
	s_or_b32 exec_lo, exec_lo, s2
	s_and_saveexec_b32 s21, s0
	s_cbranch_execz .LBB196_19
.LBB196_17:                             ;   in Loop: Header=BB196_7 Depth=2
	v_cmp_gt_f32_e32 vcc_lo, 0x800000, v11
	s_mov_b32 s22, 0
	v_mov_b32_e32 v12, v1
	v_cndmask_b32_e64 v2, 1.0, 0x4f800000, vcc_lo
	s_delay_alu instid0(VALU_DEP_1) | instskip(NEXT) | instid1(VALU_DEP_1)
	v_mul_f32_e32 v2, v11, v2
	v_log_f32_e32 v2, v2
	s_waitcnt_depctr 0xfff
	v_mul_f32_e32 v3, 0x3f317217, v2
	s_delay_alu instid0(VALU_DEP_1) | instskip(NEXT) | instid1(VALU_DEP_1)
	v_fma_f32 v11, 0x3f317217, v2, -v3
	v_fmac_f32_e32 v11, 0x3377d1cf, v2
	s_delay_alu instid0(VALU_DEP_1) | instskip(SKIP_2) | instid1(VALU_DEP_3)
	v_add_f32_e32 v3, v3, v11
	v_cndmask_b32_e64 v11, 0, 0x41b17218, vcc_lo
	v_cmp_gt_f32_e64 vcc_lo, 0x7f800000, |v2|
	v_dual_cndmask_b32 v3, v2, v3 :: v_dual_mov_b32 v2, v7
	s_delay_alu instid0(VALU_DEP_1)
	v_sub_f32_e32 v11, v3, v11
	.p2align	6
.LBB196_18:                             ;   Parent Loop BB196_3 Depth=1
                                        ;     Parent Loop BB196_7 Depth=2
                                        ; =>    This Inner Loop Header: Depth=3
	s_delay_alu instid0(VALU_DEP_2) | instskip(SKIP_1) | instid1(VALU_DEP_2)
	v_ashrrev_i32_e32 v3, 31, v2
	v_add_nc_u32_e32 v12, s15, v12
	v_lshlrev_b64 v[13:14], 1, v[2:3]
	v_add_nc_u32_e32 v2, s19, v2
	s_delay_alu instid0(VALU_DEP_2) | instskip(NEXT) | instid1(VALU_DEP_3)
	v_add_co_u32 v15, vcc_lo, s10, v13
	v_add_co_ci_u32_e32 v16, vcc_lo, s11, v14, vcc_lo
	v_cmp_le_i32_e32 vcc_lo, s5, v12
	v_add_co_u32 v13, s2, s8, v13
	global_load_u16 v3, v[15:16], off
	v_add_co_ci_u32_e64 v14, s2, s9, v14, s2
	s_or_b32 s22, vcc_lo, s22
	s_waitcnt vmcnt(0)
	v_cvt_f32_f16_e32 v3, v3
	s_delay_alu instid0(VALU_DEP_1) | instskip(NEXT) | instid1(VALU_DEP_1)
	v_sub_f32_e32 v3, v3, v10
	v_sub_f32_e32 v3, v3, v11
	s_delay_alu instid0(VALU_DEP_1)
	v_cvt_f16_f32_e32 v3, v3
	global_store_b16 v[13:14], v3, off
	s_and_not1_b32 exec_lo, exec_lo, s22
	s_cbranch_execnz .LBB196_18
.LBB196_19:                             ;   in Loop: Header=BB196_7 Depth=2
	s_or_b32 exec_lo, exec_lo, s21
	s_mov_b32 s2, 0
.LBB196_20:                             ;   in Loop: Header=BB196_7 Depth=2
	s_delay_alu instid0(SALU_CYCLE_1)
	s_and_b32 vcc_lo, exec_lo, s2
	s_cbranch_vccz .LBB196_6
; %bb.21:                               ;   in Loop: Header=BB196_7 Depth=2
	v_mov_b32_e32 v10, 0xff7fffff
	s_and_saveexec_b32 s21, s0
	s_cbranch_execz .LBB196_25
; %bb.22:                               ;   in Loop: Header=BB196_7 Depth=2
	v_dual_mov_b32 v10, 0xff7fffff :: v_dual_mov_b32 v11, v1
	v_mov_b32_e32 v2, v7
	s_mov_b32 s22, 0
	.p2align	6
.LBB196_23:                             ;   Parent Loop BB196_3 Depth=1
                                        ;     Parent Loop BB196_7 Depth=2
                                        ; =>    This Inner Loop Header: Depth=3
	s_delay_alu instid0(VALU_DEP_1) | instskip(NEXT) | instid1(VALU_DEP_3)
	v_ashrrev_i32_e32 v3, 31, v2
	v_add_nc_u32_e32 v11, s15, v11
	s_delay_alu instid0(VALU_DEP_2) | instskip(SKIP_1) | instid1(VALU_DEP_2)
	v_lshlrev_b64 v[12:13], 1, v[2:3]
	v_add_nc_u32_e32 v2, s19, v2
	v_add_co_u32 v12, vcc_lo, s10, v12
	s_delay_alu instid0(VALU_DEP_3)
	v_add_co_ci_u32_e32 v13, vcc_lo, s11, v13, vcc_lo
	v_cmp_le_i32_e32 vcc_lo, s5, v11
	global_load_u16 v3, v[12:13], off
	s_or_b32 s22, vcc_lo, s22
	s_waitcnt vmcnt(0)
	v_cvt_f32_f16_e32 v3, v3
	s_delay_alu instid0(VALU_DEP_1) | instskip(NEXT) | instid1(VALU_DEP_1)
	v_cmp_lt_f32_e64 s2, v10, v3
	v_cndmask_b32_e64 v10, v10, v3, s2
	s_and_not1_b32 exec_lo, exec_lo, s22
	s_cbranch_execnz .LBB196_23
; %bb.24:                               ;   in Loop: Header=BB196_7 Depth=2
	s_or_b32 exec_lo, exec_lo, s22
.LBB196_25:                             ;   in Loop: Header=BB196_7 Depth=2
	s_delay_alu instid0(SALU_CYCLE_1)
	s_or_b32 exec_lo, exec_lo, s21
	s_mov_b32 s2, s15
	s_waitcnt_vscnt null, 0x0
	s_barrier
	buffer_gl0_inv
	ds_store_b32 v8, v10
	s_branch .LBB196_27
	.p2align	6
.LBB196_26:                             ;   in Loop: Header=BB196_27 Depth=3
	s_or_b32 exec_lo, exec_lo, s22
	s_cmp_gt_u32 s2, 3
	s_mov_b32 s2, s21
	s_cbranch_scc0 .LBB196_29
.LBB196_27:                             ;   Parent Loop BB196_3 Depth=1
                                        ;     Parent Loop BB196_7 Depth=2
                                        ; =>    This Inner Loop Header: Depth=3
	s_lshr_b32 s21, s2, 1
	s_mov_b32 s22, exec_lo
	s_waitcnt lgkmcnt(0)
	s_barrier
	buffer_gl0_inv
	v_cmpx_gt_u32_e64 s21, v1
	s_cbranch_execz .LBB196_26
; %bb.28:                               ;   in Loop: Header=BB196_27 Depth=3
	v_lshl_add_u32 v2, s21, 2, v8
	ds_load_b32 v3, v8
	ds_load_b32 v2, v2
	s_waitcnt lgkmcnt(0)
	v_cmp_lt_f32_e32 vcc_lo, v3, v2
	v_cndmask_b32_e32 v2, v3, v2, vcc_lo
	ds_store_b32 v8, v2
	s_branch .LBB196_26
.LBB196_29:                             ;   in Loop: Header=BB196_7 Depth=2
	s_waitcnt lgkmcnt(0)
	s_barrier
	buffer_gl0_inv
	ds_load_b32 v10, v6
	v_mov_b32_e32 v11, 0
	s_and_saveexec_b32 s2, s0
	s_cbranch_execz .LBB196_33
; %bb.30:                               ;   in Loop: Header=BB196_7 Depth=2
	v_dual_mov_b32 v11, 0 :: v_dual_mov_b32 v2, v7
	v_mov_b32_e32 v12, v1
	s_mov_b32 s21, 0
	s_set_inst_prefetch_distance 0x1
	.p2align	6
.LBB196_31:                             ;   Parent Loop BB196_3 Depth=1
                                        ;     Parent Loop BB196_7 Depth=2
                                        ; =>    This Inner Loop Header: Depth=3
	s_delay_alu instid0(VALU_DEP_2) | instskip(NEXT) | instid1(VALU_DEP_2)
	v_ashrrev_i32_e32 v3, 31, v2
	v_add_nc_u32_e32 v12, s15, v12
	s_delay_alu instid0(VALU_DEP_2) | instskip(SKIP_1) | instid1(VALU_DEP_2)
	v_lshlrev_b64 v[13:14], 1, v[2:3]
	v_add_nc_u32_e32 v2, s19, v2
	v_add_co_u32 v13, vcc_lo, s10, v13
	s_delay_alu instid0(VALU_DEP_3) | instskip(SKIP_4) | instid1(VALU_DEP_1)
	v_add_co_ci_u32_e32 v14, vcc_lo, s11, v14, vcc_lo
	global_load_u16 v3, v[13:14], off
	s_waitcnt vmcnt(0)
	v_cvt_f32_f16_e32 v3, v3
	s_waitcnt lgkmcnt(0)
	v_sub_f32_e32 v3, v3, v10
	s_delay_alu instid0(VALU_DEP_1) | instskip(SKIP_1) | instid1(VALU_DEP_2)
	v_mul_f32_e32 v13, 0x3fb8aa3b, v3
	v_cmp_ngt_f32_e32 vcc_lo, 0xc2ce8ed0, v3
	v_fma_f32 v14, 0x3fb8aa3b, v3, -v13
	v_rndne_f32_e32 v15, v13
	s_delay_alu instid0(VALU_DEP_2) | instskip(NEXT) | instid1(VALU_DEP_2)
	v_fmac_f32_e32 v14, 0x32a5705f, v3
	v_sub_f32_e32 v13, v13, v15
	s_delay_alu instid0(VALU_DEP_1) | instskip(SKIP_1) | instid1(VALU_DEP_2)
	v_add_f32_e32 v13, v13, v14
	v_cvt_i32_f32_e32 v14, v15
	v_exp_f32_e32 v13, v13
	s_waitcnt_depctr 0xfff
	v_ldexp_f32 v13, v13, v14
	s_delay_alu instid0(VALU_DEP_1) | instskip(SKIP_1) | instid1(VALU_DEP_2)
	v_cndmask_b32_e32 v13, 0, v13, vcc_lo
	v_cmp_nlt_f32_e32 vcc_lo, 0x42b17218, v3
	v_cndmask_b32_e32 v3, 0x7f800000, v13, vcc_lo
	v_cmp_le_i32_e32 vcc_lo, s5, v12
	s_delay_alu instid0(VALU_DEP_2) | instskip(SKIP_1) | instid1(SALU_CYCLE_1)
	v_add_f32_e32 v11, v11, v3
	s_or_b32 s21, vcc_lo, s21
	s_and_not1_b32 exec_lo, exec_lo, s21
	s_cbranch_execnz .LBB196_31
; %bb.32:                               ;   in Loop: Header=BB196_7 Depth=2
	s_set_inst_prefetch_distance 0x2
	s_or_b32 exec_lo, exec_lo, s21
.LBB196_33:                             ;   in Loop: Header=BB196_7 Depth=2
	s_delay_alu instid0(SALU_CYCLE_1)
	s_or_b32 exec_lo, exec_lo, s2
	s_mov_b32 s2, s15
	s_waitcnt lgkmcnt(0)
	s_barrier
	buffer_gl0_inv
	ds_store_b32 v8, v11
	s_branch .LBB196_35
	.p2align	6
.LBB196_34:                             ;   in Loop: Header=BB196_35 Depth=3
	s_or_b32 exec_lo, exec_lo, s22
	s_cmp_gt_u32 s2, 3
	s_mov_b32 s2, s21
	s_cbranch_scc0 .LBB196_37
.LBB196_35:                             ;   Parent Loop BB196_3 Depth=1
                                        ;     Parent Loop BB196_7 Depth=2
                                        ; =>    This Inner Loop Header: Depth=3
	s_lshr_b32 s21, s2, 1
	s_mov_b32 s22, exec_lo
	s_waitcnt lgkmcnt(0)
	s_barrier
	buffer_gl0_inv
	v_cmpx_gt_u32_e64 s21, v1
	s_cbranch_execz .LBB196_34
; %bb.36:                               ;   in Loop: Header=BB196_35 Depth=3
	v_lshl_add_u32 v2, s21, 2, v8
	ds_load_b32 v3, v8
	ds_load_b32 v2, v2
	s_waitcnt lgkmcnt(0)
	v_add_f32_e32 v2, v3, v2
	ds_store_b32 v8, v2
	s_branch .LBB196_34
.LBB196_37:                             ;   in Loop: Header=BB196_7 Depth=2
	s_waitcnt lgkmcnt(0)
	s_barrier
	buffer_gl0_inv
	s_and_saveexec_b32 s21, s0
	s_cbranch_execz .LBB196_5
; %bb.38:                               ;   in Loop: Header=BB196_7 Depth=2
	ds_load_b32 v2, v6
	s_mov_b32 s22, 0
	v_mov_b32_e32 v12, v1
	s_waitcnt lgkmcnt(0)
	v_cmp_gt_f32_e32 vcc_lo, 0x800000, v2
	v_cndmask_b32_e64 v3, 1.0, 0x4f800000, vcc_lo
	s_delay_alu instid0(VALU_DEP_1) | instskip(NEXT) | instid1(VALU_DEP_1)
	v_mul_f32_e32 v2, v2, v3
	v_log_f32_e32 v2, v2
	s_waitcnt_depctr 0xfff
	v_mul_f32_e32 v3, 0x3f317217, v2
	s_delay_alu instid0(VALU_DEP_1) | instskip(NEXT) | instid1(VALU_DEP_1)
	v_fma_f32 v11, 0x3f317217, v2, -v3
	v_fmac_f32_e32 v11, 0x3377d1cf, v2
	s_delay_alu instid0(VALU_DEP_1) | instskip(SKIP_2) | instid1(VALU_DEP_3)
	v_add_f32_e32 v3, v3, v11
	v_cndmask_b32_e64 v11, 0, 0x41b17218, vcc_lo
	v_cmp_gt_f32_e64 vcc_lo, 0x7f800000, |v2|
	v_dual_cndmask_b32 v3, v2, v3 :: v_dual_mov_b32 v2, v7
	s_delay_alu instid0(VALU_DEP_1)
	v_sub_f32_e32 v11, v3, v11
	.p2align	6
.LBB196_39:                             ;   Parent Loop BB196_3 Depth=1
                                        ;     Parent Loop BB196_7 Depth=2
                                        ; =>    This Inner Loop Header: Depth=3
	s_delay_alu instid0(VALU_DEP_2) | instskip(SKIP_1) | instid1(VALU_DEP_2)
	v_ashrrev_i32_e32 v3, 31, v2
	v_add_nc_u32_e32 v12, s15, v12
	v_lshlrev_b64 v[13:14], 1, v[2:3]
	v_add_nc_u32_e32 v2, s19, v2
	s_delay_alu instid0(VALU_DEP_2) | instskip(NEXT) | instid1(VALU_DEP_3)
	v_add_co_u32 v15, vcc_lo, s10, v13
	v_add_co_ci_u32_e32 v16, vcc_lo, s11, v14, vcc_lo
	v_cmp_le_i32_e32 vcc_lo, s5, v12
	v_add_co_u32 v13, s2, s8, v13
	global_load_u16 v3, v[15:16], off
	v_add_co_ci_u32_e64 v14, s2, s9, v14, s2
	s_or_b32 s22, vcc_lo, s22
	s_waitcnt vmcnt(0)
	v_cvt_f32_f16_e32 v3, v3
	s_delay_alu instid0(VALU_DEP_1) | instskip(NEXT) | instid1(VALU_DEP_1)
	v_sub_f32_e32 v3, v3, v10
	v_sub_f32_e32 v3, v3, v11
	s_delay_alu instid0(VALU_DEP_1)
	v_cvt_f16_f32_e32 v3, v3
	global_store_b16 v[13:14], v3, off
	s_and_not1_b32 exec_lo, exec_lo, s22
	s_cbranch_execnz .LBB196_39
	s_branch .LBB196_5
.LBB196_40:
	s_nop 0
	s_sendmsg sendmsg(MSG_DEALLOC_VGPRS)
	s_endpgm
	.section	.rodata,"a",@progbits
	.p2align	6, 0x0
	.amdhsa_kernel _ZN2at6native12_GLOBAL__N_126cunn_SpatialSoftMaxForwardIN3c104HalfEfS4_iNS1_25LogSoftMaxForwardEpilogueEEEvPT1_PKT_T2_SB_SB_
		.amdhsa_group_segment_fixed_size 0
		.amdhsa_private_segment_fixed_size 0
		.amdhsa_kernarg_size 288
		.amdhsa_user_sgpr_count 14
		.amdhsa_user_sgpr_dispatch_ptr 0
		.amdhsa_user_sgpr_queue_ptr 0
		.amdhsa_user_sgpr_kernarg_segment_ptr 1
		.amdhsa_user_sgpr_dispatch_id 0
		.amdhsa_user_sgpr_private_segment_size 0
		.amdhsa_wavefront_size32 1
		.amdhsa_uses_dynamic_stack 0
		.amdhsa_enable_private_segment 0
		.amdhsa_system_sgpr_workgroup_id_x 1
		.amdhsa_system_sgpr_workgroup_id_y 1
		.amdhsa_system_sgpr_workgroup_id_z 0
		.amdhsa_system_sgpr_workgroup_info 0
		.amdhsa_system_vgpr_workitem_id 1
		.amdhsa_next_free_vgpr 17
		.amdhsa_next_free_sgpr 23
		.amdhsa_reserve_vcc 1
		.amdhsa_float_round_mode_32 0
		.amdhsa_float_round_mode_16_64 0
		.amdhsa_float_denorm_mode_32 3
		.amdhsa_float_denorm_mode_16_64 3
		.amdhsa_dx10_clamp 1
		.amdhsa_ieee_mode 1
		.amdhsa_fp16_overflow 0
		.amdhsa_workgroup_processor_mode 1
		.amdhsa_memory_ordered 1
		.amdhsa_forward_progress 0
		.amdhsa_shared_vgpr_count 0
		.amdhsa_exception_fp_ieee_invalid_op 0
		.amdhsa_exception_fp_denorm_src 0
		.amdhsa_exception_fp_ieee_div_zero 0
		.amdhsa_exception_fp_ieee_overflow 0
		.amdhsa_exception_fp_ieee_underflow 0
		.amdhsa_exception_fp_ieee_inexact 0
		.amdhsa_exception_int_div_zero 0
	.end_amdhsa_kernel
	.section	.text._ZN2at6native12_GLOBAL__N_126cunn_SpatialSoftMaxForwardIN3c104HalfEfS4_iNS1_25LogSoftMaxForwardEpilogueEEEvPT1_PKT_T2_SB_SB_,"axG",@progbits,_ZN2at6native12_GLOBAL__N_126cunn_SpatialSoftMaxForwardIN3c104HalfEfS4_iNS1_25LogSoftMaxForwardEpilogueEEEvPT1_PKT_T2_SB_SB_,comdat
.Lfunc_end196:
	.size	_ZN2at6native12_GLOBAL__N_126cunn_SpatialSoftMaxForwardIN3c104HalfEfS4_iNS1_25LogSoftMaxForwardEpilogueEEEvPT1_PKT_T2_SB_SB_, .Lfunc_end196-_ZN2at6native12_GLOBAL__N_126cunn_SpatialSoftMaxForwardIN3c104HalfEfS4_iNS1_25LogSoftMaxForwardEpilogueEEEvPT1_PKT_T2_SB_SB_
                                        ; -- End function
	.section	.AMDGPU.csdata,"",@progbits
; Kernel info:
; codeLenInByte = 1956
; NumSgprs: 25
; NumVgprs: 17
; ScratchSize: 0
; MemoryBound: 0
; FloatMode: 240
; IeeeMode: 1
; LDSByteSize: 0 bytes/workgroup (compile time only)
; SGPRBlocks: 3
; VGPRBlocks: 2
; NumSGPRsForWavesPerEU: 25
; NumVGPRsForWavesPerEU: 17
; Occupancy: 16
; WaveLimiterHint : 0
; COMPUTE_PGM_RSRC2:SCRATCH_EN: 0
; COMPUTE_PGM_RSRC2:USER_SGPR: 14
; COMPUTE_PGM_RSRC2:TRAP_HANDLER: 0
; COMPUTE_PGM_RSRC2:TGID_X_EN: 1
; COMPUTE_PGM_RSRC2:TGID_Y_EN: 1
; COMPUTE_PGM_RSRC2:TGID_Z_EN: 0
; COMPUTE_PGM_RSRC2:TIDIG_COMP_CNT: 1
	.section	.text._ZN2at6native12_GLOBAL__N_126cunn_SpatialSoftMaxForwardIN3c104HalfEffiNS1_25LogSoftMaxForwardEpilogueEEEvPT1_PKT_T2_SB_SB_,"axG",@progbits,_ZN2at6native12_GLOBAL__N_126cunn_SpatialSoftMaxForwardIN3c104HalfEffiNS1_25LogSoftMaxForwardEpilogueEEEvPT1_PKT_T2_SB_SB_,comdat
	.globl	_ZN2at6native12_GLOBAL__N_126cunn_SpatialSoftMaxForwardIN3c104HalfEffiNS1_25LogSoftMaxForwardEpilogueEEEvPT1_PKT_T2_SB_SB_ ; -- Begin function _ZN2at6native12_GLOBAL__N_126cunn_SpatialSoftMaxForwardIN3c104HalfEffiNS1_25LogSoftMaxForwardEpilogueEEEvPT1_PKT_T2_SB_SB_
	.p2align	8
	.type	_ZN2at6native12_GLOBAL__N_126cunn_SpatialSoftMaxForwardIN3c104HalfEffiNS1_25LogSoftMaxForwardEpilogueEEEvPT1_PKT_T2_SB_SB_,@function
_ZN2at6native12_GLOBAL__N_126cunn_SpatialSoftMaxForwardIN3c104HalfEffiNS1_25LogSoftMaxForwardEpilogueEEEvPT1_PKT_T2_SB_SB_: ; @_ZN2at6native12_GLOBAL__N_126cunn_SpatialSoftMaxForwardIN3c104HalfEffiNS1_25LogSoftMaxForwardEpilogueEEEvPT1_PKT_T2_SB_SB_
; %bb.0:
	s_load_b128 s[4:7], s[0:1], 0x10
	s_waitcnt lgkmcnt(0)
	s_cmp_ge_i32 s14, s4
	s_cbranch_scc1 .LBB197_40
; %bb.1:
	s_load_b32 s2, s[0:1], 0x2c
	v_and_b32_e32 v1, 0x3ff, v0
	s_clause 0x1
	s_load_b64 s[12:13], s[0:1], 0x20
	s_load_b128 s[8:11], s[0:1], 0x0
	s_add_u32 s16, s0, 32
	v_bfe_u32 v0, v0, 10, 10
	v_mad_u64_u32 v[2:3], null, s14, s5, v[1:2]
	s_addc_u32 s17, s1, 0
	v_cmp_gt_i32_e64 s0, s5, v1
	s_delay_alu instid0(VALU_DEP_2)
	v_mul_lo_u32 v2, s6, v2
	s_waitcnt lgkmcnt(0)
	s_lshr_b32 s2, s2, 16
	s_mul_i32 s7, s12, s6
	s_mul_i32 s15, s15, s2
	;; [unrolled: 1-line block ×3, first 2 shown]
	v_add_nc_u32_e32 v4, s15, v0
	s_delay_alu instid0(VALU_DEP_2) | instskip(SKIP_1) | instid1(VALU_DEP_2)
	v_add3_u32 v5, v0, v2, s15
	s_mul_i32 s7, s7, s5
	v_cmp_gt_i32_e64 s1, s6, v4
	s_branch .LBB197_3
.LBB197_2:                              ;   in Loop: Header=BB197_3 Depth=1
	s_or_b32 exec_lo, exec_lo, s13
	v_add_nc_u32_e32 v5, s7, v5
	s_add_i32 s14, s12, s14
	s_delay_alu instid0(SALU_CYCLE_1)
	s_cmp_ge_i32 s14, s4
	s_cbranch_scc1 .LBB197_40
.LBB197_3:                              ; =>This Loop Header: Depth=1
                                        ;     Child Loop BB197_7 Depth 2
                                        ;       Child Loop BB197_12 Depth 3
                                        ;       Child Loop BB197_15 Depth 3
	;; [unrolled: 1-line block ×8, first 2 shown]
	s_delay_alu instid0(VALU_DEP_1)
	s_and_saveexec_b32 s13, s1
	s_cbranch_execz .LBB197_2
; %bb.4:                                ;   in Loop: Header=BB197_3 Depth=1
	s_load_b32 s2, s[16:17], 0xc
	v_mov_b32_e32 v7, v5
	v_mov_b32_e32 v9, v4
	s_mov_b32 s20, 0
	s_waitcnt lgkmcnt(0)
	s_and_b32 s15, s2, 0xffff
	s_delay_alu instid0(SALU_CYCLE_1) | instskip(SKIP_3) | instid1(VALU_DEP_1)
	v_mul_u32_u24_e32 v2, s15, v0
	s_cmp_lt_u32 s15, 2
	s_mul_i32 s19, s6, s15
	s_cselect_b32 s18, -1, 0
	v_lshl_add_u32 v6, v2, 2, 0
	s_delay_alu instid0(VALU_DEP_1)
	v_lshl_add_u32 v8, v1, 2, v6
	s_branch .LBB197_7
.LBB197_5:                              ;   in Loop: Header=BB197_7 Depth=2
	s_or_b32 exec_lo, exec_lo, s21
.LBB197_6:                              ;   in Loop: Header=BB197_7 Depth=2
	v_add_nc_u32_e32 v9, s3, v9
	v_add_nc_u32_e32 v7, s3, v7
	s_delay_alu instid0(VALU_DEP_2) | instskip(SKIP_1) | instid1(SALU_CYCLE_1)
	v_cmp_le_i32_e32 vcc_lo, s6, v9
	s_or_b32 s20, vcc_lo, s20
	s_and_not1_b32 exec_lo, exec_lo, s20
	s_cbranch_execz .LBB197_2
.LBB197_7:                              ;   Parent Loop BB197_3 Depth=1
                                        ; =>  This Loop Header: Depth=2
                                        ;       Child Loop BB197_12 Depth 3
                                        ;       Child Loop BB197_15 Depth 3
	;; [unrolled: 1-line block ×8, first 2 shown]
	s_and_b32 vcc_lo, exec_lo, s18
	s_mov_b32 s2, -1
	s_cbranch_vccz .LBB197_20
; %bb.8:                                ;   in Loop: Header=BB197_7 Depth=2
	v_mov_b32_e32 v10, 0xff7fffff
	s_and_saveexec_b32 s21, s0
	s_cbranch_execnz .LBB197_11
; %bb.9:                                ;   in Loop: Header=BB197_7 Depth=2
	s_or_b32 exec_lo, exec_lo, s21
	v_mov_b32_e32 v11, 0
	s_and_saveexec_b32 s2, s0
	s_cbranch_execnz .LBB197_14
.LBB197_10:                             ;   in Loop: Header=BB197_7 Depth=2
	s_or_b32 exec_lo, exec_lo, s2
	s_and_saveexec_b32 s21, s0
	s_cbranch_execnz .LBB197_17
	s_branch .LBB197_19
.LBB197_11:                             ;   in Loop: Header=BB197_7 Depth=2
	v_dual_mov_b32 v10, 0xff7fffff :: v_dual_mov_b32 v11, v1
	v_mov_b32_e32 v2, v7
	s_mov_b32 s22, 0
	.p2align	6
.LBB197_12:                             ;   Parent Loop BB197_3 Depth=1
                                        ;     Parent Loop BB197_7 Depth=2
                                        ; =>    This Inner Loop Header: Depth=3
	s_delay_alu instid0(VALU_DEP_1) | instskip(NEXT) | instid1(VALU_DEP_3)
	v_ashrrev_i32_e32 v3, 31, v2
	v_add_nc_u32_e32 v11, s15, v11
	s_delay_alu instid0(VALU_DEP_2) | instskip(SKIP_1) | instid1(VALU_DEP_2)
	v_lshlrev_b64 v[12:13], 1, v[2:3]
	v_add_nc_u32_e32 v2, s19, v2
	v_add_co_u32 v12, vcc_lo, s10, v12
	s_delay_alu instid0(VALU_DEP_3)
	v_add_co_ci_u32_e32 v13, vcc_lo, s11, v13, vcc_lo
	v_cmp_le_i32_e32 vcc_lo, s5, v11
	global_load_u16 v3, v[12:13], off
	s_or_b32 s22, vcc_lo, s22
	s_waitcnt vmcnt(0)
	v_cvt_f32_f16_e32 v3, v3
	s_delay_alu instid0(VALU_DEP_1) | instskip(NEXT) | instid1(VALU_DEP_1)
	v_cmp_lt_f32_e64 s2, v10, v3
	v_cndmask_b32_e64 v10, v10, v3, s2
	s_and_not1_b32 exec_lo, exec_lo, s22
	s_cbranch_execnz .LBB197_12
; %bb.13:                               ;   in Loop: Header=BB197_7 Depth=2
	s_or_b32 exec_lo, exec_lo, s22
	s_delay_alu instid0(SALU_CYCLE_1)
	s_or_b32 exec_lo, exec_lo, s21
	v_mov_b32_e32 v11, 0
	s_and_saveexec_b32 s2, s0
	s_cbranch_execz .LBB197_10
.LBB197_14:                             ;   in Loop: Header=BB197_7 Depth=2
	v_dual_mov_b32 v11, 0 :: v_dual_mov_b32 v2, v7
	v_mov_b32_e32 v12, v1
	s_mov_b32 s21, 0
	s_set_inst_prefetch_distance 0x1
	.p2align	6
.LBB197_15:                             ;   Parent Loop BB197_3 Depth=1
                                        ;     Parent Loop BB197_7 Depth=2
                                        ; =>    This Inner Loop Header: Depth=3
	s_delay_alu instid0(VALU_DEP_2) | instskip(NEXT) | instid1(VALU_DEP_2)
	v_ashrrev_i32_e32 v3, 31, v2
	v_add_nc_u32_e32 v12, s15, v12
	s_delay_alu instid0(VALU_DEP_2) | instskip(SKIP_1) | instid1(VALU_DEP_2)
	v_lshlrev_b64 v[13:14], 1, v[2:3]
	v_add_nc_u32_e32 v2, s19, v2
	v_add_co_u32 v13, vcc_lo, s10, v13
	s_delay_alu instid0(VALU_DEP_3) | instskip(SKIP_3) | instid1(VALU_DEP_1)
	v_add_co_ci_u32_e32 v14, vcc_lo, s11, v14, vcc_lo
	global_load_u16 v3, v[13:14], off
	s_waitcnt vmcnt(0)
	v_cvt_f32_f16_e32 v3, v3
	v_sub_f32_e32 v3, v3, v10
	s_delay_alu instid0(VALU_DEP_1) | instskip(SKIP_1) | instid1(VALU_DEP_2)
	v_mul_f32_e32 v13, 0x3fb8aa3b, v3
	v_cmp_ngt_f32_e32 vcc_lo, 0xc2ce8ed0, v3
	v_fma_f32 v14, 0x3fb8aa3b, v3, -v13
	v_rndne_f32_e32 v15, v13
	s_delay_alu instid0(VALU_DEP_2) | instskip(NEXT) | instid1(VALU_DEP_2)
	v_fmac_f32_e32 v14, 0x32a5705f, v3
	v_sub_f32_e32 v13, v13, v15
	s_delay_alu instid0(VALU_DEP_1) | instskip(SKIP_1) | instid1(VALU_DEP_2)
	v_add_f32_e32 v13, v13, v14
	v_cvt_i32_f32_e32 v14, v15
	v_exp_f32_e32 v13, v13
	s_waitcnt_depctr 0xfff
	v_ldexp_f32 v13, v13, v14
	s_delay_alu instid0(VALU_DEP_1) | instskip(SKIP_1) | instid1(VALU_DEP_2)
	v_cndmask_b32_e32 v13, 0, v13, vcc_lo
	v_cmp_nlt_f32_e32 vcc_lo, 0x42b17218, v3
	v_cndmask_b32_e32 v3, 0x7f800000, v13, vcc_lo
	v_cmp_le_i32_e32 vcc_lo, s5, v12
	s_delay_alu instid0(VALU_DEP_2) | instskip(SKIP_1) | instid1(SALU_CYCLE_1)
	v_add_f32_e32 v11, v11, v3
	s_or_b32 s21, vcc_lo, s21
	s_and_not1_b32 exec_lo, exec_lo, s21
	s_cbranch_execnz .LBB197_15
; %bb.16:                               ;   in Loop: Header=BB197_7 Depth=2
	s_set_inst_prefetch_distance 0x2
	s_or_b32 exec_lo, exec_lo, s21
	s_delay_alu instid0(SALU_CYCLE_1)
	s_or_b32 exec_lo, exec_lo, s2
	s_and_saveexec_b32 s21, s0
	s_cbranch_execz .LBB197_19
.LBB197_17:                             ;   in Loop: Header=BB197_7 Depth=2
	v_cmp_gt_f32_e32 vcc_lo, 0x800000, v11
	s_mov_b32 s22, 0
	v_mov_b32_e32 v12, v1
	v_cndmask_b32_e64 v2, 1.0, 0x4f800000, vcc_lo
	s_delay_alu instid0(VALU_DEP_1) | instskip(NEXT) | instid1(VALU_DEP_1)
	v_mul_f32_e32 v2, v11, v2
	v_log_f32_e32 v2, v2
	s_waitcnt_depctr 0xfff
	v_mul_f32_e32 v3, 0x3f317217, v2
	s_delay_alu instid0(VALU_DEP_1) | instskip(NEXT) | instid1(VALU_DEP_1)
	v_fma_f32 v11, 0x3f317217, v2, -v3
	v_fmac_f32_e32 v11, 0x3377d1cf, v2
	s_delay_alu instid0(VALU_DEP_1) | instskip(SKIP_2) | instid1(VALU_DEP_3)
	v_add_f32_e32 v3, v3, v11
	v_cndmask_b32_e64 v11, 0, 0x41b17218, vcc_lo
	v_cmp_gt_f32_e64 vcc_lo, 0x7f800000, |v2|
	v_dual_cndmask_b32 v3, v2, v3 :: v_dual_mov_b32 v2, v7
	s_delay_alu instid0(VALU_DEP_1)
	v_sub_f32_e32 v11, v3, v11
	.p2align	6
.LBB197_18:                             ;   Parent Loop BB197_3 Depth=1
                                        ;     Parent Loop BB197_7 Depth=2
                                        ; =>    This Inner Loop Header: Depth=3
	s_delay_alu instid0(VALU_DEP_2) | instskip(NEXT) | instid1(VALU_DEP_1)
	v_ashrrev_i32_e32 v3, 31, v2
	v_lshlrev_b64 v[13:14], 1, v[2:3]
	s_delay_alu instid0(VALU_DEP_1) | instskip(NEXT) | instid1(VALU_DEP_2)
	v_add_co_u32 v13, vcc_lo, s10, v13
	v_add_co_ci_u32_e32 v14, vcc_lo, s11, v14, vcc_lo
	global_load_u16 v13, v[13:14], off
	s_waitcnt vmcnt(0)
	v_cvt_f32_f16_e32 v13, v13
	s_delay_alu instid0(VALU_DEP_1) | instskip(SKIP_1) | instid1(VALU_DEP_2)
	v_dual_sub_f32 v15, v13, v10 :: v_dual_add_nc_u32 v12, s15, v12
	v_lshlrev_b64 v[13:14], 2, v[2:3]
	v_cmp_le_i32_e32 vcc_lo, s5, v12
	s_delay_alu instid0(VALU_DEP_3) | instskip(NEXT) | instid1(VALU_DEP_3)
	v_dual_sub_f32 v3, v15, v11 :: v_dual_add_nc_u32 v2, s19, v2
	v_add_co_u32 v13, s2, s8, v13
	s_delay_alu instid0(VALU_DEP_1)
	v_add_co_ci_u32_e64 v14, s2, s9, v14, s2
	s_or_b32 s22, vcc_lo, s22
	global_store_b32 v[13:14], v3, off
	s_and_not1_b32 exec_lo, exec_lo, s22
	s_cbranch_execnz .LBB197_18
.LBB197_19:                             ;   in Loop: Header=BB197_7 Depth=2
	s_or_b32 exec_lo, exec_lo, s21
	s_mov_b32 s2, 0
.LBB197_20:                             ;   in Loop: Header=BB197_7 Depth=2
	s_delay_alu instid0(SALU_CYCLE_1)
	s_and_b32 vcc_lo, exec_lo, s2
	s_cbranch_vccz .LBB197_6
; %bb.21:                               ;   in Loop: Header=BB197_7 Depth=2
	v_mov_b32_e32 v10, 0xff7fffff
	s_and_saveexec_b32 s21, s0
	s_cbranch_execz .LBB197_25
; %bb.22:                               ;   in Loop: Header=BB197_7 Depth=2
	v_dual_mov_b32 v10, 0xff7fffff :: v_dual_mov_b32 v11, v1
	v_mov_b32_e32 v2, v7
	s_mov_b32 s22, 0
	.p2align	6
.LBB197_23:                             ;   Parent Loop BB197_3 Depth=1
                                        ;     Parent Loop BB197_7 Depth=2
                                        ; =>    This Inner Loop Header: Depth=3
	s_delay_alu instid0(VALU_DEP_1) | instskip(NEXT) | instid1(VALU_DEP_3)
	v_ashrrev_i32_e32 v3, 31, v2
	v_add_nc_u32_e32 v11, s15, v11
	s_delay_alu instid0(VALU_DEP_2) | instskip(SKIP_1) | instid1(VALU_DEP_2)
	v_lshlrev_b64 v[12:13], 1, v[2:3]
	v_add_nc_u32_e32 v2, s19, v2
	v_add_co_u32 v12, vcc_lo, s10, v12
	s_delay_alu instid0(VALU_DEP_3)
	v_add_co_ci_u32_e32 v13, vcc_lo, s11, v13, vcc_lo
	v_cmp_le_i32_e32 vcc_lo, s5, v11
	global_load_u16 v3, v[12:13], off
	s_or_b32 s22, vcc_lo, s22
	s_waitcnt vmcnt(0)
	v_cvt_f32_f16_e32 v3, v3
	s_delay_alu instid0(VALU_DEP_1) | instskip(NEXT) | instid1(VALU_DEP_1)
	v_cmp_lt_f32_e64 s2, v10, v3
	v_cndmask_b32_e64 v10, v10, v3, s2
	s_and_not1_b32 exec_lo, exec_lo, s22
	s_cbranch_execnz .LBB197_23
; %bb.24:                               ;   in Loop: Header=BB197_7 Depth=2
	s_or_b32 exec_lo, exec_lo, s22
.LBB197_25:                             ;   in Loop: Header=BB197_7 Depth=2
	s_delay_alu instid0(SALU_CYCLE_1)
	s_or_b32 exec_lo, exec_lo, s21
	s_mov_b32 s2, s15
	s_waitcnt_vscnt null, 0x0
	s_barrier
	buffer_gl0_inv
	ds_store_b32 v8, v10
	s_branch .LBB197_27
	.p2align	6
.LBB197_26:                             ;   in Loop: Header=BB197_27 Depth=3
	s_or_b32 exec_lo, exec_lo, s22
	s_cmp_gt_u32 s2, 3
	s_mov_b32 s2, s21
	s_cbranch_scc0 .LBB197_29
.LBB197_27:                             ;   Parent Loop BB197_3 Depth=1
                                        ;     Parent Loop BB197_7 Depth=2
                                        ; =>    This Inner Loop Header: Depth=3
	s_lshr_b32 s21, s2, 1
	s_mov_b32 s22, exec_lo
	s_waitcnt lgkmcnt(0)
	s_barrier
	buffer_gl0_inv
	v_cmpx_gt_u32_e64 s21, v1
	s_cbranch_execz .LBB197_26
; %bb.28:                               ;   in Loop: Header=BB197_27 Depth=3
	v_lshl_add_u32 v2, s21, 2, v8
	ds_load_b32 v3, v8
	ds_load_b32 v2, v2
	s_waitcnt lgkmcnt(0)
	v_cmp_lt_f32_e32 vcc_lo, v3, v2
	v_cndmask_b32_e32 v2, v3, v2, vcc_lo
	ds_store_b32 v8, v2
	s_branch .LBB197_26
.LBB197_29:                             ;   in Loop: Header=BB197_7 Depth=2
	s_waitcnt lgkmcnt(0)
	s_barrier
	buffer_gl0_inv
	ds_load_b32 v10, v6
	v_mov_b32_e32 v11, 0
	s_and_saveexec_b32 s2, s0
	s_cbranch_execz .LBB197_33
; %bb.30:                               ;   in Loop: Header=BB197_7 Depth=2
	v_dual_mov_b32 v11, 0 :: v_dual_mov_b32 v2, v7
	v_mov_b32_e32 v12, v1
	s_mov_b32 s21, 0
	s_set_inst_prefetch_distance 0x1
	.p2align	6
.LBB197_31:                             ;   Parent Loop BB197_3 Depth=1
                                        ;     Parent Loop BB197_7 Depth=2
                                        ; =>    This Inner Loop Header: Depth=3
	s_delay_alu instid0(VALU_DEP_2) | instskip(NEXT) | instid1(VALU_DEP_2)
	v_ashrrev_i32_e32 v3, 31, v2
	v_add_nc_u32_e32 v12, s15, v12
	s_delay_alu instid0(VALU_DEP_2) | instskip(SKIP_1) | instid1(VALU_DEP_2)
	v_lshlrev_b64 v[13:14], 1, v[2:3]
	v_add_nc_u32_e32 v2, s19, v2
	v_add_co_u32 v13, vcc_lo, s10, v13
	s_delay_alu instid0(VALU_DEP_3) | instskip(SKIP_4) | instid1(VALU_DEP_1)
	v_add_co_ci_u32_e32 v14, vcc_lo, s11, v14, vcc_lo
	global_load_u16 v3, v[13:14], off
	s_waitcnt vmcnt(0)
	v_cvt_f32_f16_e32 v3, v3
	s_waitcnt lgkmcnt(0)
	v_sub_f32_e32 v3, v3, v10
	s_delay_alu instid0(VALU_DEP_1) | instskip(SKIP_1) | instid1(VALU_DEP_2)
	v_mul_f32_e32 v13, 0x3fb8aa3b, v3
	v_cmp_ngt_f32_e32 vcc_lo, 0xc2ce8ed0, v3
	v_fma_f32 v14, 0x3fb8aa3b, v3, -v13
	v_rndne_f32_e32 v15, v13
	s_delay_alu instid0(VALU_DEP_2) | instskip(NEXT) | instid1(VALU_DEP_2)
	v_fmac_f32_e32 v14, 0x32a5705f, v3
	v_sub_f32_e32 v13, v13, v15
	s_delay_alu instid0(VALU_DEP_1) | instskip(SKIP_1) | instid1(VALU_DEP_2)
	v_add_f32_e32 v13, v13, v14
	v_cvt_i32_f32_e32 v14, v15
	v_exp_f32_e32 v13, v13
	s_waitcnt_depctr 0xfff
	v_ldexp_f32 v13, v13, v14
	s_delay_alu instid0(VALU_DEP_1) | instskip(SKIP_1) | instid1(VALU_DEP_2)
	v_cndmask_b32_e32 v13, 0, v13, vcc_lo
	v_cmp_nlt_f32_e32 vcc_lo, 0x42b17218, v3
	v_cndmask_b32_e32 v3, 0x7f800000, v13, vcc_lo
	v_cmp_le_i32_e32 vcc_lo, s5, v12
	s_delay_alu instid0(VALU_DEP_2) | instskip(SKIP_1) | instid1(SALU_CYCLE_1)
	v_add_f32_e32 v11, v11, v3
	s_or_b32 s21, vcc_lo, s21
	s_and_not1_b32 exec_lo, exec_lo, s21
	s_cbranch_execnz .LBB197_31
; %bb.32:                               ;   in Loop: Header=BB197_7 Depth=2
	s_set_inst_prefetch_distance 0x2
	s_or_b32 exec_lo, exec_lo, s21
.LBB197_33:                             ;   in Loop: Header=BB197_7 Depth=2
	s_delay_alu instid0(SALU_CYCLE_1)
	s_or_b32 exec_lo, exec_lo, s2
	s_mov_b32 s2, s15
	s_waitcnt lgkmcnt(0)
	s_barrier
	buffer_gl0_inv
	ds_store_b32 v8, v11
	s_branch .LBB197_35
	.p2align	6
.LBB197_34:                             ;   in Loop: Header=BB197_35 Depth=3
	s_or_b32 exec_lo, exec_lo, s22
	s_cmp_gt_u32 s2, 3
	s_mov_b32 s2, s21
	s_cbranch_scc0 .LBB197_37
.LBB197_35:                             ;   Parent Loop BB197_3 Depth=1
                                        ;     Parent Loop BB197_7 Depth=2
                                        ; =>    This Inner Loop Header: Depth=3
	s_lshr_b32 s21, s2, 1
	s_mov_b32 s22, exec_lo
	s_waitcnt lgkmcnt(0)
	s_barrier
	buffer_gl0_inv
	v_cmpx_gt_u32_e64 s21, v1
	s_cbranch_execz .LBB197_34
; %bb.36:                               ;   in Loop: Header=BB197_35 Depth=3
	v_lshl_add_u32 v2, s21, 2, v8
	ds_load_b32 v3, v8
	ds_load_b32 v2, v2
	s_waitcnt lgkmcnt(0)
	v_add_f32_e32 v2, v3, v2
	ds_store_b32 v8, v2
	s_branch .LBB197_34
.LBB197_37:                             ;   in Loop: Header=BB197_7 Depth=2
	s_waitcnt lgkmcnt(0)
	s_barrier
	buffer_gl0_inv
	s_and_saveexec_b32 s21, s0
	s_cbranch_execz .LBB197_5
; %bb.38:                               ;   in Loop: Header=BB197_7 Depth=2
	ds_load_b32 v2, v6
	s_mov_b32 s22, 0
	v_mov_b32_e32 v12, v1
	s_waitcnt lgkmcnt(0)
	v_cmp_gt_f32_e32 vcc_lo, 0x800000, v2
	v_cndmask_b32_e64 v3, 1.0, 0x4f800000, vcc_lo
	s_delay_alu instid0(VALU_DEP_1) | instskip(NEXT) | instid1(VALU_DEP_1)
	v_mul_f32_e32 v2, v2, v3
	v_log_f32_e32 v2, v2
	s_waitcnt_depctr 0xfff
	v_mul_f32_e32 v3, 0x3f317217, v2
	s_delay_alu instid0(VALU_DEP_1) | instskip(NEXT) | instid1(VALU_DEP_1)
	v_fma_f32 v11, 0x3f317217, v2, -v3
	v_fmac_f32_e32 v11, 0x3377d1cf, v2
	s_delay_alu instid0(VALU_DEP_1) | instskip(SKIP_2) | instid1(VALU_DEP_3)
	v_add_f32_e32 v3, v3, v11
	v_cndmask_b32_e64 v11, 0, 0x41b17218, vcc_lo
	v_cmp_gt_f32_e64 vcc_lo, 0x7f800000, |v2|
	v_dual_cndmask_b32 v3, v2, v3 :: v_dual_mov_b32 v2, v7
	s_delay_alu instid0(VALU_DEP_1)
	v_sub_f32_e32 v11, v3, v11
	.p2align	6
.LBB197_39:                             ;   Parent Loop BB197_3 Depth=1
                                        ;     Parent Loop BB197_7 Depth=2
                                        ; =>    This Inner Loop Header: Depth=3
	s_delay_alu instid0(VALU_DEP_2) | instskip(NEXT) | instid1(VALU_DEP_1)
	v_ashrrev_i32_e32 v3, 31, v2
	v_lshlrev_b64 v[13:14], 1, v[2:3]
	s_delay_alu instid0(VALU_DEP_1) | instskip(NEXT) | instid1(VALU_DEP_2)
	v_add_co_u32 v13, vcc_lo, s10, v13
	v_add_co_ci_u32_e32 v14, vcc_lo, s11, v14, vcc_lo
	global_load_u16 v13, v[13:14], off
	s_waitcnt vmcnt(0)
	v_cvt_f32_f16_e32 v13, v13
	s_delay_alu instid0(VALU_DEP_1) | instskip(SKIP_1) | instid1(VALU_DEP_2)
	v_dual_sub_f32 v15, v13, v10 :: v_dual_add_nc_u32 v12, s15, v12
	v_lshlrev_b64 v[13:14], 2, v[2:3]
	v_cmp_le_i32_e32 vcc_lo, s5, v12
	s_delay_alu instid0(VALU_DEP_3) | instskip(NEXT) | instid1(VALU_DEP_3)
	v_dual_sub_f32 v3, v15, v11 :: v_dual_add_nc_u32 v2, s19, v2
	v_add_co_u32 v13, s2, s8, v13
	s_delay_alu instid0(VALU_DEP_1)
	v_add_co_ci_u32_e64 v14, s2, s9, v14, s2
	s_or_b32 s22, vcc_lo, s22
	global_store_b32 v[13:14], v3, off
	s_and_not1_b32 exec_lo, exec_lo, s22
	s_cbranch_execnz .LBB197_39
	s_branch .LBB197_5
.LBB197_40:
	s_nop 0
	s_sendmsg sendmsg(MSG_DEALLOC_VGPRS)
	s_endpgm
	.section	.rodata,"a",@progbits
	.p2align	6, 0x0
	.amdhsa_kernel _ZN2at6native12_GLOBAL__N_126cunn_SpatialSoftMaxForwardIN3c104HalfEffiNS1_25LogSoftMaxForwardEpilogueEEEvPT1_PKT_T2_SB_SB_
		.amdhsa_group_segment_fixed_size 0
		.amdhsa_private_segment_fixed_size 0
		.amdhsa_kernarg_size 288
		.amdhsa_user_sgpr_count 14
		.amdhsa_user_sgpr_dispatch_ptr 0
		.amdhsa_user_sgpr_queue_ptr 0
		.amdhsa_user_sgpr_kernarg_segment_ptr 1
		.amdhsa_user_sgpr_dispatch_id 0
		.amdhsa_user_sgpr_private_segment_size 0
		.amdhsa_wavefront_size32 1
		.amdhsa_uses_dynamic_stack 0
		.amdhsa_enable_private_segment 0
		.amdhsa_system_sgpr_workgroup_id_x 1
		.amdhsa_system_sgpr_workgroup_id_y 1
		.amdhsa_system_sgpr_workgroup_id_z 0
		.amdhsa_system_sgpr_workgroup_info 0
		.amdhsa_system_vgpr_workitem_id 1
		.amdhsa_next_free_vgpr 16
		.amdhsa_next_free_sgpr 23
		.amdhsa_reserve_vcc 1
		.amdhsa_float_round_mode_32 0
		.amdhsa_float_round_mode_16_64 0
		.amdhsa_float_denorm_mode_32 3
		.amdhsa_float_denorm_mode_16_64 3
		.amdhsa_dx10_clamp 1
		.amdhsa_ieee_mode 1
		.amdhsa_fp16_overflow 0
		.amdhsa_workgroup_processor_mode 1
		.amdhsa_memory_ordered 1
		.amdhsa_forward_progress 0
		.amdhsa_shared_vgpr_count 0
		.amdhsa_exception_fp_ieee_invalid_op 0
		.amdhsa_exception_fp_denorm_src 0
		.amdhsa_exception_fp_ieee_div_zero 0
		.amdhsa_exception_fp_ieee_overflow 0
		.amdhsa_exception_fp_ieee_underflow 0
		.amdhsa_exception_fp_ieee_inexact 0
		.amdhsa_exception_int_div_zero 0
	.end_amdhsa_kernel
	.section	.text._ZN2at6native12_GLOBAL__N_126cunn_SpatialSoftMaxForwardIN3c104HalfEffiNS1_25LogSoftMaxForwardEpilogueEEEvPT1_PKT_T2_SB_SB_,"axG",@progbits,_ZN2at6native12_GLOBAL__N_126cunn_SpatialSoftMaxForwardIN3c104HalfEffiNS1_25LogSoftMaxForwardEpilogueEEEvPT1_PKT_T2_SB_SB_,comdat
.Lfunc_end197:
	.size	_ZN2at6native12_GLOBAL__N_126cunn_SpatialSoftMaxForwardIN3c104HalfEffiNS1_25LogSoftMaxForwardEpilogueEEEvPT1_PKT_T2_SB_SB_, .Lfunc_end197-_ZN2at6native12_GLOBAL__N_126cunn_SpatialSoftMaxForwardIN3c104HalfEffiNS1_25LogSoftMaxForwardEpilogueEEEvPT1_PKT_T2_SB_SB_
                                        ; -- End function
	.section	.AMDGPU.csdata,"",@progbits
; Kernel info:
; codeLenInByte = 1972
; NumSgprs: 25
; NumVgprs: 16
; ScratchSize: 0
; MemoryBound: 0
; FloatMode: 240
; IeeeMode: 1
; LDSByteSize: 0 bytes/workgroup (compile time only)
; SGPRBlocks: 3
; VGPRBlocks: 1
; NumSGPRsForWavesPerEU: 25
; NumVGPRsForWavesPerEU: 16
; Occupancy: 16
; WaveLimiterHint : 0
; COMPUTE_PGM_RSRC2:SCRATCH_EN: 0
; COMPUTE_PGM_RSRC2:USER_SGPR: 14
; COMPUTE_PGM_RSRC2:TRAP_HANDLER: 0
; COMPUTE_PGM_RSRC2:TGID_X_EN: 1
; COMPUTE_PGM_RSRC2:TGID_Y_EN: 1
; COMPUTE_PGM_RSRC2:TGID_Z_EN: 0
; COMPUTE_PGM_RSRC2:TIDIG_COMP_CNT: 1
	.section	.text._ZN2at6native12_GLOBAL__N_126cunn_SpatialSoftMaxForwardIN3c104HalfEfS4_lNS1_25LogSoftMaxForwardEpilogueEEEvPT1_PKT_T2_SB_SB_,"axG",@progbits,_ZN2at6native12_GLOBAL__N_126cunn_SpatialSoftMaxForwardIN3c104HalfEfS4_lNS1_25LogSoftMaxForwardEpilogueEEEvPT1_PKT_T2_SB_SB_,comdat
	.globl	_ZN2at6native12_GLOBAL__N_126cunn_SpatialSoftMaxForwardIN3c104HalfEfS4_lNS1_25LogSoftMaxForwardEpilogueEEEvPT1_PKT_T2_SB_SB_ ; -- Begin function _ZN2at6native12_GLOBAL__N_126cunn_SpatialSoftMaxForwardIN3c104HalfEfS4_lNS1_25LogSoftMaxForwardEpilogueEEEvPT1_PKT_T2_SB_SB_
	.p2align	8
	.type	_ZN2at6native12_GLOBAL__N_126cunn_SpatialSoftMaxForwardIN3c104HalfEfS4_lNS1_25LogSoftMaxForwardEpilogueEEEvPT1_PKT_T2_SB_SB_,@function
_ZN2at6native12_GLOBAL__N_126cunn_SpatialSoftMaxForwardIN3c104HalfEfS4_lNS1_25LogSoftMaxForwardEpilogueEEEvPT1_PKT_T2_SB_SB_: ; @_ZN2at6native12_GLOBAL__N_126cunn_SpatialSoftMaxForwardIN3c104HalfEfS4_lNS1_25LogSoftMaxForwardEpilogueEEEvPT1_PKT_T2_SB_SB_
; %bb.0:
	s_load_b256 s[4:11], s[0:1], 0x0
	s_mov_b32 s2, s15
	s_mov_b32 s15, 0
	s_waitcnt lgkmcnt(0)
	v_cmp_ge_i64_e64 s3, s[14:15], s[8:9]
	s_delay_alu instid0(VALU_DEP_1)
	s_and_b32 vcc_lo, exec_lo, s3
	s_cbranch_vccnz .LBB198_40
; %bb.1:
	s_clause 0x1
	s_load_b32 s3, s[0:1], 0x34
	s_load_b128 s[16:19], s[0:1], 0x20
	v_bfe_u32 v1, v0, 10, 10
	v_and_b32_e32 v2, 0x3ff, v0
	s_add_u32 s12, s0, 40
	s_addc_u32 s13, s1, 0
	s_mov_b32 s21, s15
	s_waitcnt lgkmcnt(0)
	s_lshr_b32 s0, s3, 16
	s_mul_i32 s1, s16, s10
	v_mad_u64_u32 v[4:5], null, s2, s0, v[1:2]
	v_mov_b32_e32 v5, 0
	v_mad_u64_u32 v[6:7], null, s16, v2, 0
	s_mul_i32 s2, s16, s11
	s_mul_hi_u32 s3, s16, s10
	s_delay_alu instid0(VALU_DEP_2) | instskip(NEXT) | instid1(VALU_DEP_4)
	v_mov_b32_e32 v3, v5
	v_mad_u64_u32 v[8:9], null, s1, s14, v[4:5]
	s_mul_i32 s20, s17, s10
	s_delay_alu instid0(VALU_DEP_3) | instskip(NEXT) | instid1(VALU_DEP_3)
	v_mov_b32_e32 v0, v7
	v_mad_u64_u32 v[10:11], null, s10, s14, v[2:3]
	s_add_i32 s2, s3, s2
	s_lshl_b64 s[22:23], s[16:17], 1
	s_delay_alu instid0(VALU_DEP_3) | instskip(SKIP_2) | instid1(VALU_DEP_3)
	v_mov_b32_e32 v7, v9
	v_mad_u64_u32 v[12:13], null, s17, v2, v[0:1]
	s_add_i32 s3, s2, s20
	v_mov_b32_e32 v0, v11
	s_delay_alu instid0(VALU_DEP_3) | instskip(SKIP_2) | instid1(VALU_DEP_2)
	v_mad_u64_u32 v[13:14], null, s3, s14, v[7:8]
	s_mul_i32 s20, s19, s0
	s_mul_hi_u32 s0, s1, s18
	v_mad_u64_u32 v[14:15], null, s11, s14, v[0:1]
	s_delay_alu instid0(VALU_DEP_4) | instskip(SKIP_3) | instid1(VALU_DEP_4)
	v_mov_b32_e32 v7, v12
	v_mad_u64_u32 v[11:12], null, s16, v10, v[4:5]
	v_mul_lo_u32 v0, s17, v10
	v_mov_b32_e32 v9, v13
	v_lshlrev_b64 v[6:7], 1, v[6:7]
	v_mul_lo_u32 v10, s16, v14
	s_mul_i32 s3, s3, s18
	s_mul_i32 s2, s1, s18
	v_lshlrev_b64 v[8:9], 1, v[8:9]
	s_add_i32 s3, s0, s3
	v_cmp_gt_i64_e64 s0, s[16:17], v[4:5]
	v_cmp_gt_i64_e64 s1, s[10:11], v[2:3]
	s_delay_alu instid0(VALU_DEP_4) | instskip(NEXT) | instid1(VALU_DEP_4)
	v_add3_u32 v12, v0, v12, v10
	v_add_co_u32 v0, vcc_lo, v6, v8
	v_add_co_ci_u32_e32 v7, vcc_lo, v7, v9, vcc_lo
	s_delay_alu instid0(VALU_DEP_3) | instskip(NEXT) | instid1(VALU_DEP_3)
	v_lshlrev_b64 v[10:11], 1, v[11:12]
	v_add_co_u32 v6, vcc_lo, s6, v0
	s_delay_alu instid0(VALU_DEP_3) | instskip(NEXT) | instid1(VALU_DEP_3)
	v_add_co_ci_u32_e32 v7, vcc_lo, s7, v7, vcc_lo
	v_add_co_u32 v8, vcc_lo, s6, v10
	s_delay_alu instid0(VALU_DEP_4)
	v_add_co_ci_u32_e32 v9, vcc_lo, s7, v11, vcc_lo
	v_add_co_u32 v10, vcc_lo, s4, v10
	v_add_co_ci_u32_e32 v11, vcc_lo, s5, v11, vcc_lo
	s_lshl_b64 s[4:5], s[2:3], 1
	s_lshl_b64 s[6:7], s[20:21], 1
	s_branch .LBB198_3
.LBB198_2:                              ;   in Loop: Header=BB198_3 Depth=1
	s_or_b32 exec_lo, exec_lo, s3
	v_add_co_u32 v6, vcc_lo, v6, s4
	s_add_u32 s14, s14, s18
	v_add_co_ci_u32_e32 v7, vcc_lo, s5, v7, vcc_lo
	s_addc_u32 s15, s15, 0
	v_add_co_u32 v8, vcc_lo, v8, s4
	v_cmp_ge_i64_e64 s2, s[14:15], s[8:9]
	v_add_co_ci_u32_e32 v9, vcc_lo, s5, v9, vcc_lo
	v_add_co_u32 v10, vcc_lo, v10, s4
	v_add_co_ci_u32_e32 v11, vcc_lo, s5, v11, vcc_lo
	s_delay_alu instid0(VALU_DEP_4)
	s_and_b32 vcc_lo, exec_lo, s2
	s_cbranch_vccnz .LBB198_40
.LBB198_3:                              ; =>This Loop Header: Depth=1
                                        ;     Child Loop BB198_7 Depth 2
                                        ;       Child Loop BB198_12 Depth 3
                                        ;       Child Loop BB198_15 Depth 3
	;; [unrolled: 1-line block ×8, first 2 shown]
	s_and_saveexec_b32 s3, s0
	s_cbranch_execz .LBB198_2
; %bb.4:                                ;   in Loop: Header=BB198_3 Depth=1
	s_load_b32 s2, s[12:13], 0xc
	v_dual_mov_b32 v13, v11 :: v_dual_mov_b32 v12, v10
	v_dual_mov_b32 v15, v9 :: v_dual_mov_b32 v14, v8
	;; [unrolled: 1-line block ×4, first 2 shown]
	s_mov_b32 s28, 0
	s_waitcnt lgkmcnt(0)
	s_and_b32 s19, s2, 0xffff
	v_cmp_lt_u16_e64 s21, s2, 2
	v_mul_u32_u24_e32 v0, s19, v1
	s_mul_i32 s2, s23, s19
	s_mul_hi_u32 s24, s22, s19
	s_mul_i32 s27, s22, s19
	s_add_i32 s26, s24, s2
	v_lshl_add_u32 v0, v0, 2, 0
	s_delay_alu instid0(VALU_DEP_1)
	v_lshl_add_u32 v24, v2, 2, v0
	s_branch .LBB198_7
.LBB198_5:                              ;   in Loop: Header=BB198_7 Depth=2
	s_or_b32 exec_lo, exec_lo, s29
.LBB198_6:                              ;   in Loop: Header=BB198_7 Depth=2
	v_add_co_u32 v18, vcc_lo, v18, s20
	v_add_co_ci_u32_e32 v19, vcc_lo, 0, v19, vcc_lo
	v_add_co_u32 v16, vcc_lo, v16, s6
	v_add_co_ci_u32_e32 v17, vcc_lo, s7, v17, vcc_lo
	;; [unrolled: 2-line block ×3, first 2 shown]
	v_cmp_le_i64_e32 vcc_lo, s[16:17], v[18:19]
	v_add_co_u32 v12, s2, v12, s6
	s_delay_alu instid0(VALU_DEP_1) | instskip(SKIP_1) | instid1(SALU_CYCLE_1)
	v_add_co_ci_u32_e64 v13, s2, s7, v13, s2
	s_or_b32 s28, vcc_lo, s28
	s_and_not1_b32 exec_lo, exec_lo, s28
	s_cbranch_execz .LBB198_2
.LBB198_7:                              ;   Parent Loop BB198_3 Depth=1
                                        ; =>  This Loop Header: Depth=2
                                        ;       Child Loop BB198_12 Depth 3
                                        ;       Child Loop BB198_15 Depth 3
	;; [unrolled: 1-line block ×8, first 2 shown]
	s_and_b32 vcc_lo, exec_lo, s21
	s_mov_b32 s2, -1
	s_cbranch_vccz .LBB198_20
; %bb.8:                                ;   in Loop: Header=BB198_7 Depth=2
	v_mov_b32_e32 v25, 0xff7fffff
	s_and_saveexec_b32 s24, s1
	s_cbranch_execnz .LBB198_11
; %bb.9:                                ;   in Loop: Header=BB198_7 Depth=2
	s_or_b32 exec_lo, exec_lo, s24
	v_mov_b32_e32 v26, 0
	s_and_saveexec_b32 s24, s1
	s_cbranch_execnz .LBB198_14
.LBB198_10:                             ;   in Loop: Header=BB198_7 Depth=2
	s_or_b32 exec_lo, exec_lo, s24
	s_and_saveexec_b32 s29, s1
	s_cbranch_execnz .LBB198_17
	s_branch .LBB198_19
.LBB198_11:                             ;   in Loop: Header=BB198_7 Depth=2
	v_mov_b32_e32 v21, v17
	v_dual_mov_b32 v23, v3 :: v_dual_mov_b32 v22, v2
	v_dual_mov_b32 v25, 0xff7fffff :: v_dual_mov_b32 v20, v16
	s_mov_b32 s25, 0
.LBB198_12:                             ;   Parent Loop BB198_3 Depth=1
                                        ;     Parent Loop BB198_7 Depth=2
                                        ; =>    This Inner Loop Header: Depth=3
	global_load_u16 v26, v[20:21], off
	v_add_co_u32 v22, vcc_lo, v22, s19
	v_add_co_ci_u32_e32 v23, vcc_lo, 0, v23, vcc_lo
	v_add_co_u32 v20, vcc_lo, v20, s27
	v_add_co_ci_u32_e32 v21, vcc_lo, s26, v21, vcc_lo
	s_delay_alu instid0(VALU_DEP_3) | instskip(NEXT) | instid1(VALU_DEP_1)
	v_cmp_le_i64_e64 s2, s[10:11], v[22:23]
	s_or_b32 s25, s2, s25
	s_waitcnt vmcnt(0)
	v_cvt_f32_f16_e32 v26, v26
	s_delay_alu instid0(VALU_DEP_1)
	v_cmp_lt_f32_e32 vcc_lo, v25, v26
	v_cndmask_b32_e32 v25, v25, v26, vcc_lo
	s_and_not1_b32 exec_lo, exec_lo, s25
	s_cbranch_execnz .LBB198_12
; %bb.13:                               ;   in Loop: Header=BB198_7 Depth=2
	s_or_b32 exec_lo, exec_lo, s25
	s_delay_alu instid0(SALU_CYCLE_1)
	s_or_b32 exec_lo, exec_lo, s24
	v_mov_b32_e32 v26, 0
	s_and_saveexec_b32 s24, s1
	s_cbranch_execz .LBB198_10
.LBB198_14:                             ;   in Loop: Header=BB198_7 Depth=2
	v_dual_mov_b32 v26, 0 :: v_dual_mov_b32 v21, v17
	v_dual_mov_b32 v20, v16 :: v_dual_mov_b32 v23, v3
	v_mov_b32_e32 v22, v2
	s_mov_b32 s25, 0
	s_set_inst_prefetch_distance 0x1
	.p2align	6
.LBB198_15:                             ;   Parent Loop BB198_3 Depth=1
                                        ;     Parent Loop BB198_7 Depth=2
                                        ; =>    This Inner Loop Header: Depth=3
	global_load_u16 v27, v[20:21], off
	v_add_co_u32 v22, vcc_lo, v22, s19
	v_add_co_ci_u32_e32 v23, vcc_lo, 0, v23, vcc_lo
	s_delay_alu instid0(VALU_DEP_1) | instskip(SKIP_3) | instid1(VALU_DEP_1)
	v_cmp_le_i64_e32 vcc_lo, s[10:11], v[22:23]
	s_or_b32 s25, vcc_lo, s25
	s_waitcnt vmcnt(0)
	v_cvt_f32_f16_e32 v27, v27
	v_sub_f32_e32 v27, v27, v25
	s_delay_alu instid0(VALU_DEP_1) | instskip(NEXT) | instid1(VALU_DEP_1)
	v_mul_f32_e32 v28, 0x3fb8aa3b, v27
	v_fma_f32 v29, 0x3fb8aa3b, v27, -v28
	v_rndne_f32_e32 v30, v28
	s_delay_alu instid0(VALU_DEP_1) | instskip(SKIP_1) | instid1(VALU_DEP_2)
	v_dual_sub_f32 v28, v28, v30 :: v_dual_fmac_f32 v29, 0x32a5705f, v27
	v_cmp_ngt_f32_e64 s2, 0xc2ce8ed0, v27
	v_add_f32_e32 v28, v28, v29
	v_cvt_i32_f32_e32 v29, v30
	s_delay_alu instid0(VALU_DEP_2) | instskip(SKIP_2) | instid1(VALU_DEP_1)
	v_exp_f32_e32 v28, v28
	s_waitcnt_depctr 0xfff
	v_ldexp_f32 v28, v28, v29
	v_cndmask_b32_e64 v28, 0, v28, s2
	v_cmp_nlt_f32_e64 s2, 0x42b17218, v27
	s_delay_alu instid0(VALU_DEP_1) | instskip(SKIP_1) | instid1(VALU_DEP_1)
	v_cndmask_b32_e64 v27, 0x7f800000, v28, s2
	v_add_co_u32 v20, s2, v20, s27
	v_add_co_ci_u32_e64 v21, s2, s26, v21, s2
	s_delay_alu instid0(VALU_DEP_3)
	v_add_f32_e32 v26, v26, v27
	s_and_not1_b32 exec_lo, exec_lo, s25
	s_cbranch_execnz .LBB198_15
; %bb.16:                               ;   in Loop: Header=BB198_7 Depth=2
	s_set_inst_prefetch_distance 0x2
	s_or_b32 exec_lo, exec_lo, s25
	s_delay_alu instid0(SALU_CYCLE_1)
	s_or_b32 exec_lo, exec_lo, s24
	s_and_saveexec_b32 s29, s1
	s_cbranch_execz .LBB198_19
.LBB198_17:                             ;   in Loop: Header=BB198_7 Depth=2
	v_cmp_gt_f32_e32 vcc_lo, 0x800000, v26
	s_mov_b64 s[24:25], 0
	s_mov_b32 s30, 0
	v_cndmask_b32_e64 v20, 1.0, 0x4f800000, vcc_lo
	s_delay_alu instid0(VALU_DEP_1) | instskip(NEXT) | instid1(VALU_DEP_1)
	v_mul_f32_e32 v20, v26, v20
	v_log_f32_e32 v20, v20
	s_waitcnt_depctr 0xfff
	v_mul_f32_e32 v21, 0x3f317217, v20
	s_delay_alu instid0(VALU_DEP_1) | instskip(NEXT) | instid1(VALU_DEP_1)
	v_fma_f32 v22, 0x3f317217, v20, -v21
	v_fmac_f32_e32 v22, 0x3377d1cf, v20
	s_delay_alu instid0(VALU_DEP_1) | instskip(SKIP_2) | instid1(VALU_DEP_3)
	v_add_f32_e32 v21, v21, v22
	v_cndmask_b32_e64 v22, 0, 0x41b17218, vcc_lo
	v_cmp_gt_f32_e64 vcc_lo, 0x7f800000, |v20|
	v_cndmask_b32_e32 v20, v20, v21, vcc_lo
	s_delay_alu instid0(VALU_DEP_1)
	v_dual_sub_f32 v22, v20, v22 :: v_dual_mov_b32 v21, v3
	v_mov_b32_e32 v20, v2
	.p2align	6
.LBB198_18:                             ;   Parent Loop BB198_3 Depth=1
                                        ;     Parent Loop BB198_7 Depth=2
                                        ; =>    This Inner Loop Header: Depth=3
	v_add_co_u32 v26, vcc_lo, v14, s24
	v_add_co_ci_u32_e32 v27, vcc_lo, s25, v15, vcc_lo
	s_delay_alu instid0(VALU_DEP_3)
	v_add_co_u32 v20, vcc_lo, v20, s19
	v_add_co_ci_u32_e32 v21, vcc_lo, 0, v21, vcc_lo
	global_load_u16 v23, v[26:27], off
	v_add_co_u32 v26, vcc_lo, v12, s24
	v_cmp_le_i64_e64 s2, s[10:11], v[20:21]
	v_add_co_ci_u32_e32 v27, vcc_lo, s25, v13, vcc_lo
	s_add_u32 s24, s24, s27
	s_addc_u32 s25, s25, s26
	s_delay_alu instid0(VALU_DEP_2) | instskip(SKIP_2) | instid1(VALU_DEP_1)
	s_or_b32 s30, s2, s30
	s_waitcnt vmcnt(0)
	v_cvt_f32_f16_e32 v23, v23
	v_sub_f32_e32 v23, v23, v25
	s_delay_alu instid0(VALU_DEP_1) | instskip(NEXT) | instid1(VALU_DEP_1)
	v_sub_f32_e32 v23, v23, v22
	v_cvt_f16_f32_e32 v23, v23
	global_store_b16 v[26:27], v23, off
	s_and_not1_b32 exec_lo, exec_lo, s30
	s_cbranch_execnz .LBB198_18
.LBB198_19:                             ;   in Loop: Header=BB198_7 Depth=2
	s_or_b32 exec_lo, exec_lo, s29
	s_mov_b32 s2, 0
.LBB198_20:                             ;   in Loop: Header=BB198_7 Depth=2
	s_delay_alu instid0(SALU_CYCLE_1)
	s_and_b32 vcc_lo, exec_lo, s2
	s_cbranch_vccz .LBB198_6
; %bb.21:                               ;   in Loop: Header=BB198_7 Depth=2
	v_mov_b32_e32 v25, 0xff7fffff
	s_and_saveexec_b32 s24, s1
	s_cbranch_execz .LBB198_25
; %bb.22:                               ;   in Loop: Header=BB198_7 Depth=2
	v_mov_b32_e32 v21, v17
	v_dual_mov_b32 v23, v3 :: v_dual_mov_b32 v22, v2
	v_dual_mov_b32 v25, 0xff7fffff :: v_dual_mov_b32 v20, v16
	s_mov_b32 s25, 0
.LBB198_23:                             ;   Parent Loop BB198_3 Depth=1
                                        ;     Parent Loop BB198_7 Depth=2
                                        ; =>    This Inner Loop Header: Depth=3
	global_load_u16 v26, v[20:21], off
	v_add_co_u32 v22, vcc_lo, v22, s19
	v_add_co_ci_u32_e32 v23, vcc_lo, 0, v23, vcc_lo
	v_add_co_u32 v20, vcc_lo, v20, s27
	v_add_co_ci_u32_e32 v21, vcc_lo, s26, v21, vcc_lo
	s_delay_alu instid0(VALU_DEP_3) | instskip(NEXT) | instid1(VALU_DEP_1)
	v_cmp_le_i64_e64 s2, s[10:11], v[22:23]
	s_or_b32 s25, s2, s25
	s_waitcnt vmcnt(0)
	v_cvt_f32_f16_e32 v26, v26
	s_delay_alu instid0(VALU_DEP_1)
	v_cmp_lt_f32_e32 vcc_lo, v25, v26
	v_cndmask_b32_e32 v25, v25, v26, vcc_lo
	s_and_not1_b32 exec_lo, exec_lo, s25
	s_cbranch_execnz .LBB198_23
; %bb.24:                               ;   in Loop: Header=BB198_7 Depth=2
	s_or_b32 exec_lo, exec_lo, s25
.LBB198_25:                             ;   in Loop: Header=BB198_7 Depth=2
	s_delay_alu instid0(SALU_CYCLE_1)
	s_or_b32 exec_lo, exec_lo, s24
	s_mov_b32 s2, s19
	s_waitcnt_vscnt null, 0x0
	s_barrier
	buffer_gl0_inv
	ds_store_b32 v24, v25
	s_branch .LBB198_27
	.p2align	6
.LBB198_26:                             ;   in Loop: Header=BB198_27 Depth=3
	s_or_b32 exec_lo, exec_lo, s25
	s_cmp_gt_u32 s2, 3
	s_mov_b32 s2, s24
	s_cbranch_scc0 .LBB198_29
.LBB198_27:                             ;   Parent Loop BB198_3 Depth=1
                                        ;     Parent Loop BB198_7 Depth=2
                                        ; =>    This Inner Loop Header: Depth=3
	s_lshr_b32 s24, s2, 1
	s_mov_b32 s25, exec_lo
	s_waitcnt lgkmcnt(0)
	s_barrier
	buffer_gl0_inv
	v_cmpx_gt_u32_e64 s24, v2
	s_cbranch_execz .LBB198_26
; %bb.28:                               ;   in Loop: Header=BB198_27 Depth=3
	v_lshl_add_u32 v20, s24, 2, v24
	ds_load_b32 v21, v24
	ds_load_b32 v20, v20
	s_waitcnt lgkmcnt(0)
	v_cmp_lt_f32_e32 vcc_lo, v21, v20
	v_cndmask_b32_e32 v20, v21, v20, vcc_lo
	ds_store_b32 v24, v20
	s_branch .LBB198_26
.LBB198_29:                             ;   in Loop: Header=BB198_7 Depth=2
	s_waitcnt lgkmcnt(0)
	s_barrier
	buffer_gl0_inv
	ds_load_b32 v25, v0
	v_mov_b32_e32 v26, 0
	s_and_saveexec_b32 s24, s1
	s_cbranch_execz .LBB198_33
; %bb.30:                               ;   in Loop: Header=BB198_7 Depth=2
	v_dual_mov_b32 v26, 0 :: v_dual_mov_b32 v21, v17
	v_dual_mov_b32 v20, v16 :: v_dual_mov_b32 v23, v3
	v_mov_b32_e32 v22, v2
	s_mov_b32 s25, 0
	s_set_inst_prefetch_distance 0x1
	.p2align	6
.LBB198_31:                             ;   Parent Loop BB198_3 Depth=1
                                        ;     Parent Loop BB198_7 Depth=2
                                        ; =>    This Inner Loop Header: Depth=3
	global_load_u16 v27, v[20:21], off
	v_add_co_u32 v22, vcc_lo, v22, s19
	v_add_co_ci_u32_e32 v23, vcc_lo, 0, v23, vcc_lo
	s_delay_alu instid0(VALU_DEP_1) | instskip(SKIP_4) | instid1(VALU_DEP_1)
	v_cmp_le_i64_e32 vcc_lo, s[10:11], v[22:23]
	s_or_b32 s25, vcc_lo, s25
	s_waitcnt vmcnt(0)
	v_cvt_f32_f16_e32 v27, v27
	s_waitcnt lgkmcnt(0)
	v_sub_f32_e32 v27, v27, v25
	s_delay_alu instid0(VALU_DEP_1) | instskip(NEXT) | instid1(VALU_DEP_1)
	v_mul_f32_e32 v28, 0x3fb8aa3b, v27
	v_fma_f32 v29, 0x3fb8aa3b, v27, -v28
	v_rndne_f32_e32 v30, v28
	s_delay_alu instid0(VALU_DEP_1) | instskip(SKIP_1) | instid1(VALU_DEP_2)
	v_dual_sub_f32 v28, v28, v30 :: v_dual_fmac_f32 v29, 0x32a5705f, v27
	v_cmp_ngt_f32_e64 s2, 0xc2ce8ed0, v27
	v_add_f32_e32 v28, v28, v29
	v_cvt_i32_f32_e32 v29, v30
	s_delay_alu instid0(VALU_DEP_2) | instskip(SKIP_2) | instid1(VALU_DEP_1)
	v_exp_f32_e32 v28, v28
	s_waitcnt_depctr 0xfff
	v_ldexp_f32 v28, v28, v29
	v_cndmask_b32_e64 v28, 0, v28, s2
	v_cmp_nlt_f32_e64 s2, 0x42b17218, v27
	s_delay_alu instid0(VALU_DEP_1) | instskip(SKIP_1) | instid1(VALU_DEP_1)
	v_cndmask_b32_e64 v27, 0x7f800000, v28, s2
	v_add_co_u32 v20, s2, v20, s27
	v_add_co_ci_u32_e64 v21, s2, s26, v21, s2
	s_delay_alu instid0(VALU_DEP_3)
	v_add_f32_e32 v26, v26, v27
	s_and_not1_b32 exec_lo, exec_lo, s25
	s_cbranch_execnz .LBB198_31
; %bb.32:                               ;   in Loop: Header=BB198_7 Depth=2
	s_set_inst_prefetch_distance 0x2
	s_or_b32 exec_lo, exec_lo, s25
.LBB198_33:                             ;   in Loop: Header=BB198_7 Depth=2
	s_delay_alu instid0(SALU_CYCLE_1)
	s_or_b32 exec_lo, exec_lo, s24
	s_mov_b32 s2, s19
	s_waitcnt lgkmcnt(0)
	s_barrier
	buffer_gl0_inv
	ds_store_b32 v24, v26
	s_branch .LBB198_35
	.p2align	6
.LBB198_34:                             ;   in Loop: Header=BB198_35 Depth=3
	s_or_b32 exec_lo, exec_lo, s25
	s_cmp_gt_u32 s2, 3
	s_mov_b32 s2, s24
	s_cbranch_scc0 .LBB198_37
.LBB198_35:                             ;   Parent Loop BB198_3 Depth=1
                                        ;     Parent Loop BB198_7 Depth=2
                                        ; =>    This Inner Loop Header: Depth=3
	s_lshr_b32 s24, s2, 1
	s_mov_b32 s25, exec_lo
	s_waitcnt lgkmcnt(0)
	s_barrier
	buffer_gl0_inv
	v_cmpx_gt_u32_e64 s24, v2
	s_cbranch_execz .LBB198_34
; %bb.36:                               ;   in Loop: Header=BB198_35 Depth=3
	v_lshl_add_u32 v20, s24, 2, v24
	ds_load_b32 v21, v24
	ds_load_b32 v20, v20
	s_waitcnt lgkmcnt(0)
	v_add_f32_e32 v20, v21, v20
	ds_store_b32 v24, v20
	s_branch .LBB198_34
.LBB198_37:                             ;   in Loop: Header=BB198_7 Depth=2
	s_waitcnt lgkmcnt(0)
	s_barrier
	buffer_gl0_inv
	s_and_saveexec_b32 s29, s1
	s_cbranch_execz .LBB198_5
; %bb.38:                               ;   in Loop: Header=BB198_7 Depth=2
	ds_load_b32 v20, v0
	s_mov_b64 s[24:25], 0
	s_mov_b32 s30, 0
	s_waitcnt lgkmcnt(0)
	v_cmp_gt_f32_e32 vcc_lo, 0x800000, v20
	v_cndmask_b32_e64 v21, 1.0, 0x4f800000, vcc_lo
	s_delay_alu instid0(VALU_DEP_1) | instskip(NEXT) | instid1(VALU_DEP_1)
	v_mul_f32_e32 v20, v20, v21
	v_log_f32_e32 v20, v20
	s_waitcnt_depctr 0xfff
	v_mul_f32_e32 v21, 0x3f317217, v20
	s_delay_alu instid0(VALU_DEP_1) | instskip(NEXT) | instid1(VALU_DEP_1)
	v_fma_f32 v22, 0x3f317217, v20, -v21
	v_fmac_f32_e32 v22, 0x3377d1cf, v20
	s_delay_alu instid0(VALU_DEP_1) | instskip(SKIP_2) | instid1(VALU_DEP_3)
	v_add_f32_e32 v21, v21, v22
	v_cndmask_b32_e64 v22, 0, 0x41b17218, vcc_lo
	v_cmp_gt_f32_e64 vcc_lo, 0x7f800000, |v20|
	v_cndmask_b32_e32 v20, v20, v21, vcc_lo
	s_delay_alu instid0(VALU_DEP_1)
	v_dual_sub_f32 v22, v20, v22 :: v_dual_mov_b32 v21, v3
	v_mov_b32_e32 v20, v2
	.p2align	6
.LBB198_39:                             ;   Parent Loop BB198_3 Depth=1
                                        ;     Parent Loop BB198_7 Depth=2
                                        ; =>    This Inner Loop Header: Depth=3
	v_add_co_u32 v26, vcc_lo, v14, s24
	v_add_co_ci_u32_e32 v27, vcc_lo, s25, v15, vcc_lo
	s_delay_alu instid0(VALU_DEP_3)
	v_add_co_u32 v20, vcc_lo, v20, s19
	v_add_co_ci_u32_e32 v21, vcc_lo, 0, v21, vcc_lo
	global_load_u16 v23, v[26:27], off
	v_add_co_u32 v26, vcc_lo, v12, s24
	v_cmp_le_i64_e64 s2, s[10:11], v[20:21]
	v_add_co_ci_u32_e32 v27, vcc_lo, s25, v13, vcc_lo
	s_add_u32 s24, s24, s27
	s_addc_u32 s25, s25, s26
	s_delay_alu instid0(VALU_DEP_2) | instskip(SKIP_2) | instid1(VALU_DEP_1)
	s_or_b32 s30, s2, s30
	s_waitcnt vmcnt(0)
	v_cvt_f32_f16_e32 v23, v23
	v_sub_f32_e32 v23, v23, v25
	s_delay_alu instid0(VALU_DEP_1) | instskip(NEXT) | instid1(VALU_DEP_1)
	v_sub_f32_e32 v23, v23, v22
	v_cvt_f16_f32_e32 v23, v23
	global_store_b16 v[26:27], v23, off
	s_and_not1_b32 exec_lo, exec_lo, s30
	s_cbranch_execnz .LBB198_39
	s_branch .LBB198_5
.LBB198_40:
	s_nop 0
	s_sendmsg sendmsg(MSG_DEALLOC_VGPRS)
	s_endpgm
	.section	.rodata,"a",@progbits
	.p2align	6, 0x0
	.amdhsa_kernel _ZN2at6native12_GLOBAL__N_126cunn_SpatialSoftMaxForwardIN3c104HalfEfS4_lNS1_25LogSoftMaxForwardEpilogueEEEvPT1_PKT_T2_SB_SB_
		.amdhsa_group_segment_fixed_size 0
		.amdhsa_private_segment_fixed_size 0
		.amdhsa_kernarg_size 296
		.amdhsa_user_sgpr_count 14
		.amdhsa_user_sgpr_dispatch_ptr 0
		.amdhsa_user_sgpr_queue_ptr 0
		.amdhsa_user_sgpr_kernarg_segment_ptr 1
		.amdhsa_user_sgpr_dispatch_id 0
		.amdhsa_user_sgpr_private_segment_size 0
		.amdhsa_wavefront_size32 1
		.amdhsa_uses_dynamic_stack 0
		.amdhsa_enable_private_segment 0
		.amdhsa_system_sgpr_workgroup_id_x 1
		.amdhsa_system_sgpr_workgroup_id_y 1
		.amdhsa_system_sgpr_workgroup_id_z 0
		.amdhsa_system_sgpr_workgroup_info 0
		.amdhsa_system_vgpr_workitem_id 1
		.amdhsa_next_free_vgpr 31
		.amdhsa_next_free_sgpr 31
		.amdhsa_reserve_vcc 1
		.amdhsa_float_round_mode_32 0
		.amdhsa_float_round_mode_16_64 0
		.amdhsa_float_denorm_mode_32 3
		.amdhsa_float_denorm_mode_16_64 3
		.amdhsa_dx10_clamp 1
		.amdhsa_ieee_mode 1
		.amdhsa_fp16_overflow 0
		.amdhsa_workgroup_processor_mode 1
		.amdhsa_memory_ordered 1
		.amdhsa_forward_progress 0
		.amdhsa_shared_vgpr_count 0
		.amdhsa_exception_fp_ieee_invalid_op 0
		.amdhsa_exception_fp_denorm_src 0
		.amdhsa_exception_fp_ieee_div_zero 0
		.amdhsa_exception_fp_ieee_overflow 0
		.amdhsa_exception_fp_ieee_underflow 0
		.amdhsa_exception_fp_ieee_inexact 0
		.amdhsa_exception_int_div_zero 0
	.end_amdhsa_kernel
	.section	.text._ZN2at6native12_GLOBAL__N_126cunn_SpatialSoftMaxForwardIN3c104HalfEfS4_lNS1_25LogSoftMaxForwardEpilogueEEEvPT1_PKT_T2_SB_SB_,"axG",@progbits,_ZN2at6native12_GLOBAL__N_126cunn_SpatialSoftMaxForwardIN3c104HalfEfS4_lNS1_25LogSoftMaxForwardEpilogueEEEvPT1_PKT_T2_SB_SB_,comdat
.Lfunc_end198:
	.size	_ZN2at6native12_GLOBAL__N_126cunn_SpatialSoftMaxForwardIN3c104HalfEfS4_lNS1_25LogSoftMaxForwardEpilogueEEEvPT1_PKT_T2_SB_SB_, .Lfunc_end198-_ZN2at6native12_GLOBAL__N_126cunn_SpatialSoftMaxForwardIN3c104HalfEfS4_lNS1_25LogSoftMaxForwardEpilogueEEEvPT1_PKT_T2_SB_SB_
                                        ; -- End function
	.section	.AMDGPU.csdata,"",@progbits
; Kernel info:
; codeLenInByte = 2316
; NumSgprs: 33
; NumVgprs: 31
; ScratchSize: 0
; MemoryBound: 0
; FloatMode: 240
; IeeeMode: 1
; LDSByteSize: 0 bytes/workgroup (compile time only)
; SGPRBlocks: 4
; VGPRBlocks: 3
; NumSGPRsForWavesPerEU: 33
; NumVGPRsForWavesPerEU: 31
; Occupancy: 16
; WaveLimiterHint : 0
; COMPUTE_PGM_RSRC2:SCRATCH_EN: 0
; COMPUTE_PGM_RSRC2:USER_SGPR: 14
; COMPUTE_PGM_RSRC2:TRAP_HANDLER: 0
; COMPUTE_PGM_RSRC2:TGID_X_EN: 1
; COMPUTE_PGM_RSRC2:TGID_Y_EN: 1
; COMPUTE_PGM_RSRC2:TGID_Z_EN: 0
; COMPUTE_PGM_RSRC2:TIDIG_COMP_CNT: 1
	.section	.text._ZN2at6native12_GLOBAL__N_126cunn_SpatialSoftMaxForwardIN3c104HalfEfflNS1_25LogSoftMaxForwardEpilogueEEEvPT1_PKT_T2_SB_SB_,"axG",@progbits,_ZN2at6native12_GLOBAL__N_126cunn_SpatialSoftMaxForwardIN3c104HalfEfflNS1_25LogSoftMaxForwardEpilogueEEEvPT1_PKT_T2_SB_SB_,comdat
	.globl	_ZN2at6native12_GLOBAL__N_126cunn_SpatialSoftMaxForwardIN3c104HalfEfflNS1_25LogSoftMaxForwardEpilogueEEEvPT1_PKT_T2_SB_SB_ ; -- Begin function _ZN2at6native12_GLOBAL__N_126cunn_SpatialSoftMaxForwardIN3c104HalfEfflNS1_25LogSoftMaxForwardEpilogueEEEvPT1_PKT_T2_SB_SB_
	.p2align	8
	.type	_ZN2at6native12_GLOBAL__N_126cunn_SpatialSoftMaxForwardIN3c104HalfEfflNS1_25LogSoftMaxForwardEpilogueEEEvPT1_PKT_T2_SB_SB_,@function
_ZN2at6native12_GLOBAL__N_126cunn_SpatialSoftMaxForwardIN3c104HalfEfflNS1_25LogSoftMaxForwardEpilogueEEEvPT1_PKT_T2_SB_SB_: ; @_ZN2at6native12_GLOBAL__N_126cunn_SpatialSoftMaxForwardIN3c104HalfEfflNS1_25LogSoftMaxForwardEpilogueEEEvPT1_PKT_T2_SB_SB_
; %bb.0:
	s_load_b256 s[4:11], s[0:1], 0x0
	s_mov_b32 s2, s15
	s_mov_b32 s15, 0
	s_waitcnt lgkmcnt(0)
	v_cmp_ge_i64_e64 s3, s[14:15], s[8:9]
	s_delay_alu instid0(VALU_DEP_1)
	s_and_b32 vcc_lo, exec_lo, s3
	s_cbranch_vccnz .LBB199_40
; %bb.1:
	s_clause 0x1
	s_load_b32 s3, s[0:1], 0x34
	s_load_b128 s[16:19], s[0:1], 0x20
	v_bfe_u32 v1, v0, 10, 10
	v_and_b32_e32 v2, 0x3ff, v0
	s_add_u32 s12, s0, 40
	s_addc_u32 s13, s1, 0
	s_mov_b32 s21, s15
	s_waitcnt lgkmcnt(0)
	s_lshr_b32 s0, s3, 16
	s_mul_i32 s24, s16, s10
	v_mad_u64_u32 v[4:5], null, s2, s0, v[1:2]
	v_mov_b32_e32 v5, 0
	v_mad_u64_u32 v[6:7], null, s16, v2, 0
	s_mul_i32 s1, s16, s11
	s_mul_hi_u32 s2, s16, s10
	s_delay_alu instid0(VALU_DEP_2) | instskip(NEXT) | instid1(VALU_DEP_4)
	v_mov_b32_e32 v3, v5
	v_mad_u64_u32 v[8:9], null, s24, s14, v[4:5]
	s_mul_i32 s3, s17, s10
	s_delay_alu instid0(VALU_DEP_3) | instskip(NEXT) | instid1(VALU_DEP_3)
	v_mov_b32_e32 v0, v7
	v_mad_u64_u32 v[10:11], null, s10, s14, v[2:3]
	s_mul_i32 s20, s19, s0
	s_add_i32 s0, s2, s1
	s_delay_alu instid0(VALU_DEP_3) | instskip(SKIP_2) | instid1(VALU_DEP_3)
	v_mov_b32_e32 v7, v9
	v_mad_u64_u32 v[12:13], null, s17, v2, v[0:1]
	s_add_i32 s0, s0, s3
	v_mov_b32_e32 v0, v11
	s_delay_alu instid0(VALU_DEP_3) | instskip(SKIP_2) | instid1(VALU_DEP_2)
	v_mad_u64_u32 v[13:14], null, s0, s14, v[7:8]
	s_mul_hi_u32 s1, s24, s18
	s_mul_i32 s0, s0, s18
	v_mad_u64_u32 v[14:15], null, s11, s14, v[0:1]
	s_delay_alu instid0(VALU_DEP_4) | instskip(SKIP_3) | instid1(VALU_DEP_4)
	v_mov_b32_e32 v7, v12
	v_mad_u64_u32 v[11:12], null, s16, v10, v[4:5]
	v_mul_lo_u32 v0, s17, v10
	v_mov_b32_e32 v9, v13
	v_lshlrev_b64 v[6:7], 1, v[6:7]
	v_mul_lo_u32 v10, s16, v14
	s_add_i32 s3, s1, s0
	v_cmp_gt_i64_e64 s0, s[16:17], v[4:5]
	v_lshlrev_b64 v[8:9], 1, v[8:9]
	v_cmp_gt_i64_e64 s1, s[10:11], v[2:3]
	s_mul_i32 s2, s24, s18
	s_lshl_b64 s[22:23], s[16:17], 1
	s_lshl_b64 s[24:25], s[20:21], 1
	v_add3_u32 v12, v0, v12, v10
	v_add_co_u32 v0, vcc_lo, v6, v8
	v_add_co_ci_u32_e32 v7, vcc_lo, v7, v9, vcc_lo
	s_delay_alu instid0(VALU_DEP_3) | instskip(NEXT) | instid1(VALU_DEP_3)
	v_lshlrev_b64 v[8:9], 1, v[11:12]
	v_add_co_u32 v6, vcc_lo, s6, v0
	v_lshlrev_b64 v[10:11], 2, v[11:12]
	s_delay_alu instid0(VALU_DEP_4) | instskip(NEXT) | instid1(VALU_DEP_4)
	v_add_co_ci_u32_e32 v7, vcc_lo, s7, v7, vcc_lo
	v_add_co_u32 v8, vcc_lo, s6, v8
	v_add_co_ci_u32_e32 v9, vcc_lo, s7, v9, vcc_lo
	s_delay_alu instid0(VALU_DEP_4)
	v_add_co_u32 v10, vcc_lo, s4, v10
	v_add_co_ci_u32_e32 v11, vcc_lo, s5, v11, vcc_lo
	s_lshl_b64 s[26:27], s[2:3], 1
	s_lshl_b64 s[4:5], s[2:3], 2
	;; [unrolled: 1-line block ×4, first 2 shown]
	s_branch .LBB199_3
.LBB199_2:                              ;   in Loop: Header=BB199_3 Depth=1
	s_or_b32 exec_lo, exec_lo, s3
	v_add_co_u32 v6, vcc_lo, v6, s26
	s_add_u32 s14, s14, s18
	v_add_co_ci_u32_e32 v7, vcc_lo, s27, v7, vcc_lo
	s_addc_u32 s15, s15, 0
	v_add_co_u32 v8, vcc_lo, v8, s26
	v_cmp_ge_i64_e64 s2, s[14:15], s[8:9]
	v_add_co_ci_u32_e32 v9, vcc_lo, s27, v9, vcc_lo
	v_add_co_u32 v10, vcc_lo, v10, s4
	v_add_co_ci_u32_e32 v11, vcc_lo, s5, v11, vcc_lo
	s_delay_alu instid0(VALU_DEP_4)
	s_and_b32 vcc_lo, exec_lo, s2
	s_cbranch_vccnz .LBB199_40
.LBB199_3:                              ; =>This Loop Header: Depth=1
                                        ;     Child Loop BB199_7 Depth 2
                                        ;       Child Loop BB199_12 Depth 3
                                        ;       Child Loop BB199_15 Depth 3
	;; [unrolled: 1-line block ×8, first 2 shown]
	s_and_saveexec_b32 s3, s0
	s_cbranch_execz .LBB199_2
; %bb.4:                                ;   in Loop: Header=BB199_3 Depth=1
	s_load_b32 s2, s[12:13], 0xc
	v_dual_mov_b32 v13, v11 :: v_dual_mov_b32 v12, v10
	v_dual_mov_b32 v15, v9 :: v_dual_mov_b32 v14, v8
	;; [unrolled: 1-line block ×4, first 2 shown]
	s_mov_b32 s35, 0
	s_waitcnt lgkmcnt(0)
	s_and_b32 s19, s2, 0xffff
	v_cmp_lt_u16_e64 s21, s2, 2
	v_mul_u32_u24_e32 v0, s19, v1
	s_mul_i32 s2, s23, s19
	s_mul_hi_u32 s31, s22, s19
	s_mul_i32 s33, s29, s19
	s_mul_hi_u32 s34, s28, s19
	v_lshl_add_u32 v0, v0, 2, 0
	s_mul_i32 s30, s22, s19
	s_add_i32 s31, s31, s2
	s_add_i32 s33, s34, s33
	s_mul_i32 s34, s28, s19
	v_lshl_add_u32 v26, v2, 2, v0
	s_branch .LBB199_7
.LBB199_5:                              ;   in Loop: Header=BB199_7 Depth=2
	s_or_b32 exec_lo, exec_lo, s36
.LBB199_6:                              ;   in Loop: Header=BB199_7 Depth=2
	v_add_co_u32 v18, vcc_lo, v18, s20
	v_add_co_ci_u32_e32 v19, vcc_lo, 0, v19, vcc_lo
	v_add_co_u32 v16, vcc_lo, v16, s24
	v_add_co_ci_u32_e32 v17, vcc_lo, s25, v17, vcc_lo
	;; [unrolled: 2-line block ×3, first 2 shown]
	v_cmp_le_i64_e32 vcc_lo, s[16:17], v[18:19]
	v_add_co_u32 v12, s2, v12, s6
	s_delay_alu instid0(VALU_DEP_1) | instskip(SKIP_1) | instid1(SALU_CYCLE_1)
	v_add_co_ci_u32_e64 v13, s2, s7, v13, s2
	s_or_b32 s35, vcc_lo, s35
	s_and_not1_b32 exec_lo, exec_lo, s35
	s_cbranch_execz .LBB199_2
.LBB199_7:                              ;   Parent Loop BB199_3 Depth=1
                                        ; =>  This Loop Header: Depth=2
                                        ;       Child Loop BB199_12 Depth 3
                                        ;       Child Loop BB199_15 Depth 3
                                        ;       Child Loop BB199_18 Depth 3
                                        ;       Child Loop BB199_23 Depth 3
                                        ;       Child Loop BB199_27 Depth 3
                                        ;       Child Loop BB199_31 Depth 3
                                        ;       Child Loop BB199_35 Depth 3
                                        ;       Child Loop BB199_39 Depth 3
	s_and_b32 vcc_lo, exec_lo, s21
	s_mov_b32 s2, -1
	s_cbranch_vccz .LBB199_20
; %bb.8:                                ;   in Loop: Header=BB199_7 Depth=2
	v_mov_b32_e32 v27, 0xff7fffff
	s_and_saveexec_b32 s36, s1
	s_cbranch_execnz .LBB199_11
; %bb.9:                                ;   in Loop: Header=BB199_7 Depth=2
	s_or_b32 exec_lo, exec_lo, s36
	v_mov_b32_e32 v24, 0
	s_and_saveexec_b32 s36, s1
	s_cbranch_execnz .LBB199_14
.LBB199_10:                             ;   in Loop: Header=BB199_7 Depth=2
	s_or_b32 exec_lo, exec_lo, s36
	s_and_saveexec_b32 s36, s1
	s_cbranch_execnz .LBB199_17
	s_branch .LBB199_19
.LBB199_11:                             ;   in Loop: Header=BB199_7 Depth=2
	v_mov_b32_e32 v21, v17
	v_dual_mov_b32 v23, v3 :: v_dual_mov_b32 v22, v2
	v_dual_mov_b32 v27, 0xff7fffff :: v_dual_mov_b32 v20, v16
	s_mov_b32 s37, 0
.LBB199_12:                             ;   Parent Loop BB199_3 Depth=1
                                        ;     Parent Loop BB199_7 Depth=2
                                        ; =>    This Inner Loop Header: Depth=3
	global_load_u16 v24, v[20:21], off
	v_add_co_u32 v22, vcc_lo, v22, s19
	v_add_co_ci_u32_e32 v23, vcc_lo, 0, v23, vcc_lo
	v_add_co_u32 v20, vcc_lo, v20, s30
	v_add_co_ci_u32_e32 v21, vcc_lo, s31, v21, vcc_lo
	s_delay_alu instid0(VALU_DEP_3) | instskip(NEXT) | instid1(VALU_DEP_1)
	v_cmp_le_i64_e64 s2, s[10:11], v[22:23]
	s_or_b32 s37, s2, s37
	s_waitcnt vmcnt(0)
	v_cvt_f32_f16_e32 v24, v24
	s_delay_alu instid0(VALU_DEP_1)
	v_cmp_lt_f32_e32 vcc_lo, v27, v24
	v_cndmask_b32_e32 v27, v27, v24, vcc_lo
	s_and_not1_b32 exec_lo, exec_lo, s37
	s_cbranch_execnz .LBB199_12
; %bb.13:                               ;   in Loop: Header=BB199_7 Depth=2
	s_or_b32 exec_lo, exec_lo, s37
	s_delay_alu instid0(SALU_CYCLE_1)
	s_or_b32 exec_lo, exec_lo, s36
	v_mov_b32_e32 v24, 0
	s_and_saveexec_b32 s36, s1
	s_cbranch_execz .LBB199_10
.LBB199_14:                             ;   in Loop: Header=BB199_7 Depth=2
	v_dual_mov_b32 v24, 0 :: v_dual_mov_b32 v21, v17
	v_dual_mov_b32 v20, v16 :: v_dual_mov_b32 v23, v3
	v_mov_b32_e32 v22, v2
	s_mov_b32 s37, 0
	s_set_inst_prefetch_distance 0x1
	.p2align	6
.LBB199_15:                             ;   Parent Loop BB199_3 Depth=1
                                        ;     Parent Loop BB199_7 Depth=2
                                        ; =>    This Inner Loop Header: Depth=3
	global_load_u16 v25, v[20:21], off
	v_add_co_u32 v22, vcc_lo, v22, s19
	v_add_co_ci_u32_e32 v23, vcc_lo, 0, v23, vcc_lo
	s_delay_alu instid0(VALU_DEP_1) | instskip(SKIP_3) | instid1(VALU_DEP_1)
	v_cmp_le_i64_e32 vcc_lo, s[10:11], v[22:23]
	s_or_b32 s37, vcc_lo, s37
	s_waitcnt vmcnt(0)
	v_cvt_f32_f16_e32 v25, v25
	v_sub_f32_e32 v25, v25, v27
	s_delay_alu instid0(VALU_DEP_1) | instskip(NEXT) | instid1(VALU_DEP_1)
	v_mul_f32_e32 v28, 0x3fb8aa3b, v25
	v_fma_f32 v29, 0x3fb8aa3b, v25, -v28
	v_rndne_f32_e32 v30, v28
	s_delay_alu instid0(VALU_DEP_1) | instskip(SKIP_1) | instid1(VALU_DEP_2)
	v_dual_sub_f32 v28, v28, v30 :: v_dual_fmac_f32 v29, 0x32a5705f, v25
	v_cmp_ngt_f32_e64 s2, 0xc2ce8ed0, v25
	v_add_f32_e32 v28, v28, v29
	v_cvt_i32_f32_e32 v29, v30
	s_delay_alu instid0(VALU_DEP_2) | instskip(SKIP_2) | instid1(VALU_DEP_1)
	v_exp_f32_e32 v28, v28
	s_waitcnt_depctr 0xfff
	v_ldexp_f32 v28, v28, v29
	v_cndmask_b32_e64 v28, 0, v28, s2
	v_cmp_nlt_f32_e64 s2, 0x42b17218, v25
	s_delay_alu instid0(VALU_DEP_1) | instskip(SKIP_1) | instid1(VALU_DEP_1)
	v_cndmask_b32_e64 v25, 0x7f800000, v28, s2
	v_add_co_u32 v20, s2, v20, s30
	v_add_co_ci_u32_e64 v21, s2, s31, v21, s2
	s_delay_alu instid0(VALU_DEP_3)
	v_add_f32_e32 v24, v24, v25
	s_and_not1_b32 exec_lo, exec_lo, s37
	s_cbranch_execnz .LBB199_15
; %bb.16:                               ;   in Loop: Header=BB199_7 Depth=2
	s_set_inst_prefetch_distance 0x2
	s_or_b32 exec_lo, exec_lo, s37
	s_delay_alu instid0(SALU_CYCLE_1)
	s_or_b32 exec_lo, exec_lo, s36
	s_and_saveexec_b32 s36, s1
	s_cbranch_execz .LBB199_19
.LBB199_17:                             ;   in Loop: Header=BB199_7 Depth=2
	v_cmp_gt_f32_e32 vcc_lo, 0x800000, v24
	s_mov_b32 s37, 0
	v_cndmask_b32_e64 v20, 1.0, 0x4f800000, vcc_lo
	s_delay_alu instid0(VALU_DEP_1) | instskip(SKIP_1) | instid1(VALU_DEP_2)
	v_mul_f32_e32 v20, v24, v20
	v_cndmask_b32_e64 v24, 0, 0x41b17218, vcc_lo
	v_log_f32_e32 v20, v20
	s_waitcnt_depctr 0xfff
	v_mul_f32_e32 v21, 0x3f317217, v20
	v_cmp_gt_f32_e64 vcc_lo, 0x7f800000, |v20|
	s_delay_alu instid0(VALU_DEP_2) | instskip(NEXT) | instid1(VALU_DEP_1)
	v_fma_f32 v22, 0x3f317217, v20, -v21
	v_fmac_f32_e32 v22, 0x3377d1cf, v20
	s_delay_alu instid0(VALU_DEP_1) | instskip(NEXT) | instid1(VALU_DEP_1)
	v_add_f32_e32 v21, v21, v22
	v_cndmask_b32_e32 v25, v20, v21, vcc_lo
	v_mov_b32_e32 v21, v13
	v_dual_mov_b32 v23, v15 :: v_dual_mov_b32 v20, v12
	v_mov_b32_e32 v22, v14
	s_delay_alu instid0(VALU_DEP_4)
	v_dual_sub_f32 v28, v25, v24 :: v_dual_mov_b32 v25, v3
	v_mov_b32_e32 v24, v2
	.p2align	6
.LBB199_18:                             ;   Parent Loop BB199_3 Depth=1
                                        ;     Parent Loop BB199_7 Depth=2
                                        ; =>    This Inner Loop Header: Depth=3
	global_load_u16 v29, v[22:23], off
	v_add_co_u32 v24, vcc_lo, v24, s19
	v_add_co_ci_u32_e32 v25, vcc_lo, 0, v25, vcc_lo
	v_add_co_u32 v22, vcc_lo, v22, s30
	v_add_co_ci_u32_e32 v23, vcc_lo, s31, v23, vcc_lo
	s_delay_alu instid0(VALU_DEP_3) | instskip(SKIP_3) | instid1(VALU_DEP_1)
	v_cmp_le_i64_e32 vcc_lo, s[10:11], v[24:25]
	s_or_b32 s37, vcc_lo, s37
	s_waitcnt vmcnt(0)
	v_cvt_f32_f16_e32 v29, v29
	v_sub_f32_e32 v29, v29, v27
	s_delay_alu instid0(VALU_DEP_1) | instskip(SKIP_2) | instid1(VALU_DEP_1)
	v_sub_f32_e32 v29, v29, v28
	global_store_b32 v[20:21], v29, off
	v_add_co_u32 v20, s2, v20, s34
	v_add_co_ci_u32_e64 v21, s2, s33, v21, s2
	s_and_not1_b32 exec_lo, exec_lo, s37
	s_cbranch_execnz .LBB199_18
.LBB199_19:                             ;   in Loop: Header=BB199_7 Depth=2
	s_or_b32 exec_lo, exec_lo, s36
	s_mov_b32 s2, 0
.LBB199_20:                             ;   in Loop: Header=BB199_7 Depth=2
	s_delay_alu instid0(SALU_CYCLE_1)
	s_and_b32 vcc_lo, exec_lo, s2
	s_cbranch_vccz .LBB199_6
; %bb.21:                               ;   in Loop: Header=BB199_7 Depth=2
	v_mov_b32_e32 v24, 0xff7fffff
	s_and_saveexec_b32 s36, s1
	s_cbranch_execz .LBB199_25
; %bb.22:                               ;   in Loop: Header=BB199_7 Depth=2
	v_dual_mov_b32 v24, 0xff7fffff :: v_dual_mov_b32 v21, v17
	v_dual_mov_b32 v20, v16 :: v_dual_mov_b32 v23, v3
	v_mov_b32_e32 v22, v2
	s_mov_b32 s37, 0
.LBB199_23:                             ;   Parent Loop BB199_3 Depth=1
                                        ;     Parent Loop BB199_7 Depth=2
                                        ; =>    This Inner Loop Header: Depth=3
	global_load_u16 v25, v[20:21], off
	v_add_co_u32 v22, vcc_lo, v22, s19
	v_add_co_ci_u32_e32 v23, vcc_lo, 0, v23, vcc_lo
	v_add_co_u32 v20, vcc_lo, v20, s30
	v_add_co_ci_u32_e32 v21, vcc_lo, s31, v21, vcc_lo
	s_delay_alu instid0(VALU_DEP_3) | instskip(NEXT) | instid1(VALU_DEP_1)
	v_cmp_le_i64_e64 s2, s[10:11], v[22:23]
	s_or_b32 s37, s2, s37
	s_waitcnt vmcnt(0)
	v_cvt_f32_f16_e32 v25, v25
	s_delay_alu instid0(VALU_DEP_1)
	v_cmp_lt_f32_e32 vcc_lo, v24, v25
	v_cndmask_b32_e32 v24, v24, v25, vcc_lo
	s_and_not1_b32 exec_lo, exec_lo, s37
	s_cbranch_execnz .LBB199_23
; %bb.24:                               ;   in Loop: Header=BB199_7 Depth=2
	s_or_b32 exec_lo, exec_lo, s37
.LBB199_25:                             ;   in Loop: Header=BB199_7 Depth=2
	s_delay_alu instid0(SALU_CYCLE_1)
	s_or_b32 exec_lo, exec_lo, s36
	s_mov_b32 s2, s19
	s_waitcnt_vscnt null, 0x0
	s_barrier
	buffer_gl0_inv
	ds_store_b32 v26, v24
	s_branch .LBB199_27
	.p2align	6
.LBB199_26:                             ;   in Loop: Header=BB199_27 Depth=3
	s_or_b32 exec_lo, exec_lo, s37
	s_cmp_gt_u32 s2, 3
	s_mov_b32 s2, s36
	s_cbranch_scc0 .LBB199_29
.LBB199_27:                             ;   Parent Loop BB199_3 Depth=1
                                        ;     Parent Loop BB199_7 Depth=2
                                        ; =>    This Inner Loop Header: Depth=3
	s_lshr_b32 s36, s2, 1
	s_mov_b32 s37, exec_lo
	s_waitcnt lgkmcnt(0)
	s_barrier
	buffer_gl0_inv
	v_cmpx_gt_u32_e64 s36, v2
	s_cbranch_execz .LBB199_26
; %bb.28:                               ;   in Loop: Header=BB199_27 Depth=3
	v_lshl_add_u32 v20, s36, 2, v26
	ds_load_b32 v21, v26
	ds_load_b32 v20, v20
	s_waitcnt lgkmcnt(0)
	v_cmp_lt_f32_e32 vcc_lo, v21, v20
	v_cndmask_b32_e32 v20, v21, v20, vcc_lo
	ds_store_b32 v26, v20
	s_branch .LBB199_26
.LBB199_29:                             ;   in Loop: Header=BB199_7 Depth=2
	s_waitcnt lgkmcnt(0)
	s_barrier
	buffer_gl0_inv
	ds_load_b32 v27, v0
	v_mov_b32_e32 v24, 0
	s_and_saveexec_b32 s36, s1
	s_cbranch_execz .LBB199_33
; %bb.30:                               ;   in Loop: Header=BB199_7 Depth=2
	v_dual_mov_b32 v24, 0 :: v_dual_mov_b32 v21, v17
	v_dual_mov_b32 v20, v16 :: v_dual_mov_b32 v23, v3
	v_mov_b32_e32 v22, v2
	s_mov_b32 s37, 0
	s_set_inst_prefetch_distance 0x1
	.p2align	6
.LBB199_31:                             ;   Parent Loop BB199_3 Depth=1
                                        ;     Parent Loop BB199_7 Depth=2
                                        ; =>    This Inner Loop Header: Depth=3
	global_load_u16 v25, v[20:21], off
	v_add_co_u32 v22, vcc_lo, v22, s19
	v_add_co_ci_u32_e32 v23, vcc_lo, 0, v23, vcc_lo
	s_delay_alu instid0(VALU_DEP_1) | instskip(SKIP_4) | instid1(VALU_DEP_1)
	v_cmp_le_i64_e32 vcc_lo, s[10:11], v[22:23]
	s_or_b32 s37, vcc_lo, s37
	s_waitcnt vmcnt(0)
	v_cvt_f32_f16_e32 v25, v25
	s_waitcnt lgkmcnt(0)
	v_sub_f32_e32 v25, v25, v27
	s_delay_alu instid0(VALU_DEP_1) | instskip(NEXT) | instid1(VALU_DEP_1)
	v_mul_f32_e32 v28, 0x3fb8aa3b, v25
	v_fma_f32 v29, 0x3fb8aa3b, v25, -v28
	v_rndne_f32_e32 v30, v28
	s_delay_alu instid0(VALU_DEP_1) | instskip(SKIP_1) | instid1(VALU_DEP_2)
	v_dual_sub_f32 v28, v28, v30 :: v_dual_fmac_f32 v29, 0x32a5705f, v25
	v_cmp_ngt_f32_e64 s2, 0xc2ce8ed0, v25
	v_add_f32_e32 v28, v28, v29
	v_cvt_i32_f32_e32 v29, v30
	s_delay_alu instid0(VALU_DEP_2) | instskip(SKIP_2) | instid1(VALU_DEP_1)
	v_exp_f32_e32 v28, v28
	s_waitcnt_depctr 0xfff
	v_ldexp_f32 v28, v28, v29
	v_cndmask_b32_e64 v28, 0, v28, s2
	v_cmp_nlt_f32_e64 s2, 0x42b17218, v25
	s_delay_alu instid0(VALU_DEP_1) | instskip(SKIP_1) | instid1(VALU_DEP_1)
	v_cndmask_b32_e64 v25, 0x7f800000, v28, s2
	v_add_co_u32 v20, s2, v20, s30
	v_add_co_ci_u32_e64 v21, s2, s31, v21, s2
	s_delay_alu instid0(VALU_DEP_3)
	v_add_f32_e32 v24, v24, v25
	s_and_not1_b32 exec_lo, exec_lo, s37
	s_cbranch_execnz .LBB199_31
; %bb.32:                               ;   in Loop: Header=BB199_7 Depth=2
	s_set_inst_prefetch_distance 0x2
	s_or_b32 exec_lo, exec_lo, s37
.LBB199_33:                             ;   in Loop: Header=BB199_7 Depth=2
	s_delay_alu instid0(SALU_CYCLE_1)
	s_or_b32 exec_lo, exec_lo, s36
	s_mov_b32 s2, s19
	s_waitcnt lgkmcnt(0)
	s_barrier
	buffer_gl0_inv
	ds_store_b32 v26, v24
	s_branch .LBB199_35
	.p2align	6
.LBB199_34:                             ;   in Loop: Header=BB199_35 Depth=3
	s_or_b32 exec_lo, exec_lo, s37
	s_cmp_gt_u32 s2, 3
	s_mov_b32 s2, s36
	s_cbranch_scc0 .LBB199_37
.LBB199_35:                             ;   Parent Loop BB199_3 Depth=1
                                        ;     Parent Loop BB199_7 Depth=2
                                        ; =>    This Inner Loop Header: Depth=3
	s_lshr_b32 s36, s2, 1
	s_mov_b32 s37, exec_lo
	s_waitcnt lgkmcnt(0)
	s_barrier
	buffer_gl0_inv
	v_cmpx_gt_u32_e64 s36, v2
	s_cbranch_execz .LBB199_34
; %bb.36:                               ;   in Loop: Header=BB199_35 Depth=3
	v_lshl_add_u32 v20, s36, 2, v26
	ds_load_b32 v21, v26
	ds_load_b32 v20, v20
	s_waitcnt lgkmcnt(0)
	v_add_f32_e32 v20, v21, v20
	ds_store_b32 v26, v20
	s_branch .LBB199_34
.LBB199_37:                             ;   in Loop: Header=BB199_7 Depth=2
	s_waitcnt lgkmcnt(0)
	s_barrier
	buffer_gl0_inv
	s_and_saveexec_b32 s36, s1
	s_cbranch_execz .LBB199_5
; %bb.38:                               ;   in Loop: Header=BB199_7 Depth=2
	ds_load_b32 v20, v0
	s_mov_b32 s37, 0
	s_waitcnt lgkmcnt(0)
	v_cmp_gt_f32_e32 vcc_lo, 0x800000, v20
	v_cndmask_b32_e64 v21, 1.0, 0x4f800000, vcc_lo
	v_cndmask_b32_e64 v24, 0, 0x41b17218, vcc_lo
	s_delay_alu instid0(VALU_DEP_2) | instskip(NEXT) | instid1(VALU_DEP_1)
	v_mul_f32_e32 v20, v20, v21
	v_log_f32_e32 v20, v20
	s_waitcnt_depctr 0xfff
	v_mul_f32_e32 v21, 0x3f317217, v20
	v_cmp_gt_f32_e64 vcc_lo, 0x7f800000, |v20|
	s_delay_alu instid0(VALU_DEP_2) | instskip(NEXT) | instid1(VALU_DEP_1)
	v_fma_f32 v22, 0x3f317217, v20, -v21
	v_fmac_f32_e32 v22, 0x3377d1cf, v20
	s_delay_alu instid0(VALU_DEP_1) | instskip(NEXT) | instid1(VALU_DEP_1)
	v_add_f32_e32 v21, v21, v22
	v_cndmask_b32_e32 v25, v20, v21, vcc_lo
	v_mov_b32_e32 v21, v13
	v_dual_mov_b32 v23, v15 :: v_dual_mov_b32 v20, v12
	v_mov_b32_e32 v22, v14
	s_delay_alu instid0(VALU_DEP_4)
	v_dual_sub_f32 v28, v25, v24 :: v_dual_mov_b32 v25, v3
	v_mov_b32_e32 v24, v2
	.p2align	6
.LBB199_39:                             ;   Parent Loop BB199_3 Depth=1
                                        ;     Parent Loop BB199_7 Depth=2
                                        ; =>    This Inner Loop Header: Depth=3
	global_load_u16 v29, v[22:23], off
	v_add_co_u32 v24, vcc_lo, v24, s19
	v_add_co_ci_u32_e32 v25, vcc_lo, 0, v25, vcc_lo
	v_add_co_u32 v22, vcc_lo, v22, s30
	v_add_co_ci_u32_e32 v23, vcc_lo, s31, v23, vcc_lo
	s_delay_alu instid0(VALU_DEP_3) | instskip(SKIP_3) | instid1(VALU_DEP_1)
	v_cmp_le_i64_e32 vcc_lo, s[10:11], v[24:25]
	s_or_b32 s37, vcc_lo, s37
	s_waitcnt vmcnt(0)
	v_cvt_f32_f16_e32 v29, v29
	v_sub_f32_e32 v29, v29, v27
	s_delay_alu instid0(VALU_DEP_1) | instskip(SKIP_2) | instid1(VALU_DEP_1)
	v_sub_f32_e32 v29, v29, v28
	global_store_b32 v[20:21], v29, off
	v_add_co_u32 v20, s2, v20, s34
	v_add_co_ci_u32_e64 v21, s2, s33, v21, s2
	s_and_not1_b32 exec_lo, exec_lo, s37
	s_cbranch_execnz .LBB199_39
	s_branch .LBB199_5
.LBB199_40:
	s_nop 0
	s_sendmsg sendmsg(MSG_DEALLOC_VGPRS)
	s_endpgm
	.section	.rodata,"a",@progbits
	.p2align	6, 0x0
	.amdhsa_kernel _ZN2at6native12_GLOBAL__N_126cunn_SpatialSoftMaxForwardIN3c104HalfEfflNS1_25LogSoftMaxForwardEpilogueEEEvPT1_PKT_T2_SB_SB_
		.amdhsa_group_segment_fixed_size 0
		.amdhsa_private_segment_fixed_size 0
		.amdhsa_kernarg_size 296
		.amdhsa_user_sgpr_count 14
		.amdhsa_user_sgpr_dispatch_ptr 0
		.amdhsa_user_sgpr_queue_ptr 0
		.amdhsa_user_sgpr_kernarg_segment_ptr 1
		.amdhsa_user_sgpr_dispatch_id 0
		.amdhsa_user_sgpr_private_segment_size 0
		.amdhsa_wavefront_size32 1
		.amdhsa_uses_dynamic_stack 0
		.amdhsa_enable_private_segment 0
		.amdhsa_system_sgpr_workgroup_id_x 1
		.amdhsa_system_sgpr_workgroup_id_y 1
		.amdhsa_system_sgpr_workgroup_id_z 0
		.amdhsa_system_sgpr_workgroup_info 0
		.amdhsa_system_vgpr_workitem_id 1
		.amdhsa_next_free_vgpr 31
		.amdhsa_next_free_sgpr 38
		.amdhsa_reserve_vcc 1
		.amdhsa_float_round_mode_32 0
		.amdhsa_float_round_mode_16_64 0
		.amdhsa_float_denorm_mode_32 3
		.amdhsa_float_denorm_mode_16_64 3
		.amdhsa_dx10_clamp 1
		.amdhsa_ieee_mode 1
		.amdhsa_fp16_overflow 0
		.amdhsa_workgroup_processor_mode 1
		.amdhsa_memory_ordered 1
		.amdhsa_forward_progress 0
		.amdhsa_shared_vgpr_count 0
		.amdhsa_exception_fp_ieee_invalid_op 0
		.amdhsa_exception_fp_denorm_src 0
		.amdhsa_exception_fp_ieee_div_zero 0
		.amdhsa_exception_fp_ieee_overflow 0
		.amdhsa_exception_fp_ieee_underflow 0
		.amdhsa_exception_fp_ieee_inexact 0
		.amdhsa_exception_int_div_zero 0
	.end_amdhsa_kernel
	.section	.text._ZN2at6native12_GLOBAL__N_126cunn_SpatialSoftMaxForwardIN3c104HalfEfflNS1_25LogSoftMaxForwardEpilogueEEEvPT1_PKT_T2_SB_SB_,"axG",@progbits,_ZN2at6native12_GLOBAL__N_126cunn_SpatialSoftMaxForwardIN3c104HalfEfflNS1_25LogSoftMaxForwardEpilogueEEEvPT1_PKT_T2_SB_SB_,comdat
.Lfunc_end199:
	.size	_ZN2at6native12_GLOBAL__N_126cunn_SpatialSoftMaxForwardIN3c104HalfEfflNS1_25LogSoftMaxForwardEpilogueEEEvPT1_PKT_T2_SB_SB_, .Lfunc_end199-_ZN2at6native12_GLOBAL__N_126cunn_SpatialSoftMaxForwardIN3c104HalfEfflNS1_25LogSoftMaxForwardEpilogueEEEvPT1_PKT_T2_SB_SB_
                                        ; -- End function
	.section	.AMDGPU.csdata,"",@progbits
; Kernel info:
; codeLenInByte = 2336
; NumSgprs: 40
; NumVgprs: 31
; ScratchSize: 0
; MemoryBound: 0
; FloatMode: 240
; IeeeMode: 1
; LDSByteSize: 0 bytes/workgroup (compile time only)
; SGPRBlocks: 4
; VGPRBlocks: 3
; NumSGPRsForWavesPerEU: 40
; NumVGPRsForWavesPerEU: 31
; Occupancy: 16
; WaveLimiterHint : 0
; COMPUTE_PGM_RSRC2:SCRATCH_EN: 0
; COMPUTE_PGM_RSRC2:USER_SGPR: 14
; COMPUTE_PGM_RSRC2:TRAP_HANDLER: 0
; COMPUTE_PGM_RSRC2:TGID_X_EN: 1
; COMPUTE_PGM_RSRC2:TGID_Y_EN: 1
; COMPUTE_PGM_RSRC2:TGID_Z_EN: 0
; COMPUTE_PGM_RSRC2:TIDIG_COMP_CNT: 1
	.section	.text._ZN2at6native12_GLOBAL__N_126cunn_SpatialSoftMaxForwardIN3c108BFloat16EfS4_iNS1_25LogSoftMaxForwardEpilogueEEEvPT1_PKT_T2_SB_SB_,"axG",@progbits,_ZN2at6native12_GLOBAL__N_126cunn_SpatialSoftMaxForwardIN3c108BFloat16EfS4_iNS1_25LogSoftMaxForwardEpilogueEEEvPT1_PKT_T2_SB_SB_,comdat
	.globl	_ZN2at6native12_GLOBAL__N_126cunn_SpatialSoftMaxForwardIN3c108BFloat16EfS4_iNS1_25LogSoftMaxForwardEpilogueEEEvPT1_PKT_T2_SB_SB_ ; -- Begin function _ZN2at6native12_GLOBAL__N_126cunn_SpatialSoftMaxForwardIN3c108BFloat16EfS4_iNS1_25LogSoftMaxForwardEpilogueEEEvPT1_PKT_T2_SB_SB_
	.p2align	8
	.type	_ZN2at6native12_GLOBAL__N_126cunn_SpatialSoftMaxForwardIN3c108BFloat16EfS4_iNS1_25LogSoftMaxForwardEpilogueEEEvPT1_PKT_T2_SB_SB_,@function
_ZN2at6native12_GLOBAL__N_126cunn_SpatialSoftMaxForwardIN3c108BFloat16EfS4_iNS1_25LogSoftMaxForwardEpilogueEEEvPT1_PKT_T2_SB_SB_: ; @_ZN2at6native12_GLOBAL__N_126cunn_SpatialSoftMaxForwardIN3c108BFloat16EfS4_iNS1_25LogSoftMaxForwardEpilogueEEEvPT1_PKT_T2_SB_SB_
; %bb.0:
	s_load_b128 s[4:7], s[0:1], 0x10
	s_waitcnt lgkmcnt(0)
	s_cmp_ge_i32 s14, s4
	s_cbranch_scc1 .LBB200_40
; %bb.1:
	s_load_b32 s2, s[0:1], 0x2c
	v_and_b32_e32 v1, 0x3ff, v0
	s_clause 0x1
	s_load_b64 s[12:13], s[0:1], 0x20
	s_load_b128 s[8:11], s[0:1], 0x0
	s_add_u32 s16, s0, 32
	v_bfe_u32 v0, v0, 10, 10
	v_mad_u64_u32 v[2:3], null, s14, s5, v[1:2]
	s_addc_u32 s17, s1, 0
	v_cmp_gt_i32_e64 s0, s5, v1
	s_delay_alu instid0(VALU_DEP_2)
	v_mul_lo_u32 v2, s6, v2
	s_waitcnt lgkmcnt(0)
	s_lshr_b32 s2, s2, 16
	s_mul_i32 s7, s12, s6
	s_mul_i32 s15, s15, s2
	s_mul_i32 s3, s13, s2
	v_add_nc_u32_e32 v4, s15, v0
	s_delay_alu instid0(VALU_DEP_2) | instskip(SKIP_1) | instid1(VALU_DEP_2)
	v_add3_u32 v5, v0, v2, s15
	s_mul_i32 s7, s7, s5
	v_cmp_gt_i32_e64 s1, s6, v4
	s_branch .LBB200_3
.LBB200_2:                              ;   in Loop: Header=BB200_3 Depth=1
	s_or_b32 exec_lo, exec_lo, s13
	v_add_nc_u32_e32 v5, s7, v5
	s_add_i32 s14, s12, s14
	s_delay_alu instid0(SALU_CYCLE_1)
	s_cmp_ge_i32 s14, s4
	s_cbranch_scc1 .LBB200_40
.LBB200_3:                              ; =>This Loop Header: Depth=1
                                        ;     Child Loop BB200_7 Depth 2
                                        ;       Child Loop BB200_12 Depth 3
                                        ;       Child Loop BB200_15 Depth 3
	;; [unrolled: 1-line block ×8, first 2 shown]
	s_delay_alu instid0(VALU_DEP_1)
	s_and_saveexec_b32 s13, s1
	s_cbranch_execz .LBB200_2
; %bb.4:                                ;   in Loop: Header=BB200_3 Depth=1
	s_load_b32 s2, s[16:17], 0xc
	v_mov_b32_e32 v7, v5
	v_mov_b32_e32 v9, v4
	s_mov_b32 s20, 0
	s_waitcnt lgkmcnt(0)
	s_and_b32 s15, s2, 0xffff
	s_delay_alu instid0(SALU_CYCLE_1) | instskip(SKIP_3) | instid1(VALU_DEP_1)
	v_mul_u32_u24_e32 v2, s15, v0
	s_cmp_lt_u32 s15, 2
	s_mul_i32 s19, s6, s15
	s_cselect_b32 s18, -1, 0
	v_lshl_add_u32 v6, v2, 2, 0
	s_delay_alu instid0(VALU_DEP_1)
	v_lshl_add_u32 v8, v1, 2, v6
	s_branch .LBB200_7
.LBB200_5:                              ;   in Loop: Header=BB200_7 Depth=2
	s_set_inst_prefetch_distance 0x2
	s_or_b32 exec_lo, exec_lo, s21
.LBB200_6:                              ;   in Loop: Header=BB200_7 Depth=2
	v_add_nc_u32_e32 v9, s3, v9
	v_add_nc_u32_e32 v7, s3, v7
	s_delay_alu instid0(VALU_DEP_2) | instskip(SKIP_1) | instid1(SALU_CYCLE_1)
	v_cmp_le_i32_e32 vcc_lo, s6, v9
	s_or_b32 s20, vcc_lo, s20
	s_and_not1_b32 exec_lo, exec_lo, s20
	s_cbranch_execz .LBB200_2
.LBB200_7:                              ;   Parent Loop BB200_3 Depth=1
                                        ; =>  This Loop Header: Depth=2
                                        ;       Child Loop BB200_12 Depth 3
                                        ;       Child Loop BB200_15 Depth 3
	;; [unrolled: 1-line block ×8, first 2 shown]
	s_and_b32 vcc_lo, exec_lo, s18
	s_mov_b32 s2, -1
	s_cbranch_vccz .LBB200_20
; %bb.8:                                ;   in Loop: Header=BB200_7 Depth=2
	v_mov_b32_e32 v10, 0xff7fffff
	s_and_saveexec_b32 s21, s0
	s_cbranch_execnz .LBB200_11
; %bb.9:                                ;   in Loop: Header=BB200_7 Depth=2
	s_or_b32 exec_lo, exec_lo, s21
	v_mov_b32_e32 v11, 0
	s_and_saveexec_b32 s2, s0
	s_cbranch_execnz .LBB200_14
.LBB200_10:                             ;   in Loop: Header=BB200_7 Depth=2
	s_or_b32 exec_lo, exec_lo, s2
	s_and_saveexec_b32 s21, s0
	s_cbranch_execnz .LBB200_17
	s_branch .LBB200_19
.LBB200_11:                             ;   in Loop: Header=BB200_7 Depth=2
	v_dual_mov_b32 v10, 0xff7fffff :: v_dual_mov_b32 v11, v1
	v_mov_b32_e32 v2, v7
	s_mov_b32 s22, 0
	.p2align	6
.LBB200_12:                             ;   Parent Loop BB200_3 Depth=1
                                        ;     Parent Loop BB200_7 Depth=2
                                        ; =>    This Inner Loop Header: Depth=3
	s_delay_alu instid0(VALU_DEP_1) | instskip(NEXT) | instid1(VALU_DEP_3)
	v_ashrrev_i32_e32 v3, 31, v2
	v_add_nc_u32_e32 v11, s15, v11
	s_delay_alu instid0(VALU_DEP_2) | instskip(SKIP_1) | instid1(VALU_DEP_2)
	v_lshlrev_b64 v[12:13], 1, v[2:3]
	v_add_nc_u32_e32 v2, s19, v2
	v_add_co_u32 v12, vcc_lo, s10, v12
	s_delay_alu instid0(VALU_DEP_3)
	v_add_co_ci_u32_e32 v13, vcc_lo, s11, v13, vcc_lo
	v_cmp_le_i32_e32 vcc_lo, s5, v11
	global_load_u16 v3, v[12:13], off
	s_or_b32 s22, vcc_lo, s22
	s_waitcnt vmcnt(0)
	v_lshlrev_b32_e32 v3, 16, v3
	s_delay_alu instid0(VALU_DEP_1) | instskip(NEXT) | instid1(VALU_DEP_1)
	v_cmp_lt_f32_e64 s2, v10, v3
	v_cndmask_b32_e64 v10, v10, v3, s2
	s_and_not1_b32 exec_lo, exec_lo, s22
	s_cbranch_execnz .LBB200_12
; %bb.13:                               ;   in Loop: Header=BB200_7 Depth=2
	s_or_b32 exec_lo, exec_lo, s22
	s_delay_alu instid0(SALU_CYCLE_1)
	s_or_b32 exec_lo, exec_lo, s21
	v_mov_b32_e32 v11, 0
	s_and_saveexec_b32 s2, s0
	s_cbranch_execz .LBB200_10
.LBB200_14:                             ;   in Loop: Header=BB200_7 Depth=2
	v_dual_mov_b32 v11, 0 :: v_dual_mov_b32 v2, v7
	v_mov_b32_e32 v12, v1
	s_mov_b32 s21, 0
	s_set_inst_prefetch_distance 0x1
	.p2align	6
.LBB200_15:                             ;   Parent Loop BB200_3 Depth=1
                                        ;     Parent Loop BB200_7 Depth=2
                                        ; =>    This Inner Loop Header: Depth=3
	s_delay_alu instid0(VALU_DEP_2) | instskip(NEXT) | instid1(VALU_DEP_2)
	v_ashrrev_i32_e32 v3, 31, v2
	v_add_nc_u32_e32 v12, s15, v12
	s_delay_alu instid0(VALU_DEP_2) | instskip(SKIP_1) | instid1(VALU_DEP_2)
	v_lshlrev_b64 v[13:14], 1, v[2:3]
	v_add_nc_u32_e32 v2, s19, v2
	v_add_co_u32 v13, vcc_lo, s10, v13
	s_delay_alu instid0(VALU_DEP_3) | instskip(SKIP_3) | instid1(VALU_DEP_1)
	v_add_co_ci_u32_e32 v14, vcc_lo, s11, v14, vcc_lo
	global_load_u16 v3, v[13:14], off
	s_waitcnt vmcnt(0)
	v_lshlrev_b32_e32 v3, 16, v3
	v_sub_f32_e32 v3, v3, v10
	s_delay_alu instid0(VALU_DEP_1) | instskip(SKIP_1) | instid1(VALU_DEP_2)
	v_mul_f32_e32 v13, 0x3fb8aa3b, v3
	v_cmp_ngt_f32_e32 vcc_lo, 0xc2ce8ed0, v3
	v_fma_f32 v14, 0x3fb8aa3b, v3, -v13
	v_rndne_f32_e32 v15, v13
	s_delay_alu instid0(VALU_DEP_2) | instskip(NEXT) | instid1(VALU_DEP_2)
	v_fmac_f32_e32 v14, 0x32a5705f, v3
	v_sub_f32_e32 v13, v13, v15
	s_delay_alu instid0(VALU_DEP_1) | instskip(SKIP_1) | instid1(VALU_DEP_2)
	v_add_f32_e32 v13, v13, v14
	v_cvt_i32_f32_e32 v14, v15
	v_exp_f32_e32 v13, v13
	s_waitcnt_depctr 0xfff
	v_ldexp_f32 v13, v13, v14
	s_delay_alu instid0(VALU_DEP_1) | instskip(SKIP_1) | instid1(VALU_DEP_2)
	v_cndmask_b32_e32 v13, 0, v13, vcc_lo
	v_cmp_nlt_f32_e32 vcc_lo, 0x42b17218, v3
	v_cndmask_b32_e32 v3, 0x7f800000, v13, vcc_lo
	v_cmp_le_i32_e32 vcc_lo, s5, v12
	s_delay_alu instid0(VALU_DEP_2) | instskip(SKIP_1) | instid1(SALU_CYCLE_1)
	v_add_f32_e32 v11, v11, v3
	s_or_b32 s21, vcc_lo, s21
	s_and_not1_b32 exec_lo, exec_lo, s21
	s_cbranch_execnz .LBB200_15
; %bb.16:                               ;   in Loop: Header=BB200_7 Depth=2
	s_set_inst_prefetch_distance 0x2
	s_or_b32 exec_lo, exec_lo, s21
	s_delay_alu instid0(SALU_CYCLE_1)
	s_or_b32 exec_lo, exec_lo, s2
	s_and_saveexec_b32 s21, s0
	s_cbranch_execz .LBB200_19
.LBB200_17:                             ;   in Loop: Header=BB200_7 Depth=2
	v_cmp_gt_f32_e32 vcc_lo, 0x800000, v11
	s_mov_b32 s22, 0
	v_mov_b32_e32 v12, v1
	v_cndmask_b32_e64 v2, 1.0, 0x4f800000, vcc_lo
	s_delay_alu instid0(VALU_DEP_1) | instskip(NEXT) | instid1(VALU_DEP_1)
	v_mul_f32_e32 v2, v11, v2
	v_log_f32_e32 v2, v2
	s_waitcnt_depctr 0xfff
	v_mul_f32_e32 v3, 0x3f317217, v2
	s_delay_alu instid0(VALU_DEP_1) | instskip(NEXT) | instid1(VALU_DEP_1)
	v_fma_f32 v11, 0x3f317217, v2, -v3
	v_fmac_f32_e32 v11, 0x3377d1cf, v2
	s_delay_alu instid0(VALU_DEP_1) | instskip(SKIP_2) | instid1(VALU_DEP_3)
	v_add_f32_e32 v3, v3, v11
	v_cndmask_b32_e64 v11, 0, 0x41b17218, vcc_lo
	v_cmp_gt_f32_e64 vcc_lo, 0x7f800000, |v2|
	v_dual_cndmask_b32 v3, v2, v3 :: v_dual_mov_b32 v2, v7
	s_delay_alu instid0(VALU_DEP_1)
	v_sub_f32_e32 v11, v3, v11
	s_set_inst_prefetch_distance 0x1
	.p2align	6
.LBB200_18:                             ;   Parent Loop BB200_3 Depth=1
                                        ;     Parent Loop BB200_7 Depth=2
                                        ; =>    This Inner Loop Header: Depth=3
	s_delay_alu instid0(VALU_DEP_2) | instskip(SKIP_1) | instid1(VALU_DEP_2)
	v_ashrrev_i32_e32 v3, 31, v2
	v_add_nc_u32_e32 v12, s15, v12
	v_lshlrev_b64 v[13:14], 1, v[2:3]
	v_add_nc_u32_e32 v2, s19, v2
	s_delay_alu instid0(VALU_DEP_2) | instskip(NEXT) | instid1(VALU_DEP_3)
	v_add_co_u32 v15, vcc_lo, s10, v13
	v_add_co_ci_u32_e32 v16, vcc_lo, s11, v14, vcc_lo
	v_cmp_le_i32_e32 vcc_lo, s5, v12
	global_load_u16 v3, v[15:16], off
	s_or_b32 s22, vcc_lo, s22
	s_waitcnt vmcnt(0)
	v_lshlrev_b32_e32 v3, 16, v3
	s_delay_alu instid0(VALU_DEP_1) | instskip(NEXT) | instid1(VALU_DEP_1)
	v_sub_f32_e32 v3, v3, v10
	v_sub_f32_e32 v3, v3, v11
	s_delay_alu instid0(VALU_DEP_1) | instskip(SKIP_1) | instid1(VALU_DEP_2)
	v_bfe_u32 v15, v3, 16, 1
	v_cmp_o_f32_e64 s2, v3, v3
	v_add3_u32 v15, v3, v15, 0x7fff
	s_delay_alu instid0(VALU_DEP_1) | instskip(NEXT) | instid1(VALU_DEP_1)
	v_lshrrev_b32_e32 v15, 16, v15
	v_cndmask_b32_e64 v3, 0x7fc0, v15, s2
	v_add_co_u32 v13, s2, s8, v13
	s_delay_alu instid0(VALU_DEP_1)
	v_add_co_ci_u32_e64 v14, s2, s9, v14, s2
	global_store_b16 v[13:14], v3, off
	s_and_not1_b32 exec_lo, exec_lo, s22
	s_cbranch_execnz .LBB200_18
.LBB200_19:                             ;   in Loop: Header=BB200_7 Depth=2
	s_set_inst_prefetch_distance 0x2
	s_or_b32 exec_lo, exec_lo, s21
	s_mov_b32 s2, 0
.LBB200_20:                             ;   in Loop: Header=BB200_7 Depth=2
	s_delay_alu instid0(SALU_CYCLE_1)
	s_and_b32 vcc_lo, exec_lo, s2
	s_cbranch_vccz .LBB200_6
; %bb.21:                               ;   in Loop: Header=BB200_7 Depth=2
	v_mov_b32_e32 v10, 0xff7fffff
	s_and_saveexec_b32 s21, s0
	s_cbranch_execz .LBB200_25
; %bb.22:                               ;   in Loop: Header=BB200_7 Depth=2
	v_dual_mov_b32 v10, 0xff7fffff :: v_dual_mov_b32 v11, v1
	v_mov_b32_e32 v2, v7
	s_mov_b32 s22, 0
	.p2align	6
.LBB200_23:                             ;   Parent Loop BB200_3 Depth=1
                                        ;     Parent Loop BB200_7 Depth=2
                                        ; =>    This Inner Loop Header: Depth=3
	s_delay_alu instid0(VALU_DEP_1) | instskip(NEXT) | instid1(VALU_DEP_3)
	v_ashrrev_i32_e32 v3, 31, v2
	v_add_nc_u32_e32 v11, s15, v11
	s_delay_alu instid0(VALU_DEP_2) | instskip(SKIP_1) | instid1(VALU_DEP_2)
	v_lshlrev_b64 v[12:13], 1, v[2:3]
	v_add_nc_u32_e32 v2, s19, v2
	v_add_co_u32 v12, vcc_lo, s10, v12
	s_delay_alu instid0(VALU_DEP_3)
	v_add_co_ci_u32_e32 v13, vcc_lo, s11, v13, vcc_lo
	v_cmp_le_i32_e32 vcc_lo, s5, v11
	global_load_u16 v3, v[12:13], off
	s_or_b32 s22, vcc_lo, s22
	s_waitcnt vmcnt(0)
	v_lshlrev_b32_e32 v3, 16, v3
	s_delay_alu instid0(VALU_DEP_1) | instskip(NEXT) | instid1(VALU_DEP_1)
	v_cmp_lt_f32_e64 s2, v10, v3
	v_cndmask_b32_e64 v10, v10, v3, s2
	s_and_not1_b32 exec_lo, exec_lo, s22
	s_cbranch_execnz .LBB200_23
; %bb.24:                               ;   in Loop: Header=BB200_7 Depth=2
	s_or_b32 exec_lo, exec_lo, s22
.LBB200_25:                             ;   in Loop: Header=BB200_7 Depth=2
	s_delay_alu instid0(SALU_CYCLE_1)
	s_or_b32 exec_lo, exec_lo, s21
	s_mov_b32 s2, s15
	s_waitcnt_vscnt null, 0x0
	s_barrier
	buffer_gl0_inv
	ds_store_b32 v8, v10
	s_branch .LBB200_27
	.p2align	6
.LBB200_26:                             ;   in Loop: Header=BB200_27 Depth=3
	s_or_b32 exec_lo, exec_lo, s22
	s_cmp_gt_u32 s2, 3
	s_mov_b32 s2, s21
	s_cbranch_scc0 .LBB200_29
.LBB200_27:                             ;   Parent Loop BB200_3 Depth=1
                                        ;     Parent Loop BB200_7 Depth=2
                                        ; =>    This Inner Loop Header: Depth=3
	s_lshr_b32 s21, s2, 1
	s_mov_b32 s22, exec_lo
	s_waitcnt lgkmcnt(0)
	s_barrier
	buffer_gl0_inv
	v_cmpx_gt_u32_e64 s21, v1
	s_cbranch_execz .LBB200_26
; %bb.28:                               ;   in Loop: Header=BB200_27 Depth=3
	v_lshl_add_u32 v2, s21, 2, v8
	ds_load_b32 v3, v8
	ds_load_b32 v2, v2
	s_waitcnt lgkmcnt(0)
	v_cmp_lt_f32_e32 vcc_lo, v3, v2
	v_cndmask_b32_e32 v2, v3, v2, vcc_lo
	ds_store_b32 v8, v2
	s_branch .LBB200_26
.LBB200_29:                             ;   in Loop: Header=BB200_7 Depth=2
	s_waitcnt lgkmcnt(0)
	s_barrier
	buffer_gl0_inv
	ds_load_b32 v10, v6
	v_mov_b32_e32 v11, 0
	s_and_saveexec_b32 s2, s0
	s_cbranch_execz .LBB200_33
; %bb.30:                               ;   in Loop: Header=BB200_7 Depth=2
	v_dual_mov_b32 v11, 0 :: v_dual_mov_b32 v2, v7
	v_mov_b32_e32 v12, v1
	s_mov_b32 s21, 0
	s_set_inst_prefetch_distance 0x1
	.p2align	6
.LBB200_31:                             ;   Parent Loop BB200_3 Depth=1
                                        ;     Parent Loop BB200_7 Depth=2
                                        ; =>    This Inner Loop Header: Depth=3
	s_delay_alu instid0(VALU_DEP_2) | instskip(NEXT) | instid1(VALU_DEP_2)
	v_ashrrev_i32_e32 v3, 31, v2
	v_add_nc_u32_e32 v12, s15, v12
	s_delay_alu instid0(VALU_DEP_2) | instskip(SKIP_1) | instid1(VALU_DEP_2)
	v_lshlrev_b64 v[13:14], 1, v[2:3]
	v_add_nc_u32_e32 v2, s19, v2
	v_add_co_u32 v13, vcc_lo, s10, v13
	s_delay_alu instid0(VALU_DEP_3) | instskip(SKIP_4) | instid1(VALU_DEP_1)
	v_add_co_ci_u32_e32 v14, vcc_lo, s11, v14, vcc_lo
	global_load_u16 v3, v[13:14], off
	s_waitcnt vmcnt(0)
	v_lshlrev_b32_e32 v3, 16, v3
	s_waitcnt lgkmcnt(0)
	v_sub_f32_e32 v3, v3, v10
	s_delay_alu instid0(VALU_DEP_1) | instskip(SKIP_1) | instid1(VALU_DEP_2)
	v_mul_f32_e32 v13, 0x3fb8aa3b, v3
	v_cmp_ngt_f32_e32 vcc_lo, 0xc2ce8ed0, v3
	v_fma_f32 v14, 0x3fb8aa3b, v3, -v13
	v_rndne_f32_e32 v15, v13
	s_delay_alu instid0(VALU_DEP_2) | instskip(NEXT) | instid1(VALU_DEP_2)
	v_fmac_f32_e32 v14, 0x32a5705f, v3
	v_sub_f32_e32 v13, v13, v15
	s_delay_alu instid0(VALU_DEP_1) | instskip(SKIP_1) | instid1(VALU_DEP_2)
	v_add_f32_e32 v13, v13, v14
	v_cvt_i32_f32_e32 v14, v15
	v_exp_f32_e32 v13, v13
	s_waitcnt_depctr 0xfff
	v_ldexp_f32 v13, v13, v14
	s_delay_alu instid0(VALU_DEP_1) | instskip(SKIP_1) | instid1(VALU_DEP_2)
	v_cndmask_b32_e32 v13, 0, v13, vcc_lo
	v_cmp_nlt_f32_e32 vcc_lo, 0x42b17218, v3
	v_cndmask_b32_e32 v3, 0x7f800000, v13, vcc_lo
	v_cmp_le_i32_e32 vcc_lo, s5, v12
	s_delay_alu instid0(VALU_DEP_2) | instskip(SKIP_1) | instid1(SALU_CYCLE_1)
	v_add_f32_e32 v11, v11, v3
	s_or_b32 s21, vcc_lo, s21
	s_and_not1_b32 exec_lo, exec_lo, s21
	s_cbranch_execnz .LBB200_31
; %bb.32:                               ;   in Loop: Header=BB200_7 Depth=2
	s_set_inst_prefetch_distance 0x2
	s_or_b32 exec_lo, exec_lo, s21
.LBB200_33:                             ;   in Loop: Header=BB200_7 Depth=2
	s_delay_alu instid0(SALU_CYCLE_1)
	s_or_b32 exec_lo, exec_lo, s2
	s_mov_b32 s2, s15
	s_waitcnt lgkmcnt(0)
	s_barrier
	buffer_gl0_inv
	ds_store_b32 v8, v11
	s_branch .LBB200_35
	.p2align	6
.LBB200_34:                             ;   in Loop: Header=BB200_35 Depth=3
	s_or_b32 exec_lo, exec_lo, s22
	s_cmp_gt_u32 s2, 3
	s_mov_b32 s2, s21
	s_cbranch_scc0 .LBB200_37
.LBB200_35:                             ;   Parent Loop BB200_3 Depth=1
                                        ;     Parent Loop BB200_7 Depth=2
                                        ; =>    This Inner Loop Header: Depth=3
	s_lshr_b32 s21, s2, 1
	s_mov_b32 s22, exec_lo
	s_waitcnt lgkmcnt(0)
	s_barrier
	buffer_gl0_inv
	v_cmpx_gt_u32_e64 s21, v1
	s_cbranch_execz .LBB200_34
; %bb.36:                               ;   in Loop: Header=BB200_35 Depth=3
	v_lshl_add_u32 v2, s21, 2, v8
	ds_load_b32 v3, v8
	ds_load_b32 v2, v2
	s_waitcnt lgkmcnt(0)
	v_add_f32_e32 v2, v3, v2
	ds_store_b32 v8, v2
	s_branch .LBB200_34
.LBB200_37:                             ;   in Loop: Header=BB200_7 Depth=2
	s_waitcnt lgkmcnt(0)
	s_barrier
	buffer_gl0_inv
	s_and_saveexec_b32 s21, s0
	s_cbranch_execz .LBB200_5
; %bb.38:                               ;   in Loop: Header=BB200_7 Depth=2
	ds_load_b32 v2, v6
	s_mov_b32 s22, 0
	v_mov_b32_e32 v12, v1
	s_waitcnt lgkmcnt(0)
	v_cmp_gt_f32_e32 vcc_lo, 0x800000, v2
	v_cndmask_b32_e64 v3, 1.0, 0x4f800000, vcc_lo
	s_delay_alu instid0(VALU_DEP_1) | instskip(NEXT) | instid1(VALU_DEP_1)
	v_mul_f32_e32 v2, v2, v3
	v_log_f32_e32 v2, v2
	s_waitcnt_depctr 0xfff
	v_mul_f32_e32 v3, 0x3f317217, v2
	s_delay_alu instid0(VALU_DEP_1) | instskip(NEXT) | instid1(VALU_DEP_1)
	v_fma_f32 v11, 0x3f317217, v2, -v3
	v_fmac_f32_e32 v11, 0x3377d1cf, v2
	s_delay_alu instid0(VALU_DEP_1) | instskip(SKIP_2) | instid1(VALU_DEP_3)
	v_add_f32_e32 v3, v3, v11
	v_cndmask_b32_e64 v11, 0, 0x41b17218, vcc_lo
	v_cmp_gt_f32_e64 vcc_lo, 0x7f800000, |v2|
	v_dual_cndmask_b32 v3, v2, v3 :: v_dual_mov_b32 v2, v7
	s_delay_alu instid0(VALU_DEP_1)
	v_sub_f32_e32 v11, v3, v11
	s_set_inst_prefetch_distance 0x1
	.p2align	6
.LBB200_39:                             ;   Parent Loop BB200_3 Depth=1
                                        ;     Parent Loop BB200_7 Depth=2
                                        ; =>    This Inner Loop Header: Depth=3
	s_delay_alu instid0(VALU_DEP_2) | instskip(SKIP_1) | instid1(VALU_DEP_2)
	v_ashrrev_i32_e32 v3, 31, v2
	v_add_nc_u32_e32 v12, s15, v12
	v_lshlrev_b64 v[13:14], 1, v[2:3]
	v_add_nc_u32_e32 v2, s19, v2
	s_delay_alu instid0(VALU_DEP_2) | instskip(NEXT) | instid1(VALU_DEP_3)
	v_add_co_u32 v15, vcc_lo, s10, v13
	v_add_co_ci_u32_e32 v16, vcc_lo, s11, v14, vcc_lo
	v_cmp_le_i32_e32 vcc_lo, s5, v12
	global_load_u16 v3, v[15:16], off
	s_or_b32 s22, vcc_lo, s22
	s_waitcnt vmcnt(0)
	v_lshlrev_b32_e32 v3, 16, v3
	s_delay_alu instid0(VALU_DEP_1) | instskip(NEXT) | instid1(VALU_DEP_1)
	v_sub_f32_e32 v3, v3, v10
	v_sub_f32_e32 v3, v3, v11
	s_delay_alu instid0(VALU_DEP_1) | instskip(SKIP_1) | instid1(VALU_DEP_2)
	v_bfe_u32 v15, v3, 16, 1
	v_cmp_o_f32_e64 s2, v3, v3
	v_add3_u32 v15, v3, v15, 0x7fff
	s_delay_alu instid0(VALU_DEP_1) | instskip(NEXT) | instid1(VALU_DEP_1)
	v_lshrrev_b32_e32 v15, 16, v15
	v_cndmask_b32_e64 v3, 0x7fc0, v15, s2
	v_add_co_u32 v13, s2, s8, v13
	s_delay_alu instid0(VALU_DEP_1)
	v_add_co_ci_u32_e64 v14, s2, s9, v14, s2
	global_store_b16 v[13:14], v3, off
	s_and_not1_b32 exec_lo, exec_lo, s22
	s_cbranch_execnz .LBB200_39
	s_branch .LBB200_5
.LBB200_40:
	s_nop 0
	s_sendmsg sendmsg(MSG_DEALLOC_VGPRS)
	s_endpgm
	.section	.rodata,"a",@progbits
	.p2align	6, 0x0
	.amdhsa_kernel _ZN2at6native12_GLOBAL__N_126cunn_SpatialSoftMaxForwardIN3c108BFloat16EfS4_iNS1_25LogSoftMaxForwardEpilogueEEEvPT1_PKT_T2_SB_SB_
		.amdhsa_group_segment_fixed_size 0
		.amdhsa_private_segment_fixed_size 0
		.amdhsa_kernarg_size 288
		.amdhsa_user_sgpr_count 14
		.amdhsa_user_sgpr_dispatch_ptr 0
		.amdhsa_user_sgpr_queue_ptr 0
		.amdhsa_user_sgpr_kernarg_segment_ptr 1
		.amdhsa_user_sgpr_dispatch_id 0
		.amdhsa_user_sgpr_private_segment_size 0
		.amdhsa_wavefront_size32 1
		.amdhsa_uses_dynamic_stack 0
		.amdhsa_enable_private_segment 0
		.amdhsa_system_sgpr_workgroup_id_x 1
		.amdhsa_system_sgpr_workgroup_id_y 1
		.amdhsa_system_sgpr_workgroup_id_z 0
		.amdhsa_system_sgpr_workgroup_info 0
		.amdhsa_system_vgpr_workitem_id 1
		.amdhsa_next_free_vgpr 17
		.amdhsa_next_free_sgpr 23
		.amdhsa_reserve_vcc 1
		.amdhsa_float_round_mode_32 0
		.amdhsa_float_round_mode_16_64 0
		.amdhsa_float_denorm_mode_32 3
		.amdhsa_float_denorm_mode_16_64 3
		.amdhsa_dx10_clamp 1
		.amdhsa_ieee_mode 1
		.amdhsa_fp16_overflow 0
		.amdhsa_workgroup_processor_mode 1
		.amdhsa_memory_ordered 1
		.amdhsa_forward_progress 0
		.amdhsa_shared_vgpr_count 0
		.amdhsa_exception_fp_ieee_invalid_op 0
		.amdhsa_exception_fp_denorm_src 0
		.amdhsa_exception_fp_ieee_div_zero 0
		.amdhsa_exception_fp_ieee_overflow 0
		.amdhsa_exception_fp_ieee_underflow 0
		.amdhsa_exception_fp_ieee_inexact 0
		.amdhsa_exception_int_div_zero 0
	.end_amdhsa_kernel
	.section	.text._ZN2at6native12_GLOBAL__N_126cunn_SpatialSoftMaxForwardIN3c108BFloat16EfS4_iNS1_25LogSoftMaxForwardEpilogueEEEvPT1_PKT_T2_SB_SB_,"axG",@progbits,_ZN2at6native12_GLOBAL__N_126cunn_SpatialSoftMaxForwardIN3c108BFloat16EfS4_iNS1_25LogSoftMaxForwardEpilogueEEEvPT1_PKT_T2_SB_SB_,comdat
.Lfunc_end200:
	.size	_ZN2at6native12_GLOBAL__N_126cunn_SpatialSoftMaxForwardIN3c108BFloat16EfS4_iNS1_25LogSoftMaxForwardEpilogueEEEvPT1_PKT_T2_SB_SB_, .Lfunc_end200-_ZN2at6native12_GLOBAL__N_126cunn_SpatialSoftMaxForwardIN3c108BFloat16EfS4_iNS1_25LogSoftMaxForwardEpilogueEEEvPT1_PKT_T2_SB_SB_
                                        ; -- End function
	.section	.AMDGPU.csdata,"",@progbits
; Kernel info:
; codeLenInByte = 2068
; NumSgprs: 25
; NumVgprs: 17
; ScratchSize: 0
; MemoryBound: 0
; FloatMode: 240
; IeeeMode: 1
; LDSByteSize: 0 bytes/workgroup (compile time only)
; SGPRBlocks: 3
; VGPRBlocks: 2
; NumSGPRsForWavesPerEU: 25
; NumVGPRsForWavesPerEU: 17
; Occupancy: 16
; WaveLimiterHint : 0
; COMPUTE_PGM_RSRC2:SCRATCH_EN: 0
; COMPUTE_PGM_RSRC2:USER_SGPR: 14
; COMPUTE_PGM_RSRC2:TRAP_HANDLER: 0
; COMPUTE_PGM_RSRC2:TGID_X_EN: 1
; COMPUTE_PGM_RSRC2:TGID_Y_EN: 1
; COMPUTE_PGM_RSRC2:TGID_Z_EN: 0
; COMPUTE_PGM_RSRC2:TIDIG_COMP_CNT: 1
	.section	.text._ZN2at6native12_GLOBAL__N_126cunn_SpatialSoftMaxForwardIN3c108BFloat16EffiNS1_25LogSoftMaxForwardEpilogueEEEvPT1_PKT_T2_SB_SB_,"axG",@progbits,_ZN2at6native12_GLOBAL__N_126cunn_SpatialSoftMaxForwardIN3c108BFloat16EffiNS1_25LogSoftMaxForwardEpilogueEEEvPT1_PKT_T2_SB_SB_,comdat
	.globl	_ZN2at6native12_GLOBAL__N_126cunn_SpatialSoftMaxForwardIN3c108BFloat16EffiNS1_25LogSoftMaxForwardEpilogueEEEvPT1_PKT_T2_SB_SB_ ; -- Begin function _ZN2at6native12_GLOBAL__N_126cunn_SpatialSoftMaxForwardIN3c108BFloat16EffiNS1_25LogSoftMaxForwardEpilogueEEEvPT1_PKT_T2_SB_SB_
	.p2align	8
	.type	_ZN2at6native12_GLOBAL__N_126cunn_SpatialSoftMaxForwardIN3c108BFloat16EffiNS1_25LogSoftMaxForwardEpilogueEEEvPT1_PKT_T2_SB_SB_,@function
_ZN2at6native12_GLOBAL__N_126cunn_SpatialSoftMaxForwardIN3c108BFloat16EffiNS1_25LogSoftMaxForwardEpilogueEEEvPT1_PKT_T2_SB_SB_: ; @_ZN2at6native12_GLOBAL__N_126cunn_SpatialSoftMaxForwardIN3c108BFloat16EffiNS1_25LogSoftMaxForwardEpilogueEEEvPT1_PKT_T2_SB_SB_
; %bb.0:
	s_load_b128 s[4:7], s[0:1], 0x10
	s_waitcnt lgkmcnt(0)
	s_cmp_ge_i32 s14, s4
	s_cbranch_scc1 .LBB201_40
; %bb.1:
	s_load_b32 s2, s[0:1], 0x2c
	v_and_b32_e32 v1, 0x3ff, v0
	s_clause 0x1
	s_load_b64 s[12:13], s[0:1], 0x20
	s_load_b128 s[8:11], s[0:1], 0x0
	s_add_u32 s16, s0, 32
	v_bfe_u32 v0, v0, 10, 10
	v_mad_u64_u32 v[2:3], null, s14, s5, v[1:2]
	s_addc_u32 s17, s1, 0
	v_cmp_gt_i32_e64 s0, s5, v1
	s_delay_alu instid0(VALU_DEP_2)
	v_mul_lo_u32 v2, s6, v2
	s_waitcnt lgkmcnt(0)
	s_lshr_b32 s2, s2, 16
	s_mul_i32 s7, s12, s6
	s_mul_i32 s15, s15, s2
	;; [unrolled: 1-line block ×3, first 2 shown]
	v_add_nc_u32_e32 v4, s15, v0
	s_delay_alu instid0(VALU_DEP_2) | instskip(SKIP_1) | instid1(VALU_DEP_2)
	v_add3_u32 v5, v0, v2, s15
	s_mul_i32 s7, s7, s5
	v_cmp_gt_i32_e64 s1, s6, v4
	s_branch .LBB201_3
.LBB201_2:                              ;   in Loop: Header=BB201_3 Depth=1
	s_or_b32 exec_lo, exec_lo, s13
	v_add_nc_u32_e32 v5, s7, v5
	s_add_i32 s14, s12, s14
	s_delay_alu instid0(SALU_CYCLE_1)
	s_cmp_ge_i32 s14, s4
	s_cbranch_scc1 .LBB201_40
.LBB201_3:                              ; =>This Loop Header: Depth=1
                                        ;     Child Loop BB201_7 Depth 2
                                        ;       Child Loop BB201_12 Depth 3
                                        ;       Child Loop BB201_15 Depth 3
	;; [unrolled: 1-line block ×8, first 2 shown]
	s_delay_alu instid0(VALU_DEP_1)
	s_and_saveexec_b32 s13, s1
	s_cbranch_execz .LBB201_2
; %bb.4:                                ;   in Loop: Header=BB201_3 Depth=1
	s_load_b32 s2, s[16:17], 0xc
	v_mov_b32_e32 v7, v5
	v_mov_b32_e32 v9, v4
	s_mov_b32 s20, 0
	s_waitcnt lgkmcnt(0)
	s_and_b32 s15, s2, 0xffff
	s_delay_alu instid0(SALU_CYCLE_1) | instskip(SKIP_3) | instid1(VALU_DEP_1)
	v_mul_u32_u24_e32 v2, s15, v0
	s_cmp_lt_u32 s15, 2
	s_mul_i32 s19, s6, s15
	s_cselect_b32 s18, -1, 0
	v_lshl_add_u32 v6, v2, 2, 0
	s_delay_alu instid0(VALU_DEP_1)
	v_lshl_add_u32 v8, v1, 2, v6
	s_branch .LBB201_7
.LBB201_5:                              ;   in Loop: Header=BB201_7 Depth=2
	s_or_b32 exec_lo, exec_lo, s21
.LBB201_6:                              ;   in Loop: Header=BB201_7 Depth=2
	v_add_nc_u32_e32 v9, s3, v9
	v_add_nc_u32_e32 v7, s3, v7
	s_delay_alu instid0(VALU_DEP_2) | instskip(SKIP_1) | instid1(SALU_CYCLE_1)
	v_cmp_le_i32_e32 vcc_lo, s6, v9
	s_or_b32 s20, vcc_lo, s20
	s_and_not1_b32 exec_lo, exec_lo, s20
	s_cbranch_execz .LBB201_2
.LBB201_7:                              ;   Parent Loop BB201_3 Depth=1
                                        ; =>  This Loop Header: Depth=2
                                        ;       Child Loop BB201_12 Depth 3
                                        ;       Child Loop BB201_15 Depth 3
	;; [unrolled: 1-line block ×8, first 2 shown]
	s_and_b32 vcc_lo, exec_lo, s18
	s_mov_b32 s2, -1
	s_cbranch_vccz .LBB201_20
; %bb.8:                                ;   in Loop: Header=BB201_7 Depth=2
	v_mov_b32_e32 v10, 0xff7fffff
	s_and_saveexec_b32 s21, s0
	s_cbranch_execnz .LBB201_11
; %bb.9:                                ;   in Loop: Header=BB201_7 Depth=2
	s_or_b32 exec_lo, exec_lo, s21
	v_mov_b32_e32 v11, 0
	s_and_saveexec_b32 s2, s0
	s_cbranch_execnz .LBB201_14
.LBB201_10:                             ;   in Loop: Header=BB201_7 Depth=2
	s_or_b32 exec_lo, exec_lo, s2
	s_and_saveexec_b32 s21, s0
	s_cbranch_execnz .LBB201_17
	s_branch .LBB201_19
.LBB201_11:                             ;   in Loop: Header=BB201_7 Depth=2
	v_dual_mov_b32 v10, 0xff7fffff :: v_dual_mov_b32 v11, v1
	v_mov_b32_e32 v2, v7
	s_mov_b32 s22, 0
	.p2align	6
.LBB201_12:                             ;   Parent Loop BB201_3 Depth=1
                                        ;     Parent Loop BB201_7 Depth=2
                                        ; =>    This Inner Loop Header: Depth=3
	s_delay_alu instid0(VALU_DEP_1) | instskip(NEXT) | instid1(VALU_DEP_3)
	v_ashrrev_i32_e32 v3, 31, v2
	v_add_nc_u32_e32 v11, s15, v11
	s_delay_alu instid0(VALU_DEP_2) | instskip(SKIP_1) | instid1(VALU_DEP_2)
	v_lshlrev_b64 v[12:13], 1, v[2:3]
	v_add_nc_u32_e32 v2, s19, v2
	v_add_co_u32 v12, vcc_lo, s10, v12
	s_delay_alu instid0(VALU_DEP_3)
	v_add_co_ci_u32_e32 v13, vcc_lo, s11, v13, vcc_lo
	v_cmp_le_i32_e32 vcc_lo, s5, v11
	global_load_u16 v3, v[12:13], off
	s_or_b32 s22, vcc_lo, s22
	s_waitcnt vmcnt(0)
	v_lshlrev_b32_e32 v3, 16, v3
	s_delay_alu instid0(VALU_DEP_1) | instskip(NEXT) | instid1(VALU_DEP_1)
	v_cmp_lt_f32_e64 s2, v10, v3
	v_cndmask_b32_e64 v10, v10, v3, s2
	s_and_not1_b32 exec_lo, exec_lo, s22
	s_cbranch_execnz .LBB201_12
; %bb.13:                               ;   in Loop: Header=BB201_7 Depth=2
	s_or_b32 exec_lo, exec_lo, s22
	s_delay_alu instid0(SALU_CYCLE_1)
	s_or_b32 exec_lo, exec_lo, s21
	v_mov_b32_e32 v11, 0
	s_and_saveexec_b32 s2, s0
	s_cbranch_execz .LBB201_10
.LBB201_14:                             ;   in Loop: Header=BB201_7 Depth=2
	v_dual_mov_b32 v11, 0 :: v_dual_mov_b32 v2, v7
	v_mov_b32_e32 v12, v1
	s_mov_b32 s21, 0
	s_set_inst_prefetch_distance 0x1
	.p2align	6
.LBB201_15:                             ;   Parent Loop BB201_3 Depth=1
                                        ;     Parent Loop BB201_7 Depth=2
                                        ; =>    This Inner Loop Header: Depth=3
	s_delay_alu instid0(VALU_DEP_2) | instskip(NEXT) | instid1(VALU_DEP_2)
	v_ashrrev_i32_e32 v3, 31, v2
	v_add_nc_u32_e32 v12, s15, v12
	s_delay_alu instid0(VALU_DEP_2) | instskip(SKIP_1) | instid1(VALU_DEP_2)
	v_lshlrev_b64 v[13:14], 1, v[2:3]
	v_add_nc_u32_e32 v2, s19, v2
	v_add_co_u32 v13, vcc_lo, s10, v13
	s_delay_alu instid0(VALU_DEP_3) | instskip(SKIP_3) | instid1(VALU_DEP_1)
	v_add_co_ci_u32_e32 v14, vcc_lo, s11, v14, vcc_lo
	global_load_u16 v3, v[13:14], off
	s_waitcnt vmcnt(0)
	v_lshlrev_b32_e32 v3, 16, v3
	v_sub_f32_e32 v3, v3, v10
	s_delay_alu instid0(VALU_DEP_1) | instskip(SKIP_1) | instid1(VALU_DEP_2)
	v_mul_f32_e32 v13, 0x3fb8aa3b, v3
	v_cmp_ngt_f32_e32 vcc_lo, 0xc2ce8ed0, v3
	v_fma_f32 v14, 0x3fb8aa3b, v3, -v13
	v_rndne_f32_e32 v15, v13
	s_delay_alu instid0(VALU_DEP_2) | instskip(NEXT) | instid1(VALU_DEP_2)
	v_fmac_f32_e32 v14, 0x32a5705f, v3
	v_sub_f32_e32 v13, v13, v15
	s_delay_alu instid0(VALU_DEP_1) | instskip(SKIP_1) | instid1(VALU_DEP_2)
	v_add_f32_e32 v13, v13, v14
	v_cvt_i32_f32_e32 v14, v15
	v_exp_f32_e32 v13, v13
	s_waitcnt_depctr 0xfff
	v_ldexp_f32 v13, v13, v14
	s_delay_alu instid0(VALU_DEP_1) | instskip(SKIP_1) | instid1(VALU_DEP_2)
	v_cndmask_b32_e32 v13, 0, v13, vcc_lo
	v_cmp_nlt_f32_e32 vcc_lo, 0x42b17218, v3
	v_cndmask_b32_e32 v3, 0x7f800000, v13, vcc_lo
	v_cmp_le_i32_e32 vcc_lo, s5, v12
	s_delay_alu instid0(VALU_DEP_2) | instskip(SKIP_1) | instid1(SALU_CYCLE_1)
	v_add_f32_e32 v11, v11, v3
	s_or_b32 s21, vcc_lo, s21
	s_and_not1_b32 exec_lo, exec_lo, s21
	s_cbranch_execnz .LBB201_15
; %bb.16:                               ;   in Loop: Header=BB201_7 Depth=2
	s_set_inst_prefetch_distance 0x2
	s_or_b32 exec_lo, exec_lo, s21
	s_delay_alu instid0(SALU_CYCLE_1)
	s_or_b32 exec_lo, exec_lo, s2
	s_and_saveexec_b32 s21, s0
	s_cbranch_execz .LBB201_19
.LBB201_17:                             ;   in Loop: Header=BB201_7 Depth=2
	v_cmp_gt_f32_e32 vcc_lo, 0x800000, v11
	s_mov_b32 s22, 0
	v_mov_b32_e32 v12, v1
	v_cndmask_b32_e64 v2, 1.0, 0x4f800000, vcc_lo
	s_delay_alu instid0(VALU_DEP_1) | instskip(NEXT) | instid1(VALU_DEP_1)
	v_mul_f32_e32 v2, v11, v2
	v_log_f32_e32 v2, v2
	s_waitcnt_depctr 0xfff
	v_mul_f32_e32 v3, 0x3f317217, v2
	s_delay_alu instid0(VALU_DEP_1) | instskip(NEXT) | instid1(VALU_DEP_1)
	v_fma_f32 v11, 0x3f317217, v2, -v3
	v_fmac_f32_e32 v11, 0x3377d1cf, v2
	s_delay_alu instid0(VALU_DEP_1) | instskip(SKIP_2) | instid1(VALU_DEP_3)
	v_add_f32_e32 v3, v3, v11
	v_cndmask_b32_e64 v11, 0, 0x41b17218, vcc_lo
	v_cmp_gt_f32_e64 vcc_lo, 0x7f800000, |v2|
	v_dual_cndmask_b32 v3, v2, v3 :: v_dual_mov_b32 v2, v7
	s_delay_alu instid0(VALU_DEP_1)
	v_sub_f32_e32 v11, v3, v11
	.p2align	6
.LBB201_18:                             ;   Parent Loop BB201_3 Depth=1
                                        ;     Parent Loop BB201_7 Depth=2
                                        ; =>    This Inner Loop Header: Depth=3
	s_delay_alu instid0(VALU_DEP_2) | instskip(NEXT) | instid1(VALU_DEP_1)
	v_ashrrev_i32_e32 v3, 31, v2
	v_lshlrev_b64 v[13:14], 1, v[2:3]
	s_delay_alu instid0(VALU_DEP_1) | instskip(NEXT) | instid1(VALU_DEP_2)
	v_add_co_u32 v13, vcc_lo, s10, v13
	v_add_co_ci_u32_e32 v14, vcc_lo, s11, v14, vcc_lo
	global_load_u16 v13, v[13:14], off
	s_waitcnt vmcnt(0)
	v_lshlrev_b32_e32 v13, 16, v13
	s_delay_alu instid0(VALU_DEP_1) | instskip(SKIP_1) | instid1(VALU_DEP_2)
	v_dual_sub_f32 v15, v13, v10 :: v_dual_add_nc_u32 v12, s15, v12
	v_lshlrev_b64 v[13:14], 2, v[2:3]
	v_cmp_le_i32_e32 vcc_lo, s5, v12
	s_delay_alu instid0(VALU_DEP_3) | instskip(NEXT) | instid1(VALU_DEP_3)
	v_dual_sub_f32 v3, v15, v11 :: v_dual_add_nc_u32 v2, s19, v2
	v_add_co_u32 v13, s2, s8, v13
	s_delay_alu instid0(VALU_DEP_1)
	v_add_co_ci_u32_e64 v14, s2, s9, v14, s2
	s_or_b32 s22, vcc_lo, s22
	global_store_b32 v[13:14], v3, off
	s_and_not1_b32 exec_lo, exec_lo, s22
	s_cbranch_execnz .LBB201_18
.LBB201_19:                             ;   in Loop: Header=BB201_7 Depth=2
	s_or_b32 exec_lo, exec_lo, s21
	s_mov_b32 s2, 0
.LBB201_20:                             ;   in Loop: Header=BB201_7 Depth=2
	s_delay_alu instid0(SALU_CYCLE_1)
	s_and_b32 vcc_lo, exec_lo, s2
	s_cbranch_vccz .LBB201_6
; %bb.21:                               ;   in Loop: Header=BB201_7 Depth=2
	v_mov_b32_e32 v10, 0xff7fffff
	s_and_saveexec_b32 s21, s0
	s_cbranch_execz .LBB201_25
; %bb.22:                               ;   in Loop: Header=BB201_7 Depth=2
	v_dual_mov_b32 v10, 0xff7fffff :: v_dual_mov_b32 v11, v1
	v_mov_b32_e32 v2, v7
	s_mov_b32 s22, 0
	.p2align	6
.LBB201_23:                             ;   Parent Loop BB201_3 Depth=1
                                        ;     Parent Loop BB201_7 Depth=2
                                        ; =>    This Inner Loop Header: Depth=3
	s_delay_alu instid0(VALU_DEP_1) | instskip(NEXT) | instid1(VALU_DEP_3)
	v_ashrrev_i32_e32 v3, 31, v2
	v_add_nc_u32_e32 v11, s15, v11
	s_delay_alu instid0(VALU_DEP_2) | instskip(SKIP_1) | instid1(VALU_DEP_2)
	v_lshlrev_b64 v[12:13], 1, v[2:3]
	v_add_nc_u32_e32 v2, s19, v2
	v_add_co_u32 v12, vcc_lo, s10, v12
	s_delay_alu instid0(VALU_DEP_3)
	v_add_co_ci_u32_e32 v13, vcc_lo, s11, v13, vcc_lo
	v_cmp_le_i32_e32 vcc_lo, s5, v11
	global_load_u16 v3, v[12:13], off
	s_or_b32 s22, vcc_lo, s22
	s_waitcnt vmcnt(0)
	v_lshlrev_b32_e32 v3, 16, v3
	s_delay_alu instid0(VALU_DEP_1) | instskip(NEXT) | instid1(VALU_DEP_1)
	v_cmp_lt_f32_e64 s2, v10, v3
	v_cndmask_b32_e64 v10, v10, v3, s2
	s_and_not1_b32 exec_lo, exec_lo, s22
	s_cbranch_execnz .LBB201_23
; %bb.24:                               ;   in Loop: Header=BB201_7 Depth=2
	s_or_b32 exec_lo, exec_lo, s22
.LBB201_25:                             ;   in Loop: Header=BB201_7 Depth=2
	s_delay_alu instid0(SALU_CYCLE_1)
	s_or_b32 exec_lo, exec_lo, s21
	s_mov_b32 s2, s15
	s_waitcnt_vscnt null, 0x0
	s_barrier
	buffer_gl0_inv
	ds_store_b32 v8, v10
	s_branch .LBB201_27
	.p2align	6
.LBB201_26:                             ;   in Loop: Header=BB201_27 Depth=3
	s_or_b32 exec_lo, exec_lo, s22
	s_cmp_gt_u32 s2, 3
	s_mov_b32 s2, s21
	s_cbranch_scc0 .LBB201_29
.LBB201_27:                             ;   Parent Loop BB201_3 Depth=1
                                        ;     Parent Loop BB201_7 Depth=2
                                        ; =>    This Inner Loop Header: Depth=3
	s_lshr_b32 s21, s2, 1
	s_mov_b32 s22, exec_lo
	s_waitcnt lgkmcnt(0)
	s_barrier
	buffer_gl0_inv
	v_cmpx_gt_u32_e64 s21, v1
	s_cbranch_execz .LBB201_26
; %bb.28:                               ;   in Loop: Header=BB201_27 Depth=3
	v_lshl_add_u32 v2, s21, 2, v8
	ds_load_b32 v3, v8
	ds_load_b32 v2, v2
	s_waitcnt lgkmcnt(0)
	v_cmp_lt_f32_e32 vcc_lo, v3, v2
	v_cndmask_b32_e32 v2, v3, v2, vcc_lo
	ds_store_b32 v8, v2
	s_branch .LBB201_26
.LBB201_29:                             ;   in Loop: Header=BB201_7 Depth=2
	s_waitcnt lgkmcnt(0)
	s_barrier
	buffer_gl0_inv
	ds_load_b32 v10, v6
	v_mov_b32_e32 v11, 0
	s_and_saveexec_b32 s2, s0
	s_cbranch_execz .LBB201_33
; %bb.30:                               ;   in Loop: Header=BB201_7 Depth=2
	v_dual_mov_b32 v11, 0 :: v_dual_mov_b32 v2, v7
	v_mov_b32_e32 v12, v1
	s_mov_b32 s21, 0
	s_set_inst_prefetch_distance 0x1
	.p2align	6
.LBB201_31:                             ;   Parent Loop BB201_3 Depth=1
                                        ;     Parent Loop BB201_7 Depth=2
                                        ; =>    This Inner Loop Header: Depth=3
	s_delay_alu instid0(VALU_DEP_2) | instskip(NEXT) | instid1(VALU_DEP_2)
	v_ashrrev_i32_e32 v3, 31, v2
	v_add_nc_u32_e32 v12, s15, v12
	s_delay_alu instid0(VALU_DEP_2) | instskip(SKIP_1) | instid1(VALU_DEP_2)
	v_lshlrev_b64 v[13:14], 1, v[2:3]
	v_add_nc_u32_e32 v2, s19, v2
	v_add_co_u32 v13, vcc_lo, s10, v13
	s_delay_alu instid0(VALU_DEP_3) | instskip(SKIP_4) | instid1(VALU_DEP_1)
	v_add_co_ci_u32_e32 v14, vcc_lo, s11, v14, vcc_lo
	global_load_u16 v3, v[13:14], off
	s_waitcnt vmcnt(0)
	v_lshlrev_b32_e32 v3, 16, v3
	s_waitcnt lgkmcnt(0)
	v_sub_f32_e32 v3, v3, v10
	s_delay_alu instid0(VALU_DEP_1) | instskip(SKIP_1) | instid1(VALU_DEP_2)
	v_mul_f32_e32 v13, 0x3fb8aa3b, v3
	v_cmp_ngt_f32_e32 vcc_lo, 0xc2ce8ed0, v3
	v_fma_f32 v14, 0x3fb8aa3b, v3, -v13
	v_rndne_f32_e32 v15, v13
	s_delay_alu instid0(VALU_DEP_2) | instskip(NEXT) | instid1(VALU_DEP_2)
	v_fmac_f32_e32 v14, 0x32a5705f, v3
	v_sub_f32_e32 v13, v13, v15
	s_delay_alu instid0(VALU_DEP_1) | instskip(SKIP_1) | instid1(VALU_DEP_2)
	v_add_f32_e32 v13, v13, v14
	v_cvt_i32_f32_e32 v14, v15
	v_exp_f32_e32 v13, v13
	s_waitcnt_depctr 0xfff
	v_ldexp_f32 v13, v13, v14
	s_delay_alu instid0(VALU_DEP_1) | instskip(SKIP_1) | instid1(VALU_DEP_2)
	v_cndmask_b32_e32 v13, 0, v13, vcc_lo
	v_cmp_nlt_f32_e32 vcc_lo, 0x42b17218, v3
	v_cndmask_b32_e32 v3, 0x7f800000, v13, vcc_lo
	v_cmp_le_i32_e32 vcc_lo, s5, v12
	s_delay_alu instid0(VALU_DEP_2) | instskip(SKIP_1) | instid1(SALU_CYCLE_1)
	v_add_f32_e32 v11, v11, v3
	s_or_b32 s21, vcc_lo, s21
	s_and_not1_b32 exec_lo, exec_lo, s21
	s_cbranch_execnz .LBB201_31
; %bb.32:                               ;   in Loop: Header=BB201_7 Depth=2
	s_set_inst_prefetch_distance 0x2
	s_or_b32 exec_lo, exec_lo, s21
.LBB201_33:                             ;   in Loop: Header=BB201_7 Depth=2
	s_delay_alu instid0(SALU_CYCLE_1)
	s_or_b32 exec_lo, exec_lo, s2
	s_mov_b32 s2, s15
	s_waitcnt lgkmcnt(0)
	s_barrier
	buffer_gl0_inv
	ds_store_b32 v8, v11
	s_branch .LBB201_35
	.p2align	6
.LBB201_34:                             ;   in Loop: Header=BB201_35 Depth=3
	s_or_b32 exec_lo, exec_lo, s22
	s_cmp_gt_u32 s2, 3
	s_mov_b32 s2, s21
	s_cbranch_scc0 .LBB201_37
.LBB201_35:                             ;   Parent Loop BB201_3 Depth=1
                                        ;     Parent Loop BB201_7 Depth=2
                                        ; =>    This Inner Loop Header: Depth=3
	s_lshr_b32 s21, s2, 1
	s_mov_b32 s22, exec_lo
	s_waitcnt lgkmcnt(0)
	s_barrier
	buffer_gl0_inv
	v_cmpx_gt_u32_e64 s21, v1
	s_cbranch_execz .LBB201_34
; %bb.36:                               ;   in Loop: Header=BB201_35 Depth=3
	v_lshl_add_u32 v2, s21, 2, v8
	ds_load_b32 v3, v8
	ds_load_b32 v2, v2
	s_waitcnt lgkmcnt(0)
	v_add_f32_e32 v2, v3, v2
	ds_store_b32 v8, v2
	s_branch .LBB201_34
.LBB201_37:                             ;   in Loop: Header=BB201_7 Depth=2
	s_waitcnt lgkmcnt(0)
	s_barrier
	buffer_gl0_inv
	s_and_saveexec_b32 s21, s0
	s_cbranch_execz .LBB201_5
; %bb.38:                               ;   in Loop: Header=BB201_7 Depth=2
	ds_load_b32 v2, v6
	s_mov_b32 s22, 0
	v_mov_b32_e32 v12, v1
	s_waitcnt lgkmcnt(0)
	v_cmp_gt_f32_e32 vcc_lo, 0x800000, v2
	v_cndmask_b32_e64 v3, 1.0, 0x4f800000, vcc_lo
	s_delay_alu instid0(VALU_DEP_1) | instskip(NEXT) | instid1(VALU_DEP_1)
	v_mul_f32_e32 v2, v2, v3
	v_log_f32_e32 v2, v2
	s_waitcnt_depctr 0xfff
	v_mul_f32_e32 v3, 0x3f317217, v2
	s_delay_alu instid0(VALU_DEP_1) | instskip(NEXT) | instid1(VALU_DEP_1)
	v_fma_f32 v11, 0x3f317217, v2, -v3
	v_fmac_f32_e32 v11, 0x3377d1cf, v2
	s_delay_alu instid0(VALU_DEP_1) | instskip(SKIP_2) | instid1(VALU_DEP_3)
	v_add_f32_e32 v3, v3, v11
	v_cndmask_b32_e64 v11, 0, 0x41b17218, vcc_lo
	v_cmp_gt_f32_e64 vcc_lo, 0x7f800000, |v2|
	v_dual_cndmask_b32 v3, v2, v3 :: v_dual_mov_b32 v2, v7
	s_delay_alu instid0(VALU_DEP_1)
	v_sub_f32_e32 v11, v3, v11
	.p2align	6
.LBB201_39:                             ;   Parent Loop BB201_3 Depth=1
                                        ;     Parent Loop BB201_7 Depth=2
                                        ; =>    This Inner Loop Header: Depth=3
	s_delay_alu instid0(VALU_DEP_2) | instskip(NEXT) | instid1(VALU_DEP_1)
	v_ashrrev_i32_e32 v3, 31, v2
	v_lshlrev_b64 v[13:14], 1, v[2:3]
	s_delay_alu instid0(VALU_DEP_1) | instskip(NEXT) | instid1(VALU_DEP_2)
	v_add_co_u32 v13, vcc_lo, s10, v13
	v_add_co_ci_u32_e32 v14, vcc_lo, s11, v14, vcc_lo
	global_load_u16 v13, v[13:14], off
	s_waitcnt vmcnt(0)
	v_lshlrev_b32_e32 v13, 16, v13
	s_delay_alu instid0(VALU_DEP_1) | instskip(SKIP_1) | instid1(VALU_DEP_2)
	v_dual_sub_f32 v15, v13, v10 :: v_dual_add_nc_u32 v12, s15, v12
	v_lshlrev_b64 v[13:14], 2, v[2:3]
	v_cmp_le_i32_e32 vcc_lo, s5, v12
	s_delay_alu instid0(VALU_DEP_3) | instskip(NEXT) | instid1(VALU_DEP_3)
	v_dual_sub_f32 v3, v15, v11 :: v_dual_add_nc_u32 v2, s19, v2
	v_add_co_u32 v13, s2, s8, v13
	s_delay_alu instid0(VALU_DEP_1)
	v_add_co_ci_u32_e64 v14, s2, s9, v14, s2
	s_or_b32 s22, vcc_lo, s22
	global_store_b32 v[13:14], v3, off
	s_and_not1_b32 exec_lo, exec_lo, s22
	s_cbranch_execnz .LBB201_39
	s_branch .LBB201_5
.LBB201_40:
	s_nop 0
	s_sendmsg sendmsg(MSG_DEALLOC_VGPRS)
	s_endpgm
	.section	.rodata,"a",@progbits
	.p2align	6, 0x0
	.amdhsa_kernel _ZN2at6native12_GLOBAL__N_126cunn_SpatialSoftMaxForwardIN3c108BFloat16EffiNS1_25LogSoftMaxForwardEpilogueEEEvPT1_PKT_T2_SB_SB_
		.amdhsa_group_segment_fixed_size 0
		.amdhsa_private_segment_fixed_size 0
		.amdhsa_kernarg_size 288
		.amdhsa_user_sgpr_count 14
		.amdhsa_user_sgpr_dispatch_ptr 0
		.amdhsa_user_sgpr_queue_ptr 0
		.amdhsa_user_sgpr_kernarg_segment_ptr 1
		.amdhsa_user_sgpr_dispatch_id 0
		.amdhsa_user_sgpr_private_segment_size 0
		.amdhsa_wavefront_size32 1
		.amdhsa_uses_dynamic_stack 0
		.amdhsa_enable_private_segment 0
		.amdhsa_system_sgpr_workgroup_id_x 1
		.amdhsa_system_sgpr_workgroup_id_y 1
		.amdhsa_system_sgpr_workgroup_id_z 0
		.amdhsa_system_sgpr_workgroup_info 0
		.amdhsa_system_vgpr_workitem_id 1
		.amdhsa_next_free_vgpr 16
		.amdhsa_next_free_sgpr 23
		.amdhsa_reserve_vcc 1
		.amdhsa_float_round_mode_32 0
		.amdhsa_float_round_mode_16_64 0
		.amdhsa_float_denorm_mode_32 3
		.amdhsa_float_denorm_mode_16_64 3
		.amdhsa_dx10_clamp 1
		.amdhsa_ieee_mode 1
		.amdhsa_fp16_overflow 0
		.amdhsa_workgroup_processor_mode 1
		.amdhsa_memory_ordered 1
		.amdhsa_forward_progress 0
		.amdhsa_shared_vgpr_count 0
		.amdhsa_exception_fp_ieee_invalid_op 0
		.amdhsa_exception_fp_denorm_src 0
		.amdhsa_exception_fp_ieee_div_zero 0
		.amdhsa_exception_fp_ieee_overflow 0
		.amdhsa_exception_fp_ieee_underflow 0
		.amdhsa_exception_fp_ieee_inexact 0
		.amdhsa_exception_int_div_zero 0
	.end_amdhsa_kernel
	.section	.text._ZN2at6native12_GLOBAL__N_126cunn_SpatialSoftMaxForwardIN3c108BFloat16EffiNS1_25LogSoftMaxForwardEpilogueEEEvPT1_PKT_T2_SB_SB_,"axG",@progbits,_ZN2at6native12_GLOBAL__N_126cunn_SpatialSoftMaxForwardIN3c108BFloat16EffiNS1_25LogSoftMaxForwardEpilogueEEEvPT1_PKT_T2_SB_SB_,comdat
.Lfunc_end201:
	.size	_ZN2at6native12_GLOBAL__N_126cunn_SpatialSoftMaxForwardIN3c108BFloat16EffiNS1_25LogSoftMaxForwardEpilogueEEEvPT1_PKT_T2_SB_SB_, .Lfunc_end201-_ZN2at6native12_GLOBAL__N_126cunn_SpatialSoftMaxForwardIN3c108BFloat16EffiNS1_25LogSoftMaxForwardEpilogueEEEvPT1_PKT_T2_SB_SB_
                                        ; -- End function
	.section	.AMDGPU.csdata,"",@progbits
; Kernel info:
; codeLenInByte = 1972
; NumSgprs: 25
; NumVgprs: 16
; ScratchSize: 0
; MemoryBound: 0
; FloatMode: 240
; IeeeMode: 1
; LDSByteSize: 0 bytes/workgroup (compile time only)
; SGPRBlocks: 3
; VGPRBlocks: 1
; NumSGPRsForWavesPerEU: 25
; NumVGPRsForWavesPerEU: 16
; Occupancy: 16
; WaveLimiterHint : 0
; COMPUTE_PGM_RSRC2:SCRATCH_EN: 0
; COMPUTE_PGM_RSRC2:USER_SGPR: 14
; COMPUTE_PGM_RSRC2:TRAP_HANDLER: 0
; COMPUTE_PGM_RSRC2:TGID_X_EN: 1
; COMPUTE_PGM_RSRC2:TGID_Y_EN: 1
; COMPUTE_PGM_RSRC2:TGID_Z_EN: 0
; COMPUTE_PGM_RSRC2:TIDIG_COMP_CNT: 1
	.section	.text._ZN2at6native12_GLOBAL__N_126cunn_SpatialSoftMaxForwardIN3c108BFloat16EfS4_lNS1_25LogSoftMaxForwardEpilogueEEEvPT1_PKT_T2_SB_SB_,"axG",@progbits,_ZN2at6native12_GLOBAL__N_126cunn_SpatialSoftMaxForwardIN3c108BFloat16EfS4_lNS1_25LogSoftMaxForwardEpilogueEEEvPT1_PKT_T2_SB_SB_,comdat
	.globl	_ZN2at6native12_GLOBAL__N_126cunn_SpatialSoftMaxForwardIN3c108BFloat16EfS4_lNS1_25LogSoftMaxForwardEpilogueEEEvPT1_PKT_T2_SB_SB_ ; -- Begin function _ZN2at6native12_GLOBAL__N_126cunn_SpatialSoftMaxForwardIN3c108BFloat16EfS4_lNS1_25LogSoftMaxForwardEpilogueEEEvPT1_PKT_T2_SB_SB_
	.p2align	8
	.type	_ZN2at6native12_GLOBAL__N_126cunn_SpatialSoftMaxForwardIN3c108BFloat16EfS4_lNS1_25LogSoftMaxForwardEpilogueEEEvPT1_PKT_T2_SB_SB_,@function
_ZN2at6native12_GLOBAL__N_126cunn_SpatialSoftMaxForwardIN3c108BFloat16EfS4_lNS1_25LogSoftMaxForwardEpilogueEEEvPT1_PKT_T2_SB_SB_: ; @_ZN2at6native12_GLOBAL__N_126cunn_SpatialSoftMaxForwardIN3c108BFloat16EfS4_lNS1_25LogSoftMaxForwardEpilogueEEEvPT1_PKT_T2_SB_SB_
; %bb.0:
	s_load_b256 s[4:11], s[0:1], 0x0
	s_mov_b32 s2, s15
	s_mov_b32 s15, 0
	s_waitcnt lgkmcnt(0)
	v_cmp_ge_i64_e64 s3, s[14:15], s[8:9]
	s_delay_alu instid0(VALU_DEP_1)
	s_and_b32 vcc_lo, exec_lo, s3
	s_cbranch_vccnz .LBB202_40
; %bb.1:
	s_clause 0x1
	s_load_b32 s3, s[0:1], 0x34
	s_load_b128 s[16:19], s[0:1], 0x20
	v_bfe_u32 v1, v0, 10, 10
	v_and_b32_e32 v2, 0x3ff, v0
	s_add_u32 s12, s0, 40
	s_addc_u32 s13, s1, 0
	s_mov_b32 s21, s15
	s_waitcnt lgkmcnt(0)
	s_lshr_b32 s0, s3, 16
	s_mul_i32 s1, s16, s10
	v_mad_u64_u32 v[4:5], null, s2, s0, v[1:2]
	v_mov_b32_e32 v5, 0
	v_mad_u64_u32 v[6:7], null, s16, v2, 0
	s_mul_i32 s2, s16, s11
	s_mul_hi_u32 s3, s16, s10
	s_delay_alu instid0(VALU_DEP_2) | instskip(NEXT) | instid1(VALU_DEP_4)
	v_mov_b32_e32 v3, v5
	v_mad_u64_u32 v[8:9], null, s1, s14, v[4:5]
	s_mul_i32 s20, s17, s10
	s_delay_alu instid0(VALU_DEP_3) | instskip(NEXT) | instid1(VALU_DEP_3)
	v_mov_b32_e32 v0, v7
	v_mad_u64_u32 v[10:11], null, s10, s14, v[2:3]
	s_add_i32 s2, s3, s2
	s_lshl_b64 s[22:23], s[16:17], 1
	s_delay_alu instid0(VALU_DEP_3) | instskip(SKIP_2) | instid1(VALU_DEP_3)
	v_mov_b32_e32 v7, v9
	v_mad_u64_u32 v[12:13], null, s17, v2, v[0:1]
	s_add_i32 s3, s2, s20
	v_mov_b32_e32 v0, v11
	s_delay_alu instid0(VALU_DEP_3) | instskip(SKIP_2) | instid1(VALU_DEP_2)
	v_mad_u64_u32 v[13:14], null, s3, s14, v[7:8]
	s_mul_i32 s20, s19, s0
	s_mul_hi_u32 s0, s1, s18
	v_mad_u64_u32 v[14:15], null, s11, s14, v[0:1]
	s_delay_alu instid0(VALU_DEP_4) | instskip(SKIP_3) | instid1(VALU_DEP_4)
	v_mov_b32_e32 v7, v12
	v_mad_u64_u32 v[11:12], null, s16, v10, v[4:5]
	v_mul_lo_u32 v0, s17, v10
	v_mov_b32_e32 v9, v13
	v_lshlrev_b64 v[6:7], 1, v[6:7]
	v_mul_lo_u32 v10, s16, v14
	s_mul_i32 s3, s3, s18
	s_mul_i32 s2, s1, s18
	v_lshlrev_b64 v[8:9], 1, v[8:9]
	s_add_i32 s3, s0, s3
	v_cmp_gt_i64_e64 s0, s[16:17], v[4:5]
	v_cmp_gt_i64_e64 s1, s[10:11], v[2:3]
	s_delay_alu instid0(VALU_DEP_4) | instskip(NEXT) | instid1(VALU_DEP_4)
	v_add3_u32 v12, v0, v12, v10
	v_add_co_u32 v0, vcc_lo, v6, v8
	v_add_co_ci_u32_e32 v7, vcc_lo, v7, v9, vcc_lo
	s_delay_alu instid0(VALU_DEP_3) | instskip(NEXT) | instid1(VALU_DEP_3)
	v_lshlrev_b64 v[10:11], 1, v[11:12]
	v_add_co_u32 v6, vcc_lo, s6, v0
	s_delay_alu instid0(VALU_DEP_3) | instskip(NEXT) | instid1(VALU_DEP_3)
	v_add_co_ci_u32_e32 v7, vcc_lo, s7, v7, vcc_lo
	v_add_co_u32 v8, vcc_lo, s6, v10
	s_delay_alu instid0(VALU_DEP_4)
	v_add_co_ci_u32_e32 v9, vcc_lo, s7, v11, vcc_lo
	v_add_co_u32 v10, vcc_lo, s4, v10
	v_add_co_ci_u32_e32 v11, vcc_lo, s5, v11, vcc_lo
	s_lshl_b64 s[4:5], s[2:3], 1
	s_lshl_b64 s[6:7], s[20:21], 1
	s_branch .LBB202_3
.LBB202_2:                              ;   in Loop: Header=BB202_3 Depth=1
	s_or_b32 exec_lo, exec_lo, s3
	v_add_co_u32 v6, vcc_lo, v6, s4
	s_add_u32 s14, s14, s18
	v_add_co_ci_u32_e32 v7, vcc_lo, s5, v7, vcc_lo
	s_addc_u32 s15, s15, 0
	v_add_co_u32 v8, vcc_lo, v8, s4
	v_cmp_ge_i64_e64 s2, s[14:15], s[8:9]
	v_add_co_ci_u32_e32 v9, vcc_lo, s5, v9, vcc_lo
	v_add_co_u32 v10, vcc_lo, v10, s4
	v_add_co_ci_u32_e32 v11, vcc_lo, s5, v11, vcc_lo
	s_delay_alu instid0(VALU_DEP_4)
	s_and_b32 vcc_lo, exec_lo, s2
	s_cbranch_vccnz .LBB202_40
.LBB202_3:                              ; =>This Loop Header: Depth=1
                                        ;     Child Loop BB202_7 Depth 2
                                        ;       Child Loop BB202_12 Depth 3
                                        ;       Child Loop BB202_15 Depth 3
	;; [unrolled: 1-line block ×8, first 2 shown]
	s_and_saveexec_b32 s3, s0
	s_cbranch_execz .LBB202_2
; %bb.4:                                ;   in Loop: Header=BB202_3 Depth=1
	s_load_b32 s2, s[12:13], 0xc
	v_dual_mov_b32 v13, v11 :: v_dual_mov_b32 v12, v10
	v_dual_mov_b32 v15, v9 :: v_dual_mov_b32 v14, v8
	;; [unrolled: 1-line block ×4, first 2 shown]
	s_mov_b32 s28, 0
	s_waitcnt lgkmcnt(0)
	s_and_b32 s19, s2, 0xffff
	v_cmp_lt_u16_e64 s21, s2, 2
	v_mul_u32_u24_e32 v0, s19, v1
	s_mul_i32 s2, s23, s19
	s_mul_hi_u32 s24, s22, s19
	s_mul_i32 s27, s22, s19
	s_add_i32 s26, s24, s2
	v_lshl_add_u32 v0, v0, 2, 0
	s_delay_alu instid0(VALU_DEP_1)
	v_lshl_add_u32 v24, v2, 2, v0
	s_branch .LBB202_7
.LBB202_5:                              ;   in Loop: Header=BB202_7 Depth=2
	s_set_inst_prefetch_distance 0x2
	s_or_b32 exec_lo, exec_lo, s29
.LBB202_6:                              ;   in Loop: Header=BB202_7 Depth=2
	v_add_co_u32 v18, vcc_lo, v18, s20
	v_add_co_ci_u32_e32 v19, vcc_lo, 0, v19, vcc_lo
	v_add_co_u32 v16, vcc_lo, v16, s6
	v_add_co_ci_u32_e32 v17, vcc_lo, s7, v17, vcc_lo
	v_add_co_u32 v14, vcc_lo, v14, s6
	v_add_co_ci_u32_e32 v15, vcc_lo, s7, v15, vcc_lo
	v_cmp_le_i64_e32 vcc_lo, s[16:17], v[18:19]
	v_add_co_u32 v12, s2, v12, s6
	s_delay_alu instid0(VALU_DEP_1) | instskip(SKIP_1) | instid1(SALU_CYCLE_1)
	v_add_co_ci_u32_e64 v13, s2, s7, v13, s2
	s_or_b32 s28, vcc_lo, s28
	s_and_not1_b32 exec_lo, exec_lo, s28
	s_cbranch_execz .LBB202_2
.LBB202_7:                              ;   Parent Loop BB202_3 Depth=1
                                        ; =>  This Loop Header: Depth=2
                                        ;       Child Loop BB202_12 Depth 3
                                        ;       Child Loop BB202_15 Depth 3
                                        ;       Child Loop BB202_18 Depth 3
                                        ;       Child Loop BB202_23 Depth 3
                                        ;       Child Loop BB202_27 Depth 3
                                        ;       Child Loop BB202_31 Depth 3
                                        ;       Child Loop BB202_35 Depth 3
                                        ;       Child Loop BB202_39 Depth 3
	s_and_b32 vcc_lo, exec_lo, s21
	s_mov_b32 s2, -1
	s_cbranch_vccz .LBB202_20
; %bb.8:                                ;   in Loop: Header=BB202_7 Depth=2
	v_mov_b32_e32 v25, 0xff7fffff
	s_and_saveexec_b32 s24, s1
	s_cbranch_execnz .LBB202_11
; %bb.9:                                ;   in Loop: Header=BB202_7 Depth=2
	s_or_b32 exec_lo, exec_lo, s24
	v_mov_b32_e32 v26, 0
	s_and_saveexec_b32 s24, s1
	s_cbranch_execnz .LBB202_14
.LBB202_10:                             ;   in Loop: Header=BB202_7 Depth=2
	s_or_b32 exec_lo, exec_lo, s24
	s_and_saveexec_b32 s29, s1
	s_cbranch_execnz .LBB202_17
	s_branch .LBB202_19
.LBB202_11:                             ;   in Loop: Header=BB202_7 Depth=2
	v_mov_b32_e32 v21, v17
	v_dual_mov_b32 v23, v3 :: v_dual_mov_b32 v22, v2
	v_dual_mov_b32 v25, 0xff7fffff :: v_dual_mov_b32 v20, v16
	s_mov_b32 s25, 0
.LBB202_12:                             ;   Parent Loop BB202_3 Depth=1
                                        ;     Parent Loop BB202_7 Depth=2
                                        ; =>    This Inner Loop Header: Depth=3
	global_load_u16 v26, v[20:21], off
	v_add_co_u32 v22, vcc_lo, v22, s19
	v_add_co_ci_u32_e32 v23, vcc_lo, 0, v23, vcc_lo
	v_add_co_u32 v20, vcc_lo, v20, s27
	v_add_co_ci_u32_e32 v21, vcc_lo, s26, v21, vcc_lo
	s_delay_alu instid0(VALU_DEP_3) | instskip(NEXT) | instid1(VALU_DEP_1)
	v_cmp_le_i64_e64 s2, s[10:11], v[22:23]
	s_or_b32 s25, s2, s25
	s_waitcnt vmcnt(0)
	v_lshlrev_b32_e32 v26, 16, v26
	s_delay_alu instid0(VALU_DEP_1)
	v_cmp_lt_f32_e32 vcc_lo, v25, v26
	v_cndmask_b32_e32 v25, v25, v26, vcc_lo
	s_and_not1_b32 exec_lo, exec_lo, s25
	s_cbranch_execnz .LBB202_12
; %bb.13:                               ;   in Loop: Header=BB202_7 Depth=2
	s_or_b32 exec_lo, exec_lo, s25
	s_delay_alu instid0(SALU_CYCLE_1)
	s_or_b32 exec_lo, exec_lo, s24
	v_mov_b32_e32 v26, 0
	s_and_saveexec_b32 s24, s1
	s_cbranch_execz .LBB202_10
.LBB202_14:                             ;   in Loop: Header=BB202_7 Depth=2
	v_dual_mov_b32 v26, 0 :: v_dual_mov_b32 v21, v17
	v_dual_mov_b32 v20, v16 :: v_dual_mov_b32 v23, v3
	v_mov_b32_e32 v22, v2
	s_mov_b32 s25, 0
	s_set_inst_prefetch_distance 0x1
	.p2align	6
.LBB202_15:                             ;   Parent Loop BB202_3 Depth=1
                                        ;     Parent Loop BB202_7 Depth=2
                                        ; =>    This Inner Loop Header: Depth=3
	global_load_u16 v27, v[20:21], off
	v_add_co_u32 v22, vcc_lo, v22, s19
	v_add_co_ci_u32_e32 v23, vcc_lo, 0, v23, vcc_lo
	s_delay_alu instid0(VALU_DEP_1) | instskip(SKIP_3) | instid1(VALU_DEP_1)
	v_cmp_le_i64_e32 vcc_lo, s[10:11], v[22:23]
	s_or_b32 s25, vcc_lo, s25
	s_waitcnt vmcnt(0)
	v_lshlrev_b32_e32 v27, 16, v27
	v_sub_f32_e32 v27, v27, v25
	s_delay_alu instid0(VALU_DEP_1) | instskip(SKIP_1) | instid1(VALU_DEP_2)
	v_mul_f32_e32 v28, 0x3fb8aa3b, v27
	v_cmp_ngt_f32_e64 s2, 0xc2ce8ed0, v27
	v_fma_f32 v29, 0x3fb8aa3b, v27, -v28
	v_rndne_f32_e32 v30, v28
	s_delay_alu instid0(VALU_DEP_1) | instskip(NEXT) | instid1(VALU_DEP_1)
	v_dual_fmac_f32 v29, 0x32a5705f, v27 :: v_dual_sub_f32 v28, v28, v30
	v_add_f32_e32 v28, v28, v29
	v_cvt_i32_f32_e32 v29, v30
	s_delay_alu instid0(VALU_DEP_2) | instskip(SKIP_2) | instid1(VALU_DEP_1)
	v_exp_f32_e32 v28, v28
	s_waitcnt_depctr 0xfff
	v_ldexp_f32 v28, v28, v29
	v_cndmask_b32_e64 v28, 0, v28, s2
	v_cmp_nlt_f32_e64 s2, 0x42b17218, v27
	s_delay_alu instid0(VALU_DEP_1) | instskip(SKIP_1) | instid1(VALU_DEP_1)
	v_cndmask_b32_e64 v27, 0x7f800000, v28, s2
	v_add_co_u32 v20, s2, v20, s27
	v_add_co_ci_u32_e64 v21, s2, s26, v21, s2
	s_delay_alu instid0(VALU_DEP_3)
	v_add_f32_e32 v26, v26, v27
	s_and_not1_b32 exec_lo, exec_lo, s25
	s_cbranch_execnz .LBB202_15
; %bb.16:                               ;   in Loop: Header=BB202_7 Depth=2
	s_set_inst_prefetch_distance 0x2
	s_or_b32 exec_lo, exec_lo, s25
	s_delay_alu instid0(SALU_CYCLE_1)
	s_or_b32 exec_lo, exec_lo, s24
	s_and_saveexec_b32 s29, s1
	s_cbranch_execz .LBB202_19
.LBB202_17:                             ;   in Loop: Header=BB202_7 Depth=2
	v_cmp_gt_f32_e32 vcc_lo, 0x800000, v26
	s_mov_b64 s[24:25], 0
	s_mov_b32 s30, 0
	v_cndmask_b32_e64 v20, 1.0, 0x4f800000, vcc_lo
	s_delay_alu instid0(VALU_DEP_1) | instskip(NEXT) | instid1(VALU_DEP_1)
	v_mul_f32_e32 v20, v26, v20
	v_log_f32_e32 v20, v20
	s_waitcnt_depctr 0xfff
	v_mul_f32_e32 v21, 0x3f317217, v20
	s_delay_alu instid0(VALU_DEP_1) | instskip(NEXT) | instid1(VALU_DEP_1)
	v_fma_f32 v22, 0x3f317217, v20, -v21
	v_fmac_f32_e32 v22, 0x3377d1cf, v20
	s_delay_alu instid0(VALU_DEP_1) | instskip(SKIP_2) | instid1(VALU_DEP_3)
	v_add_f32_e32 v21, v21, v22
	v_cndmask_b32_e64 v22, 0, 0x41b17218, vcc_lo
	v_cmp_gt_f32_e64 vcc_lo, 0x7f800000, |v20|
	v_cndmask_b32_e32 v20, v20, v21, vcc_lo
	s_delay_alu instid0(VALU_DEP_1)
	v_dual_sub_f32 v22, v20, v22 :: v_dual_mov_b32 v21, v3
	v_mov_b32_e32 v20, v2
	.p2align	6
.LBB202_18:                             ;   Parent Loop BB202_3 Depth=1
                                        ;     Parent Loop BB202_7 Depth=2
                                        ; =>    This Inner Loop Header: Depth=3
	v_add_co_u32 v26, vcc_lo, v14, s24
	v_add_co_ci_u32_e32 v27, vcc_lo, s25, v15, vcc_lo
	s_delay_alu instid0(VALU_DEP_3)
	v_add_co_u32 v20, vcc_lo, v20, s19
	v_add_co_ci_u32_e32 v21, vcc_lo, 0, v21, vcc_lo
	global_load_u16 v23, v[26:27], off
	v_cmp_le_i64_e64 s2, s[10:11], v[20:21]
	s_waitcnt vmcnt(0)
	v_lshlrev_b32_e32 v23, 16, v23
	s_delay_alu instid0(VALU_DEP_1) | instskip(NEXT) | instid1(VALU_DEP_1)
	v_sub_f32_e32 v23, v23, v25
	v_sub_f32_e32 v23, v23, v22
	s_delay_alu instid0(VALU_DEP_1) | instskip(NEXT) | instid1(VALU_DEP_1)
	v_bfe_u32 v26, v23, 16, 1
	v_add3_u32 v27, v23, v26, 0x7fff
	v_add_co_u32 v26, vcc_lo, v12, s24
	s_add_u32 s24, s24, s27
	s_delay_alu instid0(VALU_DEP_2)
	v_lshrrev_b32_e32 v28, 16, v27
	v_add_co_ci_u32_e32 v27, vcc_lo, s25, v13, vcc_lo
	v_cmp_o_f32_e32 vcc_lo, v23, v23
	s_addc_u32 s25, s25, s26
	s_or_b32 s30, s2, s30
	v_cndmask_b32_e32 v23, 0x7fc0, v28, vcc_lo
	global_store_b16 v[26:27], v23, off
	s_and_not1_b32 exec_lo, exec_lo, s30
	s_cbranch_execnz .LBB202_18
.LBB202_19:                             ;   in Loop: Header=BB202_7 Depth=2
	s_or_b32 exec_lo, exec_lo, s29
	s_mov_b32 s2, 0
.LBB202_20:                             ;   in Loop: Header=BB202_7 Depth=2
	s_delay_alu instid0(SALU_CYCLE_1)
	s_and_b32 vcc_lo, exec_lo, s2
	s_cbranch_vccz .LBB202_6
; %bb.21:                               ;   in Loop: Header=BB202_7 Depth=2
	v_mov_b32_e32 v25, 0xff7fffff
	s_and_saveexec_b32 s24, s1
	s_cbranch_execz .LBB202_25
; %bb.22:                               ;   in Loop: Header=BB202_7 Depth=2
	v_mov_b32_e32 v21, v17
	v_dual_mov_b32 v23, v3 :: v_dual_mov_b32 v22, v2
	v_dual_mov_b32 v25, 0xff7fffff :: v_dual_mov_b32 v20, v16
	s_mov_b32 s25, 0
.LBB202_23:                             ;   Parent Loop BB202_3 Depth=1
                                        ;     Parent Loop BB202_7 Depth=2
                                        ; =>    This Inner Loop Header: Depth=3
	global_load_u16 v26, v[20:21], off
	v_add_co_u32 v22, vcc_lo, v22, s19
	v_add_co_ci_u32_e32 v23, vcc_lo, 0, v23, vcc_lo
	v_add_co_u32 v20, vcc_lo, v20, s27
	v_add_co_ci_u32_e32 v21, vcc_lo, s26, v21, vcc_lo
	s_delay_alu instid0(VALU_DEP_3) | instskip(NEXT) | instid1(VALU_DEP_1)
	v_cmp_le_i64_e64 s2, s[10:11], v[22:23]
	s_or_b32 s25, s2, s25
	s_waitcnt vmcnt(0)
	v_lshlrev_b32_e32 v26, 16, v26
	s_delay_alu instid0(VALU_DEP_1)
	v_cmp_lt_f32_e32 vcc_lo, v25, v26
	v_cndmask_b32_e32 v25, v25, v26, vcc_lo
	s_and_not1_b32 exec_lo, exec_lo, s25
	s_cbranch_execnz .LBB202_23
; %bb.24:                               ;   in Loop: Header=BB202_7 Depth=2
	s_or_b32 exec_lo, exec_lo, s25
.LBB202_25:                             ;   in Loop: Header=BB202_7 Depth=2
	s_delay_alu instid0(SALU_CYCLE_1)
	s_or_b32 exec_lo, exec_lo, s24
	s_mov_b32 s2, s19
	s_waitcnt_vscnt null, 0x0
	s_barrier
	buffer_gl0_inv
	ds_store_b32 v24, v25
	s_branch .LBB202_27
	.p2align	6
.LBB202_26:                             ;   in Loop: Header=BB202_27 Depth=3
	s_or_b32 exec_lo, exec_lo, s25
	s_cmp_gt_u32 s2, 3
	s_mov_b32 s2, s24
	s_cbranch_scc0 .LBB202_29
.LBB202_27:                             ;   Parent Loop BB202_3 Depth=1
                                        ;     Parent Loop BB202_7 Depth=2
                                        ; =>    This Inner Loop Header: Depth=3
	s_lshr_b32 s24, s2, 1
	s_mov_b32 s25, exec_lo
	s_waitcnt lgkmcnt(0)
	s_barrier
	buffer_gl0_inv
	v_cmpx_gt_u32_e64 s24, v2
	s_cbranch_execz .LBB202_26
; %bb.28:                               ;   in Loop: Header=BB202_27 Depth=3
	v_lshl_add_u32 v20, s24, 2, v24
	ds_load_b32 v21, v24
	ds_load_b32 v20, v20
	s_waitcnt lgkmcnt(0)
	v_cmp_lt_f32_e32 vcc_lo, v21, v20
	v_cndmask_b32_e32 v20, v21, v20, vcc_lo
	ds_store_b32 v24, v20
	s_branch .LBB202_26
.LBB202_29:                             ;   in Loop: Header=BB202_7 Depth=2
	s_waitcnt lgkmcnt(0)
	s_barrier
	buffer_gl0_inv
	ds_load_b32 v25, v0
	v_mov_b32_e32 v26, 0
	s_and_saveexec_b32 s24, s1
	s_cbranch_execz .LBB202_33
; %bb.30:                               ;   in Loop: Header=BB202_7 Depth=2
	v_dual_mov_b32 v26, 0 :: v_dual_mov_b32 v21, v17
	v_dual_mov_b32 v20, v16 :: v_dual_mov_b32 v23, v3
	v_mov_b32_e32 v22, v2
	s_mov_b32 s25, 0
	s_set_inst_prefetch_distance 0x1
	.p2align	6
.LBB202_31:                             ;   Parent Loop BB202_3 Depth=1
                                        ;     Parent Loop BB202_7 Depth=2
                                        ; =>    This Inner Loop Header: Depth=3
	global_load_u16 v27, v[20:21], off
	v_add_co_u32 v22, vcc_lo, v22, s19
	v_add_co_ci_u32_e32 v23, vcc_lo, 0, v23, vcc_lo
	s_delay_alu instid0(VALU_DEP_1) | instskip(SKIP_4) | instid1(VALU_DEP_1)
	v_cmp_le_i64_e32 vcc_lo, s[10:11], v[22:23]
	s_or_b32 s25, vcc_lo, s25
	s_waitcnt vmcnt(0)
	v_lshlrev_b32_e32 v27, 16, v27
	s_waitcnt lgkmcnt(0)
	v_sub_f32_e32 v27, v27, v25
	s_delay_alu instid0(VALU_DEP_1) | instskip(SKIP_1) | instid1(VALU_DEP_2)
	v_mul_f32_e32 v28, 0x3fb8aa3b, v27
	v_cmp_ngt_f32_e64 s2, 0xc2ce8ed0, v27
	v_fma_f32 v29, 0x3fb8aa3b, v27, -v28
	v_rndne_f32_e32 v30, v28
	s_delay_alu instid0(VALU_DEP_1) | instskip(NEXT) | instid1(VALU_DEP_1)
	v_dual_fmac_f32 v29, 0x32a5705f, v27 :: v_dual_sub_f32 v28, v28, v30
	v_add_f32_e32 v28, v28, v29
	v_cvt_i32_f32_e32 v29, v30
	s_delay_alu instid0(VALU_DEP_2) | instskip(SKIP_2) | instid1(VALU_DEP_1)
	v_exp_f32_e32 v28, v28
	s_waitcnt_depctr 0xfff
	v_ldexp_f32 v28, v28, v29
	v_cndmask_b32_e64 v28, 0, v28, s2
	v_cmp_nlt_f32_e64 s2, 0x42b17218, v27
	s_delay_alu instid0(VALU_DEP_1) | instskip(SKIP_1) | instid1(VALU_DEP_1)
	v_cndmask_b32_e64 v27, 0x7f800000, v28, s2
	v_add_co_u32 v20, s2, v20, s27
	v_add_co_ci_u32_e64 v21, s2, s26, v21, s2
	s_delay_alu instid0(VALU_DEP_3)
	v_add_f32_e32 v26, v26, v27
	s_and_not1_b32 exec_lo, exec_lo, s25
	s_cbranch_execnz .LBB202_31
; %bb.32:                               ;   in Loop: Header=BB202_7 Depth=2
	s_set_inst_prefetch_distance 0x2
	s_or_b32 exec_lo, exec_lo, s25
.LBB202_33:                             ;   in Loop: Header=BB202_7 Depth=2
	s_delay_alu instid0(SALU_CYCLE_1)
	s_or_b32 exec_lo, exec_lo, s24
	s_mov_b32 s2, s19
	s_waitcnt lgkmcnt(0)
	s_barrier
	buffer_gl0_inv
	ds_store_b32 v24, v26
	s_branch .LBB202_35
	.p2align	6
.LBB202_34:                             ;   in Loop: Header=BB202_35 Depth=3
	s_or_b32 exec_lo, exec_lo, s25
	s_cmp_gt_u32 s2, 3
	s_mov_b32 s2, s24
	s_cbranch_scc0 .LBB202_37
.LBB202_35:                             ;   Parent Loop BB202_3 Depth=1
                                        ;     Parent Loop BB202_7 Depth=2
                                        ; =>    This Inner Loop Header: Depth=3
	s_lshr_b32 s24, s2, 1
	s_mov_b32 s25, exec_lo
	s_waitcnt lgkmcnt(0)
	s_barrier
	buffer_gl0_inv
	v_cmpx_gt_u32_e64 s24, v2
	s_cbranch_execz .LBB202_34
; %bb.36:                               ;   in Loop: Header=BB202_35 Depth=3
	v_lshl_add_u32 v20, s24, 2, v24
	ds_load_b32 v21, v24
	ds_load_b32 v20, v20
	s_waitcnt lgkmcnt(0)
	v_add_f32_e32 v20, v21, v20
	ds_store_b32 v24, v20
	s_branch .LBB202_34
.LBB202_37:                             ;   in Loop: Header=BB202_7 Depth=2
	s_waitcnt lgkmcnt(0)
	s_barrier
	buffer_gl0_inv
	s_and_saveexec_b32 s29, s1
	s_cbranch_execz .LBB202_5
; %bb.38:                               ;   in Loop: Header=BB202_7 Depth=2
	ds_load_b32 v20, v0
	s_mov_b64 s[24:25], 0
	s_mov_b32 s30, 0
	s_waitcnt lgkmcnt(0)
	v_cmp_gt_f32_e32 vcc_lo, 0x800000, v20
	v_cndmask_b32_e64 v21, 1.0, 0x4f800000, vcc_lo
	s_delay_alu instid0(VALU_DEP_1) | instskip(NEXT) | instid1(VALU_DEP_1)
	v_mul_f32_e32 v20, v20, v21
	v_log_f32_e32 v20, v20
	s_waitcnt_depctr 0xfff
	v_mul_f32_e32 v21, 0x3f317217, v20
	s_delay_alu instid0(VALU_DEP_1) | instskip(NEXT) | instid1(VALU_DEP_1)
	v_fma_f32 v22, 0x3f317217, v20, -v21
	v_fmac_f32_e32 v22, 0x3377d1cf, v20
	s_delay_alu instid0(VALU_DEP_1) | instskip(SKIP_2) | instid1(VALU_DEP_3)
	v_add_f32_e32 v21, v21, v22
	v_cndmask_b32_e64 v22, 0, 0x41b17218, vcc_lo
	v_cmp_gt_f32_e64 vcc_lo, 0x7f800000, |v20|
	v_cndmask_b32_e32 v20, v20, v21, vcc_lo
	s_delay_alu instid0(VALU_DEP_1)
	v_dual_sub_f32 v22, v20, v22 :: v_dual_mov_b32 v21, v3
	v_mov_b32_e32 v20, v2
	s_set_inst_prefetch_distance 0x1
	.p2align	6
.LBB202_39:                             ;   Parent Loop BB202_3 Depth=1
                                        ;     Parent Loop BB202_7 Depth=2
                                        ; =>    This Inner Loop Header: Depth=3
	v_add_co_u32 v26, vcc_lo, v14, s24
	v_add_co_ci_u32_e32 v27, vcc_lo, s25, v15, vcc_lo
	s_delay_alu instid0(VALU_DEP_3)
	v_add_co_u32 v20, vcc_lo, v20, s19
	v_add_co_ci_u32_e32 v21, vcc_lo, 0, v21, vcc_lo
	global_load_u16 v23, v[26:27], off
	v_cmp_le_i64_e64 s2, s[10:11], v[20:21]
	s_waitcnt vmcnt(0)
	v_lshlrev_b32_e32 v23, 16, v23
	s_delay_alu instid0(VALU_DEP_1) | instskip(NEXT) | instid1(VALU_DEP_1)
	v_sub_f32_e32 v23, v23, v25
	v_sub_f32_e32 v23, v23, v22
	s_delay_alu instid0(VALU_DEP_1) | instskip(NEXT) | instid1(VALU_DEP_1)
	v_bfe_u32 v26, v23, 16, 1
	v_add3_u32 v27, v23, v26, 0x7fff
	v_add_co_u32 v26, vcc_lo, v12, s24
	s_add_u32 s24, s24, s27
	s_delay_alu instid0(VALU_DEP_2)
	v_lshrrev_b32_e32 v28, 16, v27
	v_add_co_ci_u32_e32 v27, vcc_lo, s25, v13, vcc_lo
	v_cmp_o_f32_e32 vcc_lo, v23, v23
	s_addc_u32 s25, s25, s26
	s_or_b32 s30, s2, s30
	v_cndmask_b32_e32 v23, 0x7fc0, v28, vcc_lo
	global_store_b16 v[26:27], v23, off
	s_and_not1_b32 exec_lo, exec_lo, s30
	s_cbranch_execnz .LBB202_39
	s_branch .LBB202_5
.LBB202_40:
	s_nop 0
	s_sendmsg sendmsg(MSG_DEALLOC_VGPRS)
	s_endpgm
	.section	.rodata,"a",@progbits
	.p2align	6, 0x0
	.amdhsa_kernel _ZN2at6native12_GLOBAL__N_126cunn_SpatialSoftMaxForwardIN3c108BFloat16EfS4_lNS1_25LogSoftMaxForwardEpilogueEEEvPT1_PKT_T2_SB_SB_
		.amdhsa_group_segment_fixed_size 0
		.amdhsa_private_segment_fixed_size 0
		.amdhsa_kernarg_size 296
		.amdhsa_user_sgpr_count 14
		.amdhsa_user_sgpr_dispatch_ptr 0
		.amdhsa_user_sgpr_queue_ptr 0
		.amdhsa_user_sgpr_kernarg_segment_ptr 1
		.amdhsa_user_sgpr_dispatch_id 0
		.amdhsa_user_sgpr_private_segment_size 0
		.amdhsa_wavefront_size32 1
		.amdhsa_uses_dynamic_stack 0
		.amdhsa_enable_private_segment 0
		.amdhsa_system_sgpr_workgroup_id_x 1
		.amdhsa_system_sgpr_workgroup_id_y 1
		.amdhsa_system_sgpr_workgroup_id_z 0
		.amdhsa_system_sgpr_workgroup_info 0
		.amdhsa_system_vgpr_workitem_id 1
		.amdhsa_next_free_vgpr 31
		.amdhsa_next_free_sgpr 31
		.amdhsa_reserve_vcc 1
		.amdhsa_float_round_mode_32 0
		.amdhsa_float_round_mode_16_64 0
		.amdhsa_float_denorm_mode_32 3
		.amdhsa_float_denorm_mode_16_64 3
		.amdhsa_dx10_clamp 1
		.amdhsa_ieee_mode 1
		.amdhsa_fp16_overflow 0
		.amdhsa_workgroup_processor_mode 1
		.amdhsa_memory_ordered 1
		.amdhsa_forward_progress 0
		.amdhsa_shared_vgpr_count 0
		.amdhsa_exception_fp_ieee_invalid_op 0
		.amdhsa_exception_fp_denorm_src 0
		.amdhsa_exception_fp_ieee_div_zero 0
		.amdhsa_exception_fp_ieee_overflow 0
		.amdhsa_exception_fp_ieee_underflow 0
		.amdhsa_exception_fp_ieee_inexact 0
		.amdhsa_exception_int_div_zero 0
	.end_amdhsa_kernel
	.section	.text._ZN2at6native12_GLOBAL__N_126cunn_SpatialSoftMaxForwardIN3c108BFloat16EfS4_lNS1_25LogSoftMaxForwardEpilogueEEEvPT1_PKT_T2_SB_SB_,"axG",@progbits,_ZN2at6native12_GLOBAL__N_126cunn_SpatialSoftMaxForwardIN3c108BFloat16EfS4_lNS1_25LogSoftMaxForwardEpilogueEEEvPT1_PKT_T2_SB_SB_,comdat
.Lfunc_end202:
	.size	_ZN2at6native12_GLOBAL__N_126cunn_SpatialSoftMaxForwardIN3c108BFloat16EfS4_lNS1_25LogSoftMaxForwardEpilogueEEEvPT1_PKT_T2_SB_SB_, .Lfunc_end202-_ZN2at6native12_GLOBAL__N_126cunn_SpatialSoftMaxForwardIN3c108BFloat16EfS4_lNS1_25LogSoftMaxForwardEpilogueEEEvPT1_PKT_T2_SB_SB_
                                        ; -- End function
	.section	.AMDGPU.csdata,"",@progbits
; Kernel info:
; codeLenInByte = 2396
; NumSgprs: 33
; NumVgprs: 31
; ScratchSize: 0
; MemoryBound: 0
; FloatMode: 240
; IeeeMode: 1
; LDSByteSize: 0 bytes/workgroup (compile time only)
; SGPRBlocks: 4
; VGPRBlocks: 3
; NumSGPRsForWavesPerEU: 33
; NumVGPRsForWavesPerEU: 31
; Occupancy: 16
; WaveLimiterHint : 0
; COMPUTE_PGM_RSRC2:SCRATCH_EN: 0
; COMPUTE_PGM_RSRC2:USER_SGPR: 14
; COMPUTE_PGM_RSRC2:TRAP_HANDLER: 0
; COMPUTE_PGM_RSRC2:TGID_X_EN: 1
; COMPUTE_PGM_RSRC2:TGID_Y_EN: 1
; COMPUTE_PGM_RSRC2:TGID_Z_EN: 0
; COMPUTE_PGM_RSRC2:TIDIG_COMP_CNT: 1
	.section	.text._ZN2at6native12_GLOBAL__N_126cunn_SpatialSoftMaxForwardIN3c108BFloat16EfflNS1_25LogSoftMaxForwardEpilogueEEEvPT1_PKT_T2_SB_SB_,"axG",@progbits,_ZN2at6native12_GLOBAL__N_126cunn_SpatialSoftMaxForwardIN3c108BFloat16EfflNS1_25LogSoftMaxForwardEpilogueEEEvPT1_PKT_T2_SB_SB_,comdat
	.globl	_ZN2at6native12_GLOBAL__N_126cunn_SpatialSoftMaxForwardIN3c108BFloat16EfflNS1_25LogSoftMaxForwardEpilogueEEEvPT1_PKT_T2_SB_SB_ ; -- Begin function _ZN2at6native12_GLOBAL__N_126cunn_SpatialSoftMaxForwardIN3c108BFloat16EfflNS1_25LogSoftMaxForwardEpilogueEEEvPT1_PKT_T2_SB_SB_
	.p2align	8
	.type	_ZN2at6native12_GLOBAL__N_126cunn_SpatialSoftMaxForwardIN3c108BFloat16EfflNS1_25LogSoftMaxForwardEpilogueEEEvPT1_PKT_T2_SB_SB_,@function
_ZN2at6native12_GLOBAL__N_126cunn_SpatialSoftMaxForwardIN3c108BFloat16EfflNS1_25LogSoftMaxForwardEpilogueEEEvPT1_PKT_T2_SB_SB_: ; @_ZN2at6native12_GLOBAL__N_126cunn_SpatialSoftMaxForwardIN3c108BFloat16EfflNS1_25LogSoftMaxForwardEpilogueEEEvPT1_PKT_T2_SB_SB_
; %bb.0:
	s_load_b256 s[4:11], s[0:1], 0x0
	s_mov_b32 s2, s15
	s_mov_b32 s15, 0
	s_waitcnt lgkmcnt(0)
	v_cmp_ge_i64_e64 s3, s[14:15], s[8:9]
	s_delay_alu instid0(VALU_DEP_1)
	s_and_b32 vcc_lo, exec_lo, s3
	s_cbranch_vccnz .LBB203_40
; %bb.1:
	s_clause 0x1
	s_load_b32 s3, s[0:1], 0x34
	s_load_b128 s[16:19], s[0:1], 0x20
	v_bfe_u32 v1, v0, 10, 10
	v_and_b32_e32 v2, 0x3ff, v0
	s_add_u32 s12, s0, 40
	s_addc_u32 s13, s1, 0
	s_mov_b32 s21, s15
	s_waitcnt lgkmcnt(0)
	s_lshr_b32 s0, s3, 16
	s_mul_i32 s24, s16, s10
	v_mad_u64_u32 v[4:5], null, s2, s0, v[1:2]
	v_mov_b32_e32 v5, 0
	v_mad_u64_u32 v[6:7], null, s16, v2, 0
	s_mul_i32 s1, s16, s11
	s_mul_hi_u32 s2, s16, s10
	s_delay_alu instid0(VALU_DEP_2) | instskip(NEXT) | instid1(VALU_DEP_4)
	v_mov_b32_e32 v3, v5
	v_mad_u64_u32 v[8:9], null, s24, s14, v[4:5]
	s_mul_i32 s3, s17, s10
	s_delay_alu instid0(VALU_DEP_3) | instskip(NEXT) | instid1(VALU_DEP_3)
	v_mov_b32_e32 v0, v7
	v_mad_u64_u32 v[10:11], null, s10, s14, v[2:3]
	s_mul_i32 s20, s19, s0
	s_add_i32 s0, s2, s1
	s_delay_alu instid0(VALU_DEP_3) | instskip(SKIP_2) | instid1(VALU_DEP_3)
	v_mov_b32_e32 v7, v9
	v_mad_u64_u32 v[12:13], null, s17, v2, v[0:1]
	s_add_i32 s0, s0, s3
	v_mov_b32_e32 v0, v11
	s_delay_alu instid0(VALU_DEP_3) | instskip(SKIP_2) | instid1(VALU_DEP_2)
	v_mad_u64_u32 v[13:14], null, s0, s14, v[7:8]
	s_mul_hi_u32 s1, s24, s18
	s_mul_i32 s0, s0, s18
	v_mad_u64_u32 v[14:15], null, s11, s14, v[0:1]
	s_delay_alu instid0(VALU_DEP_4) | instskip(SKIP_3) | instid1(VALU_DEP_4)
	v_mov_b32_e32 v7, v12
	v_mad_u64_u32 v[11:12], null, s16, v10, v[4:5]
	v_mul_lo_u32 v0, s17, v10
	v_mov_b32_e32 v9, v13
	v_lshlrev_b64 v[6:7], 1, v[6:7]
	v_mul_lo_u32 v10, s16, v14
	s_add_i32 s3, s1, s0
	v_cmp_gt_i64_e64 s0, s[16:17], v[4:5]
	v_lshlrev_b64 v[8:9], 1, v[8:9]
	v_cmp_gt_i64_e64 s1, s[10:11], v[2:3]
	s_mul_i32 s2, s24, s18
	s_lshl_b64 s[22:23], s[16:17], 1
	s_lshl_b64 s[24:25], s[20:21], 1
	v_add3_u32 v12, v0, v12, v10
	v_add_co_u32 v0, vcc_lo, v6, v8
	v_add_co_ci_u32_e32 v7, vcc_lo, v7, v9, vcc_lo
	s_delay_alu instid0(VALU_DEP_3) | instskip(NEXT) | instid1(VALU_DEP_3)
	v_lshlrev_b64 v[8:9], 1, v[11:12]
	v_add_co_u32 v6, vcc_lo, s6, v0
	v_lshlrev_b64 v[10:11], 2, v[11:12]
	s_delay_alu instid0(VALU_DEP_4) | instskip(NEXT) | instid1(VALU_DEP_4)
	v_add_co_ci_u32_e32 v7, vcc_lo, s7, v7, vcc_lo
	v_add_co_u32 v8, vcc_lo, s6, v8
	v_add_co_ci_u32_e32 v9, vcc_lo, s7, v9, vcc_lo
	s_delay_alu instid0(VALU_DEP_4)
	v_add_co_u32 v10, vcc_lo, s4, v10
	v_add_co_ci_u32_e32 v11, vcc_lo, s5, v11, vcc_lo
	s_lshl_b64 s[26:27], s[2:3], 1
	s_lshl_b64 s[4:5], s[2:3], 2
	;; [unrolled: 1-line block ×4, first 2 shown]
	s_branch .LBB203_3
.LBB203_2:                              ;   in Loop: Header=BB203_3 Depth=1
	s_or_b32 exec_lo, exec_lo, s3
	v_add_co_u32 v6, vcc_lo, v6, s26
	s_add_u32 s14, s14, s18
	v_add_co_ci_u32_e32 v7, vcc_lo, s27, v7, vcc_lo
	s_addc_u32 s15, s15, 0
	v_add_co_u32 v8, vcc_lo, v8, s26
	v_cmp_ge_i64_e64 s2, s[14:15], s[8:9]
	v_add_co_ci_u32_e32 v9, vcc_lo, s27, v9, vcc_lo
	v_add_co_u32 v10, vcc_lo, v10, s4
	v_add_co_ci_u32_e32 v11, vcc_lo, s5, v11, vcc_lo
	s_delay_alu instid0(VALU_DEP_4)
	s_and_b32 vcc_lo, exec_lo, s2
	s_cbranch_vccnz .LBB203_40
.LBB203_3:                              ; =>This Loop Header: Depth=1
                                        ;     Child Loop BB203_7 Depth 2
                                        ;       Child Loop BB203_12 Depth 3
                                        ;       Child Loop BB203_15 Depth 3
	;; [unrolled: 1-line block ×8, first 2 shown]
	s_and_saveexec_b32 s3, s0
	s_cbranch_execz .LBB203_2
; %bb.4:                                ;   in Loop: Header=BB203_3 Depth=1
	s_load_b32 s2, s[12:13], 0xc
	v_dual_mov_b32 v13, v11 :: v_dual_mov_b32 v12, v10
	v_dual_mov_b32 v15, v9 :: v_dual_mov_b32 v14, v8
	;; [unrolled: 1-line block ×4, first 2 shown]
	s_mov_b32 s35, 0
	s_waitcnt lgkmcnt(0)
	s_and_b32 s19, s2, 0xffff
	v_cmp_lt_u16_e64 s21, s2, 2
	v_mul_u32_u24_e32 v0, s19, v1
	s_mul_i32 s2, s23, s19
	s_mul_hi_u32 s31, s22, s19
	s_mul_i32 s33, s29, s19
	s_mul_hi_u32 s34, s28, s19
	v_lshl_add_u32 v0, v0, 2, 0
	s_mul_i32 s30, s22, s19
	s_add_i32 s31, s31, s2
	s_add_i32 s33, s34, s33
	s_mul_i32 s34, s28, s19
	v_lshl_add_u32 v26, v2, 2, v0
	s_branch .LBB203_7
.LBB203_5:                              ;   in Loop: Header=BB203_7 Depth=2
	s_or_b32 exec_lo, exec_lo, s36
.LBB203_6:                              ;   in Loop: Header=BB203_7 Depth=2
	v_add_co_u32 v18, vcc_lo, v18, s20
	v_add_co_ci_u32_e32 v19, vcc_lo, 0, v19, vcc_lo
	v_add_co_u32 v16, vcc_lo, v16, s24
	v_add_co_ci_u32_e32 v17, vcc_lo, s25, v17, vcc_lo
	;; [unrolled: 2-line block ×3, first 2 shown]
	v_cmp_le_i64_e32 vcc_lo, s[16:17], v[18:19]
	v_add_co_u32 v12, s2, v12, s6
	s_delay_alu instid0(VALU_DEP_1) | instskip(SKIP_1) | instid1(SALU_CYCLE_1)
	v_add_co_ci_u32_e64 v13, s2, s7, v13, s2
	s_or_b32 s35, vcc_lo, s35
	s_and_not1_b32 exec_lo, exec_lo, s35
	s_cbranch_execz .LBB203_2
.LBB203_7:                              ;   Parent Loop BB203_3 Depth=1
                                        ; =>  This Loop Header: Depth=2
                                        ;       Child Loop BB203_12 Depth 3
                                        ;       Child Loop BB203_15 Depth 3
	;; [unrolled: 1-line block ×8, first 2 shown]
	s_and_b32 vcc_lo, exec_lo, s21
	s_mov_b32 s2, -1
	s_cbranch_vccz .LBB203_20
; %bb.8:                                ;   in Loop: Header=BB203_7 Depth=2
	v_mov_b32_e32 v27, 0xff7fffff
	s_and_saveexec_b32 s36, s1
	s_cbranch_execnz .LBB203_11
; %bb.9:                                ;   in Loop: Header=BB203_7 Depth=2
	s_or_b32 exec_lo, exec_lo, s36
	v_mov_b32_e32 v24, 0
	s_and_saveexec_b32 s36, s1
	s_cbranch_execnz .LBB203_14
.LBB203_10:                             ;   in Loop: Header=BB203_7 Depth=2
	s_or_b32 exec_lo, exec_lo, s36
	s_and_saveexec_b32 s36, s1
	s_cbranch_execnz .LBB203_17
	s_branch .LBB203_19
.LBB203_11:                             ;   in Loop: Header=BB203_7 Depth=2
	v_mov_b32_e32 v21, v17
	v_dual_mov_b32 v23, v3 :: v_dual_mov_b32 v22, v2
	v_dual_mov_b32 v27, 0xff7fffff :: v_dual_mov_b32 v20, v16
	s_mov_b32 s37, 0
.LBB203_12:                             ;   Parent Loop BB203_3 Depth=1
                                        ;     Parent Loop BB203_7 Depth=2
                                        ; =>    This Inner Loop Header: Depth=3
	global_load_u16 v24, v[20:21], off
	v_add_co_u32 v22, vcc_lo, v22, s19
	v_add_co_ci_u32_e32 v23, vcc_lo, 0, v23, vcc_lo
	v_add_co_u32 v20, vcc_lo, v20, s30
	v_add_co_ci_u32_e32 v21, vcc_lo, s31, v21, vcc_lo
	s_delay_alu instid0(VALU_DEP_3) | instskip(NEXT) | instid1(VALU_DEP_1)
	v_cmp_le_i64_e64 s2, s[10:11], v[22:23]
	s_or_b32 s37, s2, s37
	s_waitcnt vmcnt(0)
	v_lshlrev_b32_e32 v24, 16, v24
	s_delay_alu instid0(VALU_DEP_1)
	v_cmp_lt_f32_e32 vcc_lo, v27, v24
	v_cndmask_b32_e32 v27, v27, v24, vcc_lo
	s_and_not1_b32 exec_lo, exec_lo, s37
	s_cbranch_execnz .LBB203_12
; %bb.13:                               ;   in Loop: Header=BB203_7 Depth=2
	s_or_b32 exec_lo, exec_lo, s37
	s_delay_alu instid0(SALU_CYCLE_1)
	s_or_b32 exec_lo, exec_lo, s36
	v_mov_b32_e32 v24, 0
	s_and_saveexec_b32 s36, s1
	s_cbranch_execz .LBB203_10
.LBB203_14:                             ;   in Loop: Header=BB203_7 Depth=2
	v_dual_mov_b32 v24, 0 :: v_dual_mov_b32 v21, v17
	v_dual_mov_b32 v20, v16 :: v_dual_mov_b32 v23, v3
	v_mov_b32_e32 v22, v2
	s_mov_b32 s37, 0
	s_set_inst_prefetch_distance 0x1
	.p2align	6
.LBB203_15:                             ;   Parent Loop BB203_3 Depth=1
                                        ;     Parent Loop BB203_7 Depth=2
                                        ; =>    This Inner Loop Header: Depth=3
	global_load_u16 v25, v[20:21], off
	v_add_co_u32 v22, vcc_lo, v22, s19
	v_add_co_ci_u32_e32 v23, vcc_lo, 0, v23, vcc_lo
	s_delay_alu instid0(VALU_DEP_1) | instskip(SKIP_3) | instid1(VALU_DEP_1)
	v_cmp_le_i64_e32 vcc_lo, s[10:11], v[22:23]
	s_or_b32 s37, vcc_lo, s37
	s_waitcnt vmcnt(0)
	v_lshlrev_b32_e32 v25, 16, v25
	v_sub_f32_e32 v25, v25, v27
	s_delay_alu instid0(VALU_DEP_1) | instskip(NEXT) | instid1(VALU_DEP_1)
	v_mul_f32_e32 v28, 0x3fb8aa3b, v25
	v_fma_f32 v29, 0x3fb8aa3b, v25, -v28
	v_rndne_f32_e32 v30, v28
	s_delay_alu instid0(VALU_DEP_1) | instskip(NEXT) | instid1(VALU_DEP_1)
	v_dual_fmac_f32 v29, 0x32a5705f, v25 :: v_dual_sub_f32 v28, v28, v30
	v_add_f32_e32 v28, v28, v29
	v_cvt_i32_f32_e32 v29, v30
	v_cmp_ngt_f32_e64 s2, 0xc2ce8ed0, v25
	s_delay_alu instid0(VALU_DEP_3) | instskip(SKIP_2) | instid1(VALU_DEP_1)
	v_exp_f32_e32 v28, v28
	s_waitcnt_depctr 0xfff
	v_ldexp_f32 v28, v28, v29
	v_cndmask_b32_e64 v28, 0, v28, s2
	v_cmp_nlt_f32_e64 s2, 0x42b17218, v25
	s_delay_alu instid0(VALU_DEP_1) | instskip(SKIP_1) | instid1(VALU_DEP_1)
	v_cndmask_b32_e64 v25, 0x7f800000, v28, s2
	v_add_co_u32 v20, s2, v20, s30
	v_add_co_ci_u32_e64 v21, s2, s31, v21, s2
	s_delay_alu instid0(VALU_DEP_3)
	v_add_f32_e32 v24, v24, v25
	s_and_not1_b32 exec_lo, exec_lo, s37
	s_cbranch_execnz .LBB203_15
; %bb.16:                               ;   in Loop: Header=BB203_7 Depth=2
	s_set_inst_prefetch_distance 0x2
	s_or_b32 exec_lo, exec_lo, s37
	s_delay_alu instid0(SALU_CYCLE_1)
	s_or_b32 exec_lo, exec_lo, s36
	s_and_saveexec_b32 s36, s1
	s_cbranch_execz .LBB203_19
.LBB203_17:                             ;   in Loop: Header=BB203_7 Depth=2
	v_cmp_gt_f32_e32 vcc_lo, 0x800000, v24
	s_mov_b32 s37, 0
	v_cndmask_b32_e64 v20, 1.0, 0x4f800000, vcc_lo
	s_delay_alu instid0(VALU_DEP_1) | instskip(SKIP_1) | instid1(VALU_DEP_2)
	v_mul_f32_e32 v20, v24, v20
	v_cndmask_b32_e64 v24, 0, 0x41b17218, vcc_lo
	v_log_f32_e32 v20, v20
	s_waitcnt_depctr 0xfff
	v_mul_f32_e32 v21, 0x3f317217, v20
	v_cmp_gt_f32_e64 vcc_lo, 0x7f800000, |v20|
	s_delay_alu instid0(VALU_DEP_2) | instskip(NEXT) | instid1(VALU_DEP_1)
	v_fma_f32 v22, 0x3f317217, v20, -v21
	v_fmac_f32_e32 v22, 0x3377d1cf, v20
	s_delay_alu instid0(VALU_DEP_1) | instskip(NEXT) | instid1(VALU_DEP_1)
	v_add_f32_e32 v21, v21, v22
	v_cndmask_b32_e32 v25, v20, v21, vcc_lo
	v_mov_b32_e32 v21, v13
	v_dual_mov_b32 v23, v15 :: v_dual_mov_b32 v20, v12
	v_mov_b32_e32 v22, v14
	s_delay_alu instid0(VALU_DEP_4)
	v_dual_sub_f32 v28, v25, v24 :: v_dual_mov_b32 v25, v3
	v_mov_b32_e32 v24, v2
	.p2align	6
.LBB203_18:                             ;   Parent Loop BB203_3 Depth=1
                                        ;     Parent Loop BB203_7 Depth=2
                                        ; =>    This Inner Loop Header: Depth=3
	global_load_u16 v29, v[22:23], off
	v_add_co_u32 v24, vcc_lo, v24, s19
	v_add_co_ci_u32_e32 v25, vcc_lo, 0, v25, vcc_lo
	v_add_co_u32 v22, vcc_lo, v22, s30
	v_add_co_ci_u32_e32 v23, vcc_lo, s31, v23, vcc_lo
	s_delay_alu instid0(VALU_DEP_3) | instskip(SKIP_3) | instid1(VALU_DEP_1)
	v_cmp_le_i64_e32 vcc_lo, s[10:11], v[24:25]
	s_or_b32 s37, vcc_lo, s37
	s_waitcnt vmcnt(0)
	v_lshlrev_b32_e32 v29, 16, v29
	v_sub_f32_e32 v29, v29, v27
	s_delay_alu instid0(VALU_DEP_1) | instskip(SKIP_2) | instid1(VALU_DEP_1)
	v_sub_f32_e32 v29, v29, v28
	global_store_b32 v[20:21], v29, off
	v_add_co_u32 v20, s2, v20, s34
	v_add_co_ci_u32_e64 v21, s2, s33, v21, s2
	s_and_not1_b32 exec_lo, exec_lo, s37
	s_cbranch_execnz .LBB203_18
.LBB203_19:                             ;   in Loop: Header=BB203_7 Depth=2
	s_or_b32 exec_lo, exec_lo, s36
	s_mov_b32 s2, 0
.LBB203_20:                             ;   in Loop: Header=BB203_7 Depth=2
	s_delay_alu instid0(SALU_CYCLE_1)
	s_and_b32 vcc_lo, exec_lo, s2
	s_cbranch_vccz .LBB203_6
; %bb.21:                               ;   in Loop: Header=BB203_7 Depth=2
	v_mov_b32_e32 v24, 0xff7fffff
	s_and_saveexec_b32 s36, s1
	s_cbranch_execz .LBB203_25
; %bb.22:                               ;   in Loop: Header=BB203_7 Depth=2
	v_dual_mov_b32 v24, 0xff7fffff :: v_dual_mov_b32 v21, v17
	v_dual_mov_b32 v20, v16 :: v_dual_mov_b32 v23, v3
	v_mov_b32_e32 v22, v2
	s_mov_b32 s37, 0
.LBB203_23:                             ;   Parent Loop BB203_3 Depth=1
                                        ;     Parent Loop BB203_7 Depth=2
                                        ; =>    This Inner Loop Header: Depth=3
	global_load_u16 v25, v[20:21], off
	v_add_co_u32 v22, vcc_lo, v22, s19
	v_add_co_ci_u32_e32 v23, vcc_lo, 0, v23, vcc_lo
	v_add_co_u32 v20, vcc_lo, v20, s30
	v_add_co_ci_u32_e32 v21, vcc_lo, s31, v21, vcc_lo
	s_delay_alu instid0(VALU_DEP_3) | instskip(NEXT) | instid1(VALU_DEP_1)
	v_cmp_le_i64_e64 s2, s[10:11], v[22:23]
	s_or_b32 s37, s2, s37
	s_waitcnt vmcnt(0)
	v_lshlrev_b32_e32 v25, 16, v25
	s_delay_alu instid0(VALU_DEP_1)
	v_cmp_lt_f32_e32 vcc_lo, v24, v25
	v_cndmask_b32_e32 v24, v24, v25, vcc_lo
	s_and_not1_b32 exec_lo, exec_lo, s37
	s_cbranch_execnz .LBB203_23
; %bb.24:                               ;   in Loop: Header=BB203_7 Depth=2
	s_or_b32 exec_lo, exec_lo, s37
.LBB203_25:                             ;   in Loop: Header=BB203_7 Depth=2
	s_delay_alu instid0(SALU_CYCLE_1)
	s_or_b32 exec_lo, exec_lo, s36
	s_mov_b32 s2, s19
	s_waitcnt_vscnt null, 0x0
	s_barrier
	buffer_gl0_inv
	ds_store_b32 v26, v24
	s_branch .LBB203_27
	.p2align	6
.LBB203_26:                             ;   in Loop: Header=BB203_27 Depth=3
	s_or_b32 exec_lo, exec_lo, s37
	s_cmp_gt_u32 s2, 3
	s_mov_b32 s2, s36
	s_cbranch_scc0 .LBB203_29
.LBB203_27:                             ;   Parent Loop BB203_3 Depth=1
                                        ;     Parent Loop BB203_7 Depth=2
                                        ; =>    This Inner Loop Header: Depth=3
	s_lshr_b32 s36, s2, 1
	s_mov_b32 s37, exec_lo
	s_waitcnt lgkmcnt(0)
	s_barrier
	buffer_gl0_inv
	v_cmpx_gt_u32_e64 s36, v2
	s_cbranch_execz .LBB203_26
; %bb.28:                               ;   in Loop: Header=BB203_27 Depth=3
	v_lshl_add_u32 v20, s36, 2, v26
	ds_load_b32 v21, v26
	ds_load_b32 v20, v20
	s_waitcnt lgkmcnt(0)
	v_cmp_lt_f32_e32 vcc_lo, v21, v20
	v_cndmask_b32_e32 v20, v21, v20, vcc_lo
	ds_store_b32 v26, v20
	s_branch .LBB203_26
.LBB203_29:                             ;   in Loop: Header=BB203_7 Depth=2
	s_waitcnt lgkmcnt(0)
	s_barrier
	buffer_gl0_inv
	ds_load_b32 v27, v0
	v_mov_b32_e32 v24, 0
	s_and_saveexec_b32 s36, s1
	s_cbranch_execz .LBB203_33
; %bb.30:                               ;   in Loop: Header=BB203_7 Depth=2
	v_dual_mov_b32 v24, 0 :: v_dual_mov_b32 v21, v17
	v_dual_mov_b32 v20, v16 :: v_dual_mov_b32 v23, v3
	v_mov_b32_e32 v22, v2
	s_mov_b32 s37, 0
	s_set_inst_prefetch_distance 0x1
	.p2align	6
.LBB203_31:                             ;   Parent Loop BB203_3 Depth=1
                                        ;     Parent Loop BB203_7 Depth=2
                                        ; =>    This Inner Loop Header: Depth=3
	global_load_u16 v25, v[20:21], off
	v_add_co_u32 v22, vcc_lo, v22, s19
	v_add_co_ci_u32_e32 v23, vcc_lo, 0, v23, vcc_lo
	s_delay_alu instid0(VALU_DEP_1) | instskip(SKIP_4) | instid1(VALU_DEP_1)
	v_cmp_le_i64_e32 vcc_lo, s[10:11], v[22:23]
	s_or_b32 s37, vcc_lo, s37
	s_waitcnt vmcnt(0)
	v_lshlrev_b32_e32 v25, 16, v25
	s_waitcnt lgkmcnt(0)
	v_sub_f32_e32 v25, v25, v27
	s_delay_alu instid0(VALU_DEP_1) | instskip(NEXT) | instid1(VALU_DEP_1)
	v_mul_f32_e32 v28, 0x3fb8aa3b, v25
	v_fma_f32 v29, 0x3fb8aa3b, v25, -v28
	v_rndne_f32_e32 v30, v28
	s_delay_alu instid0(VALU_DEP_1) | instskip(NEXT) | instid1(VALU_DEP_1)
	v_dual_fmac_f32 v29, 0x32a5705f, v25 :: v_dual_sub_f32 v28, v28, v30
	v_add_f32_e32 v28, v28, v29
	v_cvt_i32_f32_e32 v29, v30
	v_cmp_ngt_f32_e64 s2, 0xc2ce8ed0, v25
	s_delay_alu instid0(VALU_DEP_3) | instskip(SKIP_2) | instid1(VALU_DEP_1)
	v_exp_f32_e32 v28, v28
	s_waitcnt_depctr 0xfff
	v_ldexp_f32 v28, v28, v29
	v_cndmask_b32_e64 v28, 0, v28, s2
	v_cmp_nlt_f32_e64 s2, 0x42b17218, v25
	s_delay_alu instid0(VALU_DEP_1) | instskip(SKIP_1) | instid1(VALU_DEP_1)
	v_cndmask_b32_e64 v25, 0x7f800000, v28, s2
	v_add_co_u32 v20, s2, v20, s30
	v_add_co_ci_u32_e64 v21, s2, s31, v21, s2
	s_delay_alu instid0(VALU_DEP_3)
	v_add_f32_e32 v24, v24, v25
	s_and_not1_b32 exec_lo, exec_lo, s37
	s_cbranch_execnz .LBB203_31
; %bb.32:                               ;   in Loop: Header=BB203_7 Depth=2
	s_set_inst_prefetch_distance 0x2
	s_or_b32 exec_lo, exec_lo, s37
.LBB203_33:                             ;   in Loop: Header=BB203_7 Depth=2
	s_delay_alu instid0(SALU_CYCLE_1)
	s_or_b32 exec_lo, exec_lo, s36
	s_mov_b32 s2, s19
	s_waitcnt lgkmcnt(0)
	s_barrier
	buffer_gl0_inv
	ds_store_b32 v26, v24
	s_branch .LBB203_35
	.p2align	6
.LBB203_34:                             ;   in Loop: Header=BB203_35 Depth=3
	s_or_b32 exec_lo, exec_lo, s37
	s_cmp_gt_u32 s2, 3
	s_mov_b32 s2, s36
	s_cbranch_scc0 .LBB203_37
.LBB203_35:                             ;   Parent Loop BB203_3 Depth=1
                                        ;     Parent Loop BB203_7 Depth=2
                                        ; =>    This Inner Loop Header: Depth=3
	s_lshr_b32 s36, s2, 1
	s_mov_b32 s37, exec_lo
	s_waitcnt lgkmcnt(0)
	s_barrier
	buffer_gl0_inv
	v_cmpx_gt_u32_e64 s36, v2
	s_cbranch_execz .LBB203_34
; %bb.36:                               ;   in Loop: Header=BB203_35 Depth=3
	v_lshl_add_u32 v20, s36, 2, v26
	ds_load_b32 v21, v26
	ds_load_b32 v20, v20
	s_waitcnt lgkmcnt(0)
	v_add_f32_e32 v20, v21, v20
	ds_store_b32 v26, v20
	s_branch .LBB203_34
.LBB203_37:                             ;   in Loop: Header=BB203_7 Depth=2
	s_waitcnt lgkmcnt(0)
	s_barrier
	buffer_gl0_inv
	s_and_saveexec_b32 s36, s1
	s_cbranch_execz .LBB203_5
; %bb.38:                               ;   in Loop: Header=BB203_7 Depth=2
	ds_load_b32 v20, v0
	s_mov_b32 s37, 0
	s_waitcnt lgkmcnt(0)
	v_cmp_gt_f32_e32 vcc_lo, 0x800000, v20
	v_cndmask_b32_e64 v21, 1.0, 0x4f800000, vcc_lo
	v_cndmask_b32_e64 v24, 0, 0x41b17218, vcc_lo
	s_delay_alu instid0(VALU_DEP_2) | instskip(NEXT) | instid1(VALU_DEP_1)
	v_mul_f32_e32 v20, v20, v21
	v_log_f32_e32 v20, v20
	s_waitcnt_depctr 0xfff
	v_mul_f32_e32 v21, 0x3f317217, v20
	v_cmp_gt_f32_e64 vcc_lo, 0x7f800000, |v20|
	s_delay_alu instid0(VALU_DEP_2) | instskip(NEXT) | instid1(VALU_DEP_1)
	v_fma_f32 v22, 0x3f317217, v20, -v21
	v_fmac_f32_e32 v22, 0x3377d1cf, v20
	s_delay_alu instid0(VALU_DEP_1) | instskip(NEXT) | instid1(VALU_DEP_1)
	v_add_f32_e32 v21, v21, v22
	v_cndmask_b32_e32 v25, v20, v21, vcc_lo
	v_mov_b32_e32 v21, v13
	v_dual_mov_b32 v23, v15 :: v_dual_mov_b32 v20, v12
	v_mov_b32_e32 v22, v14
	s_delay_alu instid0(VALU_DEP_4)
	v_dual_sub_f32 v28, v25, v24 :: v_dual_mov_b32 v25, v3
	v_mov_b32_e32 v24, v2
	.p2align	6
.LBB203_39:                             ;   Parent Loop BB203_3 Depth=1
                                        ;     Parent Loop BB203_7 Depth=2
                                        ; =>    This Inner Loop Header: Depth=3
	global_load_u16 v29, v[22:23], off
	v_add_co_u32 v24, vcc_lo, v24, s19
	v_add_co_ci_u32_e32 v25, vcc_lo, 0, v25, vcc_lo
	v_add_co_u32 v22, vcc_lo, v22, s30
	v_add_co_ci_u32_e32 v23, vcc_lo, s31, v23, vcc_lo
	s_delay_alu instid0(VALU_DEP_3) | instskip(SKIP_3) | instid1(VALU_DEP_1)
	v_cmp_le_i64_e32 vcc_lo, s[10:11], v[24:25]
	s_or_b32 s37, vcc_lo, s37
	s_waitcnt vmcnt(0)
	v_lshlrev_b32_e32 v29, 16, v29
	v_sub_f32_e32 v29, v29, v27
	s_delay_alu instid0(VALU_DEP_1) | instskip(SKIP_2) | instid1(VALU_DEP_1)
	v_sub_f32_e32 v29, v29, v28
	global_store_b32 v[20:21], v29, off
	v_add_co_u32 v20, s2, v20, s34
	v_add_co_ci_u32_e64 v21, s2, s33, v21, s2
	s_and_not1_b32 exec_lo, exec_lo, s37
	s_cbranch_execnz .LBB203_39
	s_branch .LBB203_5
.LBB203_40:
	s_nop 0
	s_sendmsg sendmsg(MSG_DEALLOC_VGPRS)
	s_endpgm
	.section	.rodata,"a",@progbits
	.p2align	6, 0x0
	.amdhsa_kernel _ZN2at6native12_GLOBAL__N_126cunn_SpatialSoftMaxForwardIN3c108BFloat16EfflNS1_25LogSoftMaxForwardEpilogueEEEvPT1_PKT_T2_SB_SB_
		.amdhsa_group_segment_fixed_size 0
		.amdhsa_private_segment_fixed_size 0
		.amdhsa_kernarg_size 296
		.amdhsa_user_sgpr_count 14
		.amdhsa_user_sgpr_dispatch_ptr 0
		.amdhsa_user_sgpr_queue_ptr 0
		.amdhsa_user_sgpr_kernarg_segment_ptr 1
		.amdhsa_user_sgpr_dispatch_id 0
		.amdhsa_user_sgpr_private_segment_size 0
		.amdhsa_wavefront_size32 1
		.amdhsa_uses_dynamic_stack 0
		.amdhsa_enable_private_segment 0
		.amdhsa_system_sgpr_workgroup_id_x 1
		.amdhsa_system_sgpr_workgroup_id_y 1
		.amdhsa_system_sgpr_workgroup_id_z 0
		.amdhsa_system_sgpr_workgroup_info 0
		.amdhsa_system_vgpr_workitem_id 1
		.amdhsa_next_free_vgpr 31
		.amdhsa_next_free_sgpr 38
		.amdhsa_reserve_vcc 1
		.amdhsa_float_round_mode_32 0
		.amdhsa_float_round_mode_16_64 0
		.amdhsa_float_denorm_mode_32 3
		.amdhsa_float_denorm_mode_16_64 3
		.amdhsa_dx10_clamp 1
		.amdhsa_ieee_mode 1
		.amdhsa_fp16_overflow 0
		.amdhsa_workgroup_processor_mode 1
		.amdhsa_memory_ordered 1
		.amdhsa_forward_progress 0
		.amdhsa_shared_vgpr_count 0
		.amdhsa_exception_fp_ieee_invalid_op 0
		.amdhsa_exception_fp_denorm_src 0
		.amdhsa_exception_fp_ieee_div_zero 0
		.amdhsa_exception_fp_ieee_overflow 0
		.amdhsa_exception_fp_ieee_underflow 0
		.amdhsa_exception_fp_ieee_inexact 0
		.amdhsa_exception_int_div_zero 0
	.end_amdhsa_kernel
	.section	.text._ZN2at6native12_GLOBAL__N_126cunn_SpatialSoftMaxForwardIN3c108BFloat16EfflNS1_25LogSoftMaxForwardEpilogueEEEvPT1_PKT_T2_SB_SB_,"axG",@progbits,_ZN2at6native12_GLOBAL__N_126cunn_SpatialSoftMaxForwardIN3c108BFloat16EfflNS1_25LogSoftMaxForwardEpilogueEEEvPT1_PKT_T2_SB_SB_,comdat
.Lfunc_end203:
	.size	_ZN2at6native12_GLOBAL__N_126cunn_SpatialSoftMaxForwardIN3c108BFloat16EfflNS1_25LogSoftMaxForwardEpilogueEEEvPT1_PKT_T2_SB_SB_, .Lfunc_end203-_ZN2at6native12_GLOBAL__N_126cunn_SpatialSoftMaxForwardIN3c108BFloat16EfflNS1_25LogSoftMaxForwardEpilogueEEEvPT1_PKT_T2_SB_SB_
                                        ; -- End function
	.section	.AMDGPU.csdata,"",@progbits
; Kernel info:
; codeLenInByte = 2336
; NumSgprs: 40
; NumVgprs: 31
; ScratchSize: 0
; MemoryBound: 0
; FloatMode: 240
; IeeeMode: 1
; LDSByteSize: 0 bytes/workgroup (compile time only)
; SGPRBlocks: 4
; VGPRBlocks: 3
; NumSGPRsForWavesPerEU: 40
; NumVGPRsForWavesPerEU: 31
; Occupancy: 16
; WaveLimiterHint : 0
; COMPUTE_PGM_RSRC2:SCRATCH_EN: 0
; COMPUTE_PGM_RSRC2:USER_SGPR: 14
; COMPUTE_PGM_RSRC2:TRAP_HANDLER: 0
; COMPUTE_PGM_RSRC2:TGID_X_EN: 1
; COMPUTE_PGM_RSRC2:TGID_Y_EN: 1
; COMPUTE_PGM_RSRC2:TGID_Z_EN: 0
; COMPUTE_PGM_RSRC2:TIDIG_COMP_CNT: 1
	.section	.text._ZN12_GLOBAL__N_121softmax_warp_backwardIdddLi0ELb1ELb0ELi64EEEvPT0_PKT_S5_iiiPKb,"axG",@progbits,_ZN12_GLOBAL__N_121softmax_warp_backwardIdddLi0ELb1ELb0ELi64EEEvPT0_PKT_S5_iiiPKb,comdat
	.globl	_ZN12_GLOBAL__N_121softmax_warp_backwardIdddLi0ELb1ELb0ELi64EEEvPT0_PKT_S5_iiiPKb ; -- Begin function _ZN12_GLOBAL__N_121softmax_warp_backwardIdddLi0ELb1ELb0ELi64EEEvPT0_PKT_S5_iiiPKb
	.p2align	8
	.type	_ZN12_GLOBAL__N_121softmax_warp_backwardIdddLi0ELb1ELb0ELi64EEEvPT0_PKT_S5_iiiPKb,@function
_ZN12_GLOBAL__N_121softmax_warp_backwardIdddLi0ELb1ELb0ELi64EEEvPT0_PKT_S5_iiiPKb: ; @_ZN12_GLOBAL__N_121softmax_warp_backwardIdddLi0ELb1ELb0ELi64EEEvPT0_PKT_S5_iiiPKb
; %bb.0:
	s_clause 0x1
	s_load_b32 s2, s[0:1], 0x3c
	s_load_b128 s[4:7], s[0:1], 0x18
	v_bfe_u32 v0, v0, 10, 10
	s_load_b128 s[8:11], s[0:1], 0x0
	s_waitcnt lgkmcnt(0)
	s_lshr_b32 s2, s2, 16
	s_cmp_gt_i32 s6, 0
	s_mul_i32 s15, s15, s2
	s_load_b64 s[2:3], s[0:1], 0x10
	v_add_lshl_u32 v4, s15, v0, 1
	v_mov_b32_e32 v0, 0
	v_mov_b32_e32 v1, 0
	s_cselect_b32 s1, -1, 0
	s_delay_alu instid0(VALU_DEP_3) | instskip(SKIP_1) | instid1(VALU_DEP_3)
	v_mul_lo_u32 v2, v4, s5
	v_sub_nc_u32_e32 v14, s4, v4
	v_dual_mov_b32 v7, v1 :: v_dual_mov_b32 v6, v0
	v_dual_mov_b32 v9, v1 :: v_dual_mov_b32 v8, v0
	s_delay_alu instid0(VALU_DEP_3) | instskip(SKIP_1) | instid1(VALU_DEP_1)
	v_cmp_lt_i32_e32 vcc_lo, 0, v14
	v_ashrrev_i32_e32 v3, 31, v2
	v_lshlrev_b64 v[4:5], 3, v[2:3]
	s_delay_alu instid0(VALU_DEP_1) | instskip(NEXT) | instid1(VALU_DEP_1)
	v_add_co_u32 v12, s0, s10, v4
	v_add_co_ci_u32_e64 v13, s0, s11, v5, s0
	s_waitcnt lgkmcnt(0)
	v_add_co_u32 v10, s0, s2, v4
	s_delay_alu instid0(VALU_DEP_1) | instskip(SKIP_1) | instid1(SALU_CYCLE_1)
	v_add_co_ci_u32_e64 v11, s0, s3, v5, s0
	s_and_b32 s2, s1, vcc_lo
	s_and_saveexec_b32 s0, s2
	s_cbranch_execz .LBB204_2
; %bb.1:
	global_load_b64 v[6:7], v[12:13], off
	global_load_b64 v[8:9], v[10:11], off
.LBB204_2:
	s_or_b32 exec_lo, exec_lo, s0
	v_cmp_lt_i32_e64 s0, 1, v14
	v_dual_mov_b32 v3, v1 :: v_dual_mov_b32 v2, v0
	s_delay_alu instid0(VALU_DEP_2) | instskip(NEXT) | instid1(SALU_CYCLE_1)
	s_and_b32 s0, s1, s0
	s_and_saveexec_b32 s2, s0
	s_cbranch_execz .LBB204_4
; %bb.3:
	s_mov_b32 s7, 0
	s_delay_alu instid0(SALU_CYCLE_1) | instskip(NEXT) | instid1(SALU_CYCLE_1)
	s_lshl_b64 s[4:5], s[6:7], 3
	v_add_co_u32 v0, s0, v12, s4
	s_delay_alu instid0(VALU_DEP_1) | instskip(SKIP_1) | instid1(VALU_DEP_1)
	v_add_co_ci_u32_e64 v1, s0, s5, v13, s0
	v_add_co_u32 v2, s0, v10, s4
	v_add_co_ci_u32_e64 v3, s0, s5, v11, s0
	global_load_b64 v[0:1], v[0:1], off
	global_load_b64 v[2:3], v[2:3], off
.LBB204_4:
	s_or_b32 exec_lo, exec_lo, s2
	s_and_saveexec_b32 s0, vcc_lo
	s_cbranch_execz .LBB204_10
; %bb.5:
	v_add_co_u32 v4, vcc_lo, s8, v4
	v_cndmask_b32_e64 v10, 0, 1, s1
	v_add_co_ci_u32_e32 v5, vcc_lo, s9, v5, vcc_lo
	s_and_not1_b32 vcc_lo, exec_lo, s1
	s_cbranch_vccnz .LBB204_7
; %bb.6:
	s_mov_b32 s0, 0x652b82fe
	s_mov_b32 s1, 0x3ff71547
	;; [unrolled: 1-line block ×3, first 2 shown]
	s_waitcnt vmcnt(0)
	v_mul_f64 v[11:12], v[8:9], s[0:1]
	s_mov_b32 s0, 0xfefa39ef
	s_mov_b32 s1, 0xbfe62e42
	;; [unrolled: 1-line block ×3, first 2 shown]
	v_cmp_nlt_f64_e32 vcc_lo, 0x40900000, v[8:9]
	s_delay_alu instid0(VALU_DEP_2) | instskip(NEXT) | instid1(VALU_DEP_1)
	v_rndne_f64_e32 v[11:12], v[11:12]
	v_fma_f64 v[15:16], v[11:12], s[0:1], v[8:9]
	s_mov_b32 s0, 0x3b39803f
	s_mov_b32 s1, 0xbc7abc9e
	v_cvt_i32_f64_e32 v13, v[11:12]
	s_delay_alu instid0(VALU_DEP_2)
	v_fma_f64 v[15:16], v[11:12], s[0:1], v[15:16]
	s_mov_b32 s0, 0xfca7ab0c
	s_mov_b32 s1, 0x3e928af3
	s_delay_alu instid0(VALU_DEP_1) | instid1(SALU_CYCLE_1)
	v_fma_f64 v[17:18], v[15:16], s[2:3], s[0:1]
	s_mov_b32 s0, 0x623fde64
	s_mov_b32 s1, 0x3ec71dee
	s_delay_alu instid0(VALU_DEP_1) | instid1(SALU_CYCLE_1)
	;; [unrolled: 4-line block ×9, first 2 shown]
	v_fma_f64 v[17:18], v[15:16], v[17:18], s[0:1]
	v_cmp_ngt_f64_e64 s0, 0xc090cc00, v[8:9]
	v_add_f64 v[8:9], v[6:7], 0
	s_delay_alu instid0(VALU_DEP_3) | instskip(NEXT) | instid1(VALU_DEP_1)
	v_fma_f64 v[17:18], v[15:16], v[17:18], 1.0
	v_fma_f64 v[11:12], v[15:16], v[17:18], 1.0
	s_delay_alu instid0(VALU_DEP_1) | instskip(NEXT) | instid1(VALU_DEP_1)
	v_ldexp_f64 v[11:12], v[11:12], v13
	v_cndmask_b32_e32 v12, 0x7ff00000, v12, vcc_lo
	s_and_b32 vcc_lo, s0, vcc_lo
	s_delay_alu instid0(VALU_DEP_2) | instskip(NEXT) | instid1(VALU_DEP_2)
	v_cndmask_b32_e32 v11, 0, v11, vcc_lo
	v_cndmask_b32_e64 v12, 0, v12, s0
	s_delay_alu instid0(VALU_DEP_1)
	v_fma_f64 v[6:7], -v[8:9], v[11:12], v[6:7]
	global_store_b64 v[4:5], v[6:7], off
.LBB204_7:
	v_cmp_ne_u32_e32 vcc_lo, 1, v14
	s_and_b32 exec_lo, exec_lo, vcc_lo
	s_cbranch_execz .LBB204_10
; %bb.8:
	v_cmp_ne_u32_e32 vcc_lo, 1, v10
	s_cbranch_vccnz .LBB204_10
; %bb.9:
	s_mov_b32 s0, 0x652b82fe
	s_mov_b32 s1, 0x3ff71547
	;; [unrolled: 1-line block ×3, first 2 shown]
	s_waitcnt vmcnt(0)
	v_mul_f64 v[6:7], v[2:3], s[0:1]
	s_mov_b32 s0, 0xfefa39ef
	s_mov_b32 s1, 0xbfe62e42
	;; [unrolled: 1-line block ×3, first 2 shown]
	v_cmp_nlt_f64_e32 vcc_lo, 0x40900000, v[2:3]
	s_mov_b32 s7, 0
	s_delay_alu instid0(VALU_DEP_2) | instskip(NEXT) | instid1(VALU_DEP_1)
	v_rndne_f64_e32 v[6:7], v[6:7]
	v_fma_f64 v[8:9], v[6:7], s[0:1], v[2:3]
	s_mov_b32 s0, 0x3b39803f
	s_mov_b32 s1, 0xbc7abc9e
	v_cvt_i32_f64_e32 v12, v[6:7]
	s_delay_alu instid0(VALU_DEP_2)
	v_fma_f64 v[8:9], v[6:7], s[0:1], v[8:9]
	s_mov_b32 s0, 0xfca7ab0c
	s_mov_b32 s1, 0x3e928af3
	s_delay_alu instid0(VALU_DEP_1) | instid1(SALU_CYCLE_1)
	v_fma_f64 v[10:11], v[8:9], s[2:3], s[0:1]
	s_mov_b32 s0, 0x623fde64
	s_mov_b32 s1, 0x3ec71dee
	s_delay_alu instid0(VALU_DEP_1) | instid1(SALU_CYCLE_1)
	;; [unrolled: 4-line block ×9, first 2 shown]
	v_fma_f64 v[10:11], v[8:9], v[10:11], s[0:1]
	v_cmp_ngt_f64_e64 s0, 0xc090cc00, v[2:3]
	v_add_f64 v[2:3], v[0:1], 0
	s_delay_alu instid0(VALU_DEP_3) | instskip(NEXT) | instid1(VALU_DEP_1)
	v_fma_f64 v[10:11], v[8:9], v[10:11], 1.0
	v_fma_f64 v[6:7], v[8:9], v[10:11], 1.0
	s_delay_alu instid0(VALU_DEP_1) | instskip(NEXT) | instid1(VALU_DEP_1)
	v_ldexp_f64 v[6:7], v[6:7], v12
	v_cndmask_b32_e32 v7, 0x7ff00000, v7, vcc_lo
	s_and_b32 vcc_lo, s0, vcc_lo
	s_delay_alu instid0(VALU_DEP_2) | instskip(NEXT) | instid1(VALU_DEP_2)
	v_cndmask_b32_e32 v6, 0, v6, vcc_lo
	v_cndmask_b32_e64 v7, 0, v7, s0
	s_lshl_b64 s[0:1], s[6:7], 3
	s_delay_alu instid0(VALU_DEP_1)
	v_fma_f64 v[0:1], -v[2:3], v[6:7], v[0:1]
	v_add_co_u32 v2, vcc_lo, v4, s0
	v_add_co_ci_u32_e32 v3, vcc_lo, s1, v5, vcc_lo
	global_store_b64 v[2:3], v[0:1], off
.LBB204_10:
	s_nop 0
	s_sendmsg sendmsg(MSG_DEALLOC_VGPRS)
	s_endpgm
	.section	.rodata,"a",@progbits
	.p2align	6, 0x0
	.amdhsa_kernel _ZN12_GLOBAL__N_121softmax_warp_backwardIdddLi0ELb1ELb0ELi64EEEvPT0_PKT_S5_iiiPKb
		.amdhsa_group_segment_fixed_size 0
		.amdhsa_private_segment_fixed_size 0
		.amdhsa_kernarg_size 304
		.amdhsa_user_sgpr_count 15
		.amdhsa_user_sgpr_dispatch_ptr 0
		.amdhsa_user_sgpr_queue_ptr 0
		.amdhsa_user_sgpr_kernarg_segment_ptr 1
		.amdhsa_user_sgpr_dispatch_id 0
		.amdhsa_user_sgpr_private_segment_size 0
		.amdhsa_wavefront_size32 1
		.amdhsa_uses_dynamic_stack 0
		.amdhsa_enable_private_segment 0
		.amdhsa_system_sgpr_workgroup_id_x 1
		.amdhsa_system_sgpr_workgroup_id_y 0
		.amdhsa_system_sgpr_workgroup_id_z 0
		.amdhsa_system_sgpr_workgroup_info 0
		.amdhsa_system_vgpr_workitem_id 1
		.amdhsa_next_free_vgpr 19
		.amdhsa_next_free_sgpr 16
		.amdhsa_reserve_vcc 1
		.amdhsa_float_round_mode_32 0
		.amdhsa_float_round_mode_16_64 0
		.amdhsa_float_denorm_mode_32 3
		.amdhsa_float_denorm_mode_16_64 3
		.amdhsa_dx10_clamp 1
		.amdhsa_ieee_mode 1
		.amdhsa_fp16_overflow 0
		.amdhsa_workgroup_processor_mode 1
		.amdhsa_memory_ordered 1
		.amdhsa_forward_progress 0
		.amdhsa_shared_vgpr_count 0
		.amdhsa_exception_fp_ieee_invalid_op 0
		.amdhsa_exception_fp_denorm_src 0
		.amdhsa_exception_fp_ieee_div_zero 0
		.amdhsa_exception_fp_ieee_overflow 0
		.amdhsa_exception_fp_ieee_underflow 0
		.amdhsa_exception_fp_ieee_inexact 0
		.amdhsa_exception_int_div_zero 0
	.end_amdhsa_kernel
	.section	.text._ZN12_GLOBAL__N_121softmax_warp_backwardIdddLi0ELb1ELb0ELi64EEEvPT0_PKT_S5_iiiPKb,"axG",@progbits,_ZN12_GLOBAL__N_121softmax_warp_backwardIdddLi0ELb1ELb0ELi64EEEvPT0_PKT_S5_iiiPKb,comdat
.Lfunc_end204:
	.size	_ZN12_GLOBAL__N_121softmax_warp_backwardIdddLi0ELb1ELb0ELi64EEEvPT0_PKT_S5_iiiPKb, .Lfunc_end204-_ZN12_GLOBAL__N_121softmax_warp_backwardIdddLi0ELb1ELb0ELi64EEEvPT0_PKT_S5_iiiPKb
                                        ; -- End function
	.section	.AMDGPU.csdata,"",@progbits
; Kernel info:
; codeLenInByte = 1324
; NumSgprs: 18
; NumVgprs: 19
; ScratchSize: 0
; MemoryBound: 0
; FloatMode: 240
; IeeeMode: 1
; LDSByteSize: 0 bytes/workgroup (compile time only)
; SGPRBlocks: 2
; VGPRBlocks: 2
; NumSGPRsForWavesPerEU: 18
; NumVGPRsForWavesPerEU: 19
; Occupancy: 16
; WaveLimiterHint : 0
; COMPUTE_PGM_RSRC2:SCRATCH_EN: 0
; COMPUTE_PGM_RSRC2:USER_SGPR: 15
; COMPUTE_PGM_RSRC2:TRAP_HANDLER: 0
; COMPUTE_PGM_RSRC2:TGID_X_EN: 1
; COMPUTE_PGM_RSRC2:TGID_Y_EN: 0
; COMPUTE_PGM_RSRC2:TGID_Z_EN: 0
; COMPUTE_PGM_RSRC2:TIDIG_COMP_CNT: 1
	.section	.text._ZN12_GLOBAL__N_121softmax_warp_backwardIdddLi0ELb1ELb0ELi32EEEvPT0_PKT_S5_iiiPKb,"axG",@progbits,_ZN12_GLOBAL__N_121softmax_warp_backwardIdddLi0ELb1ELb0ELi32EEEvPT0_PKT_S5_iiiPKb,comdat
	.globl	_ZN12_GLOBAL__N_121softmax_warp_backwardIdddLi0ELb1ELb0ELi32EEEvPT0_PKT_S5_iiiPKb ; -- Begin function _ZN12_GLOBAL__N_121softmax_warp_backwardIdddLi0ELb1ELb0ELi32EEEvPT0_PKT_S5_iiiPKb
	.p2align	8
	.type	_ZN12_GLOBAL__N_121softmax_warp_backwardIdddLi0ELb1ELb0ELi32EEEvPT0_PKT_S5_iiiPKb,@function
_ZN12_GLOBAL__N_121softmax_warp_backwardIdddLi0ELb1ELb0ELi32EEEvPT0_PKT_S5_iiiPKb: ; @_ZN12_GLOBAL__N_121softmax_warp_backwardIdddLi0ELb1ELb0ELi32EEEvPT0_PKT_S5_iiiPKb
; %bb.0:
	s_clause 0x1
	s_load_b32 s2, s[0:1], 0x3c
	s_load_b128 s[4:7], s[0:1], 0x18
	v_bfe_u32 v0, v0, 10, 10
	s_load_b128 s[8:11], s[0:1], 0x0
	s_waitcnt lgkmcnt(0)
	s_lshr_b32 s2, s2, 16
	s_cmp_gt_i32 s6, 0
	s_mul_i32 s15, s15, s2
	s_load_b64 s[2:3], s[0:1], 0x10
	v_add_lshl_u32 v4, s15, v0, 1
	v_mov_b32_e32 v0, 0
	v_mov_b32_e32 v1, 0
	s_cselect_b32 s1, -1, 0
	s_delay_alu instid0(VALU_DEP_3) | instskip(SKIP_1) | instid1(VALU_DEP_3)
	v_mul_lo_u32 v2, v4, s5
	v_sub_nc_u32_e32 v14, s4, v4
	v_dual_mov_b32 v7, v1 :: v_dual_mov_b32 v6, v0
	v_dual_mov_b32 v9, v1 :: v_dual_mov_b32 v8, v0
	s_delay_alu instid0(VALU_DEP_3) | instskip(SKIP_1) | instid1(VALU_DEP_1)
	v_cmp_lt_i32_e32 vcc_lo, 0, v14
	v_ashrrev_i32_e32 v3, 31, v2
	v_lshlrev_b64 v[4:5], 3, v[2:3]
	s_delay_alu instid0(VALU_DEP_1) | instskip(NEXT) | instid1(VALU_DEP_1)
	v_add_co_u32 v12, s0, s10, v4
	v_add_co_ci_u32_e64 v13, s0, s11, v5, s0
	s_waitcnt lgkmcnt(0)
	v_add_co_u32 v10, s0, s2, v4
	s_delay_alu instid0(VALU_DEP_1) | instskip(SKIP_1) | instid1(SALU_CYCLE_1)
	v_add_co_ci_u32_e64 v11, s0, s3, v5, s0
	s_and_b32 s2, s1, vcc_lo
	s_and_saveexec_b32 s0, s2
	s_cbranch_execz .LBB205_2
; %bb.1:
	global_load_b64 v[6:7], v[12:13], off
	global_load_b64 v[8:9], v[10:11], off
.LBB205_2:
	s_or_b32 exec_lo, exec_lo, s0
	v_cmp_lt_i32_e64 s0, 1, v14
	v_dual_mov_b32 v3, v1 :: v_dual_mov_b32 v2, v0
	s_delay_alu instid0(VALU_DEP_2) | instskip(NEXT) | instid1(SALU_CYCLE_1)
	s_and_b32 s0, s1, s0
	s_and_saveexec_b32 s2, s0
	s_cbranch_execz .LBB205_4
; %bb.3:
	s_mov_b32 s7, 0
	s_delay_alu instid0(SALU_CYCLE_1) | instskip(NEXT) | instid1(SALU_CYCLE_1)
	s_lshl_b64 s[4:5], s[6:7], 3
	v_add_co_u32 v0, s0, v12, s4
	s_delay_alu instid0(VALU_DEP_1) | instskip(SKIP_1) | instid1(VALU_DEP_1)
	v_add_co_ci_u32_e64 v1, s0, s5, v13, s0
	v_add_co_u32 v2, s0, v10, s4
	v_add_co_ci_u32_e64 v3, s0, s5, v11, s0
	global_load_b64 v[0:1], v[0:1], off
	global_load_b64 v[2:3], v[2:3], off
.LBB205_4:
	s_or_b32 exec_lo, exec_lo, s2
	s_and_saveexec_b32 s0, vcc_lo
	s_cbranch_execz .LBB205_10
; %bb.5:
	v_add_co_u32 v4, vcc_lo, s8, v4
	v_cndmask_b32_e64 v10, 0, 1, s1
	v_add_co_ci_u32_e32 v5, vcc_lo, s9, v5, vcc_lo
	s_and_not1_b32 vcc_lo, exec_lo, s1
	s_cbranch_vccnz .LBB205_7
; %bb.6:
	s_mov_b32 s0, 0x652b82fe
	s_mov_b32 s1, 0x3ff71547
	;; [unrolled: 1-line block ×3, first 2 shown]
	s_waitcnt vmcnt(0)
	v_mul_f64 v[11:12], v[8:9], s[0:1]
	s_mov_b32 s0, 0xfefa39ef
	s_mov_b32 s1, 0xbfe62e42
	s_mov_b32 s3, 0x3e5ade15
	v_cmp_nlt_f64_e32 vcc_lo, 0x40900000, v[8:9]
	s_delay_alu instid0(VALU_DEP_2) | instskip(NEXT) | instid1(VALU_DEP_1)
	v_rndne_f64_e32 v[11:12], v[11:12]
	v_fma_f64 v[15:16], v[11:12], s[0:1], v[8:9]
	s_mov_b32 s0, 0x3b39803f
	s_mov_b32 s1, 0xbc7abc9e
	v_cvt_i32_f64_e32 v13, v[11:12]
	s_delay_alu instid0(VALU_DEP_2)
	v_fma_f64 v[15:16], v[11:12], s[0:1], v[15:16]
	s_mov_b32 s0, 0xfca7ab0c
	s_mov_b32 s1, 0x3e928af3
	s_delay_alu instid0(VALU_DEP_1) | instid1(SALU_CYCLE_1)
	v_fma_f64 v[17:18], v[15:16], s[2:3], s[0:1]
	s_mov_b32 s0, 0x623fde64
	s_mov_b32 s1, 0x3ec71dee
	s_delay_alu instid0(VALU_DEP_1) | instid1(SALU_CYCLE_1)
	;; [unrolled: 4-line block ×9, first 2 shown]
	v_fma_f64 v[17:18], v[15:16], v[17:18], s[0:1]
	v_cmp_ngt_f64_e64 s0, 0xc090cc00, v[8:9]
	v_add_f64 v[8:9], v[6:7], 0
	s_delay_alu instid0(VALU_DEP_3) | instskip(NEXT) | instid1(VALU_DEP_1)
	v_fma_f64 v[17:18], v[15:16], v[17:18], 1.0
	v_fma_f64 v[11:12], v[15:16], v[17:18], 1.0
	s_delay_alu instid0(VALU_DEP_1) | instskip(NEXT) | instid1(VALU_DEP_1)
	v_ldexp_f64 v[11:12], v[11:12], v13
	v_cndmask_b32_e32 v12, 0x7ff00000, v12, vcc_lo
	s_and_b32 vcc_lo, s0, vcc_lo
	s_delay_alu instid0(VALU_DEP_2) | instskip(NEXT) | instid1(VALU_DEP_2)
	v_cndmask_b32_e32 v11, 0, v11, vcc_lo
	v_cndmask_b32_e64 v12, 0, v12, s0
	s_delay_alu instid0(VALU_DEP_1)
	v_fma_f64 v[6:7], -v[8:9], v[11:12], v[6:7]
	global_store_b64 v[4:5], v[6:7], off
.LBB205_7:
	v_cmp_ne_u32_e32 vcc_lo, 1, v14
	s_and_b32 exec_lo, exec_lo, vcc_lo
	s_cbranch_execz .LBB205_10
; %bb.8:
	v_cmp_ne_u32_e32 vcc_lo, 1, v10
	s_cbranch_vccnz .LBB205_10
; %bb.9:
	s_mov_b32 s0, 0x652b82fe
	s_mov_b32 s1, 0x3ff71547
	;; [unrolled: 1-line block ×3, first 2 shown]
	s_waitcnt vmcnt(0)
	v_mul_f64 v[6:7], v[2:3], s[0:1]
	s_mov_b32 s0, 0xfefa39ef
	s_mov_b32 s1, 0xbfe62e42
	;; [unrolled: 1-line block ×3, first 2 shown]
	v_cmp_nlt_f64_e32 vcc_lo, 0x40900000, v[2:3]
	s_mov_b32 s7, 0
	s_delay_alu instid0(VALU_DEP_2) | instskip(NEXT) | instid1(VALU_DEP_1)
	v_rndne_f64_e32 v[6:7], v[6:7]
	v_fma_f64 v[8:9], v[6:7], s[0:1], v[2:3]
	s_mov_b32 s0, 0x3b39803f
	s_mov_b32 s1, 0xbc7abc9e
	v_cvt_i32_f64_e32 v12, v[6:7]
	s_delay_alu instid0(VALU_DEP_2)
	v_fma_f64 v[8:9], v[6:7], s[0:1], v[8:9]
	s_mov_b32 s0, 0xfca7ab0c
	s_mov_b32 s1, 0x3e928af3
	s_delay_alu instid0(VALU_DEP_1) | instid1(SALU_CYCLE_1)
	v_fma_f64 v[10:11], v[8:9], s[2:3], s[0:1]
	s_mov_b32 s0, 0x623fde64
	s_mov_b32 s1, 0x3ec71dee
	s_delay_alu instid0(VALU_DEP_1) | instid1(SALU_CYCLE_1)
	;; [unrolled: 4-line block ×9, first 2 shown]
	v_fma_f64 v[10:11], v[8:9], v[10:11], s[0:1]
	v_cmp_ngt_f64_e64 s0, 0xc090cc00, v[2:3]
	v_add_f64 v[2:3], v[0:1], 0
	s_delay_alu instid0(VALU_DEP_3) | instskip(NEXT) | instid1(VALU_DEP_1)
	v_fma_f64 v[10:11], v[8:9], v[10:11], 1.0
	v_fma_f64 v[6:7], v[8:9], v[10:11], 1.0
	s_delay_alu instid0(VALU_DEP_1) | instskip(NEXT) | instid1(VALU_DEP_1)
	v_ldexp_f64 v[6:7], v[6:7], v12
	v_cndmask_b32_e32 v7, 0x7ff00000, v7, vcc_lo
	s_and_b32 vcc_lo, s0, vcc_lo
	s_delay_alu instid0(VALU_DEP_2) | instskip(NEXT) | instid1(VALU_DEP_2)
	v_cndmask_b32_e32 v6, 0, v6, vcc_lo
	v_cndmask_b32_e64 v7, 0, v7, s0
	s_lshl_b64 s[0:1], s[6:7], 3
	s_delay_alu instid0(VALU_DEP_1)
	v_fma_f64 v[0:1], -v[2:3], v[6:7], v[0:1]
	v_add_co_u32 v2, vcc_lo, v4, s0
	v_add_co_ci_u32_e32 v3, vcc_lo, s1, v5, vcc_lo
	global_store_b64 v[2:3], v[0:1], off
.LBB205_10:
	s_nop 0
	s_sendmsg sendmsg(MSG_DEALLOC_VGPRS)
	s_endpgm
	.section	.rodata,"a",@progbits
	.p2align	6, 0x0
	.amdhsa_kernel _ZN12_GLOBAL__N_121softmax_warp_backwardIdddLi0ELb1ELb0ELi32EEEvPT0_PKT_S5_iiiPKb
		.amdhsa_group_segment_fixed_size 0
		.amdhsa_private_segment_fixed_size 0
		.amdhsa_kernarg_size 304
		.amdhsa_user_sgpr_count 15
		.amdhsa_user_sgpr_dispatch_ptr 0
		.amdhsa_user_sgpr_queue_ptr 0
		.amdhsa_user_sgpr_kernarg_segment_ptr 1
		.amdhsa_user_sgpr_dispatch_id 0
		.amdhsa_user_sgpr_private_segment_size 0
		.amdhsa_wavefront_size32 1
		.amdhsa_uses_dynamic_stack 0
		.amdhsa_enable_private_segment 0
		.amdhsa_system_sgpr_workgroup_id_x 1
		.amdhsa_system_sgpr_workgroup_id_y 0
		.amdhsa_system_sgpr_workgroup_id_z 0
		.amdhsa_system_sgpr_workgroup_info 0
		.amdhsa_system_vgpr_workitem_id 1
		.amdhsa_next_free_vgpr 19
		.amdhsa_next_free_sgpr 16
		.amdhsa_reserve_vcc 1
		.amdhsa_float_round_mode_32 0
		.amdhsa_float_round_mode_16_64 0
		.amdhsa_float_denorm_mode_32 3
		.amdhsa_float_denorm_mode_16_64 3
		.amdhsa_dx10_clamp 1
		.amdhsa_ieee_mode 1
		.amdhsa_fp16_overflow 0
		.amdhsa_workgroup_processor_mode 1
		.amdhsa_memory_ordered 1
		.amdhsa_forward_progress 0
		.amdhsa_shared_vgpr_count 0
		.amdhsa_exception_fp_ieee_invalid_op 0
		.amdhsa_exception_fp_denorm_src 0
		.amdhsa_exception_fp_ieee_div_zero 0
		.amdhsa_exception_fp_ieee_overflow 0
		.amdhsa_exception_fp_ieee_underflow 0
		.amdhsa_exception_fp_ieee_inexact 0
		.amdhsa_exception_int_div_zero 0
	.end_amdhsa_kernel
	.section	.text._ZN12_GLOBAL__N_121softmax_warp_backwardIdddLi0ELb1ELb0ELi32EEEvPT0_PKT_S5_iiiPKb,"axG",@progbits,_ZN12_GLOBAL__N_121softmax_warp_backwardIdddLi0ELb1ELb0ELi32EEEvPT0_PKT_S5_iiiPKb,comdat
.Lfunc_end205:
	.size	_ZN12_GLOBAL__N_121softmax_warp_backwardIdddLi0ELb1ELb0ELi32EEEvPT0_PKT_S5_iiiPKb, .Lfunc_end205-_ZN12_GLOBAL__N_121softmax_warp_backwardIdddLi0ELb1ELb0ELi32EEEvPT0_PKT_S5_iiiPKb
                                        ; -- End function
	.section	.AMDGPU.csdata,"",@progbits
; Kernel info:
; codeLenInByte = 1324
; NumSgprs: 18
; NumVgprs: 19
; ScratchSize: 0
; MemoryBound: 0
; FloatMode: 240
; IeeeMode: 1
; LDSByteSize: 0 bytes/workgroup (compile time only)
; SGPRBlocks: 2
; VGPRBlocks: 2
; NumSGPRsForWavesPerEU: 18
; NumVGPRsForWavesPerEU: 19
; Occupancy: 16
; WaveLimiterHint : 0
; COMPUTE_PGM_RSRC2:SCRATCH_EN: 0
; COMPUTE_PGM_RSRC2:USER_SGPR: 15
; COMPUTE_PGM_RSRC2:TRAP_HANDLER: 0
; COMPUTE_PGM_RSRC2:TGID_X_EN: 1
; COMPUTE_PGM_RSRC2:TGID_Y_EN: 0
; COMPUTE_PGM_RSRC2:TGID_Z_EN: 0
; COMPUTE_PGM_RSRC2:TIDIG_COMP_CNT: 1
	.section	.text._ZN12_GLOBAL__N_121softmax_warp_backwardIdddLi1ELb1ELb0ELi64EEEvPT0_PKT_S5_iiiPKb,"axG",@progbits,_ZN12_GLOBAL__N_121softmax_warp_backwardIdddLi1ELb1ELb0ELi64EEEvPT0_PKT_S5_iiiPKb,comdat
	.globl	_ZN12_GLOBAL__N_121softmax_warp_backwardIdddLi1ELb1ELb0ELi64EEEvPT0_PKT_S5_iiiPKb ; -- Begin function _ZN12_GLOBAL__N_121softmax_warp_backwardIdddLi1ELb1ELb0ELi64EEEvPT0_PKT_S5_iiiPKb
	.p2align	8
	.type	_ZN12_GLOBAL__N_121softmax_warp_backwardIdddLi1ELb1ELb0ELi64EEEvPT0_PKT_S5_iiiPKb,@function
_ZN12_GLOBAL__N_121softmax_warp_backwardIdddLi1ELb1ELb0ELi64EEEvPT0_PKT_S5_iiiPKb: ; @_ZN12_GLOBAL__N_121softmax_warp_backwardIdddLi1ELb1ELb0ELi64EEEvPT0_PKT_S5_iiiPKb
; %bb.0:
	s_clause 0x1
	s_load_b32 s2, s[0:1], 0x3c
	s_load_b128 s[4:7], s[0:1], 0x18
	v_bfe_u32 v1, v0, 10, 10
	v_and_b32_e32 v5, 1, v0
	s_waitcnt lgkmcnt(0)
	s_lshr_b32 s2, s2, 16
	s_delay_alu instid0(SALU_CYCLE_1) | instskip(SKIP_4) | instid1(VALU_DEP_1)
	s_mul_i32 s15, s15, s2
	s_clause 0x1
	s_load_b128 s[8:11], s[0:1], 0x0
	s_load_b64 s[2:3], s[0:1], 0x10
	v_add_lshl_u32 v4, s15, v1, 1
	v_mul_lo_u32 v1, v4, s5
	v_sub_nc_u32_e32 v18, s4, v4
	s_delay_alu instid0(VALU_DEP_1) | instskip(NEXT) | instid1(VALU_DEP_3)
	v_cmp_lt_i32_e64 s0, 0, v18
	v_or_b32_e32 v2, v1, v5
	v_mov_b32_e32 v0, 0
	v_mov_b32_e32 v1, 0
	v_cmp_gt_i32_e32 vcc_lo, s6, v5
	s_delay_alu instid0(VALU_DEP_4) | instskip(NEXT) | instid1(VALU_DEP_3)
	v_ashrrev_i32_e32 v3, 31, v2
	v_dual_mov_b32 v11, v1 :: v_dual_mov_b32 v10, v0
	v_dual_mov_b32 v13, v1 :: v_dual_mov_b32 v12, v0
	s_delay_alu instid0(VALU_DEP_3) | instskip(SKIP_1) | instid1(VALU_DEP_1)
	v_lshlrev_b64 v[6:7], 3, v[2:3]
	s_waitcnt lgkmcnt(0)
	v_add_co_u32 v8, s1, s10, v6
	s_delay_alu instid0(VALU_DEP_1) | instskip(SKIP_1) | instid1(VALU_DEP_1)
	v_add_co_ci_u32_e64 v9, s1, s11, v7, s1
	v_add_co_u32 v4, s1, s2, v6
	v_add_co_ci_u32_e64 v5, s1, s3, v7, s1
	s_and_b32 s2, vcc_lo, s0
	s_delay_alu instid0(SALU_CYCLE_1)
	s_and_saveexec_b32 s1, s2
	s_cbranch_execz .LBB206_2
; %bb.1:
	global_load_b64 v[10:11], v[8:9], off
	global_load_b64 v[12:13], v[4:5], off
.LBB206_2:
	s_or_b32 exec_lo, exec_lo, s1
	v_cmp_lt_i32_e64 s1, 1, v18
	v_dual_mov_b32 v3, v1 :: v_dual_mov_b32 v2, v0
	s_delay_alu instid0(VALU_DEP_2) | instskip(NEXT) | instid1(SALU_CYCLE_1)
	s_and_b32 s1, vcc_lo, s1
	s_and_saveexec_b32 s2, s1
	s_cbranch_execz .LBB206_4
; %bb.3:
	s_mov_b32 s7, 0
	s_delay_alu instid0(SALU_CYCLE_1) | instskip(NEXT) | instid1(SALU_CYCLE_1)
	s_lshl_b64 s[4:5], s[6:7], 3
	v_add_co_u32 v0, s1, v8, s4
	s_delay_alu instid0(VALU_DEP_1) | instskip(SKIP_1) | instid1(VALU_DEP_1)
	v_add_co_ci_u32_e64 v1, s1, s5, v9, s1
	v_add_co_u32 v2, s1, v4, s4
	v_add_co_ci_u32_e64 v3, s1, s5, v5, s1
	global_load_b64 v[0:1], v[0:1], off
	global_load_b64 v[2:3], v[2:3], off
.LBB206_4:
	s_or_b32 exec_lo, exec_lo, s2
	s_waitcnt vmcnt(1)
	v_add_f64 v[14:15], v[10:11], 0
	v_add_f64 v[4:5], v[0:1], 0
	v_mbcnt_lo_u32_b32 v8, -1, 0
	s_delay_alu instid0(VALU_DEP_1) | instskip(SKIP_1) | instid1(VALU_DEP_2)
	v_and_b32_e32 v9, 30, v8
	v_xor_b32_e32 v16, 1, v8
	v_add_nc_u32_e32 v9, 2, v9
	s_delay_alu instid0(VALU_DEP_1) | instskip(NEXT) | instid1(VALU_DEP_1)
	v_cmp_lt_i32_e64 s1, v16, v9
	v_cndmask_b32_e64 v8, v8, v16, s1
	s_delay_alu instid0(VALU_DEP_1)
	v_lshlrev_b32_e32 v9, 2, v8
	ds_bpermute_b32 v16, v9, v14
	ds_bpermute_b32 v17, v9, v15
	;; [unrolled: 1-line block ×4, first 2 shown]
	s_and_saveexec_b32 s1, s0
	s_cbranch_execz .LBB206_10
; %bb.5:
	v_add_co_u32 v6, s0, s8, v6
	s_delay_alu instid0(VALU_DEP_1)
	v_add_co_ci_u32_e64 v7, s0, s9, v7, s0
	s_and_saveexec_b32 s2, vcc_lo
	s_cbranch_execz .LBB206_7
; %bb.6:
	s_mov_b32 s0, 0x652b82fe
	s_mov_b32 s1, 0x3ff71547
	;; [unrolled: 1-line block ×3, first 2 shown]
	s_waitcnt vmcnt(0)
	v_mul_f64 v[19:20], v[12:13], s[0:1]
	s_mov_b32 s0, 0xfefa39ef
	s_mov_b32 s1, 0xbfe62e42
	;; [unrolled: 1-line block ×3, first 2 shown]
	s_delay_alu instid0(VALU_DEP_1) | instskip(NEXT) | instid1(VALU_DEP_1)
	v_rndne_f64_e32 v[19:20], v[19:20]
	v_fma_f64 v[21:22], v[19:20], s[0:1], v[12:13]
	s_mov_b32 s0, 0x3b39803f
	s_mov_b32 s1, 0xbc7abc9e
	v_cvt_i32_f64_e32 v25, v[19:20]
	s_delay_alu instid0(VALU_DEP_2)
	v_fma_f64 v[21:22], v[19:20], s[0:1], v[21:22]
	s_mov_b32 s0, 0xfca7ab0c
	s_mov_b32 s1, 0x3e928af3
	s_delay_alu instid0(VALU_DEP_1) | instid1(SALU_CYCLE_1)
	v_fma_f64 v[23:24], v[21:22], s[4:5], s[0:1]
	s_mov_b32 s0, 0x623fde64
	s_mov_b32 s1, 0x3ec71dee
	s_delay_alu instid0(VALU_DEP_1) | instid1(SALU_CYCLE_1)
	;; [unrolled: 4-line block ×9, first 2 shown]
	v_fma_f64 v[23:24], v[21:22], v[23:24], s[0:1]
	v_cmp_nlt_f64_e64 s0, 0x40900000, v[12:13]
	v_cmp_ngt_f64_e64 s1, 0xc090cc00, v[12:13]
	s_waitcnt lgkmcnt(2)
	v_add_f64 v[12:13], v[14:15], v[16:17]
	s_delay_alu instid0(VALU_DEP_4) | instskip(NEXT) | instid1(VALU_DEP_1)
	v_fma_f64 v[23:24], v[21:22], v[23:24], 1.0
	v_fma_f64 v[19:20], v[21:22], v[23:24], 1.0
	s_delay_alu instid0(VALU_DEP_1) | instskip(NEXT) | instid1(VALU_DEP_1)
	v_ldexp_f64 v[19:20], v[19:20], v25
	v_cndmask_b32_e64 v20, 0x7ff00000, v20, s0
	s_and_b32 s0, s1, s0
	s_delay_alu instid0(VALU_DEP_2) | instid1(SALU_CYCLE_1)
	v_cndmask_b32_e64 v14, 0, v19, s0
	s_delay_alu instid0(VALU_DEP_2) | instskip(NEXT) | instid1(VALU_DEP_1)
	v_cndmask_b32_e64 v15, 0, v20, s1
	v_fma_f64 v[10:11], -v[12:13], v[14:15], v[10:11]
	global_store_b64 v[6:7], v[10:11], off
.LBB206_7:
	s_or_b32 exec_lo, exec_lo, s2
	v_cmp_ne_u32_e64 s0, 1, v18
	s_delay_alu instid0(VALU_DEP_1)
	s_and_b32 exec_lo, exec_lo, s0
	s_cbranch_execz .LBB206_10
; %bb.8:
	s_and_b32 exec_lo, exec_lo, vcc_lo
	s_cbranch_execz .LBB206_10
; %bb.9:
	s_mov_b32 s0, 0x652b82fe
	s_mov_b32 s1, 0x3ff71547
	;; [unrolled: 1-line block ×3, first 2 shown]
	s_waitcnt vmcnt(0)
	v_mul_f64 v[10:11], v[2:3], s[0:1]
	s_mov_b32 s0, 0xfefa39ef
	s_mov_b32 s1, 0xbfe62e42
	;; [unrolled: 1-line block ×3, first 2 shown]
	v_cmp_nlt_f64_e32 vcc_lo, 0x40900000, v[2:3]
	s_mov_b32 s7, 0
	s_delay_alu instid0(VALU_DEP_2) | instskip(NEXT) | instid1(VALU_DEP_1)
	v_rndne_f64_e32 v[10:11], v[10:11]
	v_fma_f64 v[12:13], v[10:11], s[0:1], v[2:3]
	s_mov_b32 s0, 0x3b39803f
	s_mov_b32 s1, 0xbc7abc9e
	s_waitcnt lgkmcnt(3)
	v_cvt_i32_f64_e32 v16, v[10:11]
	s_delay_alu instid0(VALU_DEP_2)
	v_fma_f64 v[12:13], v[10:11], s[0:1], v[12:13]
	s_mov_b32 s0, 0xfca7ab0c
	s_mov_b32 s1, 0x3e928af3
	s_delay_alu instid0(VALU_DEP_1) | instid1(SALU_CYCLE_1)
	v_fma_f64 v[14:15], v[12:13], s[2:3], s[0:1]
	s_mov_b32 s0, 0x623fde64
	s_mov_b32 s1, 0x3ec71dee
	s_delay_alu instid0(VALU_DEP_1) | instid1(SALU_CYCLE_1)
	;; [unrolled: 4-line block ×9, first 2 shown]
	v_fma_f64 v[14:15], v[12:13], v[14:15], s[0:1]
	v_cmp_ngt_f64_e64 s0, 0xc090cc00, v[2:3]
	s_waitcnt lgkmcnt(0)
	v_add_f64 v[2:3], v[4:5], v[8:9]
	s_delay_alu instid0(VALU_DEP_3) | instskip(NEXT) | instid1(VALU_DEP_1)
	v_fma_f64 v[14:15], v[12:13], v[14:15], 1.0
	v_fma_f64 v[10:11], v[12:13], v[14:15], 1.0
	s_delay_alu instid0(VALU_DEP_1) | instskip(NEXT) | instid1(VALU_DEP_1)
	v_ldexp_f64 v[10:11], v[10:11], v16
	v_cndmask_b32_e32 v11, 0x7ff00000, v11, vcc_lo
	s_and_b32 vcc_lo, s0, vcc_lo
	s_delay_alu instid0(VALU_DEP_2) | instskip(NEXT) | instid1(VALU_DEP_2)
	v_cndmask_b32_e32 v4, 0, v10, vcc_lo
	v_cndmask_b32_e64 v5, 0, v11, s0
	s_lshl_b64 s[0:1], s[6:7], 3
	s_delay_alu instid0(VALU_DEP_1)
	v_fma_f64 v[0:1], -v[2:3], v[4:5], v[0:1]
	v_add_co_u32 v2, vcc_lo, v6, s0
	v_add_co_ci_u32_e32 v3, vcc_lo, s1, v7, vcc_lo
	global_store_b64 v[2:3], v[0:1], off
.LBB206_10:
	s_nop 0
	s_sendmsg sendmsg(MSG_DEALLOC_VGPRS)
	s_endpgm
	.section	.rodata,"a",@progbits
	.p2align	6, 0x0
	.amdhsa_kernel _ZN12_GLOBAL__N_121softmax_warp_backwardIdddLi1ELb1ELb0ELi64EEEvPT0_PKT_S5_iiiPKb
		.amdhsa_group_segment_fixed_size 0
		.amdhsa_private_segment_fixed_size 0
		.amdhsa_kernarg_size 304
		.amdhsa_user_sgpr_count 15
		.amdhsa_user_sgpr_dispatch_ptr 0
		.amdhsa_user_sgpr_queue_ptr 0
		.amdhsa_user_sgpr_kernarg_segment_ptr 1
		.amdhsa_user_sgpr_dispatch_id 0
		.amdhsa_user_sgpr_private_segment_size 0
		.amdhsa_wavefront_size32 1
		.amdhsa_uses_dynamic_stack 0
		.amdhsa_enable_private_segment 0
		.amdhsa_system_sgpr_workgroup_id_x 1
		.amdhsa_system_sgpr_workgroup_id_y 0
		.amdhsa_system_sgpr_workgroup_id_z 0
		.amdhsa_system_sgpr_workgroup_info 0
		.amdhsa_system_vgpr_workitem_id 1
		.amdhsa_next_free_vgpr 26
		.amdhsa_next_free_sgpr 16
		.amdhsa_reserve_vcc 1
		.amdhsa_float_round_mode_32 0
		.amdhsa_float_round_mode_16_64 0
		.amdhsa_float_denorm_mode_32 3
		.amdhsa_float_denorm_mode_16_64 3
		.amdhsa_dx10_clamp 1
		.amdhsa_ieee_mode 1
		.amdhsa_fp16_overflow 0
		.amdhsa_workgroup_processor_mode 1
		.amdhsa_memory_ordered 1
		.amdhsa_forward_progress 0
		.amdhsa_shared_vgpr_count 0
		.amdhsa_exception_fp_ieee_invalid_op 0
		.amdhsa_exception_fp_denorm_src 0
		.amdhsa_exception_fp_ieee_div_zero 0
		.amdhsa_exception_fp_ieee_overflow 0
		.amdhsa_exception_fp_ieee_underflow 0
		.amdhsa_exception_fp_ieee_inexact 0
		.amdhsa_exception_int_div_zero 0
	.end_amdhsa_kernel
	.section	.text._ZN12_GLOBAL__N_121softmax_warp_backwardIdddLi1ELb1ELb0ELi64EEEvPT0_PKT_S5_iiiPKb,"axG",@progbits,_ZN12_GLOBAL__N_121softmax_warp_backwardIdddLi1ELb1ELb0ELi64EEEvPT0_PKT_S5_iiiPKb,comdat
.Lfunc_end206:
	.size	_ZN12_GLOBAL__N_121softmax_warp_backwardIdddLi1ELb1ELb0ELi64EEEvPT0_PKT_S5_iiiPKb, .Lfunc_end206-_ZN12_GLOBAL__N_121softmax_warp_backwardIdddLi1ELb1ELb0ELi64EEEvPT0_PKT_S5_iiiPKb
                                        ; -- End function
	.section	.AMDGPU.csdata,"",@progbits
; Kernel info:
; codeLenInByte = 1484
; NumSgprs: 18
; NumVgprs: 26
; ScratchSize: 0
; MemoryBound: 0
; FloatMode: 240
; IeeeMode: 1
; LDSByteSize: 0 bytes/workgroup (compile time only)
; SGPRBlocks: 2
; VGPRBlocks: 3
; NumSGPRsForWavesPerEU: 18
; NumVGPRsForWavesPerEU: 26
; Occupancy: 16
; WaveLimiterHint : 0
; COMPUTE_PGM_RSRC2:SCRATCH_EN: 0
; COMPUTE_PGM_RSRC2:USER_SGPR: 15
; COMPUTE_PGM_RSRC2:TRAP_HANDLER: 0
; COMPUTE_PGM_RSRC2:TGID_X_EN: 1
; COMPUTE_PGM_RSRC2:TGID_Y_EN: 0
; COMPUTE_PGM_RSRC2:TGID_Z_EN: 0
; COMPUTE_PGM_RSRC2:TIDIG_COMP_CNT: 1
	.section	.text._ZN12_GLOBAL__N_121softmax_warp_backwardIdddLi1ELb1ELb0ELi32EEEvPT0_PKT_S5_iiiPKb,"axG",@progbits,_ZN12_GLOBAL__N_121softmax_warp_backwardIdddLi1ELb1ELb0ELi32EEEvPT0_PKT_S5_iiiPKb,comdat
	.globl	_ZN12_GLOBAL__N_121softmax_warp_backwardIdddLi1ELb1ELb0ELi32EEEvPT0_PKT_S5_iiiPKb ; -- Begin function _ZN12_GLOBAL__N_121softmax_warp_backwardIdddLi1ELb1ELb0ELi32EEEvPT0_PKT_S5_iiiPKb
	.p2align	8
	.type	_ZN12_GLOBAL__N_121softmax_warp_backwardIdddLi1ELb1ELb0ELi32EEEvPT0_PKT_S5_iiiPKb,@function
_ZN12_GLOBAL__N_121softmax_warp_backwardIdddLi1ELb1ELb0ELi32EEEvPT0_PKT_S5_iiiPKb: ; @_ZN12_GLOBAL__N_121softmax_warp_backwardIdddLi1ELb1ELb0ELi32EEEvPT0_PKT_S5_iiiPKb
; %bb.0:
	s_clause 0x1
	s_load_b32 s2, s[0:1], 0x3c
	s_load_b128 s[4:7], s[0:1], 0x18
	v_bfe_u32 v1, v0, 10, 10
	v_and_b32_e32 v5, 1, v0
	s_waitcnt lgkmcnt(0)
	s_lshr_b32 s2, s2, 16
	s_delay_alu instid0(SALU_CYCLE_1) | instskip(SKIP_4) | instid1(VALU_DEP_1)
	s_mul_i32 s15, s15, s2
	s_clause 0x1
	s_load_b128 s[8:11], s[0:1], 0x0
	s_load_b64 s[2:3], s[0:1], 0x10
	v_add_lshl_u32 v4, s15, v1, 1
	v_mul_lo_u32 v1, v4, s5
	v_sub_nc_u32_e32 v18, s4, v4
	s_delay_alu instid0(VALU_DEP_1) | instskip(NEXT) | instid1(VALU_DEP_3)
	v_cmp_lt_i32_e64 s0, 0, v18
	v_or_b32_e32 v2, v1, v5
	v_mov_b32_e32 v0, 0
	v_mov_b32_e32 v1, 0
	v_cmp_gt_i32_e32 vcc_lo, s6, v5
	s_delay_alu instid0(VALU_DEP_4) | instskip(NEXT) | instid1(VALU_DEP_3)
	v_ashrrev_i32_e32 v3, 31, v2
	v_dual_mov_b32 v11, v1 :: v_dual_mov_b32 v10, v0
	v_dual_mov_b32 v13, v1 :: v_dual_mov_b32 v12, v0
	s_delay_alu instid0(VALU_DEP_3) | instskip(SKIP_1) | instid1(VALU_DEP_1)
	v_lshlrev_b64 v[6:7], 3, v[2:3]
	s_waitcnt lgkmcnt(0)
	v_add_co_u32 v8, s1, s10, v6
	s_delay_alu instid0(VALU_DEP_1) | instskip(SKIP_1) | instid1(VALU_DEP_1)
	v_add_co_ci_u32_e64 v9, s1, s11, v7, s1
	v_add_co_u32 v4, s1, s2, v6
	v_add_co_ci_u32_e64 v5, s1, s3, v7, s1
	s_and_b32 s2, vcc_lo, s0
	s_delay_alu instid0(SALU_CYCLE_1)
	s_and_saveexec_b32 s1, s2
	s_cbranch_execz .LBB207_2
; %bb.1:
	global_load_b64 v[10:11], v[8:9], off
	global_load_b64 v[12:13], v[4:5], off
.LBB207_2:
	s_or_b32 exec_lo, exec_lo, s1
	v_cmp_lt_i32_e64 s1, 1, v18
	v_dual_mov_b32 v3, v1 :: v_dual_mov_b32 v2, v0
	s_delay_alu instid0(VALU_DEP_2) | instskip(NEXT) | instid1(SALU_CYCLE_1)
	s_and_b32 s1, vcc_lo, s1
	s_and_saveexec_b32 s2, s1
	s_cbranch_execz .LBB207_4
; %bb.3:
	s_mov_b32 s7, 0
	s_delay_alu instid0(SALU_CYCLE_1) | instskip(NEXT) | instid1(SALU_CYCLE_1)
	s_lshl_b64 s[4:5], s[6:7], 3
	v_add_co_u32 v0, s1, v8, s4
	s_delay_alu instid0(VALU_DEP_1) | instskip(SKIP_1) | instid1(VALU_DEP_1)
	v_add_co_ci_u32_e64 v1, s1, s5, v9, s1
	v_add_co_u32 v2, s1, v4, s4
	v_add_co_ci_u32_e64 v3, s1, s5, v5, s1
	global_load_b64 v[0:1], v[0:1], off
	global_load_b64 v[2:3], v[2:3], off
.LBB207_4:
	s_or_b32 exec_lo, exec_lo, s2
	s_waitcnt vmcnt(1)
	v_add_f64 v[14:15], v[10:11], 0
	v_add_f64 v[4:5], v[0:1], 0
	v_mbcnt_lo_u32_b32 v8, -1, 0
	s_delay_alu instid0(VALU_DEP_1) | instskip(SKIP_1) | instid1(VALU_DEP_2)
	v_and_b32_e32 v9, 30, v8
	v_xor_b32_e32 v16, 1, v8
	v_add_nc_u32_e32 v9, 2, v9
	s_delay_alu instid0(VALU_DEP_1) | instskip(NEXT) | instid1(VALU_DEP_1)
	v_cmp_lt_i32_e64 s1, v16, v9
	v_cndmask_b32_e64 v8, v8, v16, s1
	s_delay_alu instid0(VALU_DEP_1)
	v_lshlrev_b32_e32 v9, 2, v8
	ds_bpermute_b32 v16, v9, v14
	ds_bpermute_b32 v17, v9, v15
	ds_bpermute_b32 v8, v9, v4
	ds_bpermute_b32 v9, v9, v5
	s_and_saveexec_b32 s1, s0
	s_cbranch_execz .LBB207_10
; %bb.5:
	v_add_co_u32 v6, s0, s8, v6
	s_delay_alu instid0(VALU_DEP_1)
	v_add_co_ci_u32_e64 v7, s0, s9, v7, s0
	s_and_saveexec_b32 s2, vcc_lo
	s_cbranch_execz .LBB207_7
; %bb.6:
	s_mov_b32 s0, 0x652b82fe
	s_mov_b32 s1, 0x3ff71547
	s_mov_b32 s4, 0x6a5dcb37
	s_waitcnt vmcnt(0)
	v_mul_f64 v[19:20], v[12:13], s[0:1]
	s_mov_b32 s0, 0xfefa39ef
	s_mov_b32 s1, 0xbfe62e42
	;; [unrolled: 1-line block ×3, first 2 shown]
	s_delay_alu instid0(VALU_DEP_1) | instskip(NEXT) | instid1(VALU_DEP_1)
	v_rndne_f64_e32 v[19:20], v[19:20]
	v_fma_f64 v[21:22], v[19:20], s[0:1], v[12:13]
	s_mov_b32 s0, 0x3b39803f
	s_mov_b32 s1, 0xbc7abc9e
	v_cvt_i32_f64_e32 v25, v[19:20]
	s_delay_alu instid0(VALU_DEP_2)
	v_fma_f64 v[21:22], v[19:20], s[0:1], v[21:22]
	s_mov_b32 s0, 0xfca7ab0c
	s_mov_b32 s1, 0x3e928af3
	s_delay_alu instid0(VALU_DEP_1) | instid1(SALU_CYCLE_1)
	v_fma_f64 v[23:24], v[21:22], s[4:5], s[0:1]
	s_mov_b32 s0, 0x623fde64
	s_mov_b32 s1, 0x3ec71dee
	s_delay_alu instid0(VALU_DEP_1) | instid1(SALU_CYCLE_1)
	;; [unrolled: 4-line block ×9, first 2 shown]
	v_fma_f64 v[23:24], v[21:22], v[23:24], s[0:1]
	v_cmp_nlt_f64_e64 s0, 0x40900000, v[12:13]
	v_cmp_ngt_f64_e64 s1, 0xc090cc00, v[12:13]
	s_waitcnt lgkmcnt(2)
	v_add_f64 v[12:13], v[14:15], v[16:17]
	s_delay_alu instid0(VALU_DEP_4) | instskip(NEXT) | instid1(VALU_DEP_1)
	v_fma_f64 v[23:24], v[21:22], v[23:24], 1.0
	v_fma_f64 v[19:20], v[21:22], v[23:24], 1.0
	s_delay_alu instid0(VALU_DEP_1) | instskip(NEXT) | instid1(VALU_DEP_1)
	v_ldexp_f64 v[19:20], v[19:20], v25
	v_cndmask_b32_e64 v20, 0x7ff00000, v20, s0
	s_and_b32 s0, s1, s0
	s_delay_alu instid0(VALU_DEP_2) | instid1(SALU_CYCLE_1)
	v_cndmask_b32_e64 v14, 0, v19, s0
	s_delay_alu instid0(VALU_DEP_2) | instskip(NEXT) | instid1(VALU_DEP_1)
	v_cndmask_b32_e64 v15, 0, v20, s1
	v_fma_f64 v[10:11], -v[12:13], v[14:15], v[10:11]
	global_store_b64 v[6:7], v[10:11], off
.LBB207_7:
	s_or_b32 exec_lo, exec_lo, s2
	v_cmp_ne_u32_e64 s0, 1, v18
	s_delay_alu instid0(VALU_DEP_1)
	s_and_b32 exec_lo, exec_lo, s0
	s_cbranch_execz .LBB207_10
; %bb.8:
	s_and_b32 exec_lo, exec_lo, vcc_lo
	s_cbranch_execz .LBB207_10
; %bb.9:
	s_mov_b32 s0, 0x652b82fe
	s_mov_b32 s1, 0x3ff71547
	;; [unrolled: 1-line block ×3, first 2 shown]
	s_waitcnt vmcnt(0)
	v_mul_f64 v[10:11], v[2:3], s[0:1]
	s_mov_b32 s0, 0xfefa39ef
	s_mov_b32 s1, 0xbfe62e42
	s_mov_b32 s3, 0x3e5ade15
	v_cmp_nlt_f64_e32 vcc_lo, 0x40900000, v[2:3]
	s_mov_b32 s7, 0
	s_delay_alu instid0(VALU_DEP_2) | instskip(NEXT) | instid1(VALU_DEP_1)
	v_rndne_f64_e32 v[10:11], v[10:11]
	v_fma_f64 v[12:13], v[10:11], s[0:1], v[2:3]
	s_mov_b32 s0, 0x3b39803f
	s_mov_b32 s1, 0xbc7abc9e
	s_waitcnt lgkmcnt(3)
	v_cvt_i32_f64_e32 v16, v[10:11]
	s_delay_alu instid0(VALU_DEP_2)
	v_fma_f64 v[12:13], v[10:11], s[0:1], v[12:13]
	s_mov_b32 s0, 0xfca7ab0c
	s_mov_b32 s1, 0x3e928af3
	s_delay_alu instid0(VALU_DEP_1) | instid1(SALU_CYCLE_1)
	v_fma_f64 v[14:15], v[12:13], s[2:3], s[0:1]
	s_mov_b32 s0, 0x623fde64
	s_mov_b32 s1, 0x3ec71dee
	s_delay_alu instid0(VALU_DEP_1) | instid1(SALU_CYCLE_1)
	;; [unrolled: 4-line block ×9, first 2 shown]
	v_fma_f64 v[14:15], v[12:13], v[14:15], s[0:1]
	v_cmp_ngt_f64_e64 s0, 0xc090cc00, v[2:3]
	s_waitcnt lgkmcnt(0)
	v_add_f64 v[2:3], v[4:5], v[8:9]
	s_delay_alu instid0(VALU_DEP_3) | instskip(NEXT) | instid1(VALU_DEP_1)
	v_fma_f64 v[14:15], v[12:13], v[14:15], 1.0
	v_fma_f64 v[10:11], v[12:13], v[14:15], 1.0
	s_delay_alu instid0(VALU_DEP_1) | instskip(NEXT) | instid1(VALU_DEP_1)
	v_ldexp_f64 v[10:11], v[10:11], v16
	v_cndmask_b32_e32 v11, 0x7ff00000, v11, vcc_lo
	s_and_b32 vcc_lo, s0, vcc_lo
	s_delay_alu instid0(VALU_DEP_2) | instskip(NEXT) | instid1(VALU_DEP_2)
	v_cndmask_b32_e32 v4, 0, v10, vcc_lo
	v_cndmask_b32_e64 v5, 0, v11, s0
	s_lshl_b64 s[0:1], s[6:7], 3
	s_delay_alu instid0(VALU_DEP_1)
	v_fma_f64 v[0:1], -v[2:3], v[4:5], v[0:1]
	v_add_co_u32 v2, vcc_lo, v6, s0
	v_add_co_ci_u32_e32 v3, vcc_lo, s1, v7, vcc_lo
	global_store_b64 v[2:3], v[0:1], off
.LBB207_10:
	s_nop 0
	s_sendmsg sendmsg(MSG_DEALLOC_VGPRS)
	s_endpgm
	.section	.rodata,"a",@progbits
	.p2align	6, 0x0
	.amdhsa_kernel _ZN12_GLOBAL__N_121softmax_warp_backwardIdddLi1ELb1ELb0ELi32EEEvPT0_PKT_S5_iiiPKb
		.amdhsa_group_segment_fixed_size 0
		.amdhsa_private_segment_fixed_size 0
		.amdhsa_kernarg_size 304
		.amdhsa_user_sgpr_count 15
		.amdhsa_user_sgpr_dispatch_ptr 0
		.amdhsa_user_sgpr_queue_ptr 0
		.amdhsa_user_sgpr_kernarg_segment_ptr 1
		.amdhsa_user_sgpr_dispatch_id 0
		.amdhsa_user_sgpr_private_segment_size 0
		.amdhsa_wavefront_size32 1
		.amdhsa_uses_dynamic_stack 0
		.amdhsa_enable_private_segment 0
		.amdhsa_system_sgpr_workgroup_id_x 1
		.amdhsa_system_sgpr_workgroup_id_y 0
		.amdhsa_system_sgpr_workgroup_id_z 0
		.amdhsa_system_sgpr_workgroup_info 0
		.amdhsa_system_vgpr_workitem_id 1
		.amdhsa_next_free_vgpr 26
		.amdhsa_next_free_sgpr 16
		.amdhsa_reserve_vcc 1
		.amdhsa_float_round_mode_32 0
		.amdhsa_float_round_mode_16_64 0
		.amdhsa_float_denorm_mode_32 3
		.amdhsa_float_denorm_mode_16_64 3
		.amdhsa_dx10_clamp 1
		.amdhsa_ieee_mode 1
		.amdhsa_fp16_overflow 0
		.amdhsa_workgroup_processor_mode 1
		.amdhsa_memory_ordered 1
		.amdhsa_forward_progress 0
		.amdhsa_shared_vgpr_count 0
		.amdhsa_exception_fp_ieee_invalid_op 0
		.amdhsa_exception_fp_denorm_src 0
		.amdhsa_exception_fp_ieee_div_zero 0
		.amdhsa_exception_fp_ieee_overflow 0
		.amdhsa_exception_fp_ieee_underflow 0
		.amdhsa_exception_fp_ieee_inexact 0
		.amdhsa_exception_int_div_zero 0
	.end_amdhsa_kernel
	.section	.text._ZN12_GLOBAL__N_121softmax_warp_backwardIdddLi1ELb1ELb0ELi32EEEvPT0_PKT_S5_iiiPKb,"axG",@progbits,_ZN12_GLOBAL__N_121softmax_warp_backwardIdddLi1ELb1ELb0ELi32EEEvPT0_PKT_S5_iiiPKb,comdat
.Lfunc_end207:
	.size	_ZN12_GLOBAL__N_121softmax_warp_backwardIdddLi1ELb1ELb0ELi32EEEvPT0_PKT_S5_iiiPKb, .Lfunc_end207-_ZN12_GLOBAL__N_121softmax_warp_backwardIdddLi1ELb1ELb0ELi32EEEvPT0_PKT_S5_iiiPKb
                                        ; -- End function
	.section	.AMDGPU.csdata,"",@progbits
; Kernel info:
; codeLenInByte = 1484
; NumSgprs: 18
; NumVgprs: 26
; ScratchSize: 0
; MemoryBound: 0
; FloatMode: 240
; IeeeMode: 1
; LDSByteSize: 0 bytes/workgroup (compile time only)
; SGPRBlocks: 2
; VGPRBlocks: 3
; NumSGPRsForWavesPerEU: 18
; NumVGPRsForWavesPerEU: 26
; Occupancy: 16
; WaveLimiterHint : 0
; COMPUTE_PGM_RSRC2:SCRATCH_EN: 0
; COMPUTE_PGM_RSRC2:USER_SGPR: 15
; COMPUTE_PGM_RSRC2:TRAP_HANDLER: 0
; COMPUTE_PGM_RSRC2:TGID_X_EN: 1
; COMPUTE_PGM_RSRC2:TGID_Y_EN: 0
; COMPUTE_PGM_RSRC2:TGID_Z_EN: 0
; COMPUTE_PGM_RSRC2:TIDIG_COMP_CNT: 1
	.section	.text._ZN12_GLOBAL__N_121softmax_warp_backwardIdddLi2ELb1ELb0ELi64EEEvPT0_PKT_S5_iiiPKb,"axG",@progbits,_ZN12_GLOBAL__N_121softmax_warp_backwardIdddLi2ELb1ELb0ELi64EEEvPT0_PKT_S5_iiiPKb,comdat
	.globl	_ZN12_GLOBAL__N_121softmax_warp_backwardIdddLi2ELb1ELb0ELi64EEEvPT0_PKT_S5_iiiPKb ; -- Begin function _ZN12_GLOBAL__N_121softmax_warp_backwardIdddLi2ELb1ELb0ELi64EEEvPT0_PKT_S5_iiiPKb
	.p2align	8
	.type	_ZN12_GLOBAL__N_121softmax_warp_backwardIdddLi2ELb1ELb0ELi64EEEvPT0_PKT_S5_iiiPKb,@function
_ZN12_GLOBAL__N_121softmax_warp_backwardIdddLi2ELb1ELb0ELi64EEEvPT0_PKT_S5_iiiPKb: ; @_ZN12_GLOBAL__N_121softmax_warp_backwardIdddLi2ELb1ELb0ELi64EEEvPT0_PKT_S5_iiiPKb
; %bb.0:
	s_clause 0x1
	s_load_b32 s2, s[0:1], 0x3c
	s_load_b128 s[4:7], s[0:1], 0x18
	v_bfe_u32 v1, v0, 10, 10
	v_and_b32_e32 v2, 3, v0
	s_load_b128 s[8:11], s[0:1], 0x0
	s_waitcnt lgkmcnt(0)
	s_lshr_b32 s2, s2, 16
	s_delay_alu instid0(SALU_CYCLE_1)
	s_mul_i32 s15, s15, s2
	s_load_b64 s[2:3], s[0:1], 0x10
	v_add_lshl_u32 v5, s15, v1, 1
	v_mov_b32_e32 v0, 0
	v_mov_b32_e32 v1, 0
	v_cmp_gt_i32_e32 vcc_lo, s6, v2
	s_delay_alu instid0(VALU_DEP_4) | instskip(SKIP_1) | instid1(VALU_DEP_4)
	v_mad_u64_u32 v[3:4], null, v5, s5, v[2:3]
	v_sub_nc_u32_e32 v18, s4, v5
	v_dual_mov_b32 v11, v1 :: v_dual_mov_b32 v10, v0
	v_dual_mov_b32 v13, v1 :: v_dual_mov_b32 v12, v0
	s_delay_alu instid0(VALU_DEP_3) | instskip(SKIP_1) | instid1(VALU_DEP_1)
	v_cmp_lt_i32_e64 s0, 0, v18
	v_ashrrev_i32_e32 v4, 31, v3
	v_lshlrev_b64 v[6:7], 3, v[3:4]
	s_delay_alu instid0(VALU_DEP_1) | instskip(NEXT) | instid1(VALU_DEP_1)
	v_add_co_u32 v8, s1, s10, v6
	v_add_co_ci_u32_e64 v9, s1, s11, v7, s1
	s_waitcnt lgkmcnt(0)
	v_add_co_u32 v4, s1, s2, v6
	s_delay_alu instid0(VALU_DEP_1) | instskip(SKIP_1) | instid1(SALU_CYCLE_1)
	v_add_co_ci_u32_e64 v5, s1, s3, v7, s1
	s_and_b32 s2, vcc_lo, s0
	s_and_saveexec_b32 s1, s2
	s_cbranch_execz .LBB208_2
; %bb.1:
	global_load_b64 v[10:11], v[8:9], off
	global_load_b64 v[12:13], v[4:5], off
.LBB208_2:
	s_or_b32 exec_lo, exec_lo, s1
	v_cmp_lt_i32_e64 s1, 1, v18
	v_dual_mov_b32 v3, v1 :: v_dual_mov_b32 v2, v0
	s_delay_alu instid0(VALU_DEP_2) | instskip(NEXT) | instid1(SALU_CYCLE_1)
	s_and_b32 s1, vcc_lo, s1
	s_and_saveexec_b32 s2, s1
	s_cbranch_execz .LBB208_4
; %bb.3:
	s_mov_b32 s7, 0
	s_delay_alu instid0(SALU_CYCLE_1) | instskip(NEXT) | instid1(SALU_CYCLE_1)
	s_lshl_b64 s[4:5], s[6:7], 3
	v_add_co_u32 v0, s1, v8, s4
	s_delay_alu instid0(VALU_DEP_1) | instskip(SKIP_1) | instid1(VALU_DEP_1)
	v_add_co_ci_u32_e64 v1, s1, s5, v9, s1
	v_add_co_u32 v2, s1, v4, s4
	v_add_co_ci_u32_e64 v3, s1, s5, v5, s1
	global_load_b64 v[0:1], v[0:1], off
	global_load_b64 v[2:3], v[2:3], off
.LBB208_4:
	s_or_b32 exec_lo, exec_lo, s2
	s_waitcnt vmcnt(1)
	v_add_f64 v[4:5], v[10:11], 0
	v_add_f64 v[8:9], v[0:1], 0
	v_mbcnt_lo_u32_b32 v19, -1, 0
	s_delay_alu instid0(VALU_DEP_1) | instskip(SKIP_1) | instid1(VALU_DEP_2)
	v_and_b32_e32 v14, 28, v19
	v_xor_b32_e32 v15, 2, v19
	v_add_nc_u32_e32 v20, 4, v14
	s_delay_alu instid0(VALU_DEP_1) | instskip(NEXT) | instid1(VALU_DEP_1)
	v_cmp_lt_i32_e64 s1, v15, v20
	v_cndmask_b32_e64 v14, v19, v15, s1
	s_delay_alu instid0(VALU_DEP_1)
	v_lshlrev_b32_e32 v17, 2, v14
	ds_bpermute_b32 v14, v17, v4
	ds_bpermute_b32 v15, v17, v5
	;; [unrolled: 1-line block ×4, first 2 shown]
	s_waitcnt lgkmcnt(2)
	v_add_f64 v[14:15], v[4:5], v[14:15]
	s_waitcnt lgkmcnt(0)
	v_add_f64 v[4:5], v[8:9], v[16:17]
	v_xor_b32_e32 v8, 1, v19
	s_delay_alu instid0(VALU_DEP_1) | instskip(NEXT) | instid1(VALU_DEP_1)
	v_cmp_lt_i32_e64 s1, v8, v20
	v_cndmask_b32_e64 v8, v19, v8, s1
	s_delay_alu instid0(VALU_DEP_1)
	v_lshlrev_b32_e32 v9, 2, v8
	ds_bpermute_b32 v16, v9, v14
	ds_bpermute_b32 v17, v9, v15
	;; [unrolled: 1-line block ×4, first 2 shown]
	s_and_saveexec_b32 s1, s0
	s_cbranch_execz .LBB208_10
; %bb.5:
	v_add_co_u32 v6, s0, s8, v6
	s_delay_alu instid0(VALU_DEP_1)
	v_add_co_ci_u32_e64 v7, s0, s9, v7, s0
	s_and_saveexec_b32 s2, vcc_lo
	s_cbranch_execz .LBB208_7
; %bb.6:
	s_mov_b32 s0, 0x652b82fe
	s_mov_b32 s1, 0x3ff71547
	;; [unrolled: 1-line block ×3, first 2 shown]
	s_waitcnt vmcnt(0)
	v_mul_f64 v[19:20], v[12:13], s[0:1]
	s_mov_b32 s0, 0xfefa39ef
	s_mov_b32 s1, 0xbfe62e42
	;; [unrolled: 1-line block ×3, first 2 shown]
	s_delay_alu instid0(VALU_DEP_1) | instskip(NEXT) | instid1(VALU_DEP_1)
	v_rndne_f64_e32 v[19:20], v[19:20]
	v_fma_f64 v[21:22], v[19:20], s[0:1], v[12:13]
	s_mov_b32 s0, 0x3b39803f
	s_mov_b32 s1, 0xbc7abc9e
	v_cvt_i32_f64_e32 v25, v[19:20]
	s_delay_alu instid0(VALU_DEP_2)
	v_fma_f64 v[21:22], v[19:20], s[0:1], v[21:22]
	s_mov_b32 s0, 0xfca7ab0c
	s_mov_b32 s1, 0x3e928af3
	s_delay_alu instid0(VALU_DEP_1) | instid1(SALU_CYCLE_1)
	v_fma_f64 v[23:24], v[21:22], s[4:5], s[0:1]
	s_mov_b32 s0, 0x623fde64
	s_mov_b32 s1, 0x3ec71dee
	s_delay_alu instid0(VALU_DEP_1) | instid1(SALU_CYCLE_1)
	;; [unrolled: 4-line block ×9, first 2 shown]
	v_fma_f64 v[23:24], v[21:22], v[23:24], s[0:1]
	v_cmp_nlt_f64_e64 s0, 0x40900000, v[12:13]
	v_cmp_ngt_f64_e64 s1, 0xc090cc00, v[12:13]
	s_waitcnt lgkmcnt(2)
	v_add_f64 v[12:13], v[14:15], v[16:17]
	s_delay_alu instid0(VALU_DEP_4) | instskip(NEXT) | instid1(VALU_DEP_1)
	v_fma_f64 v[23:24], v[21:22], v[23:24], 1.0
	v_fma_f64 v[19:20], v[21:22], v[23:24], 1.0
	s_delay_alu instid0(VALU_DEP_1) | instskip(NEXT) | instid1(VALU_DEP_1)
	v_ldexp_f64 v[19:20], v[19:20], v25
	v_cndmask_b32_e64 v20, 0x7ff00000, v20, s0
	s_and_b32 s0, s1, s0
	s_delay_alu instid0(VALU_DEP_2) | instid1(SALU_CYCLE_1)
	v_cndmask_b32_e64 v14, 0, v19, s0
	s_delay_alu instid0(VALU_DEP_2) | instskip(NEXT) | instid1(VALU_DEP_1)
	v_cndmask_b32_e64 v15, 0, v20, s1
	v_fma_f64 v[10:11], -v[12:13], v[14:15], v[10:11]
	global_store_b64 v[6:7], v[10:11], off
.LBB208_7:
	s_or_b32 exec_lo, exec_lo, s2
	v_cmp_ne_u32_e64 s0, 1, v18
	s_delay_alu instid0(VALU_DEP_1)
	s_and_b32 exec_lo, exec_lo, s0
	s_cbranch_execz .LBB208_10
; %bb.8:
	s_and_b32 exec_lo, exec_lo, vcc_lo
	s_cbranch_execz .LBB208_10
; %bb.9:
	s_mov_b32 s0, 0x652b82fe
	s_mov_b32 s1, 0x3ff71547
	;; [unrolled: 1-line block ×3, first 2 shown]
	s_waitcnt vmcnt(0)
	v_mul_f64 v[10:11], v[2:3], s[0:1]
	s_mov_b32 s0, 0xfefa39ef
	s_mov_b32 s1, 0xbfe62e42
	;; [unrolled: 1-line block ×3, first 2 shown]
	v_cmp_nlt_f64_e32 vcc_lo, 0x40900000, v[2:3]
	s_mov_b32 s7, 0
	s_delay_alu instid0(VALU_DEP_2) | instskip(NEXT) | instid1(VALU_DEP_1)
	v_rndne_f64_e32 v[10:11], v[10:11]
	v_fma_f64 v[12:13], v[10:11], s[0:1], v[2:3]
	s_mov_b32 s0, 0x3b39803f
	s_mov_b32 s1, 0xbc7abc9e
	s_waitcnt lgkmcnt(3)
	v_cvt_i32_f64_e32 v16, v[10:11]
	s_delay_alu instid0(VALU_DEP_2)
	v_fma_f64 v[12:13], v[10:11], s[0:1], v[12:13]
	s_mov_b32 s0, 0xfca7ab0c
	s_mov_b32 s1, 0x3e928af3
	s_delay_alu instid0(VALU_DEP_1) | instid1(SALU_CYCLE_1)
	v_fma_f64 v[14:15], v[12:13], s[2:3], s[0:1]
	s_mov_b32 s0, 0x623fde64
	s_mov_b32 s1, 0x3ec71dee
	s_delay_alu instid0(VALU_DEP_1) | instid1(SALU_CYCLE_1)
	;; [unrolled: 4-line block ×9, first 2 shown]
	v_fma_f64 v[14:15], v[12:13], v[14:15], s[0:1]
	v_cmp_ngt_f64_e64 s0, 0xc090cc00, v[2:3]
	s_waitcnt lgkmcnt(0)
	v_add_f64 v[2:3], v[4:5], v[8:9]
	s_delay_alu instid0(VALU_DEP_3) | instskip(NEXT) | instid1(VALU_DEP_1)
	v_fma_f64 v[14:15], v[12:13], v[14:15], 1.0
	v_fma_f64 v[10:11], v[12:13], v[14:15], 1.0
	s_delay_alu instid0(VALU_DEP_1) | instskip(NEXT) | instid1(VALU_DEP_1)
	v_ldexp_f64 v[10:11], v[10:11], v16
	v_cndmask_b32_e32 v11, 0x7ff00000, v11, vcc_lo
	s_and_b32 vcc_lo, s0, vcc_lo
	s_delay_alu instid0(VALU_DEP_2) | instskip(NEXT) | instid1(VALU_DEP_2)
	v_cndmask_b32_e32 v4, 0, v10, vcc_lo
	v_cndmask_b32_e64 v5, 0, v11, s0
	s_lshl_b64 s[0:1], s[6:7], 3
	s_delay_alu instid0(VALU_DEP_1)
	v_fma_f64 v[0:1], -v[2:3], v[4:5], v[0:1]
	v_add_co_u32 v2, vcc_lo, v6, s0
	v_add_co_ci_u32_e32 v3, vcc_lo, s1, v7, vcc_lo
	global_store_b64 v[2:3], v[0:1], off
.LBB208_10:
	s_nop 0
	s_sendmsg sendmsg(MSG_DEALLOC_VGPRS)
	s_endpgm
	.section	.rodata,"a",@progbits
	.p2align	6, 0x0
	.amdhsa_kernel _ZN12_GLOBAL__N_121softmax_warp_backwardIdddLi2ELb1ELb0ELi64EEEvPT0_PKT_S5_iiiPKb
		.amdhsa_group_segment_fixed_size 0
		.amdhsa_private_segment_fixed_size 0
		.amdhsa_kernarg_size 304
		.amdhsa_user_sgpr_count 15
		.amdhsa_user_sgpr_dispatch_ptr 0
		.amdhsa_user_sgpr_queue_ptr 0
		.amdhsa_user_sgpr_kernarg_segment_ptr 1
		.amdhsa_user_sgpr_dispatch_id 0
		.amdhsa_user_sgpr_private_segment_size 0
		.amdhsa_wavefront_size32 1
		.amdhsa_uses_dynamic_stack 0
		.amdhsa_enable_private_segment 0
		.amdhsa_system_sgpr_workgroup_id_x 1
		.amdhsa_system_sgpr_workgroup_id_y 0
		.amdhsa_system_sgpr_workgroup_id_z 0
		.amdhsa_system_sgpr_workgroup_info 0
		.amdhsa_system_vgpr_workitem_id 1
		.amdhsa_next_free_vgpr 26
		.amdhsa_next_free_sgpr 16
		.amdhsa_reserve_vcc 1
		.amdhsa_float_round_mode_32 0
		.amdhsa_float_round_mode_16_64 0
		.amdhsa_float_denorm_mode_32 3
		.amdhsa_float_denorm_mode_16_64 3
		.amdhsa_dx10_clamp 1
		.amdhsa_ieee_mode 1
		.amdhsa_fp16_overflow 0
		.amdhsa_workgroup_processor_mode 1
		.amdhsa_memory_ordered 1
		.amdhsa_forward_progress 0
		.amdhsa_shared_vgpr_count 0
		.amdhsa_exception_fp_ieee_invalid_op 0
		.amdhsa_exception_fp_denorm_src 0
		.amdhsa_exception_fp_ieee_div_zero 0
		.amdhsa_exception_fp_ieee_overflow 0
		.amdhsa_exception_fp_ieee_underflow 0
		.amdhsa_exception_fp_ieee_inexact 0
		.amdhsa_exception_int_div_zero 0
	.end_amdhsa_kernel
	.section	.text._ZN12_GLOBAL__N_121softmax_warp_backwardIdddLi2ELb1ELb0ELi64EEEvPT0_PKT_S5_iiiPKb,"axG",@progbits,_ZN12_GLOBAL__N_121softmax_warp_backwardIdddLi2ELb1ELb0ELi64EEEvPT0_PKT_S5_iiiPKb,comdat
.Lfunc_end208:
	.size	_ZN12_GLOBAL__N_121softmax_warp_backwardIdddLi2ELb1ELb0ELi64EEEvPT0_PKT_S5_iiiPKb, .Lfunc_end208-_ZN12_GLOBAL__N_121softmax_warp_backwardIdddLi2ELb1ELb0ELi64EEEvPT0_PKT_S5_iiiPKb
                                        ; -- End function
	.section	.AMDGPU.csdata,"",@progbits
; Kernel info:
; codeLenInByte = 1560
; NumSgprs: 18
; NumVgprs: 26
; ScratchSize: 0
; MemoryBound: 0
; FloatMode: 240
; IeeeMode: 1
; LDSByteSize: 0 bytes/workgroup (compile time only)
; SGPRBlocks: 2
; VGPRBlocks: 3
; NumSGPRsForWavesPerEU: 18
; NumVGPRsForWavesPerEU: 26
; Occupancy: 16
; WaveLimiterHint : 0
; COMPUTE_PGM_RSRC2:SCRATCH_EN: 0
; COMPUTE_PGM_RSRC2:USER_SGPR: 15
; COMPUTE_PGM_RSRC2:TRAP_HANDLER: 0
; COMPUTE_PGM_RSRC2:TGID_X_EN: 1
; COMPUTE_PGM_RSRC2:TGID_Y_EN: 0
; COMPUTE_PGM_RSRC2:TGID_Z_EN: 0
; COMPUTE_PGM_RSRC2:TIDIG_COMP_CNT: 1
	.section	.text._ZN12_GLOBAL__N_121softmax_warp_backwardIdddLi2ELb1ELb0ELi32EEEvPT0_PKT_S5_iiiPKb,"axG",@progbits,_ZN12_GLOBAL__N_121softmax_warp_backwardIdddLi2ELb1ELb0ELi32EEEvPT0_PKT_S5_iiiPKb,comdat
	.globl	_ZN12_GLOBAL__N_121softmax_warp_backwardIdddLi2ELb1ELb0ELi32EEEvPT0_PKT_S5_iiiPKb ; -- Begin function _ZN12_GLOBAL__N_121softmax_warp_backwardIdddLi2ELb1ELb0ELi32EEEvPT0_PKT_S5_iiiPKb
	.p2align	8
	.type	_ZN12_GLOBAL__N_121softmax_warp_backwardIdddLi2ELb1ELb0ELi32EEEvPT0_PKT_S5_iiiPKb,@function
_ZN12_GLOBAL__N_121softmax_warp_backwardIdddLi2ELb1ELb0ELi32EEEvPT0_PKT_S5_iiiPKb: ; @_ZN12_GLOBAL__N_121softmax_warp_backwardIdddLi2ELb1ELb0ELi32EEEvPT0_PKT_S5_iiiPKb
; %bb.0:
	s_clause 0x1
	s_load_b32 s2, s[0:1], 0x3c
	s_load_b128 s[4:7], s[0:1], 0x18
	v_bfe_u32 v1, v0, 10, 10
	v_and_b32_e32 v2, 3, v0
	s_load_b128 s[8:11], s[0:1], 0x0
	s_waitcnt lgkmcnt(0)
	s_lshr_b32 s2, s2, 16
	s_delay_alu instid0(SALU_CYCLE_1)
	s_mul_i32 s15, s15, s2
	s_load_b64 s[2:3], s[0:1], 0x10
	v_add_lshl_u32 v5, s15, v1, 1
	v_mov_b32_e32 v0, 0
	v_mov_b32_e32 v1, 0
	v_cmp_gt_i32_e32 vcc_lo, s6, v2
	s_delay_alu instid0(VALU_DEP_4) | instskip(SKIP_1) | instid1(VALU_DEP_4)
	v_mad_u64_u32 v[3:4], null, v5, s5, v[2:3]
	v_sub_nc_u32_e32 v18, s4, v5
	v_dual_mov_b32 v11, v1 :: v_dual_mov_b32 v10, v0
	v_dual_mov_b32 v13, v1 :: v_dual_mov_b32 v12, v0
	s_delay_alu instid0(VALU_DEP_3) | instskip(SKIP_1) | instid1(VALU_DEP_1)
	v_cmp_lt_i32_e64 s0, 0, v18
	v_ashrrev_i32_e32 v4, 31, v3
	v_lshlrev_b64 v[6:7], 3, v[3:4]
	s_delay_alu instid0(VALU_DEP_1) | instskip(NEXT) | instid1(VALU_DEP_1)
	v_add_co_u32 v8, s1, s10, v6
	v_add_co_ci_u32_e64 v9, s1, s11, v7, s1
	s_waitcnt lgkmcnt(0)
	v_add_co_u32 v4, s1, s2, v6
	s_delay_alu instid0(VALU_DEP_1) | instskip(SKIP_1) | instid1(SALU_CYCLE_1)
	v_add_co_ci_u32_e64 v5, s1, s3, v7, s1
	s_and_b32 s2, vcc_lo, s0
	s_and_saveexec_b32 s1, s2
	s_cbranch_execz .LBB209_2
; %bb.1:
	global_load_b64 v[10:11], v[8:9], off
	global_load_b64 v[12:13], v[4:5], off
.LBB209_2:
	s_or_b32 exec_lo, exec_lo, s1
	v_cmp_lt_i32_e64 s1, 1, v18
	v_dual_mov_b32 v3, v1 :: v_dual_mov_b32 v2, v0
	s_delay_alu instid0(VALU_DEP_2) | instskip(NEXT) | instid1(SALU_CYCLE_1)
	s_and_b32 s1, vcc_lo, s1
	s_and_saveexec_b32 s2, s1
	s_cbranch_execz .LBB209_4
; %bb.3:
	s_mov_b32 s7, 0
	s_delay_alu instid0(SALU_CYCLE_1) | instskip(NEXT) | instid1(SALU_CYCLE_1)
	s_lshl_b64 s[4:5], s[6:7], 3
	v_add_co_u32 v0, s1, v8, s4
	s_delay_alu instid0(VALU_DEP_1) | instskip(SKIP_1) | instid1(VALU_DEP_1)
	v_add_co_ci_u32_e64 v1, s1, s5, v9, s1
	v_add_co_u32 v2, s1, v4, s4
	v_add_co_ci_u32_e64 v3, s1, s5, v5, s1
	global_load_b64 v[0:1], v[0:1], off
	global_load_b64 v[2:3], v[2:3], off
.LBB209_4:
	s_or_b32 exec_lo, exec_lo, s2
	s_waitcnt vmcnt(1)
	v_add_f64 v[4:5], v[10:11], 0
	v_add_f64 v[8:9], v[0:1], 0
	v_mbcnt_lo_u32_b32 v19, -1, 0
	s_delay_alu instid0(VALU_DEP_1) | instskip(SKIP_1) | instid1(VALU_DEP_2)
	v_and_b32_e32 v14, 28, v19
	v_xor_b32_e32 v15, 2, v19
	v_add_nc_u32_e32 v20, 4, v14
	s_delay_alu instid0(VALU_DEP_1) | instskip(NEXT) | instid1(VALU_DEP_1)
	v_cmp_lt_i32_e64 s1, v15, v20
	v_cndmask_b32_e64 v14, v19, v15, s1
	s_delay_alu instid0(VALU_DEP_1)
	v_lshlrev_b32_e32 v17, 2, v14
	ds_bpermute_b32 v14, v17, v4
	ds_bpermute_b32 v15, v17, v5
	;; [unrolled: 1-line block ×4, first 2 shown]
	s_waitcnt lgkmcnt(2)
	v_add_f64 v[14:15], v[4:5], v[14:15]
	s_waitcnt lgkmcnt(0)
	v_add_f64 v[4:5], v[8:9], v[16:17]
	v_xor_b32_e32 v8, 1, v19
	s_delay_alu instid0(VALU_DEP_1) | instskip(NEXT) | instid1(VALU_DEP_1)
	v_cmp_lt_i32_e64 s1, v8, v20
	v_cndmask_b32_e64 v8, v19, v8, s1
	s_delay_alu instid0(VALU_DEP_1)
	v_lshlrev_b32_e32 v9, 2, v8
	ds_bpermute_b32 v16, v9, v14
	ds_bpermute_b32 v17, v9, v15
	;; [unrolled: 1-line block ×4, first 2 shown]
	s_and_saveexec_b32 s1, s0
	s_cbranch_execz .LBB209_10
; %bb.5:
	v_add_co_u32 v6, s0, s8, v6
	s_delay_alu instid0(VALU_DEP_1)
	v_add_co_ci_u32_e64 v7, s0, s9, v7, s0
	s_and_saveexec_b32 s2, vcc_lo
	s_cbranch_execz .LBB209_7
; %bb.6:
	s_mov_b32 s0, 0x652b82fe
	s_mov_b32 s1, 0x3ff71547
	;; [unrolled: 1-line block ×3, first 2 shown]
	s_waitcnt vmcnt(0)
	v_mul_f64 v[19:20], v[12:13], s[0:1]
	s_mov_b32 s0, 0xfefa39ef
	s_mov_b32 s1, 0xbfe62e42
	;; [unrolled: 1-line block ×3, first 2 shown]
	s_delay_alu instid0(VALU_DEP_1) | instskip(NEXT) | instid1(VALU_DEP_1)
	v_rndne_f64_e32 v[19:20], v[19:20]
	v_fma_f64 v[21:22], v[19:20], s[0:1], v[12:13]
	s_mov_b32 s0, 0x3b39803f
	s_mov_b32 s1, 0xbc7abc9e
	v_cvt_i32_f64_e32 v25, v[19:20]
	s_delay_alu instid0(VALU_DEP_2)
	v_fma_f64 v[21:22], v[19:20], s[0:1], v[21:22]
	s_mov_b32 s0, 0xfca7ab0c
	s_mov_b32 s1, 0x3e928af3
	s_delay_alu instid0(VALU_DEP_1) | instid1(SALU_CYCLE_1)
	v_fma_f64 v[23:24], v[21:22], s[4:5], s[0:1]
	s_mov_b32 s0, 0x623fde64
	s_mov_b32 s1, 0x3ec71dee
	s_delay_alu instid0(VALU_DEP_1) | instid1(SALU_CYCLE_1)
	;; [unrolled: 4-line block ×9, first 2 shown]
	v_fma_f64 v[23:24], v[21:22], v[23:24], s[0:1]
	v_cmp_nlt_f64_e64 s0, 0x40900000, v[12:13]
	v_cmp_ngt_f64_e64 s1, 0xc090cc00, v[12:13]
	s_waitcnt lgkmcnt(2)
	v_add_f64 v[12:13], v[14:15], v[16:17]
	s_delay_alu instid0(VALU_DEP_4) | instskip(NEXT) | instid1(VALU_DEP_1)
	v_fma_f64 v[23:24], v[21:22], v[23:24], 1.0
	v_fma_f64 v[19:20], v[21:22], v[23:24], 1.0
	s_delay_alu instid0(VALU_DEP_1) | instskip(NEXT) | instid1(VALU_DEP_1)
	v_ldexp_f64 v[19:20], v[19:20], v25
	v_cndmask_b32_e64 v20, 0x7ff00000, v20, s0
	s_and_b32 s0, s1, s0
	s_delay_alu instid0(VALU_DEP_2) | instid1(SALU_CYCLE_1)
	v_cndmask_b32_e64 v14, 0, v19, s0
	s_delay_alu instid0(VALU_DEP_2) | instskip(NEXT) | instid1(VALU_DEP_1)
	v_cndmask_b32_e64 v15, 0, v20, s1
	v_fma_f64 v[10:11], -v[12:13], v[14:15], v[10:11]
	global_store_b64 v[6:7], v[10:11], off
.LBB209_7:
	s_or_b32 exec_lo, exec_lo, s2
	v_cmp_ne_u32_e64 s0, 1, v18
	s_delay_alu instid0(VALU_DEP_1)
	s_and_b32 exec_lo, exec_lo, s0
	s_cbranch_execz .LBB209_10
; %bb.8:
	s_and_b32 exec_lo, exec_lo, vcc_lo
	s_cbranch_execz .LBB209_10
; %bb.9:
	s_mov_b32 s0, 0x652b82fe
	s_mov_b32 s1, 0x3ff71547
	;; [unrolled: 1-line block ×3, first 2 shown]
	s_waitcnt vmcnt(0)
	v_mul_f64 v[10:11], v[2:3], s[0:1]
	s_mov_b32 s0, 0xfefa39ef
	s_mov_b32 s1, 0xbfe62e42
	;; [unrolled: 1-line block ×3, first 2 shown]
	v_cmp_nlt_f64_e32 vcc_lo, 0x40900000, v[2:3]
	s_mov_b32 s7, 0
	s_delay_alu instid0(VALU_DEP_2) | instskip(NEXT) | instid1(VALU_DEP_1)
	v_rndne_f64_e32 v[10:11], v[10:11]
	v_fma_f64 v[12:13], v[10:11], s[0:1], v[2:3]
	s_mov_b32 s0, 0x3b39803f
	s_mov_b32 s1, 0xbc7abc9e
	s_waitcnt lgkmcnt(3)
	v_cvt_i32_f64_e32 v16, v[10:11]
	s_delay_alu instid0(VALU_DEP_2)
	v_fma_f64 v[12:13], v[10:11], s[0:1], v[12:13]
	s_mov_b32 s0, 0xfca7ab0c
	s_mov_b32 s1, 0x3e928af3
	s_delay_alu instid0(VALU_DEP_1) | instid1(SALU_CYCLE_1)
	v_fma_f64 v[14:15], v[12:13], s[2:3], s[0:1]
	s_mov_b32 s0, 0x623fde64
	s_mov_b32 s1, 0x3ec71dee
	s_delay_alu instid0(VALU_DEP_1) | instid1(SALU_CYCLE_1)
	;; [unrolled: 4-line block ×9, first 2 shown]
	v_fma_f64 v[14:15], v[12:13], v[14:15], s[0:1]
	v_cmp_ngt_f64_e64 s0, 0xc090cc00, v[2:3]
	s_waitcnt lgkmcnt(0)
	v_add_f64 v[2:3], v[4:5], v[8:9]
	s_delay_alu instid0(VALU_DEP_3) | instskip(NEXT) | instid1(VALU_DEP_1)
	v_fma_f64 v[14:15], v[12:13], v[14:15], 1.0
	v_fma_f64 v[10:11], v[12:13], v[14:15], 1.0
	s_delay_alu instid0(VALU_DEP_1) | instskip(NEXT) | instid1(VALU_DEP_1)
	v_ldexp_f64 v[10:11], v[10:11], v16
	v_cndmask_b32_e32 v11, 0x7ff00000, v11, vcc_lo
	s_and_b32 vcc_lo, s0, vcc_lo
	s_delay_alu instid0(VALU_DEP_2) | instskip(NEXT) | instid1(VALU_DEP_2)
	v_cndmask_b32_e32 v4, 0, v10, vcc_lo
	v_cndmask_b32_e64 v5, 0, v11, s0
	s_lshl_b64 s[0:1], s[6:7], 3
	s_delay_alu instid0(VALU_DEP_1)
	v_fma_f64 v[0:1], -v[2:3], v[4:5], v[0:1]
	v_add_co_u32 v2, vcc_lo, v6, s0
	v_add_co_ci_u32_e32 v3, vcc_lo, s1, v7, vcc_lo
	global_store_b64 v[2:3], v[0:1], off
.LBB209_10:
	s_nop 0
	s_sendmsg sendmsg(MSG_DEALLOC_VGPRS)
	s_endpgm
	.section	.rodata,"a",@progbits
	.p2align	6, 0x0
	.amdhsa_kernel _ZN12_GLOBAL__N_121softmax_warp_backwardIdddLi2ELb1ELb0ELi32EEEvPT0_PKT_S5_iiiPKb
		.amdhsa_group_segment_fixed_size 0
		.amdhsa_private_segment_fixed_size 0
		.amdhsa_kernarg_size 304
		.amdhsa_user_sgpr_count 15
		.amdhsa_user_sgpr_dispatch_ptr 0
		.amdhsa_user_sgpr_queue_ptr 0
		.amdhsa_user_sgpr_kernarg_segment_ptr 1
		.amdhsa_user_sgpr_dispatch_id 0
		.amdhsa_user_sgpr_private_segment_size 0
		.amdhsa_wavefront_size32 1
		.amdhsa_uses_dynamic_stack 0
		.amdhsa_enable_private_segment 0
		.amdhsa_system_sgpr_workgroup_id_x 1
		.amdhsa_system_sgpr_workgroup_id_y 0
		.amdhsa_system_sgpr_workgroup_id_z 0
		.amdhsa_system_sgpr_workgroup_info 0
		.amdhsa_system_vgpr_workitem_id 1
		.amdhsa_next_free_vgpr 26
		.amdhsa_next_free_sgpr 16
		.amdhsa_reserve_vcc 1
		.amdhsa_float_round_mode_32 0
		.amdhsa_float_round_mode_16_64 0
		.amdhsa_float_denorm_mode_32 3
		.amdhsa_float_denorm_mode_16_64 3
		.amdhsa_dx10_clamp 1
		.amdhsa_ieee_mode 1
		.amdhsa_fp16_overflow 0
		.amdhsa_workgroup_processor_mode 1
		.amdhsa_memory_ordered 1
		.amdhsa_forward_progress 0
		.amdhsa_shared_vgpr_count 0
		.amdhsa_exception_fp_ieee_invalid_op 0
		.amdhsa_exception_fp_denorm_src 0
		.amdhsa_exception_fp_ieee_div_zero 0
		.amdhsa_exception_fp_ieee_overflow 0
		.amdhsa_exception_fp_ieee_underflow 0
		.amdhsa_exception_fp_ieee_inexact 0
		.amdhsa_exception_int_div_zero 0
	.end_amdhsa_kernel
	.section	.text._ZN12_GLOBAL__N_121softmax_warp_backwardIdddLi2ELb1ELb0ELi32EEEvPT0_PKT_S5_iiiPKb,"axG",@progbits,_ZN12_GLOBAL__N_121softmax_warp_backwardIdddLi2ELb1ELb0ELi32EEEvPT0_PKT_S5_iiiPKb,comdat
.Lfunc_end209:
	.size	_ZN12_GLOBAL__N_121softmax_warp_backwardIdddLi2ELb1ELb0ELi32EEEvPT0_PKT_S5_iiiPKb, .Lfunc_end209-_ZN12_GLOBAL__N_121softmax_warp_backwardIdddLi2ELb1ELb0ELi32EEEvPT0_PKT_S5_iiiPKb
                                        ; -- End function
	.section	.AMDGPU.csdata,"",@progbits
; Kernel info:
; codeLenInByte = 1560
; NumSgprs: 18
; NumVgprs: 26
; ScratchSize: 0
; MemoryBound: 0
; FloatMode: 240
; IeeeMode: 1
; LDSByteSize: 0 bytes/workgroup (compile time only)
; SGPRBlocks: 2
; VGPRBlocks: 3
; NumSGPRsForWavesPerEU: 18
; NumVGPRsForWavesPerEU: 26
; Occupancy: 16
; WaveLimiterHint : 0
; COMPUTE_PGM_RSRC2:SCRATCH_EN: 0
; COMPUTE_PGM_RSRC2:USER_SGPR: 15
; COMPUTE_PGM_RSRC2:TRAP_HANDLER: 0
; COMPUTE_PGM_RSRC2:TGID_X_EN: 1
; COMPUTE_PGM_RSRC2:TGID_Y_EN: 0
; COMPUTE_PGM_RSRC2:TGID_Z_EN: 0
; COMPUTE_PGM_RSRC2:TIDIG_COMP_CNT: 1
	.section	.text._ZN12_GLOBAL__N_121softmax_warp_backwardIdddLi3ELb1ELb0ELi64EEEvPT0_PKT_S5_iiiPKb,"axG",@progbits,_ZN12_GLOBAL__N_121softmax_warp_backwardIdddLi3ELb1ELb0ELi64EEEvPT0_PKT_S5_iiiPKb,comdat
	.globl	_ZN12_GLOBAL__N_121softmax_warp_backwardIdddLi3ELb1ELb0ELi64EEEvPT0_PKT_S5_iiiPKb ; -- Begin function _ZN12_GLOBAL__N_121softmax_warp_backwardIdddLi3ELb1ELb0ELi64EEEvPT0_PKT_S5_iiiPKb
	.p2align	8
	.type	_ZN12_GLOBAL__N_121softmax_warp_backwardIdddLi3ELb1ELb0ELi64EEEvPT0_PKT_S5_iiiPKb,@function
_ZN12_GLOBAL__N_121softmax_warp_backwardIdddLi3ELb1ELb0ELi64EEEvPT0_PKT_S5_iiiPKb: ; @_ZN12_GLOBAL__N_121softmax_warp_backwardIdddLi3ELb1ELb0ELi64EEEvPT0_PKT_S5_iiiPKb
; %bb.0:
	s_clause 0x1
	s_load_b32 s2, s[0:1], 0x3c
	s_load_b128 s[4:7], s[0:1], 0x18
	v_bfe_u32 v1, v0, 10, 10
	v_and_b32_e32 v2, 7, v0
	s_load_b128 s[8:11], s[0:1], 0x0
	s_waitcnt lgkmcnt(0)
	s_lshr_b32 s2, s2, 16
	s_delay_alu instid0(SALU_CYCLE_1)
	s_mul_i32 s15, s15, s2
	s_load_b64 s[2:3], s[0:1], 0x10
	v_add_lshl_u32 v5, s15, v1, 1
	v_mov_b32_e32 v0, 0
	v_mov_b32_e32 v1, 0
	v_cmp_gt_i32_e32 vcc_lo, s6, v2
	s_delay_alu instid0(VALU_DEP_4) | instskip(SKIP_1) | instid1(VALU_DEP_4)
	v_mad_u64_u32 v[3:4], null, v5, s5, v[2:3]
	v_sub_nc_u32_e32 v18, s4, v5
	v_dual_mov_b32 v11, v1 :: v_dual_mov_b32 v10, v0
	v_dual_mov_b32 v13, v1 :: v_dual_mov_b32 v12, v0
	s_delay_alu instid0(VALU_DEP_3) | instskip(SKIP_1) | instid1(VALU_DEP_1)
	v_cmp_lt_i32_e64 s0, 0, v18
	v_ashrrev_i32_e32 v4, 31, v3
	v_lshlrev_b64 v[6:7], 3, v[3:4]
	s_delay_alu instid0(VALU_DEP_1) | instskip(NEXT) | instid1(VALU_DEP_1)
	v_add_co_u32 v8, s1, s10, v6
	v_add_co_ci_u32_e64 v9, s1, s11, v7, s1
	s_waitcnt lgkmcnt(0)
	v_add_co_u32 v4, s1, s2, v6
	s_delay_alu instid0(VALU_DEP_1) | instskip(SKIP_1) | instid1(SALU_CYCLE_1)
	v_add_co_ci_u32_e64 v5, s1, s3, v7, s1
	s_and_b32 s2, vcc_lo, s0
	s_and_saveexec_b32 s1, s2
	s_cbranch_execz .LBB210_2
; %bb.1:
	global_load_b64 v[10:11], v[8:9], off
	global_load_b64 v[12:13], v[4:5], off
.LBB210_2:
	s_or_b32 exec_lo, exec_lo, s1
	v_cmp_lt_i32_e64 s1, 1, v18
	v_dual_mov_b32 v3, v1 :: v_dual_mov_b32 v2, v0
	s_delay_alu instid0(VALU_DEP_2) | instskip(NEXT) | instid1(SALU_CYCLE_1)
	s_and_b32 s1, vcc_lo, s1
	s_and_saveexec_b32 s2, s1
	s_cbranch_execz .LBB210_4
; %bb.3:
	s_mov_b32 s7, 0
	s_delay_alu instid0(SALU_CYCLE_1) | instskip(NEXT) | instid1(SALU_CYCLE_1)
	s_lshl_b64 s[4:5], s[6:7], 3
	v_add_co_u32 v0, s1, v8, s4
	s_delay_alu instid0(VALU_DEP_1) | instskip(SKIP_1) | instid1(VALU_DEP_1)
	v_add_co_ci_u32_e64 v1, s1, s5, v9, s1
	v_add_co_u32 v2, s1, v4, s4
	v_add_co_ci_u32_e64 v3, s1, s5, v5, s1
	global_load_b64 v[0:1], v[0:1], off
	global_load_b64 v[2:3], v[2:3], off
.LBB210_4:
	s_or_b32 exec_lo, exec_lo, s2
	s_waitcnt vmcnt(1)
	v_add_f64 v[4:5], v[10:11], 0
	v_add_f64 v[8:9], v[0:1], 0
	v_mbcnt_lo_u32_b32 v19, -1, 0
	s_delay_alu instid0(VALU_DEP_1) | instskip(SKIP_1) | instid1(VALU_DEP_2)
	v_and_b32_e32 v14, 24, v19
	v_xor_b32_e32 v15, 4, v19
	v_add_nc_u32_e32 v20, 8, v14
	s_delay_alu instid0(VALU_DEP_1) | instskip(NEXT) | instid1(VALU_DEP_1)
	v_cmp_lt_i32_e64 s1, v15, v20
	v_cndmask_b32_e64 v14, v19, v15, s1
	s_delay_alu instid0(VALU_DEP_1)
	v_lshlrev_b32_e32 v17, 2, v14
	ds_bpermute_b32 v14, v17, v4
	ds_bpermute_b32 v15, v17, v5
	;; [unrolled: 1-line block ×4, first 2 shown]
	s_waitcnt lgkmcnt(2)
	v_add_f64 v[4:5], v[4:5], v[14:15]
	v_xor_b32_e32 v14, 2, v19
	s_waitcnt lgkmcnt(0)
	v_add_f64 v[8:9], v[8:9], v[16:17]
	s_delay_alu instid0(VALU_DEP_2) | instskip(NEXT) | instid1(VALU_DEP_1)
	v_cmp_lt_i32_e64 s1, v14, v20
	v_cndmask_b32_e64 v14, v19, v14, s1
	s_delay_alu instid0(VALU_DEP_1)
	v_lshlrev_b32_e32 v17, 2, v14
	ds_bpermute_b32 v14, v17, v4
	ds_bpermute_b32 v15, v17, v5
	;; [unrolled: 1-line block ×4, first 2 shown]
	s_waitcnt lgkmcnt(2)
	v_add_f64 v[14:15], v[4:5], v[14:15]
	s_waitcnt lgkmcnt(0)
	v_add_f64 v[4:5], v[8:9], v[16:17]
	v_xor_b32_e32 v8, 1, v19
	s_delay_alu instid0(VALU_DEP_1) | instskip(NEXT) | instid1(VALU_DEP_1)
	v_cmp_lt_i32_e64 s1, v8, v20
	v_cndmask_b32_e64 v8, v19, v8, s1
	s_delay_alu instid0(VALU_DEP_1)
	v_lshlrev_b32_e32 v9, 2, v8
	ds_bpermute_b32 v16, v9, v14
	ds_bpermute_b32 v17, v9, v15
	;; [unrolled: 1-line block ×4, first 2 shown]
	s_and_saveexec_b32 s1, s0
	s_cbranch_execz .LBB210_10
; %bb.5:
	v_add_co_u32 v6, s0, s8, v6
	s_delay_alu instid0(VALU_DEP_1)
	v_add_co_ci_u32_e64 v7, s0, s9, v7, s0
	s_and_saveexec_b32 s2, vcc_lo
	s_cbranch_execz .LBB210_7
; %bb.6:
	s_mov_b32 s0, 0x652b82fe
	s_mov_b32 s1, 0x3ff71547
	;; [unrolled: 1-line block ×3, first 2 shown]
	s_waitcnt vmcnt(0)
	v_mul_f64 v[19:20], v[12:13], s[0:1]
	s_mov_b32 s0, 0xfefa39ef
	s_mov_b32 s1, 0xbfe62e42
	;; [unrolled: 1-line block ×3, first 2 shown]
	s_delay_alu instid0(VALU_DEP_1) | instskip(NEXT) | instid1(VALU_DEP_1)
	v_rndne_f64_e32 v[19:20], v[19:20]
	v_fma_f64 v[21:22], v[19:20], s[0:1], v[12:13]
	s_mov_b32 s0, 0x3b39803f
	s_mov_b32 s1, 0xbc7abc9e
	v_cvt_i32_f64_e32 v25, v[19:20]
	s_delay_alu instid0(VALU_DEP_2)
	v_fma_f64 v[21:22], v[19:20], s[0:1], v[21:22]
	s_mov_b32 s0, 0xfca7ab0c
	s_mov_b32 s1, 0x3e928af3
	s_delay_alu instid0(VALU_DEP_1) | instid1(SALU_CYCLE_1)
	v_fma_f64 v[23:24], v[21:22], s[4:5], s[0:1]
	s_mov_b32 s0, 0x623fde64
	s_mov_b32 s1, 0x3ec71dee
	s_delay_alu instid0(VALU_DEP_1) | instid1(SALU_CYCLE_1)
	;; [unrolled: 4-line block ×9, first 2 shown]
	v_fma_f64 v[23:24], v[21:22], v[23:24], s[0:1]
	v_cmp_nlt_f64_e64 s0, 0x40900000, v[12:13]
	v_cmp_ngt_f64_e64 s1, 0xc090cc00, v[12:13]
	s_waitcnt lgkmcnt(2)
	v_add_f64 v[12:13], v[14:15], v[16:17]
	s_delay_alu instid0(VALU_DEP_4) | instskip(NEXT) | instid1(VALU_DEP_1)
	v_fma_f64 v[23:24], v[21:22], v[23:24], 1.0
	v_fma_f64 v[19:20], v[21:22], v[23:24], 1.0
	s_delay_alu instid0(VALU_DEP_1) | instskip(NEXT) | instid1(VALU_DEP_1)
	v_ldexp_f64 v[19:20], v[19:20], v25
	v_cndmask_b32_e64 v20, 0x7ff00000, v20, s0
	s_and_b32 s0, s1, s0
	s_delay_alu instid0(VALU_DEP_2) | instid1(SALU_CYCLE_1)
	v_cndmask_b32_e64 v14, 0, v19, s0
	s_delay_alu instid0(VALU_DEP_2) | instskip(NEXT) | instid1(VALU_DEP_1)
	v_cndmask_b32_e64 v15, 0, v20, s1
	v_fma_f64 v[10:11], -v[12:13], v[14:15], v[10:11]
	global_store_b64 v[6:7], v[10:11], off
.LBB210_7:
	s_or_b32 exec_lo, exec_lo, s2
	v_cmp_ne_u32_e64 s0, 1, v18
	s_delay_alu instid0(VALU_DEP_1)
	s_and_b32 exec_lo, exec_lo, s0
	s_cbranch_execz .LBB210_10
; %bb.8:
	s_and_b32 exec_lo, exec_lo, vcc_lo
	s_cbranch_execz .LBB210_10
; %bb.9:
	s_mov_b32 s0, 0x652b82fe
	s_mov_b32 s1, 0x3ff71547
	;; [unrolled: 1-line block ×3, first 2 shown]
	s_waitcnt vmcnt(0)
	v_mul_f64 v[10:11], v[2:3], s[0:1]
	s_mov_b32 s0, 0xfefa39ef
	s_mov_b32 s1, 0xbfe62e42
	;; [unrolled: 1-line block ×3, first 2 shown]
	v_cmp_nlt_f64_e32 vcc_lo, 0x40900000, v[2:3]
	s_mov_b32 s7, 0
	s_delay_alu instid0(VALU_DEP_2) | instskip(NEXT) | instid1(VALU_DEP_1)
	v_rndne_f64_e32 v[10:11], v[10:11]
	v_fma_f64 v[12:13], v[10:11], s[0:1], v[2:3]
	s_mov_b32 s0, 0x3b39803f
	s_mov_b32 s1, 0xbc7abc9e
	s_waitcnt lgkmcnt(3)
	v_cvt_i32_f64_e32 v16, v[10:11]
	s_delay_alu instid0(VALU_DEP_2)
	v_fma_f64 v[12:13], v[10:11], s[0:1], v[12:13]
	s_mov_b32 s0, 0xfca7ab0c
	s_mov_b32 s1, 0x3e928af3
	s_delay_alu instid0(VALU_DEP_1) | instid1(SALU_CYCLE_1)
	v_fma_f64 v[14:15], v[12:13], s[2:3], s[0:1]
	s_mov_b32 s0, 0x623fde64
	s_mov_b32 s1, 0x3ec71dee
	s_delay_alu instid0(VALU_DEP_1) | instid1(SALU_CYCLE_1)
	;; [unrolled: 4-line block ×9, first 2 shown]
	v_fma_f64 v[14:15], v[12:13], v[14:15], s[0:1]
	v_cmp_ngt_f64_e64 s0, 0xc090cc00, v[2:3]
	s_waitcnt lgkmcnt(0)
	v_add_f64 v[2:3], v[4:5], v[8:9]
	s_delay_alu instid0(VALU_DEP_3) | instskip(NEXT) | instid1(VALU_DEP_1)
	v_fma_f64 v[14:15], v[12:13], v[14:15], 1.0
	v_fma_f64 v[10:11], v[12:13], v[14:15], 1.0
	s_delay_alu instid0(VALU_DEP_1) | instskip(NEXT) | instid1(VALU_DEP_1)
	v_ldexp_f64 v[10:11], v[10:11], v16
	v_cndmask_b32_e32 v11, 0x7ff00000, v11, vcc_lo
	s_and_b32 vcc_lo, s0, vcc_lo
	s_delay_alu instid0(VALU_DEP_2) | instskip(NEXT) | instid1(VALU_DEP_2)
	v_cndmask_b32_e32 v4, 0, v10, vcc_lo
	v_cndmask_b32_e64 v5, 0, v11, s0
	s_lshl_b64 s[0:1], s[6:7], 3
	s_delay_alu instid0(VALU_DEP_1)
	v_fma_f64 v[0:1], -v[2:3], v[4:5], v[0:1]
	v_add_co_u32 v2, vcc_lo, v6, s0
	v_add_co_ci_u32_e32 v3, vcc_lo, s1, v7, vcc_lo
	global_store_b64 v[2:3], v[0:1], off
.LBB210_10:
	s_nop 0
	s_sendmsg sendmsg(MSG_DEALLOC_VGPRS)
	s_endpgm
	.section	.rodata,"a",@progbits
	.p2align	6, 0x0
	.amdhsa_kernel _ZN12_GLOBAL__N_121softmax_warp_backwardIdddLi3ELb1ELb0ELi64EEEvPT0_PKT_S5_iiiPKb
		.amdhsa_group_segment_fixed_size 0
		.amdhsa_private_segment_fixed_size 0
		.amdhsa_kernarg_size 304
		.amdhsa_user_sgpr_count 15
		.amdhsa_user_sgpr_dispatch_ptr 0
		.amdhsa_user_sgpr_queue_ptr 0
		.amdhsa_user_sgpr_kernarg_segment_ptr 1
		.amdhsa_user_sgpr_dispatch_id 0
		.amdhsa_user_sgpr_private_segment_size 0
		.amdhsa_wavefront_size32 1
		.amdhsa_uses_dynamic_stack 0
		.amdhsa_enable_private_segment 0
		.amdhsa_system_sgpr_workgroup_id_x 1
		.amdhsa_system_sgpr_workgroup_id_y 0
		.amdhsa_system_sgpr_workgroup_id_z 0
		.amdhsa_system_sgpr_workgroup_info 0
		.amdhsa_system_vgpr_workitem_id 1
		.amdhsa_next_free_vgpr 26
		.amdhsa_next_free_sgpr 16
		.amdhsa_reserve_vcc 1
		.amdhsa_float_round_mode_32 0
		.amdhsa_float_round_mode_16_64 0
		.amdhsa_float_denorm_mode_32 3
		.amdhsa_float_denorm_mode_16_64 3
		.amdhsa_dx10_clamp 1
		.amdhsa_ieee_mode 1
		.amdhsa_fp16_overflow 0
		.amdhsa_workgroup_processor_mode 1
		.amdhsa_memory_ordered 1
		.amdhsa_forward_progress 0
		.amdhsa_shared_vgpr_count 0
		.amdhsa_exception_fp_ieee_invalid_op 0
		.amdhsa_exception_fp_denorm_src 0
		.amdhsa_exception_fp_ieee_div_zero 0
		.amdhsa_exception_fp_ieee_overflow 0
		.amdhsa_exception_fp_ieee_underflow 0
		.amdhsa_exception_fp_ieee_inexact 0
		.amdhsa_exception_int_div_zero 0
	.end_amdhsa_kernel
	.section	.text._ZN12_GLOBAL__N_121softmax_warp_backwardIdddLi3ELb1ELb0ELi64EEEvPT0_PKT_S5_iiiPKb,"axG",@progbits,_ZN12_GLOBAL__N_121softmax_warp_backwardIdddLi3ELb1ELb0ELi64EEEvPT0_PKT_S5_iiiPKb,comdat
.Lfunc_end210:
	.size	_ZN12_GLOBAL__N_121softmax_warp_backwardIdddLi3ELb1ELb0ELi64EEEvPT0_PKT_S5_iiiPKb, .Lfunc_end210-_ZN12_GLOBAL__N_121softmax_warp_backwardIdddLi3ELb1ELb0ELi64EEEvPT0_PKT_S5_iiiPKb
                                        ; -- End function
	.section	.AMDGPU.csdata,"",@progbits
; Kernel info:
; codeLenInByte = 1648
; NumSgprs: 18
; NumVgprs: 26
; ScratchSize: 0
; MemoryBound: 0
; FloatMode: 240
; IeeeMode: 1
; LDSByteSize: 0 bytes/workgroup (compile time only)
; SGPRBlocks: 2
; VGPRBlocks: 3
; NumSGPRsForWavesPerEU: 18
; NumVGPRsForWavesPerEU: 26
; Occupancy: 16
; WaveLimiterHint : 0
; COMPUTE_PGM_RSRC2:SCRATCH_EN: 0
; COMPUTE_PGM_RSRC2:USER_SGPR: 15
; COMPUTE_PGM_RSRC2:TRAP_HANDLER: 0
; COMPUTE_PGM_RSRC2:TGID_X_EN: 1
; COMPUTE_PGM_RSRC2:TGID_Y_EN: 0
; COMPUTE_PGM_RSRC2:TGID_Z_EN: 0
; COMPUTE_PGM_RSRC2:TIDIG_COMP_CNT: 1
	.section	.text._ZN12_GLOBAL__N_121softmax_warp_backwardIdddLi3ELb1ELb0ELi32EEEvPT0_PKT_S5_iiiPKb,"axG",@progbits,_ZN12_GLOBAL__N_121softmax_warp_backwardIdddLi3ELb1ELb0ELi32EEEvPT0_PKT_S5_iiiPKb,comdat
	.globl	_ZN12_GLOBAL__N_121softmax_warp_backwardIdddLi3ELb1ELb0ELi32EEEvPT0_PKT_S5_iiiPKb ; -- Begin function _ZN12_GLOBAL__N_121softmax_warp_backwardIdddLi3ELb1ELb0ELi32EEEvPT0_PKT_S5_iiiPKb
	.p2align	8
	.type	_ZN12_GLOBAL__N_121softmax_warp_backwardIdddLi3ELb1ELb0ELi32EEEvPT0_PKT_S5_iiiPKb,@function
_ZN12_GLOBAL__N_121softmax_warp_backwardIdddLi3ELb1ELb0ELi32EEEvPT0_PKT_S5_iiiPKb: ; @_ZN12_GLOBAL__N_121softmax_warp_backwardIdddLi3ELb1ELb0ELi32EEEvPT0_PKT_S5_iiiPKb
; %bb.0:
	s_clause 0x1
	s_load_b32 s2, s[0:1], 0x3c
	s_load_b128 s[4:7], s[0:1], 0x18
	v_bfe_u32 v1, v0, 10, 10
	v_and_b32_e32 v2, 7, v0
	s_load_b128 s[8:11], s[0:1], 0x0
	s_waitcnt lgkmcnt(0)
	s_lshr_b32 s2, s2, 16
	s_delay_alu instid0(SALU_CYCLE_1)
	s_mul_i32 s15, s15, s2
	s_load_b64 s[2:3], s[0:1], 0x10
	v_add_lshl_u32 v5, s15, v1, 1
	v_mov_b32_e32 v0, 0
	v_mov_b32_e32 v1, 0
	v_cmp_gt_i32_e32 vcc_lo, s6, v2
	s_delay_alu instid0(VALU_DEP_4) | instskip(SKIP_1) | instid1(VALU_DEP_4)
	v_mad_u64_u32 v[3:4], null, v5, s5, v[2:3]
	v_sub_nc_u32_e32 v18, s4, v5
	v_dual_mov_b32 v11, v1 :: v_dual_mov_b32 v10, v0
	v_dual_mov_b32 v13, v1 :: v_dual_mov_b32 v12, v0
	s_delay_alu instid0(VALU_DEP_3) | instskip(SKIP_1) | instid1(VALU_DEP_1)
	v_cmp_lt_i32_e64 s0, 0, v18
	v_ashrrev_i32_e32 v4, 31, v3
	v_lshlrev_b64 v[6:7], 3, v[3:4]
	s_delay_alu instid0(VALU_DEP_1) | instskip(NEXT) | instid1(VALU_DEP_1)
	v_add_co_u32 v8, s1, s10, v6
	v_add_co_ci_u32_e64 v9, s1, s11, v7, s1
	s_waitcnt lgkmcnt(0)
	v_add_co_u32 v4, s1, s2, v6
	s_delay_alu instid0(VALU_DEP_1) | instskip(SKIP_1) | instid1(SALU_CYCLE_1)
	v_add_co_ci_u32_e64 v5, s1, s3, v7, s1
	s_and_b32 s2, vcc_lo, s0
	s_and_saveexec_b32 s1, s2
	s_cbranch_execz .LBB211_2
; %bb.1:
	global_load_b64 v[10:11], v[8:9], off
	global_load_b64 v[12:13], v[4:5], off
.LBB211_2:
	s_or_b32 exec_lo, exec_lo, s1
	v_cmp_lt_i32_e64 s1, 1, v18
	v_dual_mov_b32 v3, v1 :: v_dual_mov_b32 v2, v0
	s_delay_alu instid0(VALU_DEP_2) | instskip(NEXT) | instid1(SALU_CYCLE_1)
	s_and_b32 s1, vcc_lo, s1
	s_and_saveexec_b32 s2, s1
	s_cbranch_execz .LBB211_4
; %bb.3:
	s_mov_b32 s7, 0
	s_delay_alu instid0(SALU_CYCLE_1) | instskip(NEXT) | instid1(SALU_CYCLE_1)
	s_lshl_b64 s[4:5], s[6:7], 3
	v_add_co_u32 v0, s1, v8, s4
	s_delay_alu instid0(VALU_DEP_1) | instskip(SKIP_1) | instid1(VALU_DEP_1)
	v_add_co_ci_u32_e64 v1, s1, s5, v9, s1
	v_add_co_u32 v2, s1, v4, s4
	v_add_co_ci_u32_e64 v3, s1, s5, v5, s1
	global_load_b64 v[0:1], v[0:1], off
	global_load_b64 v[2:3], v[2:3], off
.LBB211_4:
	s_or_b32 exec_lo, exec_lo, s2
	s_waitcnt vmcnt(1)
	v_add_f64 v[4:5], v[10:11], 0
	v_add_f64 v[8:9], v[0:1], 0
	v_mbcnt_lo_u32_b32 v19, -1, 0
	s_delay_alu instid0(VALU_DEP_1) | instskip(SKIP_1) | instid1(VALU_DEP_2)
	v_and_b32_e32 v14, 24, v19
	v_xor_b32_e32 v15, 4, v19
	v_add_nc_u32_e32 v20, 8, v14
	s_delay_alu instid0(VALU_DEP_1) | instskip(NEXT) | instid1(VALU_DEP_1)
	v_cmp_lt_i32_e64 s1, v15, v20
	v_cndmask_b32_e64 v14, v19, v15, s1
	s_delay_alu instid0(VALU_DEP_1)
	v_lshlrev_b32_e32 v17, 2, v14
	ds_bpermute_b32 v14, v17, v4
	ds_bpermute_b32 v15, v17, v5
	;; [unrolled: 1-line block ×4, first 2 shown]
	s_waitcnt lgkmcnt(2)
	v_add_f64 v[4:5], v[4:5], v[14:15]
	v_xor_b32_e32 v14, 2, v19
	s_waitcnt lgkmcnt(0)
	v_add_f64 v[8:9], v[8:9], v[16:17]
	s_delay_alu instid0(VALU_DEP_2) | instskip(NEXT) | instid1(VALU_DEP_1)
	v_cmp_lt_i32_e64 s1, v14, v20
	v_cndmask_b32_e64 v14, v19, v14, s1
	s_delay_alu instid0(VALU_DEP_1)
	v_lshlrev_b32_e32 v17, 2, v14
	ds_bpermute_b32 v14, v17, v4
	ds_bpermute_b32 v15, v17, v5
	ds_bpermute_b32 v16, v17, v8
	ds_bpermute_b32 v17, v17, v9
	s_waitcnt lgkmcnt(2)
	v_add_f64 v[14:15], v[4:5], v[14:15]
	s_waitcnt lgkmcnt(0)
	v_add_f64 v[4:5], v[8:9], v[16:17]
	v_xor_b32_e32 v8, 1, v19
	s_delay_alu instid0(VALU_DEP_1) | instskip(NEXT) | instid1(VALU_DEP_1)
	v_cmp_lt_i32_e64 s1, v8, v20
	v_cndmask_b32_e64 v8, v19, v8, s1
	s_delay_alu instid0(VALU_DEP_1)
	v_lshlrev_b32_e32 v9, 2, v8
	ds_bpermute_b32 v16, v9, v14
	ds_bpermute_b32 v17, v9, v15
	;; [unrolled: 1-line block ×4, first 2 shown]
	s_and_saveexec_b32 s1, s0
	s_cbranch_execz .LBB211_10
; %bb.5:
	v_add_co_u32 v6, s0, s8, v6
	s_delay_alu instid0(VALU_DEP_1)
	v_add_co_ci_u32_e64 v7, s0, s9, v7, s0
	s_and_saveexec_b32 s2, vcc_lo
	s_cbranch_execz .LBB211_7
; %bb.6:
	s_mov_b32 s0, 0x652b82fe
	s_mov_b32 s1, 0x3ff71547
	;; [unrolled: 1-line block ×3, first 2 shown]
	s_waitcnt vmcnt(0)
	v_mul_f64 v[19:20], v[12:13], s[0:1]
	s_mov_b32 s0, 0xfefa39ef
	s_mov_b32 s1, 0xbfe62e42
	;; [unrolled: 1-line block ×3, first 2 shown]
	s_delay_alu instid0(VALU_DEP_1) | instskip(NEXT) | instid1(VALU_DEP_1)
	v_rndne_f64_e32 v[19:20], v[19:20]
	v_fma_f64 v[21:22], v[19:20], s[0:1], v[12:13]
	s_mov_b32 s0, 0x3b39803f
	s_mov_b32 s1, 0xbc7abc9e
	v_cvt_i32_f64_e32 v25, v[19:20]
	s_delay_alu instid0(VALU_DEP_2)
	v_fma_f64 v[21:22], v[19:20], s[0:1], v[21:22]
	s_mov_b32 s0, 0xfca7ab0c
	s_mov_b32 s1, 0x3e928af3
	s_delay_alu instid0(VALU_DEP_1) | instid1(SALU_CYCLE_1)
	v_fma_f64 v[23:24], v[21:22], s[4:5], s[0:1]
	s_mov_b32 s0, 0x623fde64
	s_mov_b32 s1, 0x3ec71dee
	s_delay_alu instid0(VALU_DEP_1) | instid1(SALU_CYCLE_1)
	;; [unrolled: 4-line block ×9, first 2 shown]
	v_fma_f64 v[23:24], v[21:22], v[23:24], s[0:1]
	v_cmp_nlt_f64_e64 s0, 0x40900000, v[12:13]
	v_cmp_ngt_f64_e64 s1, 0xc090cc00, v[12:13]
	s_waitcnt lgkmcnt(2)
	v_add_f64 v[12:13], v[14:15], v[16:17]
	s_delay_alu instid0(VALU_DEP_4) | instskip(NEXT) | instid1(VALU_DEP_1)
	v_fma_f64 v[23:24], v[21:22], v[23:24], 1.0
	v_fma_f64 v[19:20], v[21:22], v[23:24], 1.0
	s_delay_alu instid0(VALU_DEP_1) | instskip(NEXT) | instid1(VALU_DEP_1)
	v_ldexp_f64 v[19:20], v[19:20], v25
	v_cndmask_b32_e64 v20, 0x7ff00000, v20, s0
	s_and_b32 s0, s1, s0
	s_delay_alu instid0(VALU_DEP_2) | instid1(SALU_CYCLE_1)
	v_cndmask_b32_e64 v14, 0, v19, s0
	s_delay_alu instid0(VALU_DEP_2) | instskip(NEXT) | instid1(VALU_DEP_1)
	v_cndmask_b32_e64 v15, 0, v20, s1
	v_fma_f64 v[10:11], -v[12:13], v[14:15], v[10:11]
	global_store_b64 v[6:7], v[10:11], off
.LBB211_7:
	s_or_b32 exec_lo, exec_lo, s2
	v_cmp_ne_u32_e64 s0, 1, v18
	s_delay_alu instid0(VALU_DEP_1)
	s_and_b32 exec_lo, exec_lo, s0
	s_cbranch_execz .LBB211_10
; %bb.8:
	s_and_b32 exec_lo, exec_lo, vcc_lo
	s_cbranch_execz .LBB211_10
; %bb.9:
	s_mov_b32 s0, 0x652b82fe
	s_mov_b32 s1, 0x3ff71547
	;; [unrolled: 1-line block ×3, first 2 shown]
	s_waitcnt vmcnt(0)
	v_mul_f64 v[10:11], v[2:3], s[0:1]
	s_mov_b32 s0, 0xfefa39ef
	s_mov_b32 s1, 0xbfe62e42
	;; [unrolled: 1-line block ×3, first 2 shown]
	v_cmp_nlt_f64_e32 vcc_lo, 0x40900000, v[2:3]
	s_mov_b32 s7, 0
	s_delay_alu instid0(VALU_DEP_2) | instskip(NEXT) | instid1(VALU_DEP_1)
	v_rndne_f64_e32 v[10:11], v[10:11]
	v_fma_f64 v[12:13], v[10:11], s[0:1], v[2:3]
	s_mov_b32 s0, 0x3b39803f
	s_mov_b32 s1, 0xbc7abc9e
	s_waitcnt lgkmcnt(3)
	v_cvt_i32_f64_e32 v16, v[10:11]
	s_delay_alu instid0(VALU_DEP_2)
	v_fma_f64 v[12:13], v[10:11], s[0:1], v[12:13]
	s_mov_b32 s0, 0xfca7ab0c
	s_mov_b32 s1, 0x3e928af3
	s_delay_alu instid0(VALU_DEP_1) | instid1(SALU_CYCLE_1)
	v_fma_f64 v[14:15], v[12:13], s[2:3], s[0:1]
	s_mov_b32 s0, 0x623fde64
	s_mov_b32 s1, 0x3ec71dee
	s_delay_alu instid0(VALU_DEP_1) | instid1(SALU_CYCLE_1)
	;; [unrolled: 4-line block ×9, first 2 shown]
	v_fma_f64 v[14:15], v[12:13], v[14:15], s[0:1]
	v_cmp_ngt_f64_e64 s0, 0xc090cc00, v[2:3]
	s_waitcnt lgkmcnt(0)
	v_add_f64 v[2:3], v[4:5], v[8:9]
	s_delay_alu instid0(VALU_DEP_3) | instskip(NEXT) | instid1(VALU_DEP_1)
	v_fma_f64 v[14:15], v[12:13], v[14:15], 1.0
	v_fma_f64 v[10:11], v[12:13], v[14:15], 1.0
	s_delay_alu instid0(VALU_DEP_1) | instskip(NEXT) | instid1(VALU_DEP_1)
	v_ldexp_f64 v[10:11], v[10:11], v16
	v_cndmask_b32_e32 v11, 0x7ff00000, v11, vcc_lo
	s_and_b32 vcc_lo, s0, vcc_lo
	s_delay_alu instid0(VALU_DEP_2) | instskip(NEXT) | instid1(VALU_DEP_2)
	v_cndmask_b32_e32 v4, 0, v10, vcc_lo
	v_cndmask_b32_e64 v5, 0, v11, s0
	s_lshl_b64 s[0:1], s[6:7], 3
	s_delay_alu instid0(VALU_DEP_1)
	v_fma_f64 v[0:1], -v[2:3], v[4:5], v[0:1]
	v_add_co_u32 v2, vcc_lo, v6, s0
	v_add_co_ci_u32_e32 v3, vcc_lo, s1, v7, vcc_lo
	global_store_b64 v[2:3], v[0:1], off
.LBB211_10:
	s_nop 0
	s_sendmsg sendmsg(MSG_DEALLOC_VGPRS)
	s_endpgm
	.section	.rodata,"a",@progbits
	.p2align	6, 0x0
	.amdhsa_kernel _ZN12_GLOBAL__N_121softmax_warp_backwardIdddLi3ELb1ELb0ELi32EEEvPT0_PKT_S5_iiiPKb
		.amdhsa_group_segment_fixed_size 0
		.amdhsa_private_segment_fixed_size 0
		.amdhsa_kernarg_size 304
		.amdhsa_user_sgpr_count 15
		.amdhsa_user_sgpr_dispatch_ptr 0
		.amdhsa_user_sgpr_queue_ptr 0
		.amdhsa_user_sgpr_kernarg_segment_ptr 1
		.amdhsa_user_sgpr_dispatch_id 0
		.amdhsa_user_sgpr_private_segment_size 0
		.amdhsa_wavefront_size32 1
		.amdhsa_uses_dynamic_stack 0
		.amdhsa_enable_private_segment 0
		.amdhsa_system_sgpr_workgroup_id_x 1
		.amdhsa_system_sgpr_workgroup_id_y 0
		.amdhsa_system_sgpr_workgroup_id_z 0
		.amdhsa_system_sgpr_workgroup_info 0
		.amdhsa_system_vgpr_workitem_id 1
		.amdhsa_next_free_vgpr 26
		.amdhsa_next_free_sgpr 16
		.amdhsa_reserve_vcc 1
		.amdhsa_float_round_mode_32 0
		.amdhsa_float_round_mode_16_64 0
		.amdhsa_float_denorm_mode_32 3
		.amdhsa_float_denorm_mode_16_64 3
		.amdhsa_dx10_clamp 1
		.amdhsa_ieee_mode 1
		.amdhsa_fp16_overflow 0
		.amdhsa_workgroup_processor_mode 1
		.amdhsa_memory_ordered 1
		.amdhsa_forward_progress 0
		.amdhsa_shared_vgpr_count 0
		.amdhsa_exception_fp_ieee_invalid_op 0
		.amdhsa_exception_fp_denorm_src 0
		.amdhsa_exception_fp_ieee_div_zero 0
		.amdhsa_exception_fp_ieee_overflow 0
		.amdhsa_exception_fp_ieee_underflow 0
		.amdhsa_exception_fp_ieee_inexact 0
		.amdhsa_exception_int_div_zero 0
	.end_amdhsa_kernel
	.section	.text._ZN12_GLOBAL__N_121softmax_warp_backwardIdddLi3ELb1ELb0ELi32EEEvPT0_PKT_S5_iiiPKb,"axG",@progbits,_ZN12_GLOBAL__N_121softmax_warp_backwardIdddLi3ELb1ELb0ELi32EEEvPT0_PKT_S5_iiiPKb,comdat
.Lfunc_end211:
	.size	_ZN12_GLOBAL__N_121softmax_warp_backwardIdddLi3ELb1ELb0ELi32EEEvPT0_PKT_S5_iiiPKb, .Lfunc_end211-_ZN12_GLOBAL__N_121softmax_warp_backwardIdddLi3ELb1ELb0ELi32EEEvPT0_PKT_S5_iiiPKb
                                        ; -- End function
	.section	.AMDGPU.csdata,"",@progbits
; Kernel info:
; codeLenInByte = 1648
; NumSgprs: 18
; NumVgprs: 26
; ScratchSize: 0
; MemoryBound: 0
; FloatMode: 240
; IeeeMode: 1
; LDSByteSize: 0 bytes/workgroup (compile time only)
; SGPRBlocks: 2
; VGPRBlocks: 3
; NumSGPRsForWavesPerEU: 18
; NumVGPRsForWavesPerEU: 26
; Occupancy: 16
; WaveLimiterHint : 0
; COMPUTE_PGM_RSRC2:SCRATCH_EN: 0
; COMPUTE_PGM_RSRC2:USER_SGPR: 15
; COMPUTE_PGM_RSRC2:TRAP_HANDLER: 0
; COMPUTE_PGM_RSRC2:TGID_X_EN: 1
; COMPUTE_PGM_RSRC2:TGID_Y_EN: 0
; COMPUTE_PGM_RSRC2:TGID_Z_EN: 0
; COMPUTE_PGM_RSRC2:TIDIG_COMP_CNT: 1
	.section	.text._ZN12_GLOBAL__N_121softmax_warp_backwardIdddLi4ELb1ELb0ELi64EEEvPT0_PKT_S5_iiiPKb,"axG",@progbits,_ZN12_GLOBAL__N_121softmax_warp_backwardIdddLi4ELb1ELb0ELi64EEEvPT0_PKT_S5_iiiPKb,comdat
	.globl	_ZN12_GLOBAL__N_121softmax_warp_backwardIdddLi4ELb1ELb0ELi64EEEvPT0_PKT_S5_iiiPKb ; -- Begin function _ZN12_GLOBAL__N_121softmax_warp_backwardIdddLi4ELb1ELb0ELi64EEEvPT0_PKT_S5_iiiPKb
	.p2align	8
	.type	_ZN12_GLOBAL__N_121softmax_warp_backwardIdddLi4ELb1ELb0ELi64EEEvPT0_PKT_S5_iiiPKb,@function
_ZN12_GLOBAL__N_121softmax_warp_backwardIdddLi4ELb1ELb0ELi64EEEvPT0_PKT_S5_iiiPKb: ; @_ZN12_GLOBAL__N_121softmax_warp_backwardIdddLi4ELb1ELb0ELi64EEEvPT0_PKT_S5_iiiPKb
; %bb.0:
	s_clause 0x1
	s_load_b32 s2, s[0:1], 0x3c
	s_load_b128 s[4:7], s[0:1], 0x18
	v_bfe_u32 v1, v0, 10, 10
	v_and_b32_e32 v2, 15, v0
	s_load_b128 s[8:11], s[0:1], 0x0
	s_waitcnt lgkmcnt(0)
	s_lshr_b32 s2, s2, 16
	s_delay_alu instid0(SALU_CYCLE_1)
	s_mul_i32 s15, s15, s2
	s_load_b64 s[2:3], s[0:1], 0x10
	v_add_lshl_u32 v5, s15, v1, 1
	v_mov_b32_e32 v0, 0
	v_mov_b32_e32 v1, 0
	v_cmp_gt_i32_e32 vcc_lo, s6, v2
	s_delay_alu instid0(VALU_DEP_4) | instskip(SKIP_1) | instid1(VALU_DEP_4)
	v_mad_u64_u32 v[3:4], null, v5, s5, v[2:3]
	v_sub_nc_u32_e32 v18, s4, v5
	v_dual_mov_b32 v9, v1 :: v_dual_mov_b32 v8, v0
	v_dual_mov_b32 v13, v1 :: v_dual_mov_b32 v12, v0
	s_delay_alu instid0(VALU_DEP_3) | instskip(SKIP_1) | instid1(VALU_DEP_1)
	v_cmp_lt_i32_e64 s0, 0, v18
	v_ashrrev_i32_e32 v4, 31, v3
	v_lshlrev_b64 v[6:7], 3, v[3:4]
	s_delay_alu instid0(VALU_DEP_1) | instskip(NEXT) | instid1(VALU_DEP_1)
	v_add_co_u32 v10, s1, s10, v6
	v_add_co_ci_u32_e64 v11, s1, s11, v7, s1
	s_waitcnt lgkmcnt(0)
	v_add_co_u32 v4, s1, s2, v6
	s_delay_alu instid0(VALU_DEP_1) | instskip(SKIP_1) | instid1(SALU_CYCLE_1)
	v_add_co_ci_u32_e64 v5, s1, s3, v7, s1
	s_and_b32 s2, vcc_lo, s0
	s_and_saveexec_b32 s1, s2
	s_cbranch_execz .LBB212_2
; %bb.1:
	global_load_b64 v[8:9], v[10:11], off
	global_load_b64 v[12:13], v[4:5], off
.LBB212_2:
	s_or_b32 exec_lo, exec_lo, s1
	v_cmp_lt_i32_e64 s1, 1, v18
	v_dual_mov_b32 v3, v1 :: v_dual_mov_b32 v2, v0
	s_delay_alu instid0(VALU_DEP_2) | instskip(NEXT) | instid1(SALU_CYCLE_1)
	s_and_b32 s1, vcc_lo, s1
	s_and_saveexec_b32 s2, s1
	s_cbranch_execz .LBB212_4
; %bb.3:
	s_mov_b32 s7, 0
	s_delay_alu instid0(SALU_CYCLE_1) | instskip(NEXT) | instid1(SALU_CYCLE_1)
	s_lshl_b64 s[4:5], s[6:7], 3
	v_add_co_u32 v0, s1, v10, s4
	s_delay_alu instid0(VALU_DEP_1) | instskip(SKIP_1) | instid1(VALU_DEP_1)
	v_add_co_ci_u32_e64 v1, s1, s5, v11, s1
	v_add_co_u32 v2, s1, v4, s4
	v_add_co_ci_u32_e64 v3, s1, s5, v5, s1
	global_load_b64 v[0:1], v[0:1], off
	global_load_b64 v[2:3], v[2:3], off
.LBB212_4:
	s_or_b32 exec_lo, exec_lo, s2
	s_waitcnt vmcnt(1)
	v_add_f64 v[4:5], v[8:9], 0
	v_add_f64 v[10:11], v[0:1], 0
	v_mbcnt_lo_u32_b32 v19, -1, 0
	s_delay_alu instid0(VALU_DEP_1) | instskip(SKIP_1) | instid1(VALU_DEP_2)
	v_and_b32_e32 v14, 16, v19
	v_xor_b32_e32 v15, 8, v19
	v_add_nc_u32_e32 v20, 16, v14
	s_delay_alu instid0(VALU_DEP_1) | instskip(NEXT) | instid1(VALU_DEP_1)
	v_cmp_lt_i32_e64 s1, v15, v20
	v_cndmask_b32_e64 v14, v19, v15, s1
	s_delay_alu instid0(VALU_DEP_1)
	v_lshlrev_b32_e32 v17, 2, v14
	ds_bpermute_b32 v14, v17, v4
	ds_bpermute_b32 v15, v17, v5
	;; [unrolled: 1-line block ×4, first 2 shown]
	s_waitcnt lgkmcnt(2)
	v_add_f64 v[4:5], v[4:5], v[14:15]
	v_xor_b32_e32 v14, 4, v19
	s_waitcnt lgkmcnt(0)
	v_add_f64 v[10:11], v[10:11], v[16:17]
	s_delay_alu instid0(VALU_DEP_2) | instskip(NEXT) | instid1(VALU_DEP_1)
	v_cmp_lt_i32_e64 s1, v14, v20
	v_cndmask_b32_e64 v14, v19, v14, s1
	s_delay_alu instid0(VALU_DEP_1)
	v_lshlrev_b32_e32 v17, 2, v14
	ds_bpermute_b32 v14, v17, v4
	ds_bpermute_b32 v15, v17, v5
	;; [unrolled: 1-line block ×4, first 2 shown]
	s_waitcnt lgkmcnt(2)
	v_add_f64 v[4:5], v[4:5], v[14:15]
	v_xor_b32_e32 v14, 2, v19
	s_waitcnt lgkmcnt(0)
	v_add_f64 v[10:11], v[10:11], v[16:17]
	s_delay_alu instid0(VALU_DEP_2) | instskip(NEXT) | instid1(VALU_DEP_1)
	v_cmp_lt_i32_e64 s1, v14, v20
	v_cndmask_b32_e64 v14, v19, v14, s1
	s_delay_alu instid0(VALU_DEP_1)
	v_lshlrev_b32_e32 v17, 2, v14
	ds_bpermute_b32 v14, v17, v4
	ds_bpermute_b32 v15, v17, v5
	;; [unrolled: 1-line block ×4, first 2 shown]
	s_waitcnt lgkmcnt(2)
	v_add_f64 v[14:15], v[4:5], v[14:15]
	s_waitcnt lgkmcnt(0)
	v_add_f64 v[4:5], v[10:11], v[16:17]
	v_xor_b32_e32 v10, 1, v19
	s_delay_alu instid0(VALU_DEP_1) | instskip(NEXT) | instid1(VALU_DEP_1)
	v_cmp_lt_i32_e64 s1, v10, v20
	v_cndmask_b32_e64 v10, v19, v10, s1
	s_delay_alu instid0(VALU_DEP_1)
	v_lshlrev_b32_e32 v11, 2, v10
	ds_bpermute_b32 v16, v11, v14
	ds_bpermute_b32 v17, v11, v15
	;; [unrolled: 1-line block ×4, first 2 shown]
	s_and_saveexec_b32 s1, s0
	s_cbranch_execz .LBB212_10
; %bb.5:
	v_add_co_u32 v6, s0, s8, v6
	s_delay_alu instid0(VALU_DEP_1)
	v_add_co_ci_u32_e64 v7, s0, s9, v7, s0
	s_and_saveexec_b32 s2, vcc_lo
	s_cbranch_execz .LBB212_7
; %bb.6:
	s_mov_b32 s0, 0x652b82fe
	s_mov_b32 s1, 0x3ff71547
	;; [unrolled: 1-line block ×3, first 2 shown]
	s_waitcnt vmcnt(0)
	v_mul_f64 v[19:20], v[12:13], s[0:1]
	s_mov_b32 s0, 0xfefa39ef
	s_mov_b32 s1, 0xbfe62e42
	;; [unrolled: 1-line block ×3, first 2 shown]
	s_delay_alu instid0(VALU_DEP_1) | instskip(NEXT) | instid1(VALU_DEP_1)
	v_rndne_f64_e32 v[19:20], v[19:20]
	v_fma_f64 v[21:22], v[19:20], s[0:1], v[12:13]
	s_mov_b32 s0, 0x3b39803f
	s_mov_b32 s1, 0xbc7abc9e
	v_cvt_i32_f64_e32 v25, v[19:20]
	s_delay_alu instid0(VALU_DEP_2)
	v_fma_f64 v[21:22], v[19:20], s[0:1], v[21:22]
	s_mov_b32 s0, 0xfca7ab0c
	s_mov_b32 s1, 0x3e928af3
	s_delay_alu instid0(VALU_DEP_1) | instid1(SALU_CYCLE_1)
	v_fma_f64 v[23:24], v[21:22], s[4:5], s[0:1]
	s_mov_b32 s0, 0x623fde64
	s_mov_b32 s1, 0x3ec71dee
	s_delay_alu instid0(VALU_DEP_1) | instid1(SALU_CYCLE_1)
	;; [unrolled: 4-line block ×9, first 2 shown]
	v_fma_f64 v[23:24], v[21:22], v[23:24], s[0:1]
	v_cmp_nlt_f64_e64 s0, 0x40900000, v[12:13]
	v_cmp_ngt_f64_e64 s1, 0xc090cc00, v[12:13]
	s_waitcnt lgkmcnt(2)
	v_add_f64 v[12:13], v[14:15], v[16:17]
	s_delay_alu instid0(VALU_DEP_4) | instskip(NEXT) | instid1(VALU_DEP_1)
	v_fma_f64 v[23:24], v[21:22], v[23:24], 1.0
	v_fma_f64 v[19:20], v[21:22], v[23:24], 1.0
	s_delay_alu instid0(VALU_DEP_1) | instskip(NEXT) | instid1(VALU_DEP_1)
	v_ldexp_f64 v[19:20], v[19:20], v25
	v_cndmask_b32_e64 v20, 0x7ff00000, v20, s0
	s_and_b32 s0, s1, s0
	s_delay_alu instid0(VALU_DEP_2) | instid1(SALU_CYCLE_1)
	v_cndmask_b32_e64 v14, 0, v19, s0
	s_delay_alu instid0(VALU_DEP_2) | instskip(NEXT) | instid1(VALU_DEP_1)
	v_cndmask_b32_e64 v15, 0, v20, s1
	v_fma_f64 v[8:9], -v[12:13], v[14:15], v[8:9]
	global_store_b64 v[6:7], v[8:9], off
.LBB212_7:
	s_or_b32 exec_lo, exec_lo, s2
	v_cmp_ne_u32_e64 s0, 1, v18
	s_delay_alu instid0(VALU_DEP_1)
	s_and_b32 exec_lo, exec_lo, s0
	s_cbranch_execz .LBB212_10
; %bb.8:
	s_and_b32 exec_lo, exec_lo, vcc_lo
	s_cbranch_execz .LBB212_10
; %bb.9:
	s_mov_b32 s0, 0x652b82fe
	s_mov_b32 s1, 0x3ff71547
	;; [unrolled: 1-line block ×3, first 2 shown]
	s_waitcnt vmcnt(0)
	v_mul_f64 v[8:9], v[2:3], s[0:1]
	s_mov_b32 s0, 0xfefa39ef
	s_mov_b32 s1, 0xbfe62e42
	;; [unrolled: 1-line block ×3, first 2 shown]
	v_cmp_nlt_f64_e32 vcc_lo, 0x40900000, v[2:3]
	s_mov_b32 s7, 0
	s_delay_alu instid0(VALU_DEP_2) | instskip(NEXT) | instid1(VALU_DEP_1)
	v_rndne_f64_e32 v[8:9], v[8:9]
	v_fma_f64 v[12:13], v[8:9], s[0:1], v[2:3]
	s_mov_b32 s0, 0x3b39803f
	s_mov_b32 s1, 0xbc7abc9e
	s_waitcnt lgkmcnt(3)
	v_cvt_i32_f64_e32 v16, v[8:9]
	s_delay_alu instid0(VALU_DEP_2)
	v_fma_f64 v[12:13], v[8:9], s[0:1], v[12:13]
	s_mov_b32 s0, 0xfca7ab0c
	s_mov_b32 s1, 0x3e928af3
	s_delay_alu instid0(VALU_DEP_1) | instid1(SALU_CYCLE_1)
	v_fma_f64 v[14:15], v[12:13], s[2:3], s[0:1]
	s_mov_b32 s0, 0x623fde64
	s_mov_b32 s1, 0x3ec71dee
	s_delay_alu instid0(VALU_DEP_1) | instid1(SALU_CYCLE_1)
	;; [unrolled: 4-line block ×9, first 2 shown]
	v_fma_f64 v[14:15], v[12:13], v[14:15], s[0:1]
	v_cmp_ngt_f64_e64 s0, 0xc090cc00, v[2:3]
	s_waitcnt lgkmcnt(0)
	v_add_f64 v[2:3], v[4:5], v[10:11]
	s_delay_alu instid0(VALU_DEP_3) | instskip(NEXT) | instid1(VALU_DEP_1)
	v_fma_f64 v[14:15], v[12:13], v[14:15], 1.0
	v_fma_f64 v[8:9], v[12:13], v[14:15], 1.0
	s_delay_alu instid0(VALU_DEP_1) | instskip(NEXT) | instid1(VALU_DEP_1)
	v_ldexp_f64 v[8:9], v[8:9], v16
	v_cndmask_b32_e32 v9, 0x7ff00000, v9, vcc_lo
	s_and_b32 vcc_lo, s0, vcc_lo
	s_delay_alu instid0(VALU_DEP_2) | instskip(NEXT) | instid1(VALU_DEP_2)
	v_cndmask_b32_e32 v4, 0, v8, vcc_lo
	v_cndmask_b32_e64 v5, 0, v9, s0
	s_lshl_b64 s[0:1], s[6:7], 3
	s_delay_alu instid0(VALU_DEP_1)
	v_fma_f64 v[0:1], -v[2:3], v[4:5], v[0:1]
	v_add_co_u32 v2, vcc_lo, v6, s0
	v_add_co_ci_u32_e32 v3, vcc_lo, s1, v7, vcc_lo
	global_store_b64 v[2:3], v[0:1], off
.LBB212_10:
	s_nop 0
	s_sendmsg sendmsg(MSG_DEALLOC_VGPRS)
	s_endpgm
	.section	.rodata,"a",@progbits
	.p2align	6, 0x0
	.amdhsa_kernel _ZN12_GLOBAL__N_121softmax_warp_backwardIdddLi4ELb1ELb0ELi64EEEvPT0_PKT_S5_iiiPKb
		.amdhsa_group_segment_fixed_size 0
		.amdhsa_private_segment_fixed_size 0
		.amdhsa_kernarg_size 304
		.amdhsa_user_sgpr_count 15
		.amdhsa_user_sgpr_dispatch_ptr 0
		.amdhsa_user_sgpr_queue_ptr 0
		.amdhsa_user_sgpr_kernarg_segment_ptr 1
		.amdhsa_user_sgpr_dispatch_id 0
		.amdhsa_user_sgpr_private_segment_size 0
		.amdhsa_wavefront_size32 1
		.amdhsa_uses_dynamic_stack 0
		.amdhsa_enable_private_segment 0
		.amdhsa_system_sgpr_workgroup_id_x 1
		.amdhsa_system_sgpr_workgroup_id_y 0
		.amdhsa_system_sgpr_workgroup_id_z 0
		.amdhsa_system_sgpr_workgroup_info 0
		.amdhsa_system_vgpr_workitem_id 1
		.amdhsa_next_free_vgpr 26
		.amdhsa_next_free_sgpr 16
		.amdhsa_reserve_vcc 1
		.amdhsa_float_round_mode_32 0
		.amdhsa_float_round_mode_16_64 0
		.amdhsa_float_denorm_mode_32 3
		.amdhsa_float_denorm_mode_16_64 3
		.amdhsa_dx10_clamp 1
		.amdhsa_ieee_mode 1
		.amdhsa_fp16_overflow 0
		.amdhsa_workgroup_processor_mode 1
		.amdhsa_memory_ordered 1
		.amdhsa_forward_progress 0
		.amdhsa_shared_vgpr_count 0
		.amdhsa_exception_fp_ieee_invalid_op 0
		.amdhsa_exception_fp_denorm_src 0
		.amdhsa_exception_fp_ieee_div_zero 0
		.amdhsa_exception_fp_ieee_overflow 0
		.amdhsa_exception_fp_ieee_underflow 0
		.amdhsa_exception_fp_ieee_inexact 0
		.amdhsa_exception_int_div_zero 0
	.end_amdhsa_kernel
	.section	.text._ZN12_GLOBAL__N_121softmax_warp_backwardIdddLi4ELb1ELb0ELi64EEEvPT0_PKT_S5_iiiPKb,"axG",@progbits,_ZN12_GLOBAL__N_121softmax_warp_backwardIdddLi4ELb1ELb0ELi64EEEvPT0_PKT_S5_iiiPKb,comdat
.Lfunc_end212:
	.size	_ZN12_GLOBAL__N_121softmax_warp_backwardIdddLi4ELb1ELb0ELi64EEEvPT0_PKT_S5_iiiPKb, .Lfunc_end212-_ZN12_GLOBAL__N_121softmax_warp_backwardIdddLi4ELb1ELb0ELi64EEEvPT0_PKT_S5_iiiPKb
                                        ; -- End function
	.section	.AMDGPU.csdata,"",@progbits
; Kernel info:
; codeLenInByte = 1736
; NumSgprs: 18
; NumVgprs: 26
; ScratchSize: 0
; MemoryBound: 0
; FloatMode: 240
; IeeeMode: 1
; LDSByteSize: 0 bytes/workgroup (compile time only)
; SGPRBlocks: 2
; VGPRBlocks: 3
; NumSGPRsForWavesPerEU: 18
; NumVGPRsForWavesPerEU: 26
; Occupancy: 16
; WaveLimiterHint : 0
; COMPUTE_PGM_RSRC2:SCRATCH_EN: 0
; COMPUTE_PGM_RSRC2:USER_SGPR: 15
; COMPUTE_PGM_RSRC2:TRAP_HANDLER: 0
; COMPUTE_PGM_RSRC2:TGID_X_EN: 1
; COMPUTE_PGM_RSRC2:TGID_Y_EN: 0
; COMPUTE_PGM_RSRC2:TGID_Z_EN: 0
; COMPUTE_PGM_RSRC2:TIDIG_COMP_CNT: 1
	.section	.text._ZN12_GLOBAL__N_121softmax_warp_backwardIdddLi4ELb1ELb0ELi32EEEvPT0_PKT_S5_iiiPKb,"axG",@progbits,_ZN12_GLOBAL__N_121softmax_warp_backwardIdddLi4ELb1ELb0ELi32EEEvPT0_PKT_S5_iiiPKb,comdat
	.globl	_ZN12_GLOBAL__N_121softmax_warp_backwardIdddLi4ELb1ELb0ELi32EEEvPT0_PKT_S5_iiiPKb ; -- Begin function _ZN12_GLOBAL__N_121softmax_warp_backwardIdddLi4ELb1ELb0ELi32EEEvPT0_PKT_S5_iiiPKb
	.p2align	8
	.type	_ZN12_GLOBAL__N_121softmax_warp_backwardIdddLi4ELb1ELb0ELi32EEEvPT0_PKT_S5_iiiPKb,@function
_ZN12_GLOBAL__N_121softmax_warp_backwardIdddLi4ELb1ELb0ELi32EEEvPT0_PKT_S5_iiiPKb: ; @_ZN12_GLOBAL__N_121softmax_warp_backwardIdddLi4ELb1ELb0ELi32EEEvPT0_PKT_S5_iiiPKb
; %bb.0:
	s_clause 0x1
	s_load_b32 s2, s[0:1], 0x3c
	s_load_b128 s[4:7], s[0:1], 0x18
	v_bfe_u32 v1, v0, 10, 10
	v_and_b32_e32 v2, 15, v0
	s_load_b128 s[8:11], s[0:1], 0x0
	s_waitcnt lgkmcnt(0)
	s_lshr_b32 s2, s2, 16
	s_delay_alu instid0(SALU_CYCLE_1)
	s_mul_i32 s15, s15, s2
	s_load_b64 s[2:3], s[0:1], 0x10
	v_add_lshl_u32 v5, s15, v1, 1
	v_mov_b32_e32 v0, 0
	v_mov_b32_e32 v1, 0
	v_cmp_gt_i32_e32 vcc_lo, s6, v2
	s_delay_alu instid0(VALU_DEP_4) | instskip(SKIP_1) | instid1(VALU_DEP_4)
	v_mad_u64_u32 v[3:4], null, v5, s5, v[2:3]
	v_sub_nc_u32_e32 v18, s4, v5
	v_dual_mov_b32 v9, v1 :: v_dual_mov_b32 v8, v0
	v_dual_mov_b32 v13, v1 :: v_dual_mov_b32 v12, v0
	s_delay_alu instid0(VALU_DEP_3) | instskip(SKIP_1) | instid1(VALU_DEP_1)
	v_cmp_lt_i32_e64 s0, 0, v18
	v_ashrrev_i32_e32 v4, 31, v3
	v_lshlrev_b64 v[6:7], 3, v[3:4]
	s_delay_alu instid0(VALU_DEP_1) | instskip(NEXT) | instid1(VALU_DEP_1)
	v_add_co_u32 v10, s1, s10, v6
	v_add_co_ci_u32_e64 v11, s1, s11, v7, s1
	s_waitcnt lgkmcnt(0)
	v_add_co_u32 v4, s1, s2, v6
	s_delay_alu instid0(VALU_DEP_1) | instskip(SKIP_1) | instid1(SALU_CYCLE_1)
	v_add_co_ci_u32_e64 v5, s1, s3, v7, s1
	s_and_b32 s2, vcc_lo, s0
	s_and_saveexec_b32 s1, s2
	s_cbranch_execz .LBB213_2
; %bb.1:
	global_load_b64 v[8:9], v[10:11], off
	global_load_b64 v[12:13], v[4:5], off
.LBB213_2:
	s_or_b32 exec_lo, exec_lo, s1
	v_cmp_lt_i32_e64 s1, 1, v18
	v_dual_mov_b32 v3, v1 :: v_dual_mov_b32 v2, v0
	s_delay_alu instid0(VALU_DEP_2) | instskip(NEXT) | instid1(SALU_CYCLE_1)
	s_and_b32 s1, vcc_lo, s1
	s_and_saveexec_b32 s2, s1
	s_cbranch_execz .LBB213_4
; %bb.3:
	s_mov_b32 s7, 0
	s_delay_alu instid0(SALU_CYCLE_1) | instskip(NEXT) | instid1(SALU_CYCLE_1)
	s_lshl_b64 s[4:5], s[6:7], 3
	v_add_co_u32 v0, s1, v10, s4
	s_delay_alu instid0(VALU_DEP_1) | instskip(SKIP_1) | instid1(VALU_DEP_1)
	v_add_co_ci_u32_e64 v1, s1, s5, v11, s1
	v_add_co_u32 v2, s1, v4, s4
	v_add_co_ci_u32_e64 v3, s1, s5, v5, s1
	global_load_b64 v[0:1], v[0:1], off
	global_load_b64 v[2:3], v[2:3], off
.LBB213_4:
	s_or_b32 exec_lo, exec_lo, s2
	s_waitcnt vmcnt(1)
	v_add_f64 v[4:5], v[8:9], 0
	v_add_f64 v[10:11], v[0:1], 0
	v_mbcnt_lo_u32_b32 v19, -1, 0
	s_delay_alu instid0(VALU_DEP_1) | instskip(SKIP_1) | instid1(VALU_DEP_2)
	v_and_b32_e32 v14, 16, v19
	v_xor_b32_e32 v15, 8, v19
	v_add_nc_u32_e32 v20, 16, v14
	s_delay_alu instid0(VALU_DEP_1) | instskip(NEXT) | instid1(VALU_DEP_1)
	v_cmp_lt_i32_e64 s1, v15, v20
	v_cndmask_b32_e64 v14, v19, v15, s1
	s_delay_alu instid0(VALU_DEP_1)
	v_lshlrev_b32_e32 v17, 2, v14
	ds_bpermute_b32 v14, v17, v4
	ds_bpermute_b32 v15, v17, v5
	;; [unrolled: 1-line block ×4, first 2 shown]
	s_waitcnt lgkmcnt(2)
	v_add_f64 v[4:5], v[4:5], v[14:15]
	v_xor_b32_e32 v14, 4, v19
	s_waitcnt lgkmcnt(0)
	v_add_f64 v[10:11], v[10:11], v[16:17]
	s_delay_alu instid0(VALU_DEP_2) | instskip(NEXT) | instid1(VALU_DEP_1)
	v_cmp_lt_i32_e64 s1, v14, v20
	v_cndmask_b32_e64 v14, v19, v14, s1
	s_delay_alu instid0(VALU_DEP_1)
	v_lshlrev_b32_e32 v17, 2, v14
	ds_bpermute_b32 v14, v17, v4
	ds_bpermute_b32 v15, v17, v5
	;; [unrolled: 1-line block ×4, first 2 shown]
	s_waitcnt lgkmcnt(2)
	v_add_f64 v[4:5], v[4:5], v[14:15]
	v_xor_b32_e32 v14, 2, v19
	s_waitcnt lgkmcnt(0)
	v_add_f64 v[10:11], v[10:11], v[16:17]
	s_delay_alu instid0(VALU_DEP_2) | instskip(NEXT) | instid1(VALU_DEP_1)
	v_cmp_lt_i32_e64 s1, v14, v20
	v_cndmask_b32_e64 v14, v19, v14, s1
	s_delay_alu instid0(VALU_DEP_1)
	v_lshlrev_b32_e32 v17, 2, v14
	ds_bpermute_b32 v14, v17, v4
	ds_bpermute_b32 v15, v17, v5
	;; [unrolled: 1-line block ×4, first 2 shown]
	s_waitcnt lgkmcnt(2)
	v_add_f64 v[14:15], v[4:5], v[14:15]
	s_waitcnt lgkmcnt(0)
	v_add_f64 v[4:5], v[10:11], v[16:17]
	v_xor_b32_e32 v10, 1, v19
	s_delay_alu instid0(VALU_DEP_1) | instskip(NEXT) | instid1(VALU_DEP_1)
	v_cmp_lt_i32_e64 s1, v10, v20
	v_cndmask_b32_e64 v10, v19, v10, s1
	s_delay_alu instid0(VALU_DEP_1)
	v_lshlrev_b32_e32 v11, 2, v10
	ds_bpermute_b32 v16, v11, v14
	ds_bpermute_b32 v17, v11, v15
	;; [unrolled: 1-line block ×4, first 2 shown]
	s_and_saveexec_b32 s1, s0
	s_cbranch_execz .LBB213_10
; %bb.5:
	v_add_co_u32 v6, s0, s8, v6
	s_delay_alu instid0(VALU_DEP_1)
	v_add_co_ci_u32_e64 v7, s0, s9, v7, s0
	s_and_saveexec_b32 s2, vcc_lo
	s_cbranch_execz .LBB213_7
; %bb.6:
	s_mov_b32 s0, 0x652b82fe
	s_mov_b32 s1, 0x3ff71547
	;; [unrolled: 1-line block ×3, first 2 shown]
	s_waitcnt vmcnt(0)
	v_mul_f64 v[19:20], v[12:13], s[0:1]
	s_mov_b32 s0, 0xfefa39ef
	s_mov_b32 s1, 0xbfe62e42
	;; [unrolled: 1-line block ×3, first 2 shown]
	s_delay_alu instid0(VALU_DEP_1) | instskip(NEXT) | instid1(VALU_DEP_1)
	v_rndne_f64_e32 v[19:20], v[19:20]
	v_fma_f64 v[21:22], v[19:20], s[0:1], v[12:13]
	s_mov_b32 s0, 0x3b39803f
	s_mov_b32 s1, 0xbc7abc9e
	v_cvt_i32_f64_e32 v25, v[19:20]
	s_delay_alu instid0(VALU_DEP_2)
	v_fma_f64 v[21:22], v[19:20], s[0:1], v[21:22]
	s_mov_b32 s0, 0xfca7ab0c
	s_mov_b32 s1, 0x3e928af3
	s_delay_alu instid0(VALU_DEP_1) | instid1(SALU_CYCLE_1)
	v_fma_f64 v[23:24], v[21:22], s[4:5], s[0:1]
	s_mov_b32 s0, 0x623fde64
	s_mov_b32 s1, 0x3ec71dee
	s_delay_alu instid0(VALU_DEP_1) | instid1(SALU_CYCLE_1)
	;; [unrolled: 4-line block ×9, first 2 shown]
	v_fma_f64 v[23:24], v[21:22], v[23:24], s[0:1]
	v_cmp_nlt_f64_e64 s0, 0x40900000, v[12:13]
	v_cmp_ngt_f64_e64 s1, 0xc090cc00, v[12:13]
	s_waitcnt lgkmcnt(2)
	v_add_f64 v[12:13], v[14:15], v[16:17]
	s_delay_alu instid0(VALU_DEP_4) | instskip(NEXT) | instid1(VALU_DEP_1)
	v_fma_f64 v[23:24], v[21:22], v[23:24], 1.0
	v_fma_f64 v[19:20], v[21:22], v[23:24], 1.0
	s_delay_alu instid0(VALU_DEP_1) | instskip(NEXT) | instid1(VALU_DEP_1)
	v_ldexp_f64 v[19:20], v[19:20], v25
	v_cndmask_b32_e64 v20, 0x7ff00000, v20, s0
	s_and_b32 s0, s1, s0
	s_delay_alu instid0(VALU_DEP_2) | instid1(SALU_CYCLE_1)
	v_cndmask_b32_e64 v14, 0, v19, s0
	s_delay_alu instid0(VALU_DEP_2) | instskip(NEXT) | instid1(VALU_DEP_1)
	v_cndmask_b32_e64 v15, 0, v20, s1
	v_fma_f64 v[8:9], -v[12:13], v[14:15], v[8:9]
	global_store_b64 v[6:7], v[8:9], off
.LBB213_7:
	s_or_b32 exec_lo, exec_lo, s2
	v_cmp_ne_u32_e64 s0, 1, v18
	s_delay_alu instid0(VALU_DEP_1)
	s_and_b32 exec_lo, exec_lo, s0
	s_cbranch_execz .LBB213_10
; %bb.8:
	s_and_b32 exec_lo, exec_lo, vcc_lo
	s_cbranch_execz .LBB213_10
; %bb.9:
	s_mov_b32 s0, 0x652b82fe
	s_mov_b32 s1, 0x3ff71547
	;; [unrolled: 1-line block ×3, first 2 shown]
	s_waitcnt vmcnt(0)
	v_mul_f64 v[8:9], v[2:3], s[0:1]
	s_mov_b32 s0, 0xfefa39ef
	s_mov_b32 s1, 0xbfe62e42
	;; [unrolled: 1-line block ×3, first 2 shown]
	v_cmp_nlt_f64_e32 vcc_lo, 0x40900000, v[2:3]
	s_mov_b32 s7, 0
	s_delay_alu instid0(VALU_DEP_2) | instskip(NEXT) | instid1(VALU_DEP_1)
	v_rndne_f64_e32 v[8:9], v[8:9]
	v_fma_f64 v[12:13], v[8:9], s[0:1], v[2:3]
	s_mov_b32 s0, 0x3b39803f
	s_mov_b32 s1, 0xbc7abc9e
	s_waitcnt lgkmcnt(3)
	v_cvt_i32_f64_e32 v16, v[8:9]
	s_delay_alu instid0(VALU_DEP_2)
	v_fma_f64 v[12:13], v[8:9], s[0:1], v[12:13]
	s_mov_b32 s0, 0xfca7ab0c
	s_mov_b32 s1, 0x3e928af3
	s_delay_alu instid0(VALU_DEP_1) | instid1(SALU_CYCLE_1)
	v_fma_f64 v[14:15], v[12:13], s[2:3], s[0:1]
	s_mov_b32 s0, 0x623fde64
	s_mov_b32 s1, 0x3ec71dee
	s_delay_alu instid0(VALU_DEP_1) | instid1(SALU_CYCLE_1)
	;; [unrolled: 4-line block ×9, first 2 shown]
	v_fma_f64 v[14:15], v[12:13], v[14:15], s[0:1]
	v_cmp_ngt_f64_e64 s0, 0xc090cc00, v[2:3]
	s_waitcnt lgkmcnt(0)
	v_add_f64 v[2:3], v[4:5], v[10:11]
	s_delay_alu instid0(VALU_DEP_3) | instskip(NEXT) | instid1(VALU_DEP_1)
	v_fma_f64 v[14:15], v[12:13], v[14:15], 1.0
	v_fma_f64 v[8:9], v[12:13], v[14:15], 1.0
	s_delay_alu instid0(VALU_DEP_1) | instskip(NEXT) | instid1(VALU_DEP_1)
	v_ldexp_f64 v[8:9], v[8:9], v16
	v_cndmask_b32_e32 v9, 0x7ff00000, v9, vcc_lo
	s_and_b32 vcc_lo, s0, vcc_lo
	s_delay_alu instid0(VALU_DEP_2) | instskip(NEXT) | instid1(VALU_DEP_2)
	v_cndmask_b32_e32 v4, 0, v8, vcc_lo
	v_cndmask_b32_e64 v5, 0, v9, s0
	s_lshl_b64 s[0:1], s[6:7], 3
	s_delay_alu instid0(VALU_DEP_1)
	v_fma_f64 v[0:1], -v[2:3], v[4:5], v[0:1]
	v_add_co_u32 v2, vcc_lo, v6, s0
	v_add_co_ci_u32_e32 v3, vcc_lo, s1, v7, vcc_lo
	global_store_b64 v[2:3], v[0:1], off
.LBB213_10:
	s_nop 0
	s_sendmsg sendmsg(MSG_DEALLOC_VGPRS)
	s_endpgm
	.section	.rodata,"a",@progbits
	.p2align	6, 0x0
	.amdhsa_kernel _ZN12_GLOBAL__N_121softmax_warp_backwardIdddLi4ELb1ELb0ELi32EEEvPT0_PKT_S5_iiiPKb
		.amdhsa_group_segment_fixed_size 0
		.amdhsa_private_segment_fixed_size 0
		.amdhsa_kernarg_size 304
		.amdhsa_user_sgpr_count 15
		.amdhsa_user_sgpr_dispatch_ptr 0
		.amdhsa_user_sgpr_queue_ptr 0
		.amdhsa_user_sgpr_kernarg_segment_ptr 1
		.amdhsa_user_sgpr_dispatch_id 0
		.amdhsa_user_sgpr_private_segment_size 0
		.amdhsa_wavefront_size32 1
		.amdhsa_uses_dynamic_stack 0
		.amdhsa_enable_private_segment 0
		.amdhsa_system_sgpr_workgroup_id_x 1
		.amdhsa_system_sgpr_workgroup_id_y 0
		.amdhsa_system_sgpr_workgroup_id_z 0
		.amdhsa_system_sgpr_workgroup_info 0
		.amdhsa_system_vgpr_workitem_id 1
		.amdhsa_next_free_vgpr 26
		.amdhsa_next_free_sgpr 16
		.amdhsa_reserve_vcc 1
		.amdhsa_float_round_mode_32 0
		.amdhsa_float_round_mode_16_64 0
		.amdhsa_float_denorm_mode_32 3
		.amdhsa_float_denorm_mode_16_64 3
		.amdhsa_dx10_clamp 1
		.amdhsa_ieee_mode 1
		.amdhsa_fp16_overflow 0
		.amdhsa_workgroup_processor_mode 1
		.amdhsa_memory_ordered 1
		.amdhsa_forward_progress 0
		.amdhsa_shared_vgpr_count 0
		.amdhsa_exception_fp_ieee_invalid_op 0
		.amdhsa_exception_fp_denorm_src 0
		.amdhsa_exception_fp_ieee_div_zero 0
		.amdhsa_exception_fp_ieee_overflow 0
		.amdhsa_exception_fp_ieee_underflow 0
		.amdhsa_exception_fp_ieee_inexact 0
		.amdhsa_exception_int_div_zero 0
	.end_amdhsa_kernel
	.section	.text._ZN12_GLOBAL__N_121softmax_warp_backwardIdddLi4ELb1ELb0ELi32EEEvPT0_PKT_S5_iiiPKb,"axG",@progbits,_ZN12_GLOBAL__N_121softmax_warp_backwardIdddLi4ELb1ELb0ELi32EEEvPT0_PKT_S5_iiiPKb,comdat
.Lfunc_end213:
	.size	_ZN12_GLOBAL__N_121softmax_warp_backwardIdddLi4ELb1ELb0ELi32EEEvPT0_PKT_S5_iiiPKb, .Lfunc_end213-_ZN12_GLOBAL__N_121softmax_warp_backwardIdddLi4ELb1ELb0ELi32EEEvPT0_PKT_S5_iiiPKb
                                        ; -- End function
	.section	.AMDGPU.csdata,"",@progbits
; Kernel info:
; codeLenInByte = 1736
; NumSgprs: 18
; NumVgprs: 26
; ScratchSize: 0
; MemoryBound: 0
; FloatMode: 240
; IeeeMode: 1
; LDSByteSize: 0 bytes/workgroup (compile time only)
; SGPRBlocks: 2
; VGPRBlocks: 3
; NumSGPRsForWavesPerEU: 18
; NumVGPRsForWavesPerEU: 26
; Occupancy: 16
; WaveLimiterHint : 0
; COMPUTE_PGM_RSRC2:SCRATCH_EN: 0
; COMPUTE_PGM_RSRC2:USER_SGPR: 15
; COMPUTE_PGM_RSRC2:TRAP_HANDLER: 0
; COMPUTE_PGM_RSRC2:TGID_X_EN: 1
; COMPUTE_PGM_RSRC2:TGID_Y_EN: 0
; COMPUTE_PGM_RSRC2:TGID_Z_EN: 0
; COMPUTE_PGM_RSRC2:TIDIG_COMP_CNT: 1
	.section	.text._ZN12_GLOBAL__N_121softmax_warp_backwardIdddLi5ELb1ELb0ELi64EEEvPT0_PKT_S5_iiiPKb,"axG",@progbits,_ZN12_GLOBAL__N_121softmax_warp_backwardIdddLi5ELb1ELb0ELi64EEEvPT0_PKT_S5_iiiPKb,comdat
	.globl	_ZN12_GLOBAL__N_121softmax_warp_backwardIdddLi5ELb1ELb0ELi64EEEvPT0_PKT_S5_iiiPKb ; -- Begin function _ZN12_GLOBAL__N_121softmax_warp_backwardIdddLi5ELb1ELb0ELi64EEEvPT0_PKT_S5_iiiPKb
	.p2align	8
	.type	_ZN12_GLOBAL__N_121softmax_warp_backwardIdddLi5ELb1ELb0ELi64EEEvPT0_PKT_S5_iiiPKb,@function
_ZN12_GLOBAL__N_121softmax_warp_backwardIdddLi5ELb1ELb0ELi64EEEvPT0_PKT_S5_iiiPKb: ; @_ZN12_GLOBAL__N_121softmax_warp_backwardIdddLi5ELb1ELb0ELi64EEEvPT0_PKT_S5_iiiPKb
; %bb.0:
	s_clause 0x1
	s_load_b32 s2, s[0:1], 0x3c
	s_load_b128 s[4:7], s[0:1], 0x18
	v_bfe_u32 v1, v0, 10, 10
	v_and_b32_e32 v2, 31, v0
	s_load_b128 s[8:11], s[0:1], 0x0
	s_waitcnt lgkmcnt(0)
	s_lshr_b32 s2, s2, 16
	s_delay_alu instid0(SALU_CYCLE_1)
	s_mul_i32 s15, s15, s2
	s_load_b64 s[2:3], s[0:1], 0x10
	v_add_lshl_u32 v5, s15, v1, 1
	v_mov_b32_e32 v0, 0
	v_mov_b32_e32 v1, 0
	v_cmp_gt_i32_e32 vcc_lo, s6, v2
	s_delay_alu instid0(VALU_DEP_4) | instskip(SKIP_1) | instid1(VALU_DEP_4)
	v_mad_u64_u32 v[3:4], null, v5, s5, v[2:3]
	v_sub_nc_u32_e32 v18, s4, v5
	v_dual_mov_b32 v13, v1 :: v_dual_mov_b32 v12, v0
	s_delay_alu instid0(VALU_DEP_2) | instskip(NEXT) | instid1(VALU_DEP_4)
	v_cmp_lt_i32_e64 s0, 0, v18
	v_ashrrev_i32_e32 v4, 31, v3
	s_delay_alu instid0(VALU_DEP_1) | instskip(SKIP_1) | instid1(VALU_DEP_2)
	v_lshlrev_b64 v[8:9], 3, v[3:4]
	v_dual_mov_b32 v5, v1 :: v_dual_mov_b32 v4, v0
	v_add_co_u32 v10, s1, s10, v8
	s_delay_alu instid0(VALU_DEP_1) | instskip(SKIP_2) | instid1(VALU_DEP_1)
	v_add_co_ci_u32_e64 v11, s1, s11, v9, s1
	s_waitcnt lgkmcnt(0)
	v_add_co_u32 v6, s1, s2, v8
	v_add_co_ci_u32_e64 v7, s1, s3, v9, s1
	s_and_b32 s2, vcc_lo, s0
	s_delay_alu instid0(SALU_CYCLE_1)
	s_and_saveexec_b32 s1, s2
	s_cbranch_execz .LBB214_2
; %bb.1:
	global_load_b64 v[4:5], v[10:11], off
	global_load_b64 v[12:13], v[6:7], off
.LBB214_2:
	s_or_b32 exec_lo, exec_lo, s1
	v_cmp_lt_i32_e64 s1, 1, v18
	v_dual_mov_b32 v3, v1 :: v_dual_mov_b32 v2, v0
	s_delay_alu instid0(VALU_DEP_2) | instskip(NEXT) | instid1(SALU_CYCLE_1)
	s_and_b32 s1, vcc_lo, s1
	s_and_saveexec_b32 s2, s1
	s_cbranch_execz .LBB214_4
; %bb.3:
	s_mov_b32 s7, 0
	s_delay_alu instid0(SALU_CYCLE_1) | instskip(NEXT) | instid1(SALU_CYCLE_1)
	s_lshl_b64 s[4:5], s[6:7], 3
	v_add_co_u32 v0, s1, v10, s4
	s_delay_alu instid0(VALU_DEP_1) | instskip(SKIP_1) | instid1(VALU_DEP_1)
	v_add_co_ci_u32_e64 v1, s1, s5, v11, s1
	v_add_co_u32 v2, s1, v6, s4
	v_add_co_ci_u32_e64 v3, s1, s5, v7, s1
	global_load_b64 v[0:1], v[0:1], off
	global_load_b64 v[2:3], v[2:3], off
.LBB214_4:
	s_or_b32 exec_lo, exec_lo, s2
	s_waitcnt vmcnt(1)
	v_add_f64 v[6:7], v[4:5], 0
	v_add_f64 v[10:11], v[0:1], 0
	v_mbcnt_lo_u32_b32 v19, -1, 0
	s_delay_alu instid0(VALU_DEP_1) | instskip(NEXT) | instid1(VALU_DEP_1)
	v_xor_b32_e32 v14, 16, v19
	v_cmp_gt_i32_e64 s1, 32, v14
	s_delay_alu instid0(VALU_DEP_1) | instskip(NEXT) | instid1(VALU_DEP_1)
	v_cndmask_b32_e64 v14, v19, v14, s1
	v_lshlrev_b32_e32 v17, 2, v14
	ds_bpermute_b32 v14, v17, v6
	ds_bpermute_b32 v15, v17, v7
	ds_bpermute_b32 v16, v17, v10
	ds_bpermute_b32 v17, v17, v11
	s_waitcnt lgkmcnt(2)
	v_add_f64 v[6:7], v[6:7], v[14:15]
	v_xor_b32_e32 v14, 8, v19
	s_waitcnt lgkmcnt(0)
	v_add_f64 v[10:11], v[10:11], v[16:17]
	s_delay_alu instid0(VALU_DEP_2) | instskip(NEXT) | instid1(VALU_DEP_1)
	v_cmp_gt_i32_e64 s1, 32, v14
	v_cndmask_b32_e64 v14, v19, v14, s1
	s_delay_alu instid0(VALU_DEP_1)
	v_lshlrev_b32_e32 v17, 2, v14
	ds_bpermute_b32 v14, v17, v6
	ds_bpermute_b32 v15, v17, v7
	ds_bpermute_b32 v16, v17, v10
	ds_bpermute_b32 v17, v17, v11
	s_waitcnt lgkmcnt(2)
	v_add_f64 v[6:7], v[6:7], v[14:15]
	v_xor_b32_e32 v14, 4, v19
	s_waitcnt lgkmcnt(0)
	v_add_f64 v[10:11], v[10:11], v[16:17]
	s_delay_alu instid0(VALU_DEP_2) | instskip(NEXT) | instid1(VALU_DEP_1)
	v_cmp_gt_i32_e64 s1, 32, v14
	v_cndmask_b32_e64 v14, v19, v14, s1
	s_delay_alu instid0(VALU_DEP_1)
	;; [unrolled: 14-line block ×3, first 2 shown]
	v_lshlrev_b32_e32 v17, 2, v14
	ds_bpermute_b32 v14, v17, v6
	ds_bpermute_b32 v15, v17, v7
	;; [unrolled: 1-line block ×4, first 2 shown]
	s_waitcnt lgkmcnt(2)
	v_add_f64 v[14:15], v[6:7], v[14:15]
	s_waitcnt lgkmcnt(0)
	v_add_f64 v[6:7], v[10:11], v[16:17]
	v_xor_b32_e32 v10, 1, v19
	s_delay_alu instid0(VALU_DEP_1) | instskip(NEXT) | instid1(VALU_DEP_1)
	v_cmp_gt_i32_e64 s1, 32, v10
	v_cndmask_b32_e64 v10, v19, v10, s1
	s_delay_alu instid0(VALU_DEP_1)
	v_lshlrev_b32_e32 v11, 2, v10
	ds_bpermute_b32 v16, v11, v14
	ds_bpermute_b32 v17, v11, v15
	;; [unrolled: 1-line block ×4, first 2 shown]
	s_and_saveexec_b32 s1, s0
	s_cbranch_execz .LBB214_10
; %bb.5:
	v_add_co_u32 v8, s0, s8, v8
	s_delay_alu instid0(VALU_DEP_1)
	v_add_co_ci_u32_e64 v9, s0, s9, v9, s0
	s_and_saveexec_b32 s2, vcc_lo
	s_cbranch_execz .LBB214_7
; %bb.6:
	s_mov_b32 s0, 0x652b82fe
	s_mov_b32 s1, 0x3ff71547
	s_mov_b32 s4, 0x6a5dcb37
	s_waitcnt vmcnt(0)
	v_mul_f64 v[19:20], v[12:13], s[0:1]
	s_mov_b32 s0, 0xfefa39ef
	s_mov_b32 s1, 0xbfe62e42
	;; [unrolled: 1-line block ×3, first 2 shown]
	s_delay_alu instid0(VALU_DEP_1) | instskip(NEXT) | instid1(VALU_DEP_1)
	v_rndne_f64_e32 v[19:20], v[19:20]
	v_fma_f64 v[21:22], v[19:20], s[0:1], v[12:13]
	s_mov_b32 s0, 0x3b39803f
	s_mov_b32 s1, 0xbc7abc9e
	v_cvt_i32_f64_e32 v25, v[19:20]
	s_delay_alu instid0(VALU_DEP_2)
	v_fma_f64 v[21:22], v[19:20], s[0:1], v[21:22]
	s_mov_b32 s0, 0xfca7ab0c
	s_mov_b32 s1, 0x3e928af3
	s_delay_alu instid0(VALU_DEP_1) | instid1(SALU_CYCLE_1)
	v_fma_f64 v[23:24], v[21:22], s[4:5], s[0:1]
	s_mov_b32 s0, 0x623fde64
	s_mov_b32 s1, 0x3ec71dee
	s_delay_alu instid0(VALU_DEP_1) | instid1(SALU_CYCLE_1)
	;; [unrolled: 4-line block ×9, first 2 shown]
	v_fma_f64 v[23:24], v[21:22], v[23:24], s[0:1]
	v_cmp_nlt_f64_e64 s0, 0x40900000, v[12:13]
	v_cmp_ngt_f64_e64 s1, 0xc090cc00, v[12:13]
	s_waitcnt lgkmcnt(2)
	v_add_f64 v[12:13], v[14:15], v[16:17]
	s_delay_alu instid0(VALU_DEP_4) | instskip(NEXT) | instid1(VALU_DEP_1)
	v_fma_f64 v[23:24], v[21:22], v[23:24], 1.0
	v_fma_f64 v[19:20], v[21:22], v[23:24], 1.0
	s_delay_alu instid0(VALU_DEP_1) | instskip(NEXT) | instid1(VALU_DEP_1)
	v_ldexp_f64 v[19:20], v[19:20], v25
	v_cndmask_b32_e64 v20, 0x7ff00000, v20, s0
	s_and_b32 s0, s1, s0
	s_delay_alu instid0(VALU_DEP_2) | instid1(SALU_CYCLE_1)
	v_cndmask_b32_e64 v14, 0, v19, s0
	s_delay_alu instid0(VALU_DEP_2) | instskip(NEXT) | instid1(VALU_DEP_1)
	v_cndmask_b32_e64 v15, 0, v20, s1
	v_fma_f64 v[4:5], -v[12:13], v[14:15], v[4:5]
	global_store_b64 v[8:9], v[4:5], off
.LBB214_7:
	s_or_b32 exec_lo, exec_lo, s2
	v_cmp_ne_u32_e64 s0, 1, v18
	s_delay_alu instid0(VALU_DEP_1)
	s_and_b32 exec_lo, exec_lo, s0
	s_cbranch_execz .LBB214_10
; %bb.8:
	s_and_b32 exec_lo, exec_lo, vcc_lo
	s_cbranch_execz .LBB214_10
; %bb.9:
	s_mov_b32 s0, 0x652b82fe
	s_mov_b32 s1, 0x3ff71547
	;; [unrolled: 1-line block ×3, first 2 shown]
	s_waitcnt vmcnt(0)
	v_mul_f64 v[4:5], v[2:3], s[0:1]
	s_mov_b32 s0, 0xfefa39ef
	s_mov_b32 s1, 0xbfe62e42
	;; [unrolled: 1-line block ×3, first 2 shown]
	v_cmp_nlt_f64_e32 vcc_lo, 0x40900000, v[2:3]
	s_mov_b32 s7, 0
	s_delay_alu instid0(VALU_DEP_2) | instskip(NEXT) | instid1(VALU_DEP_1)
	v_rndne_f64_e32 v[4:5], v[4:5]
	v_fma_f64 v[12:13], v[4:5], s[0:1], v[2:3]
	s_mov_b32 s0, 0x3b39803f
	s_mov_b32 s1, 0xbc7abc9e
	s_waitcnt lgkmcnt(3)
	v_cvt_i32_f64_e32 v16, v[4:5]
	s_delay_alu instid0(VALU_DEP_2)
	v_fma_f64 v[12:13], v[4:5], s[0:1], v[12:13]
	s_mov_b32 s0, 0xfca7ab0c
	s_mov_b32 s1, 0x3e928af3
	s_delay_alu instid0(VALU_DEP_1) | instid1(SALU_CYCLE_1)
	v_fma_f64 v[14:15], v[12:13], s[2:3], s[0:1]
	s_mov_b32 s0, 0x623fde64
	s_mov_b32 s1, 0x3ec71dee
	s_delay_alu instid0(VALU_DEP_1) | instid1(SALU_CYCLE_1)
	;; [unrolled: 4-line block ×9, first 2 shown]
	v_fma_f64 v[14:15], v[12:13], v[14:15], s[0:1]
	v_cmp_ngt_f64_e64 s0, 0xc090cc00, v[2:3]
	s_waitcnt lgkmcnt(0)
	v_add_f64 v[2:3], v[6:7], v[10:11]
	s_delay_alu instid0(VALU_DEP_3) | instskip(NEXT) | instid1(VALU_DEP_1)
	v_fma_f64 v[14:15], v[12:13], v[14:15], 1.0
	v_fma_f64 v[4:5], v[12:13], v[14:15], 1.0
	s_delay_alu instid0(VALU_DEP_1) | instskip(NEXT) | instid1(VALU_DEP_1)
	v_ldexp_f64 v[4:5], v[4:5], v16
	v_cndmask_b32_e32 v5, 0x7ff00000, v5, vcc_lo
	s_and_b32 vcc_lo, s0, vcc_lo
	s_delay_alu instid0(VALU_DEP_2) | instskip(NEXT) | instid1(VALU_DEP_2)
	v_cndmask_b32_e32 v4, 0, v4, vcc_lo
	v_cndmask_b32_e64 v5, 0, v5, s0
	s_lshl_b64 s[0:1], s[6:7], 3
	s_delay_alu instid0(VALU_DEP_1)
	v_fma_f64 v[0:1], -v[2:3], v[4:5], v[0:1]
	v_add_co_u32 v2, vcc_lo, v8, s0
	v_add_co_ci_u32_e32 v3, vcc_lo, s1, v9, vcc_lo
	global_store_b64 v[2:3], v[0:1], off
.LBB214_10:
	s_nop 0
	s_sendmsg sendmsg(MSG_DEALLOC_VGPRS)
	s_endpgm
	.section	.rodata,"a",@progbits
	.p2align	6, 0x0
	.amdhsa_kernel _ZN12_GLOBAL__N_121softmax_warp_backwardIdddLi5ELb1ELb0ELi64EEEvPT0_PKT_S5_iiiPKb
		.amdhsa_group_segment_fixed_size 0
		.amdhsa_private_segment_fixed_size 0
		.amdhsa_kernarg_size 304
		.amdhsa_user_sgpr_count 15
		.amdhsa_user_sgpr_dispatch_ptr 0
		.amdhsa_user_sgpr_queue_ptr 0
		.amdhsa_user_sgpr_kernarg_segment_ptr 1
		.amdhsa_user_sgpr_dispatch_id 0
		.amdhsa_user_sgpr_private_segment_size 0
		.amdhsa_wavefront_size32 1
		.amdhsa_uses_dynamic_stack 0
		.amdhsa_enable_private_segment 0
		.amdhsa_system_sgpr_workgroup_id_x 1
		.amdhsa_system_sgpr_workgroup_id_y 0
		.amdhsa_system_sgpr_workgroup_id_z 0
		.amdhsa_system_sgpr_workgroup_info 0
		.amdhsa_system_vgpr_workitem_id 1
		.amdhsa_next_free_vgpr 26
		.amdhsa_next_free_sgpr 16
		.amdhsa_reserve_vcc 1
		.amdhsa_float_round_mode_32 0
		.amdhsa_float_round_mode_16_64 0
		.amdhsa_float_denorm_mode_32 3
		.amdhsa_float_denorm_mode_16_64 3
		.amdhsa_dx10_clamp 1
		.amdhsa_ieee_mode 1
		.amdhsa_fp16_overflow 0
		.amdhsa_workgroup_processor_mode 1
		.amdhsa_memory_ordered 1
		.amdhsa_forward_progress 0
		.amdhsa_shared_vgpr_count 0
		.amdhsa_exception_fp_ieee_invalid_op 0
		.amdhsa_exception_fp_denorm_src 0
		.amdhsa_exception_fp_ieee_div_zero 0
		.amdhsa_exception_fp_ieee_overflow 0
		.amdhsa_exception_fp_ieee_underflow 0
		.amdhsa_exception_fp_ieee_inexact 0
		.amdhsa_exception_int_div_zero 0
	.end_amdhsa_kernel
	.section	.text._ZN12_GLOBAL__N_121softmax_warp_backwardIdddLi5ELb1ELb0ELi64EEEvPT0_PKT_S5_iiiPKb,"axG",@progbits,_ZN12_GLOBAL__N_121softmax_warp_backwardIdddLi5ELb1ELb0ELi64EEEvPT0_PKT_S5_iiiPKb,comdat
.Lfunc_end214:
	.size	_ZN12_GLOBAL__N_121softmax_warp_backwardIdddLi5ELb1ELb0ELi64EEEvPT0_PKT_S5_iiiPKb, .Lfunc_end214-_ZN12_GLOBAL__N_121softmax_warp_backwardIdddLi5ELb1ELb0ELi64EEEvPT0_PKT_S5_iiiPKb
                                        ; -- End function
	.section	.AMDGPU.csdata,"",@progbits
; Kernel info:
; codeLenInByte = 1816
; NumSgprs: 18
; NumVgprs: 26
; ScratchSize: 0
; MemoryBound: 0
; FloatMode: 240
; IeeeMode: 1
; LDSByteSize: 0 bytes/workgroup (compile time only)
; SGPRBlocks: 2
; VGPRBlocks: 3
; NumSGPRsForWavesPerEU: 18
; NumVGPRsForWavesPerEU: 26
; Occupancy: 16
; WaveLimiterHint : 0
; COMPUTE_PGM_RSRC2:SCRATCH_EN: 0
; COMPUTE_PGM_RSRC2:USER_SGPR: 15
; COMPUTE_PGM_RSRC2:TRAP_HANDLER: 0
; COMPUTE_PGM_RSRC2:TGID_X_EN: 1
; COMPUTE_PGM_RSRC2:TGID_Y_EN: 0
; COMPUTE_PGM_RSRC2:TGID_Z_EN: 0
; COMPUTE_PGM_RSRC2:TIDIG_COMP_CNT: 1
	.section	.text._ZN12_GLOBAL__N_121softmax_warp_backwardIdddLi5ELb1ELb0ELi32EEEvPT0_PKT_S5_iiiPKb,"axG",@progbits,_ZN12_GLOBAL__N_121softmax_warp_backwardIdddLi5ELb1ELb0ELi32EEEvPT0_PKT_S5_iiiPKb,comdat
	.globl	_ZN12_GLOBAL__N_121softmax_warp_backwardIdddLi5ELb1ELb0ELi32EEEvPT0_PKT_S5_iiiPKb ; -- Begin function _ZN12_GLOBAL__N_121softmax_warp_backwardIdddLi5ELb1ELb0ELi32EEEvPT0_PKT_S5_iiiPKb
	.p2align	8
	.type	_ZN12_GLOBAL__N_121softmax_warp_backwardIdddLi5ELb1ELb0ELi32EEEvPT0_PKT_S5_iiiPKb,@function
_ZN12_GLOBAL__N_121softmax_warp_backwardIdddLi5ELb1ELb0ELi32EEEvPT0_PKT_S5_iiiPKb: ; @_ZN12_GLOBAL__N_121softmax_warp_backwardIdddLi5ELb1ELb0ELi32EEEvPT0_PKT_S5_iiiPKb
; %bb.0:
	s_clause 0x1
	s_load_b32 s2, s[0:1], 0x3c
	s_load_b128 s[4:7], s[0:1], 0x18
	v_bfe_u32 v1, v0, 10, 10
	v_and_b32_e32 v2, 31, v0
	s_load_b128 s[8:11], s[0:1], 0x0
	s_waitcnt lgkmcnt(0)
	s_lshr_b32 s2, s2, 16
	s_delay_alu instid0(SALU_CYCLE_1)
	s_mul_i32 s15, s15, s2
	s_load_b64 s[2:3], s[0:1], 0x10
	v_add_lshl_u32 v5, s15, v1, 1
	v_mov_b32_e32 v0, 0
	v_mov_b32_e32 v1, 0
	v_cmp_gt_i32_e32 vcc_lo, s6, v2
	s_delay_alu instid0(VALU_DEP_4) | instskip(SKIP_1) | instid1(VALU_DEP_4)
	v_mad_u64_u32 v[3:4], null, v5, s5, v[2:3]
	v_sub_nc_u32_e32 v18, s4, v5
	v_dual_mov_b32 v13, v1 :: v_dual_mov_b32 v12, v0
	s_delay_alu instid0(VALU_DEP_2) | instskip(NEXT) | instid1(VALU_DEP_4)
	v_cmp_lt_i32_e64 s0, 0, v18
	v_ashrrev_i32_e32 v4, 31, v3
	s_delay_alu instid0(VALU_DEP_1) | instskip(SKIP_1) | instid1(VALU_DEP_2)
	v_lshlrev_b64 v[8:9], 3, v[3:4]
	v_dual_mov_b32 v5, v1 :: v_dual_mov_b32 v4, v0
	v_add_co_u32 v10, s1, s10, v8
	s_delay_alu instid0(VALU_DEP_1) | instskip(SKIP_2) | instid1(VALU_DEP_1)
	v_add_co_ci_u32_e64 v11, s1, s11, v9, s1
	s_waitcnt lgkmcnt(0)
	v_add_co_u32 v6, s1, s2, v8
	v_add_co_ci_u32_e64 v7, s1, s3, v9, s1
	s_and_b32 s2, vcc_lo, s0
	s_delay_alu instid0(SALU_CYCLE_1)
	s_and_saveexec_b32 s1, s2
	s_cbranch_execz .LBB215_2
; %bb.1:
	global_load_b64 v[4:5], v[10:11], off
	global_load_b64 v[12:13], v[6:7], off
.LBB215_2:
	s_or_b32 exec_lo, exec_lo, s1
	v_cmp_lt_i32_e64 s1, 1, v18
	v_dual_mov_b32 v3, v1 :: v_dual_mov_b32 v2, v0
	s_delay_alu instid0(VALU_DEP_2) | instskip(NEXT) | instid1(SALU_CYCLE_1)
	s_and_b32 s1, vcc_lo, s1
	s_and_saveexec_b32 s2, s1
	s_cbranch_execz .LBB215_4
; %bb.3:
	s_mov_b32 s7, 0
	s_delay_alu instid0(SALU_CYCLE_1) | instskip(NEXT) | instid1(SALU_CYCLE_1)
	s_lshl_b64 s[4:5], s[6:7], 3
	v_add_co_u32 v0, s1, v10, s4
	s_delay_alu instid0(VALU_DEP_1) | instskip(SKIP_1) | instid1(VALU_DEP_1)
	v_add_co_ci_u32_e64 v1, s1, s5, v11, s1
	v_add_co_u32 v2, s1, v6, s4
	v_add_co_ci_u32_e64 v3, s1, s5, v7, s1
	global_load_b64 v[0:1], v[0:1], off
	global_load_b64 v[2:3], v[2:3], off
.LBB215_4:
	s_or_b32 exec_lo, exec_lo, s2
	s_waitcnt vmcnt(1)
	v_add_f64 v[6:7], v[4:5], 0
	v_add_f64 v[10:11], v[0:1], 0
	v_mbcnt_lo_u32_b32 v19, -1, 0
	s_delay_alu instid0(VALU_DEP_1) | instskip(NEXT) | instid1(VALU_DEP_1)
	v_xor_b32_e32 v14, 16, v19
	v_cmp_gt_i32_e64 s1, 32, v14
	s_delay_alu instid0(VALU_DEP_1) | instskip(NEXT) | instid1(VALU_DEP_1)
	v_cndmask_b32_e64 v14, v19, v14, s1
	v_lshlrev_b32_e32 v17, 2, v14
	ds_bpermute_b32 v14, v17, v6
	ds_bpermute_b32 v15, v17, v7
	ds_bpermute_b32 v16, v17, v10
	ds_bpermute_b32 v17, v17, v11
	s_waitcnt lgkmcnt(2)
	v_add_f64 v[6:7], v[6:7], v[14:15]
	v_xor_b32_e32 v14, 8, v19
	s_waitcnt lgkmcnt(0)
	v_add_f64 v[10:11], v[10:11], v[16:17]
	s_delay_alu instid0(VALU_DEP_2) | instskip(NEXT) | instid1(VALU_DEP_1)
	v_cmp_gt_i32_e64 s1, 32, v14
	v_cndmask_b32_e64 v14, v19, v14, s1
	s_delay_alu instid0(VALU_DEP_1)
	v_lshlrev_b32_e32 v17, 2, v14
	ds_bpermute_b32 v14, v17, v6
	ds_bpermute_b32 v15, v17, v7
	ds_bpermute_b32 v16, v17, v10
	ds_bpermute_b32 v17, v17, v11
	s_waitcnt lgkmcnt(2)
	v_add_f64 v[6:7], v[6:7], v[14:15]
	v_xor_b32_e32 v14, 4, v19
	s_waitcnt lgkmcnt(0)
	v_add_f64 v[10:11], v[10:11], v[16:17]
	s_delay_alu instid0(VALU_DEP_2) | instskip(NEXT) | instid1(VALU_DEP_1)
	v_cmp_gt_i32_e64 s1, 32, v14
	v_cndmask_b32_e64 v14, v19, v14, s1
	s_delay_alu instid0(VALU_DEP_1)
	;; [unrolled: 14-line block ×3, first 2 shown]
	v_lshlrev_b32_e32 v17, 2, v14
	ds_bpermute_b32 v14, v17, v6
	ds_bpermute_b32 v15, v17, v7
	;; [unrolled: 1-line block ×4, first 2 shown]
	s_waitcnt lgkmcnt(2)
	v_add_f64 v[14:15], v[6:7], v[14:15]
	s_waitcnt lgkmcnt(0)
	v_add_f64 v[6:7], v[10:11], v[16:17]
	v_xor_b32_e32 v10, 1, v19
	s_delay_alu instid0(VALU_DEP_1) | instskip(NEXT) | instid1(VALU_DEP_1)
	v_cmp_gt_i32_e64 s1, 32, v10
	v_cndmask_b32_e64 v10, v19, v10, s1
	s_delay_alu instid0(VALU_DEP_1)
	v_lshlrev_b32_e32 v11, 2, v10
	ds_bpermute_b32 v16, v11, v14
	ds_bpermute_b32 v17, v11, v15
	;; [unrolled: 1-line block ×4, first 2 shown]
	s_and_saveexec_b32 s1, s0
	s_cbranch_execz .LBB215_10
; %bb.5:
	v_add_co_u32 v8, s0, s8, v8
	s_delay_alu instid0(VALU_DEP_1)
	v_add_co_ci_u32_e64 v9, s0, s9, v9, s0
	s_and_saveexec_b32 s2, vcc_lo
	s_cbranch_execz .LBB215_7
; %bb.6:
	s_mov_b32 s0, 0x652b82fe
	s_mov_b32 s1, 0x3ff71547
	;; [unrolled: 1-line block ×3, first 2 shown]
	s_waitcnt vmcnt(0)
	v_mul_f64 v[19:20], v[12:13], s[0:1]
	s_mov_b32 s0, 0xfefa39ef
	s_mov_b32 s1, 0xbfe62e42
	;; [unrolled: 1-line block ×3, first 2 shown]
	s_delay_alu instid0(VALU_DEP_1) | instskip(NEXT) | instid1(VALU_DEP_1)
	v_rndne_f64_e32 v[19:20], v[19:20]
	v_fma_f64 v[21:22], v[19:20], s[0:1], v[12:13]
	s_mov_b32 s0, 0x3b39803f
	s_mov_b32 s1, 0xbc7abc9e
	v_cvt_i32_f64_e32 v25, v[19:20]
	s_delay_alu instid0(VALU_DEP_2)
	v_fma_f64 v[21:22], v[19:20], s[0:1], v[21:22]
	s_mov_b32 s0, 0xfca7ab0c
	s_mov_b32 s1, 0x3e928af3
	s_delay_alu instid0(VALU_DEP_1) | instid1(SALU_CYCLE_1)
	v_fma_f64 v[23:24], v[21:22], s[4:5], s[0:1]
	s_mov_b32 s0, 0x623fde64
	s_mov_b32 s1, 0x3ec71dee
	s_delay_alu instid0(VALU_DEP_1) | instid1(SALU_CYCLE_1)
	;; [unrolled: 4-line block ×9, first 2 shown]
	v_fma_f64 v[23:24], v[21:22], v[23:24], s[0:1]
	v_cmp_nlt_f64_e64 s0, 0x40900000, v[12:13]
	v_cmp_ngt_f64_e64 s1, 0xc090cc00, v[12:13]
	s_waitcnt lgkmcnt(2)
	v_add_f64 v[12:13], v[14:15], v[16:17]
	s_delay_alu instid0(VALU_DEP_4) | instskip(NEXT) | instid1(VALU_DEP_1)
	v_fma_f64 v[23:24], v[21:22], v[23:24], 1.0
	v_fma_f64 v[19:20], v[21:22], v[23:24], 1.0
	s_delay_alu instid0(VALU_DEP_1) | instskip(NEXT) | instid1(VALU_DEP_1)
	v_ldexp_f64 v[19:20], v[19:20], v25
	v_cndmask_b32_e64 v20, 0x7ff00000, v20, s0
	s_and_b32 s0, s1, s0
	s_delay_alu instid0(VALU_DEP_2) | instid1(SALU_CYCLE_1)
	v_cndmask_b32_e64 v14, 0, v19, s0
	s_delay_alu instid0(VALU_DEP_2) | instskip(NEXT) | instid1(VALU_DEP_1)
	v_cndmask_b32_e64 v15, 0, v20, s1
	v_fma_f64 v[4:5], -v[12:13], v[14:15], v[4:5]
	global_store_b64 v[8:9], v[4:5], off
.LBB215_7:
	s_or_b32 exec_lo, exec_lo, s2
	v_cmp_ne_u32_e64 s0, 1, v18
	s_delay_alu instid0(VALU_DEP_1)
	s_and_b32 exec_lo, exec_lo, s0
	s_cbranch_execz .LBB215_10
; %bb.8:
	s_and_b32 exec_lo, exec_lo, vcc_lo
	s_cbranch_execz .LBB215_10
; %bb.9:
	s_mov_b32 s0, 0x652b82fe
	s_mov_b32 s1, 0x3ff71547
	;; [unrolled: 1-line block ×3, first 2 shown]
	s_waitcnt vmcnt(0)
	v_mul_f64 v[4:5], v[2:3], s[0:1]
	s_mov_b32 s0, 0xfefa39ef
	s_mov_b32 s1, 0xbfe62e42
	;; [unrolled: 1-line block ×3, first 2 shown]
	v_cmp_nlt_f64_e32 vcc_lo, 0x40900000, v[2:3]
	s_mov_b32 s7, 0
	s_delay_alu instid0(VALU_DEP_2) | instskip(NEXT) | instid1(VALU_DEP_1)
	v_rndne_f64_e32 v[4:5], v[4:5]
	v_fma_f64 v[12:13], v[4:5], s[0:1], v[2:3]
	s_mov_b32 s0, 0x3b39803f
	s_mov_b32 s1, 0xbc7abc9e
	s_waitcnt lgkmcnt(3)
	v_cvt_i32_f64_e32 v16, v[4:5]
	s_delay_alu instid0(VALU_DEP_2)
	v_fma_f64 v[12:13], v[4:5], s[0:1], v[12:13]
	s_mov_b32 s0, 0xfca7ab0c
	s_mov_b32 s1, 0x3e928af3
	s_delay_alu instid0(VALU_DEP_1) | instid1(SALU_CYCLE_1)
	v_fma_f64 v[14:15], v[12:13], s[2:3], s[0:1]
	s_mov_b32 s0, 0x623fde64
	s_mov_b32 s1, 0x3ec71dee
	s_delay_alu instid0(VALU_DEP_1) | instid1(SALU_CYCLE_1)
	;; [unrolled: 4-line block ×9, first 2 shown]
	v_fma_f64 v[14:15], v[12:13], v[14:15], s[0:1]
	v_cmp_ngt_f64_e64 s0, 0xc090cc00, v[2:3]
	s_waitcnt lgkmcnt(0)
	v_add_f64 v[2:3], v[6:7], v[10:11]
	s_delay_alu instid0(VALU_DEP_3) | instskip(NEXT) | instid1(VALU_DEP_1)
	v_fma_f64 v[14:15], v[12:13], v[14:15], 1.0
	v_fma_f64 v[4:5], v[12:13], v[14:15], 1.0
	s_delay_alu instid0(VALU_DEP_1) | instskip(NEXT) | instid1(VALU_DEP_1)
	v_ldexp_f64 v[4:5], v[4:5], v16
	v_cndmask_b32_e32 v5, 0x7ff00000, v5, vcc_lo
	s_and_b32 vcc_lo, s0, vcc_lo
	s_delay_alu instid0(VALU_DEP_2) | instskip(NEXT) | instid1(VALU_DEP_2)
	v_cndmask_b32_e32 v4, 0, v4, vcc_lo
	v_cndmask_b32_e64 v5, 0, v5, s0
	s_lshl_b64 s[0:1], s[6:7], 3
	s_delay_alu instid0(VALU_DEP_1)
	v_fma_f64 v[0:1], -v[2:3], v[4:5], v[0:1]
	v_add_co_u32 v2, vcc_lo, v8, s0
	v_add_co_ci_u32_e32 v3, vcc_lo, s1, v9, vcc_lo
	global_store_b64 v[2:3], v[0:1], off
.LBB215_10:
	s_nop 0
	s_sendmsg sendmsg(MSG_DEALLOC_VGPRS)
	s_endpgm
	.section	.rodata,"a",@progbits
	.p2align	6, 0x0
	.amdhsa_kernel _ZN12_GLOBAL__N_121softmax_warp_backwardIdddLi5ELb1ELb0ELi32EEEvPT0_PKT_S5_iiiPKb
		.amdhsa_group_segment_fixed_size 0
		.amdhsa_private_segment_fixed_size 0
		.amdhsa_kernarg_size 304
		.amdhsa_user_sgpr_count 15
		.amdhsa_user_sgpr_dispatch_ptr 0
		.amdhsa_user_sgpr_queue_ptr 0
		.amdhsa_user_sgpr_kernarg_segment_ptr 1
		.amdhsa_user_sgpr_dispatch_id 0
		.amdhsa_user_sgpr_private_segment_size 0
		.amdhsa_wavefront_size32 1
		.amdhsa_uses_dynamic_stack 0
		.amdhsa_enable_private_segment 0
		.amdhsa_system_sgpr_workgroup_id_x 1
		.amdhsa_system_sgpr_workgroup_id_y 0
		.amdhsa_system_sgpr_workgroup_id_z 0
		.amdhsa_system_sgpr_workgroup_info 0
		.amdhsa_system_vgpr_workitem_id 1
		.amdhsa_next_free_vgpr 26
		.amdhsa_next_free_sgpr 16
		.amdhsa_reserve_vcc 1
		.amdhsa_float_round_mode_32 0
		.amdhsa_float_round_mode_16_64 0
		.amdhsa_float_denorm_mode_32 3
		.amdhsa_float_denorm_mode_16_64 3
		.amdhsa_dx10_clamp 1
		.amdhsa_ieee_mode 1
		.amdhsa_fp16_overflow 0
		.amdhsa_workgroup_processor_mode 1
		.amdhsa_memory_ordered 1
		.amdhsa_forward_progress 0
		.amdhsa_shared_vgpr_count 0
		.amdhsa_exception_fp_ieee_invalid_op 0
		.amdhsa_exception_fp_denorm_src 0
		.amdhsa_exception_fp_ieee_div_zero 0
		.amdhsa_exception_fp_ieee_overflow 0
		.amdhsa_exception_fp_ieee_underflow 0
		.amdhsa_exception_fp_ieee_inexact 0
		.amdhsa_exception_int_div_zero 0
	.end_amdhsa_kernel
	.section	.text._ZN12_GLOBAL__N_121softmax_warp_backwardIdddLi5ELb1ELb0ELi32EEEvPT0_PKT_S5_iiiPKb,"axG",@progbits,_ZN12_GLOBAL__N_121softmax_warp_backwardIdddLi5ELb1ELb0ELi32EEEvPT0_PKT_S5_iiiPKb,comdat
.Lfunc_end215:
	.size	_ZN12_GLOBAL__N_121softmax_warp_backwardIdddLi5ELb1ELb0ELi32EEEvPT0_PKT_S5_iiiPKb, .Lfunc_end215-_ZN12_GLOBAL__N_121softmax_warp_backwardIdddLi5ELb1ELb0ELi32EEEvPT0_PKT_S5_iiiPKb
                                        ; -- End function
	.section	.AMDGPU.csdata,"",@progbits
; Kernel info:
; codeLenInByte = 1816
; NumSgprs: 18
; NumVgprs: 26
; ScratchSize: 0
; MemoryBound: 0
; FloatMode: 240
; IeeeMode: 1
; LDSByteSize: 0 bytes/workgroup (compile time only)
; SGPRBlocks: 2
; VGPRBlocks: 3
; NumSGPRsForWavesPerEU: 18
; NumVGPRsForWavesPerEU: 26
; Occupancy: 16
; WaveLimiterHint : 0
; COMPUTE_PGM_RSRC2:SCRATCH_EN: 0
; COMPUTE_PGM_RSRC2:USER_SGPR: 15
; COMPUTE_PGM_RSRC2:TRAP_HANDLER: 0
; COMPUTE_PGM_RSRC2:TGID_X_EN: 1
; COMPUTE_PGM_RSRC2:TGID_Y_EN: 0
; COMPUTE_PGM_RSRC2:TGID_Z_EN: 0
; COMPUTE_PGM_RSRC2:TIDIG_COMP_CNT: 1
	.section	.text._ZN12_GLOBAL__N_121softmax_warp_backwardIdddLi6ELb1ELb0ELi64EEEvPT0_PKT_S5_iiiPKb,"axG",@progbits,_ZN12_GLOBAL__N_121softmax_warp_backwardIdddLi6ELb1ELb0ELi64EEEvPT0_PKT_S5_iiiPKb,comdat
	.globl	_ZN12_GLOBAL__N_121softmax_warp_backwardIdddLi6ELb1ELb0ELi64EEEvPT0_PKT_S5_iiiPKb ; -- Begin function _ZN12_GLOBAL__N_121softmax_warp_backwardIdddLi6ELb1ELb0ELi64EEEvPT0_PKT_S5_iiiPKb
	.p2align	8
	.type	_ZN12_GLOBAL__N_121softmax_warp_backwardIdddLi6ELb1ELb0ELi64EEEvPT0_PKT_S5_iiiPKb,@function
_ZN12_GLOBAL__N_121softmax_warp_backwardIdddLi6ELb1ELb0ELi64EEEvPT0_PKT_S5_iiiPKb: ; @_ZN12_GLOBAL__N_121softmax_warp_backwardIdddLi6ELb1ELb0ELi64EEEvPT0_PKT_S5_iiiPKb
; %bb.0:
	s_clause 0x1
	s_load_b32 s2, s[0:1], 0x3c
	s_load_b128 s[4:7], s[0:1], 0x18
	v_bfe_u32 v1, v0, 10, 10
	v_and_b32_e32 v2, 63, v0
	s_load_b128 s[8:11], s[0:1], 0x0
	s_waitcnt lgkmcnt(0)
	s_lshr_b32 s2, s2, 16
	s_delay_alu instid0(SALU_CYCLE_1)
	s_mul_i32 s15, s15, s2
	s_load_b64 s[2:3], s[0:1], 0x10
	v_add_lshl_u32 v5, s15, v1, 1
	v_mov_b32_e32 v0, 0
	v_mov_b32_e32 v1, 0
	v_cmp_gt_i32_e32 vcc_lo, s6, v2
	s_delay_alu instid0(VALU_DEP_4) | instskip(SKIP_1) | instid1(VALU_DEP_4)
	v_mad_u64_u32 v[3:4], null, v5, s5, v[2:3]
	v_sub_nc_u32_e32 v18, s4, v5
	v_dual_mov_b32 v7, v1 :: v_dual_mov_b32 v6, v0
	s_delay_alu instid0(VALU_DEP_2) | instskip(NEXT) | instid1(VALU_DEP_4)
	v_cmp_lt_i32_e64 s0, 0, v18
	v_ashrrev_i32_e32 v4, 31, v3
	s_delay_alu instid0(VALU_DEP_1) | instskip(SKIP_1) | instid1(VALU_DEP_2)
	v_lshlrev_b64 v[10:11], 3, v[3:4]
	v_dual_mov_b32 v5, v1 :: v_dual_mov_b32 v4, v0
	v_add_co_u32 v12, s1, s10, v10
	s_delay_alu instid0(VALU_DEP_1) | instskip(SKIP_2) | instid1(VALU_DEP_1)
	v_add_co_ci_u32_e64 v13, s1, s11, v11, s1
	s_waitcnt lgkmcnt(0)
	v_add_co_u32 v8, s1, s2, v10
	v_add_co_ci_u32_e64 v9, s1, s3, v11, s1
	s_and_b32 s2, vcc_lo, s0
	s_delay_alu instid0(SALU_CYCLE_1)
	s_and_saveexec_b32 s1, s2
	s_cbranch_execz .LBB216_2
; %bb.1:
	global_load_b64 v[4:5], v[12:13], off
	global_load_b64 v[6:7], v[8:9], off
.LBB216_2:
	s_or_b32 exec_lo, exec_lo, s1
	v_cmp_lt_i32_e64 s1, 1, v18
	v_dual_mov_b32 v3, v1 :: v_dual_mov_b32 v2, v0
	s_delay_alu instid0(VALU_DEP_2) | instskip(NEXT) | instid1(SALU_CYCLE_1)
	s_and_b32 s1, vcc_lo, s1
	s_and_saveexec_b32 s2, s1
	s_cbranch_execz .LBB216_4
; %bb.3:
	s_mov_b32 s7, 0
	s_delay_alu instid0(SALU_CYCLE_1) | instskip(NEXT) | instid1(SALU_CYCLE_1)
	s_lshl_b64 s[4:5], s[6:7], 3
	v_add_co_u32 v0, s1, v12, s4
	s_delay_alu instid0(VALU_DEP_1) | instskip(SKIP_1) | instid1(VALU_DEP_1)
	v_add_co_ci_u32_e64 v1, s1, s5, v13, s1
	v_add_co_u32 v2, s1, v8, s4
	v_add_co_ci_u32_e64 v3, s1, s5, v9, s1
	global_load_b64 v[0:1], v[0:1], off
	global_load_b64 v[2:3], v[2:3], off
.LBB216_4:
	s_or_b32 exec_lo, exec_lo, s2
	s_waitcnt vmcnt(1)
	v_add_f64 v[8:9], v[4:5], 0
	v_add_f64 v[12:13], v[0:1], 0
	v_mbcnt_lo_u32_b32 v19, -1, 0
	s_delay_alu instid0(VALU_DEP_1) | instskip(NEXT) | instid1(VALU_DEP_1)
	v_or_b32_e32 v14, 32, v19
	v_cmp_gt_i32_e64 s1, 64, v14
	s_delay_alu instid0(VALU_DEP_1) | instskip(NEXT) | instid1(VALU_DEP_1)
	v_cndmask_b32_e64 v14, v19, v14, s1
	v_lshlrev_b32_e32 v17, 2, v14
	ds_bpermute_b32 v14, v17, v8
	ds_bpermute_b32 v15, v17, v9
	ds_bpermute_b32 v16, v17, v12
	ds_bpermute_b32 v17, v17, v13
	s_waitcnt lgkmcnt(2)
	v_add_f64 v[8:9], v[8:9], v[14:15]
	v_xor_b32_e32 v14, 16, v19
	s_waitcnt lgkmcnt(0)
	v_add_f64 v[12:13], v[12:13], v[16:17]
	s_delay_alu instid0(VALU_DEP_2) | instskip(NEXT) | instid1(VALU_DEP_1)
	v_cmp_gt_i32_e64 s1, 64, v14
	v_cndmask_b32_e64 v14, v19, v14, s1
	s_delay_alu instid0(VALU_DEP_1)
	v_lshlrev_b32_e32 v17, 2, v14
	ds_bpermute_b32 v14, v17, v8
	ds_bpermute_b32 v15, v17, v9
	ds_bpermute_b32 v16, v17, v12
	ds_bpermute_b32 v17, v17, v13
	s_waitcnt lgkmcnt(2)
	v_add_f64 v[8:9], v[8:9], v[14:15]
	v_xor_b32_e32 v14, 8, v19
	s_waitcnt lgkmcnt(0)
	v_add_f64 v[12:13], v[12:13], v[16:17]
	s_delay_alu instid0(VALU_DEP_2) | instskip(NEXT) | instid1(VALU_DEP_1)
	v_cmp_gt_i32_e64 s1, 64, v14
	v_cndmask_b32_e64 v14, v19, v14, s1
	s_delay_alu instid0(VALU_DEP_1)
	;; [unrolled: 14-line block ×4, first 2 shown]
	v_lshlrev_b32_e32 v17, 2, v14
	ds_bpermute_b32 v14, v17, v8
	ds_bpermute_b32 v15, v17, v9
	;; [unrolled: 1-line block ×4, first 2 shown]
	s_waitcnt lgkmcnt(2)
	v_add_f64 v[14:15], v[8:9], v[14:15]
	s_waitcnt lgkmcnt(0)
	v_add_f64 v[8:9], v[12:13], v[16:17]
	v_xor_b32_e32 v12, 1, v19
	s_delay_alu instid0(VALU_DEP_1) | instskip(NEXT) | instid1(VALU_DEP_1)
	v_cmp_gt_i32_e64 s1, 64, v12
	v_cndmask_b32_e64 v12, v19, v12, s1
	s_delay_alu instid0(VALU_DEP_1)
	v_lshlrev_b32_e32 v13, 2, v12
	ds_bpermute_b32 v16, v13, v14
	ds_bpermute_b32 v17, v13, v15
	ds_bpermute_b32 v12, v13, v8
	ds_bpermute_b32 v13, v13, v9
	s_and_saveexec_b32 s1, s0
	s_cbranch_execz .LBB216_10
; %bb.5:
	v_add_co_u32 v10, s0, s8, v10
	s_delay_alu instid0(VALU_DEP_1)
	v_add_co_ci_u32_e64 v11, s0, s9, v11, s0
	s_and_saveexec_b32 s2, vcc_lo
	s_cbranch_execz .LBB216_7
; %bb.6:
	s_mov_b32 s0, 0x652b82fe
	s_mov_b32 s1, 0x3ff71547
	;; [unrolled: 1-line block ×3, first 2 shown]
	s_waitcnt vmcnt(0)
	v_mul_f64 v[19:20], v[6:7], s[0:1]
	s_mov_b32 s0, 0xfefa39ef
	s_mov_b32 s1, 0xbfe62e42
	;; [unrolled: 1-line block ×3, first 2 shown]
	s_delay_alu instid0(VALU_DEP_1) | instskip(NEXT) | instid1(VALU_DEP_1)
	v_rndne_f64_e32 v[19:20], v[19:20]
	v_fma_f64 v[21:22], v[19:20], s[0:1], v[6:7]
	s_mov_b32 s0, 0x3b39803f
	s_mov_b32 s1, 0xbc7abc9e
	v_cvt_i32_f64_e32 v25, v[19:20]
	s_delay_alu instid0(VALU_DEP_2)
	v_fma_f64 v[21:22], v[19:20], s[0:1], v[21:22]
	s_mov_b32 s0, 0xfca7ab0c
	s_mov_b32 s1, 0x3e928af3
	s_delay_alu instid0(VALU_DEP_1) | instid1(SALU_CYCLE_1)
	v_fma_f64 v[23:24], v[21:22], s[4:5], s[0:1]
	s_mov_b32 s0, 0x623fde64
	s_mov_b32 s1, 0x3ec71dee
	s_delay_alu instid0(VALU_DEP_1) | instid1(SALU_CYCLE_1)
	;; [unrolled: 4-line block ×9, first 2 shown]
	v_fma_f64 v[23:24], v[21:22], v[23:24], s[0:1]
	v_cmp_nlt_f64_e64 s0, 0x40900000, v[6:7]
	v_cmp_ngt_f64_e64 s1, 0xc090cc00, v[6:7]
	s_waitcnt lgkmcnt(2)
	v_add_f64 v[6:7], v[14:15], v[16:17]
	s_delay_alu instid0(VALU_DEP_4) | instskip(NEXT) | instid1(VALU_DEP_1)
	v_fma_f64 v[23:24], v[21:22], v[23:24], 1.0
	v_fma_f64 v[19:20], v[21:22], v[23:24], 1.0
	s_delay_alu instid0(VALU_DEP_1) | instskip(NEXT) | instid1(VALU_DEP_1)
	v_ldexp_f64 v[19:20], v[19:20], v25
	v_cndmask_b32_e64 v20, 0x7ff00000, v20, s0
	s_and_b32 s0, s1, s0
	s_delay_alu instid0(VALU_DEP_2) | instid1(SALU_CYCLE_1)
	v_cndmask_b32_e64 v14, 0, v19, s0
	s_delay_alu instid0(VALU_DEP_2) | instskip(NEXT) | instid1(VALU_DEP_1)
	v_cndmask_b32_e64 v15, 0, v20, s1
	v_fma_f64 v[4:5], -v[6:7], v[14:15], v[4:5]
	global_store_b64 v[10:11], v[4:5], off
.LBB216_7:
	s_or_b32 exec_lo, exec_lo, s2
	v_cmp_ne_u32_e64 s0, 1, v18
	s_delay_alu instid0(VALU_DEP_1)
	s_and_b32 exec_lo, exec_lo, s0
	s_cbranch_execz .LBB216_10
; %bb.8:
	s_and_b32 exec_lo, exec_lo, vcc_lo
	s_cbranch_execz .LBB216_10
; %bb.9:
	s_mov_b32 s0, 0x652b82fe
	s_mov_b32 s1, 0x3ff71547
	;; [unrolled: 1-line block ×3, first 2 shown]
	s_waitcnt vmcnt(0)
	v_mul_f64 v[4:5], v[2:3], s[0:1]
	s_mov_b32 s0, 0xfefa39ef
	s_mov_b32 s1, 0xbfe62e42
	;; [unrolled: 1-line block ×3, first 2 shown]
	v_cmp_nlt_f64_e32 vcc_lo, 0x40900000, v[2:3]
	s_mov_b32 s7, 0
	s_delay_alu instid0(VALU_DEP_2) | instskip(NEXT) | instid1(VALU_DEP_1)
	v_rndne_f64_e32 v[4:5], v[4:5]
	v_fma_f64 v[6:7], v[4:5], s[0:1], v[2:3]
	s_mov_b32 s0, 0x3b39803f
	s_mov_b32 s1, 0xbc7abc9e
	s_waitcnt lgkmcnt(3)
	v_cvt_i32_f64_e32 v16, v[4:5]
	s_delay_alu instid0(VALU_DEP_2)
	v_fma_f64 v[6:7], v[4:5], s[0:1], v[6:7]
	s_mov_b32 s0, 0xfca7ab0c
	s_mov_b32 s1, 0x3e928af3
	s_delay_alu instid0(VALU_DEP_1) | instid1(SALU_CYCLE_1)
	v_fma_f64 v[14:15], v[6:7], s[2:3], s[0:1]
	s_mov_b32 s0, 0x623fde64
	s_mov_b32 s1, 0x3ec71dee
	s_delay_alu instid0(VALU_DEP_1) | instid1(SALU_CYCLE_1)
	v_fma_f64 v[14:15], v[6:7], v[14:15], s[0:1]
	s_mov_b32 s0, 0x7c89e6b0
	s_mov_b32 s1, 0x3efa0199
	s_delay_alu instid0(VALU_DEP_1) | instid1(SALU_CYCLE_1)
	v_fma_f64 v[14:15], v[6:7], v[14:15], s[0:1]
	s_mov_b32 s0, 0x14761f6e
	s_mov_b32 s1, 0x3f2a01a0
	s_delay_alu instid0(VALU_DEP_1) | instid1(SALU_CYCLE_1)
	v_fma_f64 v[14:15], v[6:7], v[14:15], s[0:1]
	s_mov_b32 s0, 0x1852b7b0
	s_mov_b32 s1, 0x3f56c16c
	s_delay_alu instid0(VALU_DEP_1) | instid1(SALU_CYCLE_1)
	v_fma_f64 v[14:15], v[6:7], v[14:15], s[0:1]
	s_mov_b32 s0, 0x11122322
	s_mov_b32 s1, 0x3f811111
	s_delay_alu instid0(VALU_DEP_1) | instid1(SALU_CYCLE_1)
	v_fma_f64 v[14:15], v[6:7], v[14:15], s[0:1]
	s_mov_b32 s0, 0x555502a1
	s_mov_b32 s1, 0x3fa55555
	s_delay_alu instid0(VALU_DEP_1) | instid1(SALU_CYCLE_1)
	v_fma_f64 v[14:15], v[6:7], v[14:15], s[0:1]
	s_mov_b32 s0, 0x55555511
	s_mov_b32 s1, 0x3fc55555
	s_delay_alu instid0(VALU_DEP_1) | instid1(SALU_CYCLE_1)
	v_fma_f64 v[14:15], v[6:7], v[14:15], s[0:1]
	s_mov_b32 s0, 11
	s_mov_b32 s1, 0x3fe00000
	s_delay_alu instid0(VALU_DEP_1) | instid1(SALU_CYCLE_1)
	v_fma_f64 v[14:15], v[6:7], v[14:15], s[0:1]
	v_cmp_ngt_f64_e64 s0, 0xc090cc00, v[2:3]
	s_waitcnt lgkmcnt(0)
	v_add_f64 v[2:3], v[8:9], v[12:13]
	s_delay_alu instid0(VALU_DEP_3) | instskip(NEXT) | instid1(VALU_DEP_1)
	v_fma_f64 v[14:15], v[6:7], v[14:15], 1.0
	v_fma_f64 v[4:5], v[6:7], v[14:15], 1.0
	s_delay_alu instid0(VALU_DEP_1) | instskip(NEXT) | instid1(VALU_DEP_1)
	v_ldexp_f64 v[4:5], v[4:5], v16
	v_cndmask_b32_e32 v5, 0x7ff00000, v5, vcc_lo
	s_and_b32 vcc_lo, s0, vcc_lo
	s_delay_alu instid0(VALU_DEP_2) | instskip(NEXT) | instid1(VALU_DEP_2)
	v_cndmask_b32_e32 v4, 0, v4, vcc_lo
	v_cndmask_b32_e64 v5, 0, v5, s0
	s_lshl_b64 s[0:1], s[6:7], 3
	s_delay_alu instid0(VALU_DEP_1)
	v_fma_f64 v[0:1], -v[2:3], v[4:5], v[0:1]
	v_add_co_u32 v2, vcc_lo, v10, s0
	v_add_co_ci_u32_e32 v3, vcc_lo, s1, v11, vcc_lo
	global_store_b64 v[2:3], v[0:1], off
.LBB216_10:
	s_nop 0
	s_sendmsg sendmsg(MSG_DEALLOC_VGPRS)
	s_endpgm
	.section	.rodata,"a",@progbits
	.p2align	6, 0x0
	.amdhsa_kernel _ZN12_GLOBAL__N_121softmax_warp_backwardIdddLi6ELb1ELb0ELi64EEEvPT0_PKT_S5_iiiPKb
		.amdhsa_group_segment_fixed_size 0
		.amdhsa_private_segment_fixed_size 0
		.amdhsa_kernarg_size 304
		.amdhsa_user_sgpr_count 15
		.amdhsa_user_sgpr_dispatch_ptr 0
		.amdhsa_user_sgpr_queue_ptr 0
		.amdhsa_user_sgpr_kernarg_segment_ptr 1
		.amdhsa_user_sgpr_dispatch_id 0
		.amdhsa_user_sgpr_private_segment_size 0
		.amdhsa_wavefront_size32 1
		.amdhsa_uses_dynamic_stack 0
		.amdhsa_enable_private_segment 0
		.amdhsa_system_sgpr_workgroup_id_x 1
		.amdhsa_system_sgpr_workgroup_id_y 0
		.amdhsa_system_sgpr_workgroup_id_z 0
		.amdhsa_system_sgpr_workgroup_info 0
		.amdhsa_system_vgpr_workitem_id 1
		.amdhsa_next_free_vgpr 26
		.amdhsa_next_free_sgpr 16
		.amdhsa_reserve_vcc 1
		.amdhsa_float_round_mode_32 0
		.amdhsa_float_round_mode_16_64 0
		.amdhsa_float_denorm_mode_32 3
		.amdhsa_float_denorm_mode_16_64 3
		.amdhsa_dx10_clamp 1
		.amdhsa_ieee_mode 1
		.amdhsa_fp16_overflow 0
		.amdhsa_workgroup_processor_mode 1
		.amdhsa_memory_ordered 1
		.amdhsa_forward_progress 0
		.amdhsa_shared_vgpr_count 0
		.amdhsa_exception_fp_ieee_invalid_op 0
		.amdhsa_exception_fp_denorm_src 0
		.amdhsa_exception_fp_ieee_div_zero 0
		.amdhsa_exception_fp_ieee_overflow 0
		.amdhsa_exception_fp_ieee_underflow 0
		.amdhsa_exception_fp_ieee_inexact 0
		.amdhsa_exception_int_div_zero 0
	.end_amdhsa_kernel
	.section	.text._ZN12_GLOBAL__N_121softmax_warp_backwardIdddLi6ELb1ELb0ELi64EEEvPT0_PKT_S5_iiiPKb,"axG",@progbits,_ZN12_GLOBAL__N_121softmax_warp_backwardIdddLi6ELb1ELb0ELi64EEEvPT0_PKT_S5_iiiPKb,comdat
.Lfunc_end216:
	.size	_ZN12_GLOBAL__N_121softmax_warp_backwardIdddLi6ELb1ELb0ELi64EEEvPT0_PKT_S5_iiiPKb, .Lfunc_end216-_ZN12_GLOBAL__N_121softmax_warp_backwardIdddLi6ELb1ELb0ELi64EEEvPT0_PKT_S5_iiiPKb
                                        ; -- End function
	.section	.AMDGPU.csdata,"",@progbits
; Kernel info:
; codeLenInByte = 1904
; NumSgprs: 18
; NumVgprs: 26
; ScratchSize: 0
; MemoryBound: 0
; FloatMode: 240
; IeeeMode: 1
; LDSByteSize: 0 bytes/workgroup (compile time only)
; SGPRBlocks: 2
; VGPRBlocks: 3
; NumSGPRsForWavesPerEU: 18
; NumVGPRsForWavesPerEU: 26
; Occupancy: 16
; WaveLimiterHint : 0
; COMPUTE_PGM_RSRC2:SCRATCH_EN: 0
; COMPUTE_PGM_RSRC2:USER_SGPR: 15
; COMPUTE_PGM_RSRC2:TRAP_HANDLER: 0
; COMPUTE_PGM_RSRC2:TGID_X_EN: 1
; COMPUTE_PGM_RSRC2:TGID_Y_EN: 0
; COMPUTE_PGM_RSRC2:TGID_Z_EN: 0
; COMPUTE_PGM_RSRC2:TIDIG_COMP_CNT: 1
	.section	.text._ZN12_GLOBAL__N_121softmax_warp_backwardIdddLi6ELb1ELb0ELi32EEEvPT0_PKT_S5_iiiPKb,"axG",@progbits,_ZN12_GLOBAL__N_121softmax_warp_backwardIdddLi6ELb1ELb0ELi32EEEvPT0_PKT_S5_iiiPKb,comdat
	.globl	_ZN12_GLOBAL__N_121softmax_warp_backwardIdddLi6ELb1ELb0ELi32EEEvPT0_PKT_S5_iiiPKb ; -- Begin function _ZN12_GLOBAL__N_121softmax_warp_backwardIdddLi6ELb1ELb0ELi32EEEvPT0_PKT_S5_iiiPKb
	.p2align	8
	.type	_ZN12_GLOBAL__N_121softmax_warp_backwardIdddLi6ELb1ELb0ELi32EEEvPT0_PKT_S5_iiiPKb,@function
_ZN12_GLOBAL__N_121softmax_warp_backwardIdddLi6ELb1ELb0ELi32EEEvPT0_PKT_S5_iiiPKb: ; @_ZN12_GLOBAL__N_121softmax_warp_backwardIdddLi6ELb1ELb0ELi32EEEvPT0_PKT_S5_iiiPKb
; %bb.0:
	s_clause 0x1
	s_load_b32 s2, s[0:1], 0x3c
	s_load_b128 s[4:7], s[0:1], 0x18
	v_bfe_u32 v1, v0, 10, 10
	v_and_b32_e32 v0, 31, v0
	s_load_b128 s[8:11], s[0:1], 0x0
	v_mov_b32_e32 v10, 0
	v_mov_b32_e32 v11, 0
	s_delay_alu instid0(VALU_DEP_1) | instskip(SKIP_3) | instid1(SALU_CYCLE_1)
	v_dual_mov_b32 v15, v11 :: v_dual_mov_b32 v14, v10
	v_dual_mov_b32 v17, v11 :: v_dual_mov_b32 v16, v10
	s_waitcnt lgkmcnt(0)
	s_lshr_b32 s2, s2, 16
	s_mul_i32 s15, s15, s2
	s_load_b64 s[2:3], s[0:1], 0x10
	v_add_lshl_u32 v3, s15, v1, 1
	v_cmp_gt_i32_e64 s0, s6, v0
	s_delay_alu instid0(VALU_DEP_2) | instskip(SKIP_1) | instid1(VALU_DEP_1)
	v_mad_u64_u32 v[1:2], null, v3, s5, v[0:1]
	v_sub_nc_u32_e32 v26, s4, v3
	v_cmp_lt_i32_e64 s1, 0, v26
	s_delay_alu instid0(VALU_DEP_3) | instskip(NEXT) | instid1(VALU_DEP_1)
	v_ashrrev_i32_e32 v2, 31, v1
	v_lshlrev_b64 v[8:9], 3, v[1:2]
	s_delay_alu instid0(VALU_DEP_1) | instskip(NEXT) | instid1(VALU_DEP_2)
	v_add_co_u32 v20, vcc_lo, s10, v8
	v_add_co_ci_u32_e32 v21, vcc_lo, s11, v9, vcc_lo
	s_waitcnt lgkmcnt(0)
	v_add_co_u32 v18, vcc_lo, s2, v8
	v_add_co_ci_u32_e32 v19, vcc_lo, s3, v9, vcc_lo
	s_and_b32 s3, s1, s0
	s_delay_alu instid0(SALU_CYCLE_1)
	s_and_saveexec_b32 s2, s3
	s_cbranch_execz .LBB217_2
; %bb.1:
	global_load_b64 v[14:15], v[20:21], off
	global_load_b64 v[16:17], v[18:19], off
.LBB217_2:
	s_or_b32 exec_lo, exec_lo, s2
	v_or_b32_e32 v0, 32, v0
	v_dual_mov_b32 v13, v11 :: v_dual_mov_b32 v12, v10
	s_delay_alu instid0(VALU_DEP_2) | instskip(SKIP_1) | instid1(SALU_CYCLE_1)
	v_cmp_gt_i32_e32 vcc_lo, s6, v0
	s_and_b32 s3, s1, vcc_lo
	s_and_saveexec_b32 s2, s3
	s_cbranch_execz .LBB217_4
; %bb.3:
	global_load_b64 v[10:11], v[20:21], off offset:256
	global_load_b64 v[12:13], v[18:19], off offset:256
.LBB217_4:
	s_or_b32 exec_lo, exec_lo, s2
	v_mov_b32_e32 v0, 0
	v_mov_b32_e32 v1, 0
	v_cmp_lt_i32_e64 s2, 1, v26
	s_delay_alu instid0(VALU_DEP_2) | instskip(SKIP_1) | instid1(VALU_DEP_3)
	v_dual_mov_b32 v5, v1 :: v_dual_mov_b32 v4, v0
	v_dual_mov_b32 v7, v1 :: v_dual_mov_b32 v6, v0
	s_and_b32 s3, s2, s0
	s_delay_alu instid0(SALU_CYCLE_1)
	s_and_saveexec_b32 s4, s3
	s_cbranch_execz .LBB217_6
; %bb.5:
	s_mov_b32 s7, 0
	s_delay_alu instid0(SALU_CYCLE_1) | instskip(NEXT) | instid1(SALU_CYCLE_1)
	s_lshl_b64 s[10:11], s[6:7], 3
	v_add_co_u32 v2, s3, v20, s10
	s_delay_alu instid0(VALU_DEP_1) | instskip(SKIP_1) | instid1(VALU_DEP_1)
	v_add_co_ci_u32_e64 v3, s3, s11, v21, s3
	v_add_co_u32 v6, s3, v18, s10
	v_add_co_ci_u32_e64 v7, s3, s11, v19, s3
	global_load_b64 v[4:5], v[2:3], off
	global_load_b64 v[6:7], v[6:7], off
.LBB217_6:
	s_or_b32 exec_lo, exec_lo, s4
	v_dual_mov_b32 v3, v1 :: v_dual_mov_b32 v2, v0
	s_and_b32 s2, s2, vcc_lo
	s_delay_alu instid0(SALU_CYCLE_1)
	s_and_saveexec_b32 s3, s2
	s_cbranch_execz .LBB217_8
; %bb.7:
	s_mov_b32 s7, 0
	s_delay_alu instid0(SALU_CYCLE_1) | instskip(NEXT) | instid1(SALU_CYCLE_1)
	s_lshl_b64 s[4:5], s[6:7], 3
	v_add_co_u32 v0, s2, v20, s4
	s_delay_alu instid0(VALU_DEP_1) | instskip(SKIP_1) | instid1(VALU_DEP_1)
	v_add_co_ci_u32_e64 v1, s2, s5, v21, s2
	v_add_co_u32 v2, s2, v18, s4
	v_add_co_ci_u32_e64 v3, s2, s5, v19, s2
	global_load_b64 v[0:1], v[0:1], off offset:256
	global_load_b64 v[2:3], v[2:3], off offset:256
.LBB217_8:
	s_or_b32 exec_lo, exec_lo, s3
	s_waitcnt vmcnt(1)
	v_add_f64 v[18:19], v[14:15], 0
	v_add_f64 v[20:21], v[4:5], 0
	v_mbcnt_lo_u32_b32 v27, -1, 0
	s_delay_alu instid0(VALU_DEP_1) | instskip(NEXT) | instid1(VALU_DEP_1)
	v_xor_b32_e32 v22, 16, v27
	v_cmp_gt_i32_e64 s2, 32, v22
	s_delay_alu instid0(VALU_DEP_1) | instskip(NEXT) | instid1(VALU_DEP_1)
	v_cndmask_b32_e64 v22, v27, v22, s2
	v_lshlrev_b32_e32 v25, 2, v22
	v_add_f64 v[18:19], v[18:19], v[10:11]
	v_add_f64 v[20:21], v[20:21], v[0:1]
	ds_bpermute_b32 v22, v25, v18
	ds_bpermute_b32 v23, v25, v19
	ds_bpermute_b32 v24, v25, v20
	ds_bpermute_b32 v25, v25, v21
	s_waitcnt lgkmcnt(2)
	v_add_f64 v[18:19], v[18:19], v[22:23]
	v_xor_b32_e32 v22, 8, v27
	s_waitcnt lgkmcnt(0)
	v_add_f64 v[20:21], v[20:21], v[24:25]
	s_delay_alu instid0(VALU_DEP_2) | instskip(NEXT) | instid1(VALU_DEP_1)
	v_cmp_gt_i32_e64 s2, 32, v22
	v_cndmask_b32_e64 v22, v27, v22, s2
	s_delay_alu instid0(VALU_DEP_1)
	v_lshlrev_b32_e32 v25, 2, v22
	ds_bpermute_b32 v22, v25, v18
	ds_bpermute_b32 v23, v25, v19
	ds_bpermute_b32 v24, v25, v20
	ds_bpermute_b32 v25, v25, v21
	s_waitcnt lgkmcnt(2)
	v_add_f64 v[18:19], v[18:19], v[22:23]
	v_xor_b32_e32 v22, 4, v27
	s_waitcnt lgkmcnt(0)
	v_add_f64 v[20:21], v[20:21], v[24:25]
	s_delay_alu instid0(VALU_DEP_2) | instskip(NEXT) | instid1(VALU_DEP_1)
	v_cmp_gt_i32_e64 s2, 32, v22
	v_cndmask_b32_e64 v22, v27, v22, s2
	s_delay_alu instid0(VALU_DEP_1)
	v_lshlrev_b32_e32 v25, 2, v22
	;; [unrolled: 14-line block ×3, first 2 shown]
	ds_bpermute_b32 v22, v25, v18
	ds_bpermute_b32 v23, v25, v19
	;; [unrolled: 1-line block ×4, first 2 shown]
	s_waitcnt lgkmcnt(2)
	v_add_f64 v[22:23], v[18:19], v[22:23]
	s_waitcnt lgkmcnt(0)
	v_add_f64 v[18:19], v[20:21], v[24:25]
	v_xor_b32_e32 v20, 1, v27
	s_delay_alu instid0(VALU_DEP_1) | instskip(NEXT) | instid1(VALU_DEP_1)
	v_cmp_gt_i32_e64 s2, 32, v20
	v_cndmask_b32_e64 v20, v27, v20, s2
	s_delay_alu instid0(VALU_DEP_1)
	v_lshlrev_b32_e32 v21, 2, v20
	ds_bpermute_b32 v24, v21, v22
	ds_bpermute_b32 v25, v21, v23
	;; [unrolled: 1-line block ×4, first 2 shown]
	s_and_saveexec_b32 s2, s1
	s_cbranch_execz .LBB217_12
; %bb.9:
	s_waitcnt lgkmcnt(2)
	v_add_f64 v[22:23], v[22:23], v[24:25]
	v_add_co_u32 v8, s1, s8, v8
	s_delay_alu instid0(VALU_DEP_1)
	v_add_co_ci_u32_e64 v9, s1, s9, v9, s1
	s_and_saveexec_b32 s3, s0
	s_cbranch_execnz .LBB217_13
; %bb.10:
	s_or_b32 exec_lo, exec_lo, s3
	s_and_saveexec_b32 s3, vcc_lo
	s_cbranch_execnz .LBB217_14
.LBB217_11:
	s_or_b32 exec_lo, exec_lo, s3
	v_cmp_ne_u32_e64 s1, 1, v26
	s_delay_alu instid0(VALU_DEP_1)
	s_and_b32 exec_lo, exec_lo, s1
	s_cbranch_execnz .LBB217_15
.LBB217_12:
	s_nop 0
	s_sendmsg sendmsg(MSG_DEALLOC_VGPRS)
	s_endpgm
.LBB217_13:
	s_mov_b32 s4, 0x652b82fe
	s_mov_b32 s5, 0x3ff71547
	;; [unrolled: 1-line block ×3, first 2 shown]
	s_waitcnt vmcnt(0)
	v_mul_f64 v[24:25], v[16:17], s[4:5]
	s_mov_b32 s4, 0xfefa39ef
	s_mov_b32 s5, 0xbfe62e42
	;; [unrolled: 1-line block ×3, first 2 shown]
	v_cmp_nlt_f64_e64 s1, 0x40900000, v[16:17]
	v_cmp_ngt_f64_e64 s2, 0xc090cc00, v[16:17]
	s_delay_alu instid0(VALU_DEP_3) | instskip(NEXT) | instid1(VALU_DEP_1)
	v_rndne_f64_e32 v[24:25], v[24:25]
	v_fma_f64 v[27:28], v[24:25], s[4:5], v[16:17]
	s_mov_b32 s4, 0x3b39803f
	s_mov_b32 s5, 0xbc7abc9e
	v_cvt_i32_f64_e32 v31, v[24:25]
	s_delay_alu instid0(VALU_DEP_2)
	v_fma_f64 v[27:28], v[24:25], s[4:5], v[27:28]
	s_mov_b32 s4, 0xfca7ab0c
	s_mov_b32 s5, 0x3e928af3
	s_delay_alu instid0(VALU_DEP_1) | instid1(SALU_CYCLE_1)
	v_fma_f64 v[29:30], v[27:28], s[8:9], s[4:5]
	s_mov_b32 s4, 0x623fde64
	s_mov_b32 s5, 0x3ec71dee
	s_delay_alu instid0(VALU_DEP_1) | instid1(SALU_CYCLE_1)
	;; [unrolled: 4-line block ×9, first 2 shown]
	v_fma_f64 v[29:30], v[27:28], v[29:30], s[4:5]
	s_delay_alu instid0(VALU_DEP_1) | instskip(NEXT) | instid1(VALU_DEP_1)
	v_fma_f64 v[29:30], v[27:28], v[29:30], 1.0
	v_fma_f64 v[24:25], v[27:28], v[29:30], 1.0
	s_delay_alu instid0(VALU_DEP_1) | instskip(NEXT) | instid1(VALU_DEP_1)
	v_ldexp_f64 v[24:25], v[24:25], v31
	v_cndmask_b32_e64 v25, 0x7ff00000, v25, s1
	s_and_b32 s1, s2, s1
	s_delay_alu instid0(VALU_DEP_2) | instid1(SALU_CYCLE_1)
	v_cndmask_b32_e64 v16, 0, v24, s1
	s_delay_alu instid0(VALU_DEP_2) | instskip(NEXT) | instid1(VALU_DEP_1)
	v_cndmask_b32_e64 v17, 0, v25, s2
	v_fma_f64 v[14:15], -v[22:23], v[16:17], v[14:15]
	global_store_b64 v[8:9], v[14:15], off
	s_or_b32 exec_lo, exec_lo, s3
	s_and_saveexec_b32 s3, vcc_lo
	s_cbranch_execz .LBB217_11
.LBB217_14:
	s_mov_b32 s4, 0x652b82fe
	s_mov_b32 s5, 0x3ff71547
	s_mov_b32 s8, 0x6a5dcb37
	s_waitcnt vmcnt(0)
	v_mul_f64 v[14:15], v[12:13], s[4:5]
	s_mov_b32 s4, 0xfefa39ef
	s_mov_b32 s5, 0xbfe62e42
	;; [unrolled: 1-line block ×3, first 2 shown]
	v_cmp_nlt_f64_e64 s1, 0x40900000, v[12:13]
	v_cmp_ngt_f64_e64 s2, 0xc090cc00, v[12:13]
	s_delay_alu instid0(VALU_DEP_3) | instskip(NEXT) | instid1(VALU_DEP_1)
	v_rndne_f64_e32 v[14:15], v[14:15]
	v_fma_f64 v[16:17], v[14:15], s[4:5], v[12:13]
	s_mov_b32 s4, 0x3b39803f
	s_mov_b32 s5, 0xbc7abc9e
	v_cvt_i32_f64_e32 v27, v[14:15]
	s_delay_alu instid0(VALU_DEP_2)
	v_fma_f64 v[16:17], v[14:15], s[4:5], v[16:17]
	s_mov_b32 s4, 0xfca7ab0c
	s_mov_b32 s5, 0x3e928af3
	s_delay_alu instid0(VALU_DEP_1) | instid1(SALU_CYCLE_1)
	v_fma_f64 v[24:25], v[16:17], s[8:9], s[4:5]
	s_mov_b32 s4, 0x623fde64
	s_mov_b32 s5, 0x3ec71dee
	s_delay_alu instid0(VALU_DEP_1) | instid1(SALU_CYCLE_1)
	;; [unrolled: 4-line block ×9, first 2 shown]
	v_fma_f64 v[24:25], v[16:17], v[24:25], s[4:5]
	s_delay_alu instid0(VALU_DEP_1) | instskip(NEXT) | instid1(VALU_DEP_1)
	v_fma_f64 v[24:25], v[16:17], v[24:25], 1.0
	v_fma_f64 v[14:15], v[16:17], v[24:25], 1.0
	s_delay_alu instid0(VALU_DEP_1) | instskip(NEXT) | instid1(VALU_DEP_1)
	v_ldexp_f64 v[14:15], v[14:15], v27
	v_cndmask_b32_e64 v15, 0x7ff00000, v15, s1
	s_and_b32 s1, s2, s1
	s_delay_alu instid0(VALU_DEP_2) | instid1(SALU_CYCLE_1)
	v_cndmask_b32_e64 v12, 0, v14, s1
	s_delay_alu instid0(VALU_DEP_2) | instskip(NEXT) | instid1(VALU_DEP_1)
	v_cndmask_b32_e64 v13, 0, v15, s2
	v_fma_f64 v[10:11], -v[22:23], v[12:13], v[10:11]
	global_store_b64 v[8:9], v[10:11], off offset:256
	s_or_b32 exec_lo, exec_lo, s3
	v_cmp_ne_u32_e64 s1, 1, v26
	s_delay_alu instid0(VALU_DEP_1)
	s_and_b32 exec_lo, exec_lo, s1
	s_cbranch_execz .LBB217_12
.LBB217_15:
	s_waitcnt lgkmcnt(0)
	v_add_f64 v[10:11], v[18:19], v[20:21]
	s_and_saveexec_b32 s2, s0
	s_cbranch_execz .LBB217_17
; %bb.16:
	s_mov_b32 s0, 0x652b82fe
	s_mov_b32 s1, 0x3ff71547
	;; [unrolled: 1-line block ×3, first 2 shown]
	s_waitcnt vmcnt(0)
	v_mul_f64 v[12:13], v[6:7], s[0:1]
	s_mov_b32 s0, 0xfefa39ef
	s_mov_b32 s1, 0xbfe62e42
	;; [unrolled: 1-line block ×4, first 2 shown]
	s_delay_alu instid0(VALU_DEP_1) | instskip(NEXT) | instid1(VALU_DEP_1)
	v_rndne_f64_e32 v[12:13], v[12:13]
	v_fma_f64 v[14:15], v[12:13], s[0:1], v[6:7]
	s_mov_b32 s0, 0x3b39803f
	s_mov_b32 s1, 0xbc7abc9e
	v_cvt_i32_f64_e32 v18, v[12:13]
	s_delay_alu instid0(VALU_DEP_2)
	v_fma_f64 v[14:15], v[12:13], s[0:1], v[14:15]
	s_mov_b32 s0, 0xfca7ab0c
	s_mov_b32 s1, 0x3e928af3
	s_delay_alu instid0(VALU_DEP_1) | instid1(SALU_CYCLE_1)
	v_fma_f64 v[16:17], v[14:15], s[4:5], s[0:1]
	s_mov_b32 s0, 0x623fde64
	s_mov_b32 s1, 0x3ec71dee
	s_delay_alu instid0(VALU_DEP_1) | instid1(SALU_CYCLE_1)
	;; [unrolled: 4-line block ×9, first 2 shown]
	v_fma_f64 v[16:17], v[14:15], v[16:17], s[0:1]
	v_cmp_nlt_f64_e64 s0, 0x40900000, v[6:7]
	v_cmp_ngt_f64_e64 s1, 0xc090cc00, v[6:7]
	s_delay_alu instid0(VALU_DEP_3) | instskip(NEXT) | instid1(VALU_DEP_1)
	v_fma_f64 v[16:17], v[14:15], v[16:17], 1.0
	v_fma_f64 v[12:13], v[14:15], v[16:17], 1.0
	s_delay_alu instid0(VALU_DEP_1) | instskip(NEXT) | instid1(VALU_DEP_1)
	v_ldexp_f64 v[12:13], v[12:13], v18
	v_cndmask_b32_e64 v13, 0x7ff00000, v13, s0
	s_and_b32 s0, s1, s0
	s_delay_alu instid0(VALU_DEP_2) | instid1(SALU_CYCLE_1)
	v_cndmask_b32_e64 v6, 0, v12, s0
	s_delay_alu instid0(VALU_DEP_2) | instskip(SKIP_1) | instid1(VALU_DEP_1)
	v_cndmask_b32_e64 v7, 0, v13, s1
	s_lshl_b64 s[0:1], s[6:7], 3
	v_fma_f64 v[4:5], -v[10:11], v[6:7], v[4:5]
	v_add_co_u32 v6, s0, v8, s0
	s_delay_alu instid0(VALU_DEP_1)
	v_add_co_ci_u32_e64 v7, s0, s1, v9, s0
	global_store_b64 v[6:7], v[4:5], off
.LBB217_17:
	s_or_b32 exec_lo, exec_lo, s2
	s_delay_alu instid0(SALU_CYCLE_1)
	s_and_b32 exec_lo, exec_lo, vcc_lo
	s_cbranch_execz .LBB217_12
; %bb.18:
	s_mov_b32 s0, 0x652b82fe
	s_mov_b32 s1, 0x3ff71547
	;; [unrolled: 1-line block ×3, first 2 shown]
	s_waitcnt vmcnt(0)
	v_mul_f64 v[4:5], v[2:3], s[0:1]
	s_mov_b32 s0, 0xfefa39ef
	s_mov_b32 s1, 0xbfe62e42
	;; [unrolled: 1-line block ×3, first 2 shown]
	v_cmp_nlt_f64_e32 vcc_lo, 0x40900000, v[2:3]
	s_ashr_i32 s7, s6, 31
	s_delay_alu instid0(VALU_DEP_2) | instskip(NEXT) | instid1(VALU_DEP_1)
	v_rndne_f64_e32 v[4:5], v[4:5]
	v_fma_f64 v[6:7], v[4:5], s[0:1], v[2:3]
	s_mov_b32 s0, 0x3b39803f
	s_mov_b32 s1, 0xbc7abc9e
	v_cvt_i32_f64_e32 v14, v[4:5]
	s_delay_alu instid0(VALU_DEP_2)
	v_fma_f64 v[6:7], v[4:5], s[0:1], v[6:7]
	s_mov_b32 s0, 0xfca7ab0c
	s_mov_b32 s1, 0x3e928af3
	s_delay_alu instid0(VALU_DEP_1) | instid1(SALU_CYCLE_1)
	v_fma_f64 v[12:13], v[6:7], s[2:3], s[0:1]
	s_mov_b32 s0, 0x623fde64
	s_mov_b32 s1, 0x3ec71dee
	s_delay_alu instid0(VALU_DEP_1) | instid1(SALU_CYCLE_1)
	v_fma_f64 v[12:13], v[6:7], v[12:13], s[0:1]
	s_mov_b32 s0, 0x7c89e6b0
	s_mov_b32 s1, 0x3efa0199
	s_delay_alu instid0(VALU_DEP_1) | instid1(SALU_CYCLE_1)
	v_fma_f64 v[12:13], v[6:7], v[12:13], s[0:1]
	s_mov_b32 s0, 0x14761f6e
	s_mov_b32 s1, 0x3f2a01a0
	s_delay_alu instid0(VALU_DEP_1) | instid1(SALU_CYCLE_1)
	v_fma_f64 v[12:13], v[6:7], v[12:13], s[0:1]
	s_mov_b32 s0, 0x1852b7b0
	s_mov_b32 s1, 0x3f56c16c
	s_delay_alu instid0(VALU_DEP_1) | instid1(SALU_CYCLE_1)
	v_fma_f64 v[12:13], v[6:7], v[12:13], s[0:1]
	s_mov_b32 s0, 0x11122322
	s_mov_b32 s1, 0x3f811111
	s_delay_alu instid0(VALU_DEP_1) | instid1(SALU_CYCLE_1)
	v_fma_f64 v[12:13], v[6:7], v[12:13], s[0:1]
	s_mov_b32 s0, 0x555502a1
	s_mov_b32 s1, 0x3fa55555
	s_delay_alu instid0(VALU_DEP_1) | instid1(SALU_CYCLE_1)
	v_fma_f64 v[12:13], v[6:7], v[12:13], s[0:1]
	s_mov_b32 s0, 0x55555511
	s_mov_b32 s1, 0x3fc55555
	s_delay_alu instid0(VALU_DEP_1) | instid1(SALU_CYCLE_1)
	v_fma_f64 v[12:13], v[6:7], v[12:13], s[0:1]
	s_mov_b32 s0, 11
	s_mov_b32 s1, 0x3fe00000
	s_delay_alu instid0(VALU_DEP_1) | instid1(SALU_CYCLE_1)
	v_fma_f64 v[12:13], v[6:7], v[12:13], s[0:1]
	v_cmp_ngt_f64_e64 s0, 0xc090cc00, v[2:3]
	s_delay_alu instid0(VALU_DEP_2) | instskip(NEXT) | instid1(VALU_DEP_1)
	v_fma_f64 v[12:13], v[6:7], v[12:13], 1.0
	v_fma_f64 v[4:5], v[6:7], v[12:13], 1.0
	s_delay_alu instid0(VALU_DEP_1) | instskip(NEXT) | instid1(VALU_DEP_1)
	v_ldexp_f64 v[4:5], v[4:5], v14
	v_cndmask_b32_e32 v5, 0x7ff00000, v5, vcc_lo
	s_and_b32 vcc_lo, s0, vcc_lo
	s_delay_alu instid0(VALU_DEP_2) | instskip(NEXT) | instid1(VALU_DEP_2)
	v_cndmask_b32_e32 v2, 0, v4, vcc_lo
	v_cndmask_b32_e64 v3, 0, v5, s0
	s_lshl_b64 s[0:1], s[6:7], 3
	s_delay_alu instid0(VALU_DEP_1)
	v_fma_f64 v[0:1], -v[10:11], v[2:3], v[0:1]
	v_add_co_u32 v2, vcc_lo, v8, s0
	v_add_co_ci_u32_e32 v3, vcc_lo, s1, v9, vcc_lo
	global_store_b64 v[2:3], v[0:1], off offset:256
	s_nop 0
	s_sendmsg sendmsg(MSG_DEALLOC_VGPRS)
	s_endpgm
	.section	.rodata,"a",@progbits
	.p2align	6, 0x0
	.amdhsa_kernel _ZN12_GLOBAL__N_121softmax_warp_backwardIdddLi6ELb1ELb0ELi32EEEvPT0_PKT_S5_iiiPKb
		.amdhsa_group_segment_fixed_size 0
		.amdhsa_private_segment_fixed_size 0
		.amdhsa_kernarg_size 304
		.amdhsa_user_sgpr_count 15
		.amdhsa_user_sgpr_dispatch_ptr 0
		.amdhsa_user_sgpr_queue_ptr 0
		.amdhsa_user_sgpr_kernarg_segment_ptr 1
		.amdhsa_user_sgpr_dispatch_id 0
		.amdhsa_user_sgpr_private_segment_size 0
		.amdhsa_wavefront_size32 1
		.amdhsa_uses_dynamic_stack 0
		.amdhsa_enable_private_segment 0
		.amdhsa_system_sgpr_workgroup_id_x 1
		.amdhsa_system_sgpr_workgroup_id_y 0
		.amdhsa_system_sgpr_workgroup_id_z 0
		.amdhsa_system_sgpr_workgroup_info 0
		.amdhsa_system_vgpr_workitem_id 1
		.amdhsa_next_free_vgpr 32
		.amdhsa_next_free_sgpr 16
		.amdhsa_reserve_vcc 1
		.amdhsa_float_round_mode_32 0
		.amdhsa_float_round_mode_16_64 0
		.amdhsa_float_denorm_mode_32 3
		.amdhsa_float_denorm_mode_16_64 3
		.amdhsa_dx10_clamp 1
		.amdhsa_ieee_mode 1
		.amdhsa_fp16_overflow 0
		.amdhsa_workgroup_processor_mode 1
		.amdhsa_memory_ordered 1
		.amdhsa_forward_progress 0
		.amdhsa_shared_vgpr_count 0
		.amdhsa_exception_fp_ieee_invalid_op 0
		.amdhsa_exception_fp_denorm_src 0
		.amdhsa_exception_fp_ieee_div_zero 0
		.amdhsa_exception_fp_ieee_overflow 0
		.amdhsa_exception_fp_ieee_underflow 0
		.amdhsa_exception_fp_ieee_inexact 0
		.amdhsa_exception_int_div_zero 0
	.end_amdhsa_kernel
	.section	.text._ZN12_GLOBAL__N_121softmax_warp_backwardIdddLi6ELb1ELb0ELi32EEEvPT0_PKT_S5_iiiPKb,"axG",@progbits,_ZN12_GLOBAL__N_121softmax_warp_backwardIdddLi6ELb1ELb0ELi32EEEvPT0_PKT_S5_iiiPKb,comdat
.Lfunc_end217:
	.size	_ZN12_GLOBAL__N_121softmax_warp_backwardIdddLi6ELb1ELb0ELi32EEEvPT0_PKT_S5_iiiPKb, .Lfunc_end217-_ZN12_GLOBAL__N_121softmax_warp_backwardIdddLi6ELb1ELb0ELi32EEEvPT0_PKT_S5_iiiPKb
                                        ; -- End function
	.section	.AMDGPU.csdata,"",@progbits
; Kernel info:
; codeLenInByte = 3024
; NumSgprs: 18
; NumVgprs: 32
; ScratchSize: 0
; MemoryBound: 0
; FloatMode: 240
; IeeeMode: 1
; LDSByteSize: 0 bytes/workgroup (compile time only)
; SGPRBlocks: 2
; VGPRBlocks: 3
; NumSGPRsForWavesPerEU: 18
; NumVGPRsForWavesPerEU: 32
; Occupancy: 16
; WaveLimiterHint : 0
; COMPUTE_PGM_RSRC2:SCRATCH_EN: 0
; COMPUTE_PGM_RSRC2:USER_SGPR: 15
; COMPUTE_PGM_RSRC2:TRAP_HANDLER: 0
; COMPUTE_PGM_RSRC2:TGID_X_EN: 1
; COMPUTE_PGM_RSRC2:TGID_Y_EN: 0
; COMPUTE_PGM_RSRC2:TGID_Z_EN: 0
; COMPUTE_PGM_RSRC2:TIDIG_COMP_CNT: 1
	.section	.text._ZN12_GLOBAL__N_121softmax_warp_backwardIdddLi7ELb1ELb0ELi64EEEvPT0_PKT_S5_iiiPKb,"axG",@progbits,_ZN12_GLOBAL__N_121softmax_warp_backwardIdddLi7ELb1ELb0ELi64EEEvPT0_PKT_S5_iiiPKb,comdat
	.globl	_ZN12_GLOBAL__N_121softmax_warp_backwardIdddLi7ELb1ELb0ELi64EEEvPT0_PKT_S5_iiiPKb ; -- Begin function _ZN12_GLOBAL__N_121softmax_warp_backwardIdddLi7ELb1ELb0ELi64EEEvPT0_PKT_S5_iiiPKb
	.p2align	8
	.type	_ZN12_GLOBAL__N_121softmax_warp_backwardIdddLi7ELb1ELb0ELi64EEEvPT0_PKT_S5_iiiPKb,@function
_ZN12_GLOBAL__N_121softmax_warp_backwardIdddLi7ELb1ELb0ELi64EEEvPT0_PKT_S5_iiiPKb: ; @_ZN12_GLOBAL__N_121softmax_warp_backwardIdddLi7ELb1ELb0ELi64EEEvPT0_PKT_S5_iiiPKb
; %bb.0:
	s_clause 0x1
	s_load_b32 s2, s[0:1], 0x3c
	s_load_b128 s[4:7], s[0:1], 0x18
	v_bfe_u32 v1, v0, 10, 10
	v_and_b32_e32 v0, 63, v0
	s_load_b128 s[8:11], s[0:1], 0x0
	v_mov_b32_e32 v10, 0
	v_mov_b32_e32 v11, 0
	s_delay_alu instid0(VALU_DEP_1) | instskip(SKIP_3) | instid1(SALU_CYCLE_1)
	v_dual_mov_b32 v15, v11 :: v_dual_mov_b32 v14, v10
	v_dual_mov_b32 v17, v11 :: v_dual_mov_b32 v16, v10
	s_waitcnt lgkmcnt(0)
	s_lshr_b32 s2, s2, 16
	s_mul_i32 s15, s15, s2
	s_load_b64 s[2:3], s[0:1], 0x10
	v_add_lshl_u32 v3, s15, v1, 1
	v_cmp_gt_i32_e64 s0, s6, v0
	s_delay_alu instid0(VALU_DEP_2) | instskip(SKIP_1) | instid1(VALU_DEP_1)
	v_mad_u64_u32 v[1:2], null, v3, s5, v[0:1]
	v_sub_nc_u32_e32 v26, s4, v3
	v_cmp_lt_i32_e64 s1, 0, v26
	s_delay_alu instid0(VALU_DEP_3) | instskip(NEXT) | instid1(VALU_DEP_1)
	v_ashrrev_i32_e32 v2, 31, v1
	v_lshlrev_b64 v[8:9], 3, v[1:2]
	s_delay_alu instid0(VALU_DEP_1) | instskip(NEXT) | instid1(VALU_DEP_2)
	v_add_co_u32 v20, vcc_lo, s10, v8
	v_add_co_ci_u32_e32 v21, vcc_lo, s11, v9, vcc_lo
	s_waitcnt lgkmcnt(0)
	v_add_co_u32 v18, vcc_lo, s2, v8
	v_add_co_ci_u32_e32 v19, vcc_lo, s3, v9, vcc_lo
	s_and_b32 s3, s1, s0
	s_delay_alu instid0(SALU_CYCLE_1)
	s_and_saveexec_b32 s2, s3
	s_cbranch_execz .LBB218_2
; %bb.1:
	global_load_b64 v[14:15], v[20:21], off
	global_load_b64 v[16:17], v[18:19], off
.LBB218_2:
	s_or_b32 exec_lo, exec_lo, s2
	v_or_b32_e32 v0, 64, v0
	v_dual_mov_b32 v13, v11 :: v_dual_mov_b32 v12, v10
	s_delay_alu instid0(VALU_DEP_2) | instskip(SKIP_1) | instid1(SALU_CYCLE_1)
	v_cmp_gt_i32_e32 vcc_lo, s6, v0
	s_and_b32 s3, s1, vcc_lo
	s_and_saveexec_b32 s2, s3
	s_cbranch_execz .LBB218_4
; %bb.3:
	global_load_b64 v[10:11], v[20:21], off offset:512
	global_load_b64 v[12:13], v[18:19], off offset:512
.LBB218_4:
	s_or_b32 exec_lo, exec_lo, s2
	v_mov_b32_e32 v0, 0
	v_mov_b32_e32 v1, 0
	v_cmp_lt_i32_e64 s2, 1, v26
	s_delay_alu instid0(VALU_DEP_2) | instskip(SKIP_1) | instid1(VALU_DEP_3)
	v_dual_mov_b32 v5, v1 :: v_dual_mov_b32 v4, v0
	v_dual_mov_b32 v7, v1 :: v_dual_mov_b32 v6, v0
	s_and_b32 s3, s2, s0
	s_delay_alu instid0(SALU_CYCLE_1)
	s_and_saveexec_b32 s4, s3
	s_cbranch_execz .LBB218_6
; %bb.5:
	s_mov_b32 s7, 0
	s_delay_alu instid0(SALU_CYCLE_1) | instskip(NEXT) | instid1(SALU_CYCLE_1)
	s_lshl_b64 s[10:11], s[6:7], 3
	v_add_co_u32 v2, s3, v20, s10
	s_delay_alu instid0(VALU_DEP_1) | instskip(SKIP_1) | instid1(VALU_DEP_1)
	v_add_co_ci_u32_e64 v3, s3, s11, v21, s3
	v_add_co_u32 v6, s3, v18, s10
	v_add_co_ci_u32_e64 v7, s3, s11, v19, s3
	global_load_b64 v[4:5], v[2:3], off
	global_load_b64 v[6:7], v[6:7], off
.LBB218_6:
	s_or_b32 exec_lo, exec_lo, s4
	v_dual_mov_b32 v3, v1 :: v_dual_mov_b32 v2, v0
	s_and_b32 s2, s2, vcc_lo
	s_delay_alu instid0(SALU_CYCLE_1)
	s_and_saveexec_b32 s3, s2
	s_cbranch_execz .LBB218_8
; %bb.7:
	s_mov_b32 s7, 0
	s_delay_alu instid0(SALU_CYCLE_1) | instskip(NEXT) | instid1(SALU_CYCLE_1)
	s_lshl_b64 s[4:5], s[6:7], 3
	v_add_co_u32 v0, s2, v20, s4
	s_delay_alu instid0(VALU_DEP_1) | instskip(SKIP_1) | instid1(VALU_DEP_1)
	v_add_co_ci_u32_e64 v1, s2, s5, v21, s2
	v_add_co_u32 v2, s2, v18, s4
	v_add_co_ci_u32_e64 v3, s2, s5, v19, s2
	global_load_b64 v[0:1], v[0:1], off offset:512
	global_load_b64 v[2:3], v[2:3], off offset:512
.LBB218_8:
	s_or_b32 exec_lo, exec_lo, s3
	s_waitcnt vmcnt(1)
	v_add_f64 v[18:19], v[14:15], 0
	v_add_f64 v[20:21], v[4:5], 0
	v_mbcnt_lo_u32_b32 v27, -1, 0
	s_delay_alu instid0(VALU_DEP_1) | instskip(NEXT) | instid1(VALU_DEP_1)
	v_or_b32_e32 v22, 32, v27
	v_cmp_gt_i32_e64 s2, 64, v22
	s_delay_alu instid0(VALU_DEP_1) | instskip(NEXT) | instid1(VALU_DEP_1)
	v_cndmask_b32_e64 v22, v27, v22, s2
	v_lshlrev_b32_e32 v25, 2, v22
	v_add_f64 v[18:19], v[18:19], v[10:11]
	v_add_f64 v[20:21], v[20:21], v[0:1]
	ds_bpermute_b32 v22, v25, v18
	ds_bpermute_b32 v23, v25, v19
	ds_bpermute_b32 v24, v25, v20
	ds_bpermute_b32 v25, v25, v21
	s_waitcnt lgkmcnt(2)
	v_add_f64 v[18:19], v[18:19], v[22:23]
	v_xor_b32_e32 v22, 16, v27
	s_waitcnt lgkmcnt(0)
	v_add_f64 v[20:21], v[20:21], v[24:25]
	s_delay_alu instid0(VALU_DEP_2) | instskip(NEXT) | instid1(VALU_DEP_1)
	v_cmp_gt_i32_e64 s2, 64, v22
	v_cndmask_b32_e64 v22, v27, v22, s2
	s_delay_alu instid0(VALU_DEP_1)
	v_lshlrev_b32_e32 v25, 2, v22
	ds_bpermute_b32 v22, v25, v18
	ds_bpermute_b32 v23, v25, v19
	ds_bpermute_b32 v24, v25, v20
	ds_bpermute_b32 v25, v25, v21
	s_waitcnt lgkmcnt(2)
	v_add_f64 v[18:19], v[18:19], v[22:23]
	v_xor_b32_e32 v22, 8, v27
	s_waitcnt lgkmcnt(0)
	v_add_f64 v[20:21], v[20:21], v[24:25]
	s_delay_alu instid0(VALU_DEP_2) | instskip(NEXT) | instid1(VALU_DEP_1)
	v_cmp_gt_i32_e64 s2, 64, v22
	v_cndmask_b32_e64 v22, v27, v22, s2
	s_delay_alu instid0(VALU_DEP_1)
	v_lshlrev_b32_e32 v25, 2, v22
	;; [unrolled: 14-line block ×4, first 2 shown]
	ds_bpermute_b32 v22, v25, v18
	ds_bpermute_b32 v23, v25, v19
	;; [unrolled: 1-line block ×4, first 2 shown]
	s_waitcnt lgkmcnt(2)
	v_add_f64 v[22:23], v[18:19], v[22:23]
	s_waitcnt lgkmcnt(0)
	v_add_f64 v[18:19], v[20:21], v[24:25]
	v_xor_b32_e32 v20, 1, v27
	s_delay_alu instid0(VALU_DEP_1) | instskip(NEXT) | instid1(VALU_DEP_1)
	v_cmp_gt_i32_e64 s2, 64, v20
	v_cndmask_b32_e64 v20, v27, v20, s2
	s_delay_alu instid0(VALU_DEP_1)
	v_lshlrev_b32_e32 v21, 2, v20
	ds_bpermute_b32 v24, v21, v22
	ds_bpermute_b32 v25, v21, v23
	;; [unrolled: 1-line block ×4, first 2 shown]
	s_and_saveexec_b32 s2, s1
	s_cbranch_execz .LBB218_12
; %bb.9:
	s_waitcnt lgkmcnt(2)
	v_add_f64 v[22:23], v[22:23], v[24:25]
	v_add_co_u32 v8, s1, s8, v8
	s_delay_alu instid0(VALU_DEP_1)
	v_add_co_ci_u32_e64 v9, s1, s9, v9, s1
	s_and_saveexec_b32 s3, s0
	s_cbranch_execnz .LBB218_13
; %bb.10:
	s_or_b32 exec_lo, exec_lo, s3
	s_and_saveexec_b32 s3, vcc_lo
	s_cbranch_execnz .LBB218_14
.LBB218_11:
	s_or_b32 exec_lo, exec_lo, s3
	v_cmp_ne_u32_e64 s1, 1, v26
	s_delay_alu instid0(VALU_DEP_1)
	s_and_b32 exec_lo, exec_lo, s1
	s_cbranch_execnz .LBB218_15
.LBB218_12:
	s_nop 0
	s_sendmsg sendmsg(MSG_DEALLOC_VGPRS)
	s_endpgm
.LBB218_13:
	s_mov_b32 s4, 0x652b82fe
	s_mov_b32 s5, 0x3ff71547
	;; [unrolled: 1-line block ×3, first 2 shown]
	s_waitcnt vmcnt(0)
	v_mul_f64 v[24:25], v[16:17], s[4:5]
	s_mov_b32 s4, 0xfefa39ef
	s_mov_b32 s5, 0xbfe62e42
	;; [unrolled: 1-line block ×3, first 2 shown]
	v_cmp_nlt_f64_e64 s1, 0x40900000, v[16:17]
	v_cmp_ngt_f64_e64 s2, 0xc090cc00, v[16:17]
	s_delay_alu instid0(VALU_DEP_3) | instskip(NEXT) | instid1(VALU_DEP_1)
	v_rndne_f64_e32 v[24:25], v[24:25]
	v_fma_f64 v[27:28], v[24:25], s[4:5], v[16:17]
	s_mov_b32 s4, 0x3b39803f
	s_mov_b32 s5, 0xbc7abc9e
	v_cvt_i32_f64_e32 v31, v[24:25]
	s_delay_alu instid0(VALU_DEP_2)
	v_fma_f64 v[27:28], v[24:25], s[4:5], v[27:28]
	s_mov_b32 s4, 0xfca7ab0c
	s_mov_b32 s5, 0x3e928af3
	s_delay_alu instid0(VALU_DEP_1) | instid1(SALU_CYCLE_1)
	v_fma_f64 v[29:30], v[27:28], s[8:9], s[4:5]
	s_mov_b32 s4, 0x623fde64
	s_mov_b32 s5, 0x3ec71dee
	s_delay_alu instid0(VALU_DEP_1) | instid1(SALU_CYCLE_1)
	;; [unrolled: 4-line block ×9, first 2 shown]
	v_fma_f64 v[29:30], v[27:28], v[29:30], s[4:5]
	s_delay_alu instid0(VALU_DEP_1) | instskip(NEXT) | instid1(VALU_DEP_1)
	v_fma_f64 v[29:30], v[27:28], v[29:30], 1.0
	v_fma_f64 v[24:25], v[27:28], v[29:30], 1.0
	s_delay_alu instid0(VALU_DEP_1) | instskip(NEXT) | instid1(VALU_DEP_1)
	v_ldexp_f64 v[24:25], v[24:25], v31
	v_cndmask_b32_e64 v25, 0x7ff00000, v25, s1
	s_and_b32 s1, s2, s1
	s_delay_alu instid0(VALU_DEP_2) | instid1(SALU_CYCLE_1)
	v_cndmask_b32_e64 v16, 0, v24, s1
	s_delay_alu instid0(VALU_DEP_2) | instskip(NEXT) | instid1(VALU_DEP_1)
	v_cndmask_b32_e64 v17, 0, v25, s2
	v_fma_f64 v[14:15], -v[22:23], v[16:17], v[14:15]
	global_store_b64 v[8:9], v[14:15], off
	s_or_b32 exec_lo, exec_lo, s3
	s_and_saveexec_b32 s3, vcc_lo
	s_cbranch_execz .LBB218_11
.LBB218_14:
	s_mov_b32 s4, 0x652b82fe
	s_mov_b32 s5, 0x3ff71547
	;; [unrolled: 1-line block ×3, first 2 shown]
	s_waitcnt vmcnt(0)
	v_mul_f64 v[14:15], v[12:13], s[4:5]
	s_mov_b32 s4, 0xfefa39ef
	s_mov_b32 s5, 0xbfe62e42
	;; [unrolled: 1-line block ×3, first 2 shown]
	v_cmp_nlt_f64_e64 s1, 0x40900000, v[12:13]
	v_cmp_ngt_f64_e64 s2, 0xc090cc00, v[12:13]
	s_delay_alu instid0(VALU_DEP_3) | instskip(NEXT) | instid1(VALU_DEP_1)
	v_rndne_f64_e32 v[14:15], v[14:15]
	v_fma_f64 v[16:17], v[14:15], s[4:5], v[12:13]
	s_mov_b32 s4, 0x3b39803f
	s_mov_b32 s5, 0xbc7abc9e
	v_cvt_i32_f64_e32 v27, v[14:15]
	s_delay_alu instid0(VALU_DEP_2)
	v_fma_f64 v[16:17], v[14:15], s[4:5], v[16:17]
	s_mov_b32 s4, 0xfca7ab0c
	s_mov_b32 s5, 0x3e928af3
	s_delay_alu instid0(VALU_DEP_1) | instid1(SALU_CYCLE_1)
	v_fma_f64 v[24:25], v[16:17], s[8:9], s[4:5]
	s_mov_b32 s4, 0x623fde64
	s_mov_b32 s5, 0x3ec71dee
	s_delay_alu instid0(VALU_DEP_1) | instid1(SALU_CYCLE_1)
	;; [unrolled: 4-line block ×9, first 2 shown]
	v_fma_f64 v[24:25], v[16:17], v[24:25], s[4:5]
	s_delay_alu instid0(VALU_DEP_1) | instskip(NEXT) | instid1(VALU_DEP_1)
	v_fma_f64 v[24:25], v[16:17], v[24:25], 1.0
	v_fma_f64 v[14:15], v[16:17], v[24:25], 1.0
	s_delay_alu instid0(VALU_DEP_1) | instskip(NEXT) | instid1(VALU_DEP_1)
	v_ldexp_f64 v[14:15], v[14:15], v27
	v_cndmask_b32_e64 v15, 0x7ff00000, v15, s1
	s_and_b32 s1, s2, s1
	s_delay_alu instid0(VALU_DEP_2) | instid1(SALU_CYCLE_1)
	v_cndmask_b32_e64 v12, 0, v14, s1
	s_delay_alu instid0(VALU_DEP_2) | instskip(NEXT) | instid1(VALU_DEP_1)
	v_cndmask_b32_e64 v13, 0, v15, s2
	v_fma_f64 v[10:11], -v[22:23], v[12:13], v[10:11]
	global_store_b64 v[8:9], v[10:11], off offset:512
	s_or_b32 exec_lo, exec_lo, s3
	v_cmp_ne_u32_e64 s1, 1, v26
	s_delay_alu instid0(VALU_DEP_1)
	s_and_b32 exec_lo, exec_lo, s1
	s_cbranch_execz .LBB218_12
.LBB218_15:
	s_waitcnt lgkmcnt(0)
	v_add_f64 v[10:11], v[18:19], v[20:21]
	s_and_saveexec_b32 s2, s0
	s_cbranch_execz .LBB218_17
; %bb.16:
	s_mov_b32 s0, 0x652b82fe
	s_mov_b32 s1, 0x3ff71547
	s_mov_b32 s4, 0x6a5dcb37
	s_waitcnt vmcnt(0)
	v_mul_f64 v[12:13], v[6:7], s[0:1]
	s_mov_b32 s0, 0xfefa39ef
	s_mov_b32 s1, 0xbfe62e42
	s_mov_b32 s5, 0x3e5ade15
	s_mov_b32 s7, 0
	s_delay_alu instid0(VALU_DEP_1) | instskip(NEXT) | instid1(VALU_DEP_1)
	v_rndne_f64_e32 v[12:13], v[12:13]
	v_fma_f64 v[14:15], v[12:13], s[0:1], v[6:7]
	s_mov_b32 s0, 0x3b39803f
	s_mov_b32 s1, 0xbc7abc9e
	v_cvt_i32_f64_e32 v18, v[12:13]
	s_delay_alu instid0(VALU_DEP_2)
	v_fma_f64 v[14:15], v[12:13], s[0:1], v[14:15]
	s_mov_b32 s0, 0xfca7ab0c
	s_mov_b32 s1, 0x3e928af3
	s_delay_alu instid0(VALU_DEP_1) | instid1(SALU_CYCLE_1)
	v_fma_f64 v[16:17], v[14:15], s[4:5], s[0:1]
	s_mov_b32 s0, 0x623fde64
	s_mov_b32 s1, 0x3ec71dee
	s_delay_alu instid0(VALU_DEP_1) | instid1(SALU_CYCLE_1)
	;; [unrolled: 4-line block ×9, first 2 shown]
	v_fma_f64 v[16:17], v[14:15], v[16:17], s[0:1]
	v_cmp_nlt_f64_e64 s0, 0x40900000, v[6:7]
	v_cmp_ngt_f64_e64 s1, 0xc090cc00, v[6:7]
	s_delay_alu instid0(VALU_DEP_3) | instskip(NEXT) | instid1(VALU_DEP_1)
	v_fma_f64 v[16:17], v[14:15], v[16:17], 1.0
	v_fma_f64 v[12:13], v[14:15], v[16:17], 1.0
	s_delay_alu instid0(VALU_DEP_1) | instskip(NEXT) | instid1(VALU_DEP_1)
	v_ldexp_f64 v[12:13], v[12:13], v18
	v_cndmask_b32_e64 v13, 0x7ff00000, v13, s0
	s_and_b32 s0, s1, s0
	s_delay_alu instid0(VALU_DEP_2) | instid1(SALU_CYCLE_1)
	v_cndmask_b32_e64 v6, 0, v12, s0
	s_delay_alu instid0(VALU_DEP_2) | instskip(SKIP_1) | instid1(VALU_DEP_1)
	v_cndmask_b32_e64 v7, 0, v13, s1
	s_lshl_b64 s[0:1], s[6:7], 3
	v_fma_f64 v[4:5], -v[10:11], v[6:7], v[4:5]
	v_add_co_u32 v6, s0, v8, s0
	s_delay_alu instid0(VALU_DEP_1)
	v_add_co_ci_u32_e64 v7, s0, s1, v9, s0
	global_store_b64 v[6:7], v[4:5], off
.LBB218_17:
	s_or_b32 exec_lo, exec_lo, s2
	s_delay_alu instid0(SALU_CYCLE_1)
	s_and_b32 exec_lo, exec_lo, vcc_lo
	s_cbranch_execz .LBB218_12
; %bb.18:
	s_mov_b32 s0, 0x652b82fe
	s_mov_b32 s1, 0x3ff71547
	;; [unrolled: 1-line block ×3, first 2 shown]
	s_waitcnt vmcnt(0)
	v_mul_f64 v[4:5], v[2:3], s[0:1]
	s_mov_b32 s0, 0xfefa39ef
	s_mov_b32 s1, 0xbfe62e42
	;; [unrolled: 1-line block ×3, first 2 shown]
	v_cmp_nlt_f64_e32 vcc_lo, 0x40900000, v[2:3]
	s_ashr_i32 s7, s6, 31
	s_delay_alu instid0(VALU_DEP_2) | instskip(NEXT) | instid1(VALU_DEP_1)
	v_rndne_f64_e32 v[4:5], v[4:5]
	v_fma_f64 v[6:7], v[4:5], s[0:1], v[2:3]
	s_mov_b32 s0, 0x3b39803f
	s_mov_b32 s1, 0xbc7abc9e
	v_cvt_i32_f64_e32 v14, v[4:5]
	s_delay_alu instid0(VALU_DEP_2)
	v_fma_f64 v[6:7], v[4:5], s[0:1], v[6:7]
	s_mov_b32 s0, 0xfca7ab0c
	s_mov_b32 s1, 0x3e928af3
	s_delay_alu instid0(VALU_DEP_1) | instid1(SALU_CYCLE_1)
	v_fma_f64 v[12:13], v[6:7], s[2:3], s[0:1]
	s_mov_b32 s0, 0x623fde64
	s_mov_b32 s1, 0x3ec71dee
	s_delay_alu instid0(VALU_DEP_1) | instid1(SALU_CYCLE_1)
	;; [unrolled: 4-line block ×9, first 2 shown]
	v_fma_f64 v[12:13], v[6:7], v[12:13], s[0:1]
	v_cmp_ngt_f64_e64 s0, 0xc090cc00, v[2:3]
	s_delay_alu instid0(VALU_DEP_2) | instskip(NEXT) | instid1(VALU_DEP_1)
	v_fma_f64 v[12:13], v[6:7], v[12:13], 1.0
	v_fma_f64 v[4:5], v[6:7], v[12:13], 1.0
	s_delay_alu instid0(VALU_DEP_1) | instskip(NEXT) | instid1(VALU_DEP_1)
	v_ldexp_f64 v[4:5], v[4:5], v14
	v_cndmask_b32_e32 v5, 0x7ff00000, v5, vcc_lo
	s_and_b32 vcc_lo, s0, vcc_lo
	s_delay_alu instid0(VALU_DEP_2) | instskip(NEXT) | instid1(VALU_DEP_2)
	v_cndmask_b32_e32 v2, 0, v4, vcc_lo
	v_cndmask_b32_e64 v3, 0, v5, s0
	s_lshl_b64 s[0:1], s[6:7], 3
	s_delay_alu instid0(VALU_DEP_1)
	v_fma_f64 v[0:1], -v[10:11], v[2:3], v[0:1]
	v_add_co_u32 v2, vcc_lo, v8, s0
	v_add_co_ci_u32_e32 v3, vcc_lo, s1, v9, vcc_lo
	global_store_b64 v[2:3], v[0:1], off offset:512
	s_nop 0
	s_sendmsg sendmsg(MSG_DEALLOC_VGPRS)
	s_endpgm
	.section	.rodata,"a",@progbits
	.p2align	6, 0x0
	.amdhsa_kernel _ZN12_GLOBAL__N_121softmax_warp_backwardIdddLi7ELb1ELb0ELi64EEEvPT0_PKT_S5_iiiPKb
		.amdhsa_group_segment_fixed_size 0
		.amdhsa_private_segment_fixed_size 0
		.amdhsa_kernarg_size 304
		.amdhsa_user_sgpr_count 15
		.amdhsa_user_sgpr_dispatch_ptr 0
		.amdhsa_user_sgpr_queue_ptr 0
		.amdhsa_user_sgpr_kernarg_segment_ptr 1
		.amdhsa_user_sgpr_dispatch_id 0
		.amdhsa_user_sgpr_private_segment_size 0
		.amdhsa_wavefront_size32 1
		.amdhsa_uses_dynamic_stack 0
		.amdhsa_enable_private_segment 0
		.amdhsa_system_sgpr_workgroup_id_x 1
		.amdhsa_system_sgpr_workgroup_id_y 0
		.amdhsa_system_sgpr_workgroup_id_z 0
		.amdhsa_system_sgpr_workgroup_info 0
		.amdhsa_system_vgpr_workitem_id 1
		.amdhsa_next_free_vgpr 32
		.amdhsa_next_free_sgpr 16
		.amdhsa_reserve_vcc 1
		.amdhsa_float_round_mode_32 0
		.amdhsa_float_round_mode_16_64 0
		.amdhsa_float_denorm_mode_32 3
		.amdhsa_float_denorm_mode_16_64 3
		.amdhsa_dx10_clamp 1
		.amdhsa_ieee_mode 1
		.amdhsa_fp16_overflow 0
		.amdhsa_workgroup_processor_mode 1
		.amdhsa_memory_ordered 1
		.amdhsa_forward_progress 0
		.amdhsa_shared_vgpr_count 0
		.amdhsa_exception_fp_ieee_invalid_op 0
		.amdhsa_exception_fp_denorm_src 0
		.amdhsa_exception_fp_ieee_div_zero 0
		.amdhsa_exception_fp_ieee_overflow 0
		.amdhsa_exception_fp_ieee_underflow 0
		.amdhsa_exception_fp_ieee_inexact 0
		.amdhsa_exception_int_div_zero 0
	.end_amdhsa_kernel
	.section	.text._ZN12_GLOBAL__N_121softmax_warp_backwardIdddLi7ELb1ELb0ELi64EEEvPT0_PKT_S5_iiiPKb,"axG",@progbits,_ZN12_GLOBAL__N_121softmax_warp_backwardIdddLi7ELb1ELb0ELi64EEEvPT0_PKT_S5_iiiPKb,comdat
.Lfunc_end218:
	.size	_ZN12_GLOBAL__N_121softmax_warp_backwardIdddLi7ELb1ELb0ELi64EEEvPT0_PKT_S5_iiiPKb, .Lfunc_end218-_ZN12_GLOBAL__N_121softmax_warp_backwardIdddLi7ELb1ELb0ELi64EEEvPT0_PKT_S5_iiiPKb
                                        ; -- End function
	.section	.AMDGPU.csdata,"",@progbits
; Kernel info:
; codeLenInByte = 3112
; NumSgprs: 18
; NumVgprs: 32
; ScratchSize: 0
; MemoryBound: 0
; FloatMode: 240
; IeeeMode: 1
; LDSByteSize: 0 bytes/workgroup (compile time only)
; SGPRBlocks: 2
; VGPRBlocks: 3
; NumSGPRsForWavesPerEU: 18
; NumVGPRsForWavesPerEU: 32
; Occupancy: 16
; WaveLimiterHint : 0
; COMPUTE_PGM_RSRC2:SCRATCH_EN: 0
; COMPUTE_PGM_RSRC2:USER_SGPR: 15
; COMPUTE_PGM_RSRC2:TRAP_HANDLER: 0
; COMPUTE_PGM_RSRC2:TGID_X_EN: 1
; COMPUTE_PGM_RSRC2:TGID_Y_EN: 0
; COMPUTE_PGM_RSRC2:TGID_Z_EN: 0
; COMPUTE_PGM_RSRC2:TIDIG_COMP_CNT: 1
	.section	.text._ZN12_GLOBAL__N_121softmax_warp_backwardIdddLi7ELb1ELb0ELi32EEEvPT0_PKT_S5_iiiPKb,"axG",@progbits,_ZN12_GLOBAL__N_121softmax_warp_backwardIdddLi7ELb1ELb0ELi32EEEvPT0_PKT_S5_iiiPKb,comdat
	.globl	_ZN12_GLOBAL__N_121softmax_warp_backwardIdddLi7ELb1ELb0ELi32EEEvPT0_PKT_S5_iiiPKb ; -- Begin function _ZN12_GLOBAL__N_121softmax_warp_backwardIdddLi7ELb1ELb0ELi32EEEvPT0_PKT_S5_iiiPKb
	.p2align	8
	.type	_ZN12_GLOBAL__N_121softmax_warp_backwardIdddLi7ELb1ELb0ELi32EEEvPT0_PKT_S5_iiiPKb,@function
_ZN12_GLOBAL__N_121softmax_warp_backwardIdddLi7ELb1ELb0ELi32EEEvPT0_PKT_S5_iiiPKb: ; @_ZN12_GLOBAL__N_121softmax_warp_backwardIdddLi7ELb1ELb0ELi32EEEvPT0_PKT_S5_iiiPKb
; %bb.0:
	s_clause 0x1
	s_load_b32 s2, s[0:1], 0x3c
	s_load_b128 s[4:7], s[0:1], 0x18
	v_bfe_u32 v1, v0, 10, 10
	v_and_b32_e32 v0, 31, v0
	s_load_b128 s[8:11], s[0:1], 0x0
	v_mov_b32_e32 v24, 0
	v_mov_b32_e32 v25, 0
	s_load_b64 s[0:1], s[0:1], 0x10
	s_delay_alu instid0(VALU_DEP_1) | instskip(SKIP_3) | instid1(SALU_CYCLE_1)
	v_dual_mov_b32 v37, v25 :: v_dual_mov_b32 v36, v24
	v_dual_mov_b32 v39, v25 :: v_dual_mov_b32 v38, v24
	s_waitcnt lgkmcnt(0)
	s_lshr_b32 s2, s2, 16
	s_mul_i32 s15, s15, s2
	v_cmp_gt_i32_e64 s2, s6, v0
	v_add_lshl_u32 v3, s15, v1, 1
	s_delay_alu instid0(VALU_DEP_1) | instskip(SKIP_1) | instid1(VALU_DEP_1)
	v_mad_u64_u32 v[1:2], null, v3, s5, v[0:1]
	v_sub_nc_u32_e32 v42, s4, v3
	v_cmp_lt_i32_e64 s3, 0, v42
	s_delay_alu instid0(VALU_DEP_3) | instskip(NEXT) | instid1(VALU_DEP_1)
	v_ashrrev_i32_e32 v2, 31, v1
	v_lshlrev_b64 v[32:33], 3, v[1:2]
	s_delay_alu instid0(VALU_DEP_1) | instskip(NEXT) | instid1(VALU_DEP_2)
	v_add_co_u32 v30, vcc_lo, s10, v32
	v_add_co_ci_u32_e32 v31, vcc_lo, s11, v33, vcc_lo
	v_add_co_u32 v28, vcc_lo, s0, v32
	v_add_co_ci_u32_e32 v29, vcc_lo, s1, v33, vcc_lo
	s_and_b32 s1, s3, s2
	s_delay_alu instid0(SALU_CYCLE_1)
	s_and_saveexec_b32 s0, s1
	s_cbranch_execz .LBB219_2
; %bb.1:
	global_load_b64 v[36:37], v[30:31], off
	global_load_b64 v[38:39], v[28:29], off
.LBB219_2:
	s_or_b32 exec_lo, exec_lo, s0
	v_or_b32_e32 v1, 32, v0
	v_dual_mov_b32 v27, v25 :: v_dual_mov_b32 v26, v24
	s_delay_alu instid0(VALU_DEP_2) | instskip(NEXT) | instid1(VALU_DEP_1)
	v_cmp_gt_i32_e64 s1, s6, v1
	s_and_b32 s4, s3, s1
	s_delay_alu instid0(SALU_CYCLE_1)
	s_and_saveexec_b32 s0, s4
	s_cbranch_execz .LBB219_4
; %bb.3:
	global_load_b64 v[24:25], v[30:31], off offset:256
	global_load_b64 v[26:27], v[28:29], off offset:256
.LBB219_4:
	s_or_b32 exec_lo, exec_lo, s0
	v_or_b32_e32 v1, 64, v0
	v_mov_b32_e32 v16, 0
	v_mov_b32_e32 v17, 0
	s_delay_alu instid0(VALU_DEP_3) | instskip(NEXT) | instid1(VALU_DEP_2)
	v_cmp_gt_i32_e64 s0, s6, v1
	v_dual_mov_b32 v21, v17 :: v_dual_mov_b32 v20, v16
	v_dual_mov_b32 v23, v17 :: v_dual_mov_b32 v22, v16
	s_delay_alu instid0(VALU_DEP_3) | instskip(NEXT) | instid1(SALU_CYCLE_1)
	s_and_b32 s5, s3, s0
	s_and_saveexec_b32 s4, s5
	s_cbranch_execz .LBB219_6
; %bb.5:
	global_load_b64 v[20:21], v[30:31], off offset:512
	global_load_b64 v[22:23], v[28:29], off offset:512
.LBB219_6:
	s_or_b32 exec_lo, exec_lo, s4
	v_or_b32_e32 v0, 0x60, v0
	v_dual_mov_b32 v19, v17 :: v_dual_mov_b32 v18, v16
	s_delay_alu instid0(VALU_DEP_2) | instskip(SKIP_1) | instid1(SALU_CYCLE_1)
	v_cmp_gt_i32_e32 vcc_lo, s6, v0
	s_and_b32 s5, s3, vcc_lo
	s_and_saveexec_b32 s4, s5
	s_cbranch_execz .LBB219_8
; %bb.7:
	global_load_b64 v[16:17], v[30:31], off offset:768
	global_load_b64 v[18:19], v[28:29], off offset:768
.LBB219_8:
	s_or_b32 exec_lo, exec_lo, s4
	v_mov_b32_e32 v8, 0
	v_mov_b32_e32 v9, 0
	v_cmp_lt_i32_e64 s4, 1, v42
	s_delay_alu instid0(VALU_DEP_2) | instskip(SKIP_1) | instid1(VALU_DEP_3)
	v_dual_mov_b32 v13, v9 :: v_dual_mov_b32 v12, v8
	v_dual_mov_b32 v15, v9 :: v_dual_mov_b32 v14, v8
	s_and_b32 s5, s4, s2
	s_delay_alu instid0(SALU_CYCLE_1)
	s_and_saveexec_b32 s10, s5
	s_cbranch_execz .LBB219_10
; %bb.9:
	s_mov_b32 s7, 0
	s_delay_alu instid0(SALU_CYCLE_1) | instskip(NEXT) | instid1(SALU_CYCLE_1)
	s_lshl_b64 s[12:13], s[6:7], 3
	v_add_co_u32 v0, s5, v30, s12
	s_delay_alu instid0(VALU_DEP_1) | instskip(SKIP_1) | instid1(VALU_DEP_1)
	v_add_co_ci_u32_e64 v1, s5, s13, v31, s5
	v_add_co_u32 v2, s5, v28, s12
	v_add_co_ci_u32_e64 v3, s5, s13, v29, s5
	global_load_b64 v[12:13], v[0:1], off
	global_load_b64 v[14:15], v[2:3], off
.LBB219_10:
	s_or_b32 exec_lo, exec_lo, s10
	v_dual_mov_b32 v11, v9 :: v_dual_mov_b32 v10, v8
	s_and_b32 s5, s4, s1
	s_delay_alu instid0(SALU_CYCLE_1)
	s_and_saveexec_b32 s10, s5
	s_cbranch_execz .LBB219_12
; %bb.11:
	s_mov_b32 s7, 0
	s_delay_alu instid0(SALU_CYCLE_1) | instskip(NEXT) | instid1(SALU_CYCLE_1)
	s_lshl_b64 s[12:13], s[6:7], 3
	v_add_co_u32 v0, s5, v30, s12
	s_delay_alu instid0(VALU_DEP_1) | instskip(SKIP_1) | instid1(VALU_DEP_1)
	v_add_co_ci_u32_e64 v1, s5, s13, v31, s5
	v_add_co_u32 v2, s5, v28, s12
	v_add_co_ci_u32_e64 v3, s5, s13, v29, s5
	global_load_b64 v[8:9], v[0:1], off offset:256
	global_load_b64 v[10:11], v[2:3], off offset:256
.LBB219_12:
	s_or_b32 exec_lo, exec_lo, s10
	v_mov_b32_e32 v0, 0
	v_mov_b32_e32 v1, 0
	s_and_b32 s5, s4, s0
	s_delay_alu instid0(VALU_DEP_1)
	v_dual_mov_b32 v5, v1 :: v_dual_mov_b32 v4, v0
	v_dual_mov_b32 v7, v1 :: v_dual_mov_b32 v6, v0
	s_and_saveexec_b32 s10, s5
	s_cbranch_execz .LBB219_14
; %bb.13:
	s_mov_b32 s7, 0
	s_delay_alu instid0(SALU_CYCLE_1) | instskip(NEXT) | instid1(SALU_CYCLE_1)
	s_lshl_b64 s[12:13], s[6:7], 3
	v_add_co_u32 v2, s5, v30, s12
	s_delay_alu instid0(VALU_DEP_1) | instskip(SKIP_1) | instid1(VALU_DEP_1)
	v_add_co_ci_u32_e64 v3, s5, s13, v31, s5
	v_add_co_u32 v6, s5, v28, s12
	v_add_co_ci_u32_e64 v7, s5, s13, v29, s5
	global_load_b64 v[4:5], v[2:3], off offset:512
	global_load_b64 v[6:7], v[6:7], off offset:512
.LBB219_14:
	s_or_b32 exec_lo, exec_lo, s10
	v_dual_mov_b32 v3, v1 :: v_dual_mov_b32 v2, v0
	s_and_b32 s4, s4, vcc_lo
	s_delay_alu instid0(SALU_CYCLE_1)
	s_and_saveexec_b32 s5, s4
	s_cbranch_execz .LBB219_16
; %bb.15:
	s_mov_b32 s7, 0
	s_delay_alu instid0(SALU_CYCLE_1) | instskip(NEXT) | instid1(SALU_CYCLE_1)
	s_lshl_b64 s[10:11], s[6:7], 3
	v_add_co_u32 v0, s4, v30, s10
	s_delay_alu instid0(VALU_DEP_1) | instskip(SKIP_1) | instid1(VALU_DEP_1)
	v_add_co_ci_u32_e64 v1, s4, s11, v31, s4
	v_add_co_u32 v2, s4, v28, s10
	v_add_co_ci_u32_e64 v3, s4, s11, v29, s4
	global_load_b64 v[0:1], v[0:1], off offset:768
	global_load_b64 v[2:3], v[2:3], off offset:768
.LBB219_16:
	s_or_b32 exec_lo, exec_lo, s5
	s_waitcnt vmcnt(1)
	v_add_f64 v[28:29], v[36:37], 0
	v_add_f64 v[30:31], v[12:13], 0
	v_mbcnt_lo_u32_b32 v43, -1, 0
	s_delay_alu instid0(VALU_DEP_1) | instskip(NEXT) | instid1(VALU_DEP_1)
	v_xor_b32_e32 v34, 16, v43
	v_cmp_gt_i32_e64 s4, 32, v34
	s_delay_alu instid0(VALU_DEP_1) | instskip(NEXT) | instid1(VALU_DEP_1)
	v_cndmask_b32_e64 v34, v43, v34, s4
	v_lshlrev_b32_e32 v41, 2, v34
	v_add_f64 v[28:29], v[28:29], v[24:25]
	v_add_f64 v[30:31], v[30:31], v[8:9]
	s_delay_alu instid0(VALU_DEP_2) | instskip(NEXT) | instid1(VALU_DEP_2)
	v_add_f64 v[28:29], v[28:29], v[20:21]
	v_add_f64 v[30:31], v[30:31], v[4:5]
	s_delay_alu instid0(VALU_DEP_2) | instskip(NEXT) | instid1(VALU_DEP_2)
	v_add_f64 v[28:29], v[28:29], v[16:17]
	v_add_f64 v[30:31], v[30:31], v[0:1]
	ds_bpermute_b32 v34, v41, v28
	ds_bpermute_b32 v35, v41, v29
	ds_bpermute_b32 v40, v41, v30
	ds_bpermute_b32 v41, v41, v31
	s_waitcnt lgkmcnt(2)
	v_add_f64 v[28:29], v[28:29], v[34:35]
	v_xor_b32_e32 v34, 8, v43
	s_waitcnt lgkmcnt(0)
	v_add_f64 v[30:31], v[30:31], v[40:41]
	s_delay_alu instid0(VALU_DEP_2) | instskip(NEXT) | instid1(VALU_DEP_1)
	v_cmp_gt_i32_e64 s4, 32, v34
	v_cndmask_b32_e64 v34, v43, v34, s4
	s_delay_alu instid0(VALU_DEP_1)
	v_lshlrev_b32_e32 v41, 2, v34
	ds_bpermute_b32 v34, v41, v28
	ds_bpermute_b32 v35, v41, v29
	ds_bpermute_b32 v40, v41, v30
	ds_bpermute_b32 v41, v41, v31
	s_waitcnt lgkmcnt(2)
	v_add_f64 v[28:29], v[28:29], v[34:35]
	v_xor_b32_e32 v34, 4, v43
	s_waitcnt lgkmcnt(0)
	v_add_f64 v[30:31], v[30:31], v[40:41]
	s_delay_alu instid0(VALU_DEP_2) | instskip(NEXT) | instid1(VALU_DEP_1)
	v_cmp_gt_i32_e64 s4, 32, v34
	v_cndmask_b32_e64 v34, v43, v34, s4
	s_delay_alu instid0(VALU_DEP_1)
	v_lshlrev_b32_e32 v41, 2, v34
	ds_bpermute_b32 v34, v41, v28
	ds_bpermute_b32 v35, v41, v29
	ds_bpermute_b32 v40, v41, v30
	ds_bpermute_b32 v41, v41, v31
	s_waitcnt lgkmcnt(2)
	v_add_f64 v[28:29], v[28:29], v[34:35]
	v_xor_b32_e32 v34, 2, v43
	s_waitcnt lgkmcnt(0)
	v_add_f64 v[30:31], v[30:31], v[40:41]
	s_delay_alu instid0(VALU_DEP_2) | instskip(NEXT) | instid1(VALU_DEP_1)
	v_cmp_gt_i32_e64 s4, 32, v34
	v_cndmask_b32_e64 v34, v43, v34, s4
	s_delay_alu instid0(VALU_DEP_1)
	v_lshlrev_b32_e32 v41, 2, v34
	ds_bpermute_b32 v34, v41, v28
	ds_bpermute_b32 v35, v41, v29
	ds_bpermute_b32 v40, v41, v30
	ds_bpermute_b32 v41, v41, v31
	s_waitcnt lgkmcnt(2)
	v_add_f64 v[34:35], v[28:29], v[34:35]
	s_waitcnt lgkmcnt(0)
	v_add_f64 v[28:29], v[30:31], v[40:41]
	v_xor_b32_e32 v30, 1, v43
	s_delay_alu instid0(VALU_DEP_1) | instskip(NEXT) | instid1(VALU_DEP_1)
	v_cmp_gt_i32_e64 s4, 32, v30
	v_cndmask_b32_e64 v30, v43, v30, s4
	s_delay_alu instid0(VALU_DEP_1)
	v_lshlrev_b32_e32 v31, 2, v30
	ds_bpermute_b32 v40, v31, v34
	ds_bpermute_b32 v41, v31, v35
	;; [unrolled: 1-line block ×4, first 2 shown]
	s_and_saveexec_b32 s4, s3
	s_cbranch_execz .LBB219_22
; %bb.17:
	s_waitcnt lgkmcnt(2)
	v_add_f64 v[34:35], v[34:35], v[40:41]
	v_add_co_u32 v32, s3, s8, v32
	s_delay_alu instid0(VALU_DEP_1)
	v_add_co_ci_u32_e64 v33, s3, s9, v33, s3
	s_and_saveexec_b32 s5, s2
	s_cbranch_execnz .LBB219_23
; %bb.18:
	s_or_b32 exec_lo, exec_lo, s5
	s_and_saveexec_b32 s5, s1
	s_cbranch_execnz .LBB219_24
.LBB219_19:
	s_or_b32 exec_lo, exec_lo, s5
	s_and_saveexec_b32 s5, s0
	s_cbranch_execnz .LBB219_25
.LBB219_20:
	s_or_b32 exec_lo, exec_lo, s5
	s_and_saveexec_b32 s5, vcc_lo
	s_cbranch_execnz .LBB219_26
.LBB219_21:
	s_or_b32 exec_lo, exec_lo, s5
	v_cmp_ne_u32_e64 s3, 1, v42
	s_delay_alu instid0(VALU_DEP_1)
	s_and_b32 exec_lo, exec_lo, s3
	s_cbranch_execnz .LBB219_27
.LBB219_22:
	s_nop 0
	s_sendmsg sendmsg(MSG_DEALLOC_VGPRS)
	s_endpgm
.LBB219_23:
	s_mov_b32 s8, 0x652b82fe
	s_mov_b32 s9, 0x3ff71547
	;; [unrolled: 1-line block ×3, first 2 shown]
	s_waitcnt vmcnt(0)
	v_mul_f64 v[40:41], v[38:39], s[8:9]
	s_mov_b32 s8, 0xfefa39ef
	s_mov_b32 s9, 0xbfe62e42
	;; [unrolled: 1-line block ×3, first 2 shown]
	v_cmp_nlt_f64_e64 s3, 0x40900000, v[38:39]
	v_cmp_ngt_f64_e64 s4, 0xc090cc00, v[38:39]
	s_delay_alu instid0(VALU_DEP_3) | instskip(NEXT) | instid1(VALU_DEP_1)
	v_rndne_f64_e32 v[40:41], v[40:41]
	v_fma_f64 v[43:44], v[40:41], s[8:9], v[38:39]
	s_mov_b32 s8, 0x3b39803f
	s_mov_b32 s9, 0xbc7abc9e
	v_cvt_i32_f64_e32 v47, v[40:41]
	s_delay_alu instid0(VALU_DEP_2)
	v_fma_f64 v[43:44], v[40:41], s[8:9], v[43:44]
	s_mov_b32 s8, 0xfca7ab0c
	s_mov_b32 s9, 0x3e928af3
	s_delay_alu instid0(VALU_DEP_1) | instid1(SALU_CYCLE_1)
	v_fma_f64 v[45:46], v[43:44], s[10:11], s[8:9]
	s_mov_b32 s8, 0x623fde64
	s_mov_b32 s9, 0x3ec71dee
	s_delay_alu instid0(VALU_DEP_1) | instid1(SALU_CYCLE_1)
	v_fma_f64 v[45:46], v[43:44], v[45:46], s[8:9]
	s_mov_b32 s8, 0x7c89e6b0
	s_mov_b32 s9, 0x3efa0199
	s_delay_alu instid0(VALU_DEP_1) | instid1(SALU_CYCLE_1)
	v_fma_f64 v[45:46], v[43:44], v[45:46], s[8:9]
	s_mov_b32 s8, 0x14761f6e
	s_mov_b32 s9, 0x3f2a01a0
	s_delay_alu instid0(VALU_DEP_1) | instid1(SALU_CYCLE_1)
	v_fma_f64 v[45:46], v[43:44], v[45:46], s[8:9]
	s_mov_b32 s8, 0x1852b7b0
	s_mov_b32 s9, 0x3f56c16c
	s_delay_alu instid0(VALU_DEP_1) | instid1(SALU_CYCLE_1)
	v_fma_f64 v[45:46], v[43:44], v[45:46], s[8:9]
	s_mov_b32 s8, 0x11122322
	s_mov_b32 s9, 0x3f811111
	s_delay_alu instid0(VALU_DEP_1) | instid1(SALU_CYCLE_1)
	v_fma_f64 v[45:46], v[43:44], v[45:46], s[8:9]
	s_mov_b32 s8, 0x555502a1
	s_mov_b32 s9, 0x3fa55555
	s_delay_alu instid0(VALU_DEP_1) | instid1(SALU_CYCLE_1)
	v_fma_f64 v[45:46], v[43:44], v[45:46], s[8:9]
	s_mov_b32 s8, 0x55555511
	s_mov_b32 s9, 0x3fc55555
	s_delay_alu instid0(VALU_DEP_1) | instid1(SALU_CYCLE_1)
	v_fma_f64 v[45:46], v[43:44], v[45:46], s[8:9]
	s_mov_b32 s8, 11
	s_mov_b32 s9, 0x3fe00000
	s_delay_alu instid0(VALU_DEP_1) | instid1(SALU_CYCLE_1)
	v_fma_f64 v[45:46], v[43:44], v[45:46], s[8:9]
	s_delay_alu instid0(VALU_DEP_1) | instskip(NEXT) | instid1(VALU_DEP_1)
	v_fma_f64 v[45:46], v[43:44], v[45:46], 1.0
	v_fma_f64 v[40:41], v[43:44], v[45:46], 1.0
	s_delay_alu instid0(VALU_DEP_1) | instskip(NEXT) | instid1(VALU_DEP_1)
	v_ldexp_f64 v[40:41], v[40:41], v47
	v_cndmask_b32_e64 v41, 0x7ff00000, v41, s3
	s_and_b32 s3, s4, s3
	s_delay_alu instid0(VALU_DEP_2) | instid1(SALU_CYCLE_1)
	v_cndmask_b32_e64 v38, 0, v40, s3
	s_delay_alu instid0(VALU_DEP_2) | instskip(NEXT) | instid1(VALU_DEP_1)
	v_cndmask_b32_e64 v39, 0, v41, s4
	v_fma_f64 v[36:37], -v[34:35], v[38:39], v[36:37]
	global_store_b64 v[32:33], v[36:37], off
	s_or_b32 exec_lo, exec_lo, s5
	s_and_saveexec_b32 s5, s1
	s_cbranch_execz .LBB219_19
.LBB219_24:
	s_mov_b32 s8, 0x652b82fe
	s_mov_b32 s9, 0x3ff71547
	;; [unrolled: 1-line block ×3, first 2 shown]
	s_waitcnt vmcnt(0)
	v_mul_f64 v[36:37], v[26:27], s[8:9]
	s_mov_b32 s8, 0xfefa39ef
	s_mov_b32 s9, 0xbfe62e42
	;; [unrolled: 1-line block ×3, first 2 shown]
	v_cmp_nlt_f64_e64 s3, 0x40900000, v[26:27]
	v_cmp_ngt_f64_e64 s4, 0xc090cc00, v[26:27]
	s_delay_alu instid0(VALU_DEP_3) | instskip(NEXT) | instid1(VALU_DEP_1)
	v_rndne_f64_e32 v[36:37], v[36:37]
	v_fma_f64 v[38:39], v[36:37], s[8:9], v[26:27]
	s_mov_b32 s8, 0x3b39803f
	s_mov_b32 s9, 0xbc7abc9e
	v_cvt_i32_f64_e32 v43, v[36:37]
	s_delay_alu instid0(VALU_DEP_2)
	v_fma_f64 v[38:39], v[36:37], s[8:9], v[38:39]
	s_mov_b32 s8, 0xfca7ab0c
	s_mov_b32 s9, 0x3e928af3
	s_delay_alu instid0(VALU_DEP_1) | instid1(SALU_CYCLE_1)
	v_fma_f64 v[40:41], v[38:39], s[10:11], s[8:9]
	s_mov_b32 s8, 0x623fde64
	s_mov_b32 s9, 0x3ec71dee
	s_delay_alu instid0(VALU_DEP_1) | instid1(SALU_CYCLE_1)
	;; [unrolled: 4-line block ×9, first 2 shown]
	v_fma_f64 v[40:41], v[38:39], v[40:41], s[8:9]
	s_delay_alu instid0(VALU_DEP_1) | instskip(NEXT) | instid1(VALU_DEP_1)
	v_fma_f64 v[40:41], v[38:39], v[40:41], 1.0
	v_fma_f64 v[36:37], v[38:39], v[40:41], 1.0
	s_delay_alu instid0(VALU_DEP_1) | instskip(NEXT) | instid1(VALU_DEP_1)
	v_ldexp_f64 v[36:37], v[36:37], v43
	v_cndmask_b32_e64 v37, 0x7ff00000, v37, s3
	s_and_b32 s3, s4, s3
	s_delay_alu instid0(VALU_DEP_2) | instid1(SALU_CYCLE_1)
	v_cndmask_b32_e64 v26, 0, v36, s3
	s_delay_alu instid0(VALU_DEP_2) | instskip(NEXT) | instid1(VALU_DEP_1)
	v_cndmask_b32_e64 v27, 0, v37, s4
	v_fma_f64 v[24:25], -v[34:35], v[26:27], v[24:25]
	global_store_b64 v[32:33], v[24:25], off offset:256
	s_or_b32 exec_lo, exec_lo, s5
	s_and_saveexec_b32 s5, s0
	s_cbranch_execz .LBB219_20
.LBB219_25:
	s_mov_b32 s8, 0x652b82fe
	s_mov_b32 s9, 0x3ff71547
	;; [unrolled: 1-line block ×3, first 2 shown]
	s_waitcnt vmcnt(0)
	v_mul_f64 v[24:25], v[22:23], s[8:9]
	s_mov_b32 s8, 0xfefa39ef
	s_mov_b32 s9, 0xbfe62e42
	;; [unrolled: 1-line block ×3, first 2 shown]
	v_cmp_nlt_f64_e64 s3, 0x40900000, v[22:23]
	v_cmp_ngt_f64_e64 s4, 0xc090cc00, v[22:23]
	s_delay_alu instid0(VALU_DEP_3) | instskip(NEXT) | instid1(VALU_DEP_1)
	v_rndne_f64_e32 v[24:25], v[24:25]
	v_fma_f64 v[26:27], v[24:25], s[8:9], v[22:23]
	s_mov_b32 s8, 0x3b39803f
	s_mov_b32 s9, 0xbc7abc9e
	v_cvt_i32_f64_e32 v38, v[24:25]
	s_delay_alu instid0(VALU_DEP_2)
	v_fma_f64 v[26:27], v[24:25], s[8:9], v[26:27]
	s_mov_b32 s8, 0xfca7ab0c
	s_mov_b32 s9, 0x3e928af3
	s_delay_alu instid0(VALU_DEP_1) | instid1(SALU_CYCLE_1)
	v_fma_f64 v[36:37], v[26:27], s[10:11], s[8:9]
	s_mov_b32 s8, 0x623fde64
	s_mov_b32 s9, 0x3ec71dee
	s_delay_alu instid0(VALU_DEP_1) | instid1(SALU_CYCLE_1)
	;; [unrolled: 4-line block ×9, first 2 shown]
	v_fma_f64 v[36:37], v[26:27], v[36:37], s[8:9]
	s_delay_alu instid0(VALU_DEP_1) | instskip(NEXT) | instid1(VALU_DEP_1)
	v_fma_f64 v[36:37], v[26:27], v[36:37], 1.0
	v_fma_f64 v[24:25], v[26:27], v[36:37], 1.0
	s_delay_alu instid0(VALU_DEP_1) | instskip(NEXT) | instid1(VALU_DEP_1)
	v_ldexp_f64 v[24:25], v[24:25], v38
	v_cndmask_b32_e64 v25, 0x7ff00000, v25, s3
	s_and_b32 s3, s4, s3
	s_delay_alu instid0(VALU_DEP_2) | instid1(SALU_CYCLE_1)
	v_cndmask_b32_e64 v22, 0, v24, s3
	s_delay_alu instid0(VALU_DEP_2) | instskip(NEXT) | instid1(VALU_DEP_1)
	v_cndmask_b32_e64 v23, 0, v25, s4
	v_fma_f64 v[20:21], -v[34:35], v[22:23], v[20:21]
	global_store_b64 v[32:33], v[20:21], off offset:512
	s_or_b32 exec_lo, exec_lo, s5
	s_and_saveexec_b32 s5, vcc_lo
	s_cbranch_execz .LBB219_21
.LBB219_26:
	s_mov_b32 s8, 0x652b82fe
	s_mov_b32 s9, 0x3ff71547
	;; [unrolled: 1-line block ×3, first 2 shown]
	s_waitcnt vmcnt(0)
	v_mul_f64 v[20:21], v[18:19], s[8:9]
	s_mov_b32 s8, 0xfefa39ef
	s_mov_b32 s9, 0xbfe62e42
	;; [unrolled: 1-line block ×3, first 2 shown]
	v_cmp_nlt_f64_e64 s3, 0x40900000, v[18:19]
	v_cmp_ngt_f64_e64 s4, 0xc090cc00, v[18:19]
	s_delay_alu instid0(VALU_DEP_3) | instskip(NEXT) | instid1(VALU_DEP_1)
	v_rndne_f64_e32 v[20:21], v[20:21]
	v_fma_f64 v[22:23], v[20:21], s[8:9], v[18:19]
	s_mov_b32 s8, 0x3b39803f
	s_mov_b32 s9, 0xbc7abc9e
	v_cvt_i32_f64_e32 v26, v[20:21]
	s_delay_alu instid0(VALU_DEP_2)
	v_fma_f64 v[22:23], v[20:21], s[8:9], v[22:23]
	s_mov_b32 s8, 0xfca7ab0c
	s_mov_b32 s9, 0x3e928af3
	s_delay_alu instid0(VALU_DEP_1) | instid1(SALU_CYCLE_1)
	v_fma_f64 v[24:25], v[22:23], s[10:11], s[8:9]
	s_mov_b32 s8, 0x623fde64
	s_mov_b32 s9, 0x3ec71dee
	s_delay_alu instid0(VALU_DEP_1) | instid1(SALU_CYCLE_1)
	;; [unrolled: 4-line block ×9, first 2 shown]
	v_fma_f64 v[24:25], v[22:23], v[24:25], s[8:9]
	s_delay_alu instid0(VALU_DEP_1) | instskip(NEXT) | instid1(VALU_DEP_1)
	v_fma_f64 v[24:25], v[22:23], v[24:25], 1.0
	v_fma_f64 v[20:21], v[22:23], v[24:25], 1.0
	s_delay_alu instid0(VALU_DEP_1) | instskip(NEXT) | instid1(VALU_DEP_1)
	v_ldexp_f64 v[20:21], v[20:21], v26
	v_cndmask_b32_e64 v21, 0x7ff00000, v21, s3
	s_and_b32 s3, s4, s3
	s_delay_alu instid0(VALU_DEP_2) | instid1(SALU_CYCLE_1)
	v_cndmask_b32_e64 v18, 0, v20, s3
	s_delay_alu instid0(VALU_DEP_2) | instskip(NEXT) | instid1(VALU_DEP_1)
	v_cndmask_b32_e64 v19, 0, v21, s4
	v_fma_f64 v[16:17], -v[34:35], v[18:19], v[16:17]
	global_store_b64 v[32:33], v[16:17], off offset:768
	s_or_b32 exec_lo, exec_lo, s5
	v_cmp_ne_u32_e64 s3, 1, v42
	s_delay_alu instid0(VALU_DEP_1)
	s_and_b32 exec_lo, exec_lo, s3
	s_cbranch_execz .LBB219_22
.LBB219_27:
	s_waitcnt lgkmcnt(0)
	v_add_f64 v[16:17], v[28:29], v[30:31]
	s_ashr_i32 s7, s6, 31
	s_delay_alu instid0(SALU_CYCLE_1) | instskip(SKIP_2) | instid1(VALU_DEP_1)
	s_lshl_b64 s[4:5], s[6:7], 3
	s_waitcnt vmcnt(0)
	v_add_co_u32 v18, s3, v32, s4
	v_add_co_ci_u32_e64 v19, s3, s5, v33, s3
	s_and_saveexec_b32 s4, s2
	s_cbranch_execnz .LBB219_31
; %bb.28:
	s_or_b32 exec_lo, exec_lo, s4
	s_and_saveexec_b32 s3, s1
	s_cbranch_execnz .LBB219_32
.LBB219_29:
	s_or_b32 exec_lo, exec_lo, s3
	s_and_saveexec_b32 s2, s0
	s_cbranch_execnz .LBB219_33
.LBB219_30:
	s_or_b32 exec_lo, exec_lo, s2
	s_delay_alu instid0(SALU_CYCLE_1)
	s_and_b32 exec_lo, exec_lo, vcc_lo
	s_cbranch_execz .LBB219_22
	s_branch .LBB219_34
.LBB219_31:
	s_mov_b32 s2, 0x652b82fe
	s_mov_b32 s3, 0x3ff71547
	;; [unrolled: 1-line block ×3, first 2 shown]
	v_mul_f64 v[20:21], v[14:15], s[2:3]
	s_mov_b32 s2, 0xfefa39ef
	s_mov_b32 s3, 0xbfe62e42
	;; [unrolled: 1-line block ×3, first 2 shown]
	s_delay_alu instid0(VALU_DEP_1) | instskip(NEXT) | instid1(VALU_DEP_1)
	v_rndne_f64_e32 v[20:21], v[20:21]
	v_fma_f64 v[22:23], v[20:21], s[2:3], v[14:15]
	s_mov_b32 s2, 0x3b39803f
	s_mov_b32 s3, 0xbc7abc9e
	v_cvt_i32_f64_e32 v26, v[20:21]
	s_delay_alu instid0(VALU_DEP_2)
	v_fma_f64 v[22:23], v[20:21], s[2:3], v[22:23]
	s_mov_b32 s2, 0xfca7ab0c
	s_mov_b32 s3, 0x3e928af3
	s_delay_alu instid0(VALU_DEP_1) | instid1(SALU_CYCLE_1)
	v_fma_f64 v[24:25], v[22:23], s[6:7], s[2:3]
	s_mov_b32 s2, 0x623fde64
	s_mov_b32 s3, 0x3ec71dee
	s_delay_alu instid0(VALU_DEP_1) | instid1(SALU_CYCLE_1)
	;; [unrolled: 4-line block ×9, first 2 shown]
	v_fma_f64 v[24:25], v[22:23], v[24:25], s[2:3]
	v_cmp_nlt_f64_e64 s2, 0x40900000, v[14:15]
	v_cmp_ngt_f64_e64 s3, 0xc090cc00, v[14:15]
	s_delay_alu instid0(VALU_DEP_3) | instskip(NEXT) | instid1(VALU_DEP_1)
	v_fma_f64 v[24:25], v[22:23], v[24:25], 1.0
	v_fma_f64 v[20:21], v[22:23], v[24:25], 1.0
	s_delay_alu instid0(VALU_DEP_1) | instskip(NEXT) | instid1(VALU_DEP_1)
	v_ldexp_f64 v[20:21], v[20:21], v26
	v_cndmask_b32_e64 v21, 0x7ff00000, v21, s2
	s_and_b32 s2, s3, s2
	s_delay_alu instid0(VALU_DEP_2) | instid1(SALU_CYCLE_1)
	v_cndmask_b32_e64 v14, 0, v20, s2
	s_delay_alu instid0(VALU_DEP_2) | instskip(NEXT) | instid1(VALU_DEP_1)
	v_cndmask_b32_e64 v15, 0, v21, s3
	v_fma_f64 v[12:13], -v[16:17], v[14:15], v[12:13]
	global_store_b64 v[18:19], v[12:13], off
	s_or_b32 exec_lo, exec_lo, s4
	s_and_saveexec_b32 s3, s1
	s_cbranch_execz .LBB219_29
.LBB219_32:
	s_mov_b32 s4, 0x652b82fe
	s_mov_b32 s5, 0x3ff71547
	;; [unrolled: 1-line block ×3, first 2 shown]
	v_mul_f64 v[12:13], v[10:11], s[4:5]
	s_mov_b32 s4, 0xfefa39ef
	s_mov_b32 s5, 0xbfe62e42
	;; [unrolled: 1-line block ×3, first 2 shown]
	v_cmp_nlt_f64_e64 s1, 0x40900000, v[10:11]
	v_cmp_ngt_f64_e64 s2, 0xc090cc00, v[10:11]
	s_delay_alu instid0(VALU_DEP_3) | instskip(NEXT) | instid1(VALU_DEP_1)
	v_rndne_f64_e32 v[12:13], v[12:13]
	v_fma_f64 v[14:15], v[12:13], s[4:5], v[10:11]
	s_mov_b32 s4, 0x3b39803f
	s_mov_b32 s5, 0xbc7abc9e
	v_cvt_i32_f64_e32 v22, v[12:13]
	s_delay_alu instid0(VALU_DEP_2)
	v_fma_f64 v[14:15], v[12:13], s[4:5], v[14:15]
	s_mov_b32 s4, 0xfca7ab0c
	s_mov_b32 s5, 0x3e928af3
	s_delay_alu instid0(VALU_DEP_1) | instid1(SALU_CYCLE_1)
	v_fma_f64 v[20:21], v[14:15], s[6:7], s[4:5]
	s_mov_b32 s4, 0x623fde64
	s_mov_b32 s5, 0x3ec71dee
	s_delay_alu instid0(VALU_DEP_1) | instid1(SALU_CYCLE_1)
	;; [unrolled: 4-line block ×9, first 2 shown]
	v_fma_f64 v[20:21], v[14:15], v[20:21], s[4:5]
	s_delay_alu instid0(VALU_DEP_1) | instskip(NEXT) | instid1(VALU_DEP_1)
	v_fma_f64 v[20:21], v[14:15], v[20:21], 1.0
	v_fma_f64 v[12:13], v[14:15], v[20:21], 1.0
	s_delay_alu instid0(VALU_DEP_1) | instskip(NEXT) | instid1(VALU_DEP_1)
	v_ldexp_f64 v[12:13], v[12:13], v22
	v_cndmask_b32_e64 v13, 0x7ff00000, v13, s1
	s_and_b32 s1, s2, s1
	s_delay_alu instid0(VALU_DEP_2) | instid1(SALU_CYCLE_1)
	v_cndmask_b32_e64 v10, 0, v12, s1
	s_delay_alu instid0(VALU_DEP_2) | instskip(NEXT) | instid1(VALU_DEP_1)
	v_cndmask_b32_e64 v11, 0, v13, s2
	v_fma_f64 v[8:9], -v[16:17], v[10:11], v[8:9]
	global_store_b64 v[18:19], v[8:9], off offset:256
	s_or_b32 exec_lo, exec_lo, s3
	s_and_saveexec_b32 s2, s0
	s_cbranch_execz .LBB219_30
.LBB219_33:
	s_mov_b32 s0, 0x652b82fe
	s_mov_b32 s1, 0x3ff71547
	;; [unrolled: 1-line block ×3, first 2 shown]
	v_mul_f64 v[8:9], v[6:7], s[0:1]
	s_mov_b32 s0, 0xfefa39ef
	s_mov_b32 s1, 0xbfe62e42
	;; [unrolled: 1-line block ×3, first 2 shown]
	s_delay_alu instid0(VALU_DEP_1) | instskip(NEXT) | instid1(VALU_DEP_1)
	v_rndne_f64_e32 v[8:9], v[8:9]
	v_fma_f64 v[10:11], v[8:9], s[0:1], v[6:7]
	s_mov_b32 s0, 0x3b39803f
	s_mov_b32 s1, 0xbc7abc9e
	v_cvt_i32_f64_e32 v14, v[8:9]
	s_delay_alu instid0(VALU_DEP_2)
	v_fma_f64 v[10:11], v[8:9], s[0:1], v[10:11]
	s_mov_b32 s0, 0xfca7ab0c
	s_mov_b32 s1, 0x3e928af3
	s_delay_alu instid0(VALU_DEP_1) | instid1(SALU_CYCLE_1)
	v_fma_f64 v[12:13], v[10:11], s[4:5], s[0:1]
	s_mov_b32 s0, 0x623fde64
	s_mov_b32 s1, 0x3ec71dee
	s_delay_alu instid0(VALU_DEP_1) | instid1(SALU_CYCLE_1)
	;; [unrolled: 4-line block ×9, first 2 shown]
	v_fma_f64 v[12:13], v[10:11], v[12:13], s[0:1]
	v_cmp_nlt_f64_e64 s0, 0x40900000, v[6:7]
	v_cmp_ngt_f64_e64 s1, 0xc090cc00, v[6:7]
	s_delay_alu instid0(VALU_DEP_3) | instskip(NEXT) | instid1(VALU_DEP_1)
	v_fma_f64 v[12:13], v[10:11], v[12:13], 1.0
	v_fma_f64 v[8:9], v[10:11], v[12:13], 1.0
	s_delay_alu instid0(VALU_DEP_1) | instskip(NEXT) | instid1(VALU_DEP_1)
	v_ldexp_f64 v[8:9], v[8:9], v14
	v_cndmask_b32_e64 v9, 0x7ff00000, v9, s0
	s_and_b32 s0, s1, s0
	s_delay_alu instid0(VALU_DEP_2) | instid1(SALU_CYCLE_1)
	v_cndmask_b32_e64 v6, 0, v8, s0
	s_delay_alu instid0(VALU_DEP_2) | instskip(NEXT) | instid1(VALU_DEP_1)
	v_cndmask_b32_e64 v7, 0, v9, s1
	v_fma_f64 v[4:5], -v[16:17], v[6:7], v[4:5]
	global_store_b64 v[18:19], v[4:5], off offset:512
	s_or_b32 exec_lo, exec_lo, s2
	s_delay_alu instid0(SALU_CYCLE_1)
	s_and_b32 exec_lo, exec_lo, vcc_lo
	s_cbranch_execz .LBB219_22
.LBB219_34:
	s_mov_b32 s0, 0x652b82fe
	s_mov_b32 s1, 0x3ff71547
	;; [unrolled: 1-line block ×3, first 2 shown]
	v_mul_f64 v[4:5], v[2:3], s[0:1]
	s_mov_b32 s0, 0xfefa39ef
	s_mov_b32 s1, 0xbfe62e42
	;; [unrolled: 1-line block ×3, first 2 shown]
	v_cmp_nlt_f64_e32 vcc_lo, 0x40900000, v[2:3]
	s_delay_alu instid0(VALU_DEP_2) | instskip(NEXT) | instid1(VALU_DEP_1)
	v_rndne_f64_e32 v[4:5], v[4:5]
	v_fma_f64 v[6:7], v[4:5], s[0:1], v[2:3]
	s_mov_b32 s0, 0x3b39803f
	s_mov_b32 s1, 0xbc7abc9e
	v_cvt_i32_f64_e32 v10, v[4:5]
	s_delay_alu instid0(VALU_DEP_2)
	v_fma_f64 v[6:7], v[4:5], s[0:1], v[6:7]
	s_mov_b32 s0, 0xfca7ab0c
	s_mov_b32 s1, 0x3e928af3
	s_delay_alu instid0(VALU_DEP_1) | instid1(SALU_CYCLE_1)
	v_fma_f64 v[8:9], v[6:7], s[2:3], s[0:1]
	s_mov_b32 s0, 0x623fde64
	s_mov_b32 s1, 0x3ec71dee
	s_delay_alu instid0(VALU_DEP_1) | instid1(SALU_CYCLE_1)
	;; [unrolled: 4-line block ×9, first 2 shown]
	v_fma_f64 v[8:9], v[6:7], v[8:9], s[0:1]
	v_cmp_ngt_f64_e64 s0, 0xc090cc00, v[2:3]
	s_delay_alu instid0(VALU_DEP_2) | instskip(NEXT) | instid1(VALU_DEP_1)
	v_fma_f64 v[8:9], v[6:7], v[8:9], 1.0
	v_fma_f64 v[4:5], v[6:7], v[8:9], 1.0
	s_delay_alu instid0(VALU_DEP_1) | instskip(NEXT) | instid1(VALU_DEP_1)
	v_ldexp_f64 v[4:5], v[4:5], v10
	v_cndmask_b32_e32 v5, 0x7ff00000, v5, vcc_lo
	s_and_b32 vcc_lo, s0, vcc_lo
	s_delay_alu instid0(VALU_DEP_2) | instskip(NEXT) | instid1(VALU_DEP_2)
	v_cndmask_b32_e32 v2, 0, v4, vcc_lo
	v_cndmask_b32_e64 v3, 0, v5, s0
	s_delay_alu instid0(VALU_DEP_1)
	v_fma_f64 v[0:1], -v[16:17], v[2:3], v[0:1]
	global_store_b64 v[18:19], v[0:1], off offset:768
	s_nop 0
	s_sendmsg sendmsg(MSG_DEALLOC_VGPRS)
	s_endpgm
	.section	.rodata,"a",@progbits
	.p2align	6, 0x0
	.amdhsa_kernel _ZN12_GLOBAL__N_121softmax_warp_backwardIdddLi7ELb1ELb0ELi32EEEvPT0_PKT_S5_iiiPKb
		.amdhsa_group_segment_fixed_size 0
		.amdhsa_private_segment_fixed_size 0
		.amdhsa_kernarg_size 304
		.amdhsa_user_sgpr_count 15
		.amdhsa_user_sgpr_dispatch_ptr 0
		.amdhsa_user_sgpr_queue_ptr 0
		.amdhsa_user_sgpr_kernarg_segment_ptr 1
		.amdhsa_user_sgpr_dispatch_id 0
		.amdhsa_user_sgpr_private_segment_size 0
		.amdhsa_wavefront_size32 1
		.amdhsa_uses_dynamic_stack 0
		.amdhsa_enable_private_segment 0
		.amdhsa_system_sgpr_workgroup_id_x 1
		.amdhsa_system_sgpr_workgroup_id_y 0
		.amdhsa_system_sgpr_workgroup_id_z 0
		.amdhsa_system_sgpr_workgroup_info 0
		.amdhsa_system_vgpr_workitem_id 1
		.amdhsa_next_free_vgpr 48
		.amdhsa_next_free_sgpr 16
		.amdhsa_reserve_vcc 1
		.amdhsa_float_round_mode_32 0
		.amdhsa_float_round_mode_16_64 0
		.amdhsa_float_denorm_mode_32 3
		.amdhsa_float_denorm_mode_16_64 3
		.amdhsa_dx10_clamp 1
		.amdhsa_ieee_mode 1
		.amdhsa_fp16_overflow 0
		.amdhsa_workgroup_processor_mode 1
		.amdhsa_memory_ordered 1
		.amdhsa_forward_progress 0
		.amdhsa_shared_vgpr_count 0
		.amdhsa_exception_fp_ieee_invalid_op 0
		.amdhsa_exception_fp_denorm_src 0
		.amdhsa_exception_fp_ieee_div_zero 0
		.amdhsa_exception_fp_ieee_overflow 0
		.amdhsa_exception_fp_ieee_underflow 0
		.amdhsa_exception_fp_ieee_inexact 0
		.amdhsa_exception_int_div_zero 0
	.end_amdhsa_kernel
	.section	.text._ZN12_GLOBAL__N_121softmax_warp_backwardIdddLi7ELb1ELb0ELi32EEEvPT0_PKT_S5_iiiPKb,"axG",@progbits,_ZN12_GLOBAL__N_121softmax_warp_backwardIdddLi7ELb1ELb0ELi32EEEvPT0_PKT_S5_iiiPKb,comdat
.Lfunc_end219:
	.size	_ZN12_GLOBAL__N_121softmax_warp_backwardIdddLi7ELb1ELb0ELi32EEEvPT0_PKT_S5_iiiPKb, .Lfunc_end219-_ZN12_GLOBAL__N_121softmax_warp_backwardIdddLi7ELb1ELb0ELi32EEEvPT0_PKT_S5_iiiPKb
                                        ; -- End function
	.section	.AMDGPU.csdata,"",@progbits
; Kernel info:
; codeLenInByte = 5356
; NumSgprs: 18
; NumVgprs: 48
; ScratchSize: 0
; MemoryBound: 0
; FloatMode: 240
; IeeeMode: 1
; LDSByteSize: 0 bytes/workgroup (compile time only)
; SGPRBlocks: 2
; VGPRBlocks: 5
; NumSGPRsForWavesPerEU: 18
; NumVGPRsForWavesPerEU: 48
; Occupancy: 16
; WaveLimiterHint : 0
; COMPUTE_PGM_RSRC2:SCRATCH_EN: 0
; COMPUTE_PGM_RSRC2:USER_SGPR: 15
; COMPUTE_PGM_RSRC2:TRAP_HANDLER: 0
; COMPUTE_PGM_RSRC2:TGID_X_EN: 1
; COMPUTE_PGM_RSRC2:TGID_Y_EN: 0
; COMPUTE_PGM_RSRC2:TGID_Z_EN: 0
; COMPUTE_PGM_RSRC2:TIDIG_COMP_CNT: 1
	.section	.text._ZN12_GLOBAL__N_121softmax_warp_backwardIdddLi8ELb1ELb0ELi64EEEvPT0_PKT_S5_iiiPKb,"axG",@progbits,_ZN12_GLOBAL__N_121softmax_warp_backwardIdddLi8ELb1ELb0ELi64EEEvPT0_PKT_S5_iiiPKb,comdat
	.globl	_ZN12_GLOBAL__N_121softmax_warp_backwardIdddLi8ELb1ELb0ELi64EEEvPT0_PKT_S5_iiiPKb ; -- Begin function _ZN12_GLOBAL__N_121softmax_warp_backwardIdddLi8ELb1ELb0ELi64EEEvPT0_PKT_S5_iiiPKb
	.p2align	8
	.type	_ZN12_GLOBAL__N_121softmax_warp_backwardIdddLi8ELb1ELb0ELi64EEEvPT0_PKT_S5_iiiPKb,@function
_ZN12_GLOBAL__N_121softmax_warp_backwardIdddLi8ELb1ELb0ELi64EEEvPT0_PKT_S5_iiiPKb: ; @_ZN12_GLOBAL__N_121softmax_warp_backwardIdddLi8ELb1ELb0ELi64EEEvPT0_PKT_S5_iiiPKb
; %bb.0:
	s_clause 0x1
	s_load_b32 s2, s[0:1], 0x3c
	s_load_b128 s[8:11], s[0:1], 0x18
	v_bfe_u32 v1, v0, 10, 10
	s_load_b128 s[4:7], s[0:1], 0x0
	v_mov_b32_e32 v12, 0
	s_load_b64 s[0:1], s[0:1], 0x10
	v_mov_b32_e32 v13, 0
	s_delay_alu instid0(VALU_DEP_1) | instskip(SKIP_3) | instid1(SALU_CYCLE_1)
	v_dual_mov_b32 v17, v13 :: v_dual_mov_b32 v16, v12
	v_dual_mov_b32 v19, v13 :: v_dual_mov_b32 v18, v12
	s_waitcnt lgkmcnt(0)
	s_lshr_b32 s2, s2, 16
	v_mad_u64_u32 v[3:4], null, s15, s2, v[1:2]
	v_and_b32_e32 v2, 63, v0
	s_delay_alu instid0(VALU_DEP_1) | instskip(NEXT) | instid1(VALU_DEP_3)
	v_cmp_gt_i32_e64 s2, s10, v2
	v_mad_u64_u32 v[0:1], null, v3, s9, v[2:3]
	v_sub_nc_u32_e32 v22, s8, v3
	s_delay_alu instid0(VALU_DEP_1) | instskip(NEXT) | instid1(VALU_DEP_3)
	v_cmp_lt_i32_e64 s3, 0, v22
	v_ashrrev_i32_e32 v1, 31, v0
	s_delay_alu instid0(VALU_DEP_1) | instskip(NEXT) | instid1(VALU_DEP_1)
	v_lshlrev_b64 v[6:7], 3, v[0:1]
	v_add_co_u32 v8, vcc_lo, s6, v6
	s_delay_alu instid0(VALU_DEP_2) | instskip(SKIP_3) | instid1(SALU_CYCLE_1)
	v_add_co_ci_u32_e32 v9, vcc_lo, s7, v7, vcc_lo
	v_add_co_u32 v20, vcc_lo, s0, v6
	v_add_co_ci_u32_e32 v21, vcc_lo, s1, v7, vcc_lo
	s_and_b32 s1, s3, s2
	s_and_saveexec_b32 s0, s1
	s_cbranch_execz .LBB220_2
; %bb.1:
	global_load_b64 v[16:17], v[8:9], off
	global_load_b64 v[18:19], v[20:21], off
.LBB220_2:
	s_or_b32 exec_lo, exec_lo, s0
	v_or_b32_e32 v0, 64, v2
	v_dual_mov_b32 v15, v13 :: v_dual_mov_b32 v14, v12
	s_delay_alu instid0(VALU_DEP_2) | instskip(NEXT) | instid1(VALU_DEP_1)
	v_cmp_gt_i32_e64 s1, s10, v0
	s_and_b32 s6, s3, s1
	s_delay_alu instid0(SALU_CYCLE_1)
	s_and_saveexec_b32 s0, s6
	s_cbranch_execz .LBB220_4
; %bb.3:
	global_load_b64 v[12:13], v[8:9], off offset:512
	global_load_b64 v[14:15], v[20:21], off offset:512
.LBB220_4:
	s_or_b32 exec_lo, exec_lo, s0
	v_or_b32_e32 v3, 0x80, v2
	v_mov_b32_e32 v0, 0
	v_mov_b32_e32 v1, 0
	s_delay_alu instid0(VALU_DEP_3) | instskip(NEXT) | instid1(VALU_DEP_2)
	v_cmp_gt_i32_e64 s0, s10, v3
	v_dual_mov_b32 v5, v1 :: v_dual_mov_b32 v4, v0
	v_dual_mov_b32 v11, v1 :: v_dual_mov_b32 v10, v0
	s_delay_alu instid0(VALU_DEP_3) | instskip(NEXT) | instid1(SALU_CYCLE_1)
	s_and_b32 s7, s3, s0
	s_and_saveexec_b32 s6, s7
	s_cbranch_execz .LBB220_6
; %bb.5:
	global_load_b64 v[4:5], v[8:9], off offset:1024
	global_load_b64 v[10:11], v[20:21], off offset:1024
.LBB220_6:
	s_or_b32 exec_lo, exec_lo, s6
	v_or_b32_e32 v2, 0xc0, v2
	s_delay_alu instid0(VALU_DEP_1) | instskip(SKIP_2) | instid1(SALU_CYCLE_1)
	v_cmp_gt_i32_e32 vcc_lo, s10, v2
	v_dual_mov_b32 v3, v1 :: v_dual_mov_b32 v2, v0
	s_and_b32 s6, s3, vcc_lo
	s_and_saveexec_b32 s3, s6
	s_cbranch_execz .LBB220_8
; %bb.7:
	global_load_b64 v[0:1], v[8:9], off offset:1536
	global_load_b64 v[2:3], v[20:21], off offset:1536
.LBB220_8:
	s_or_b32 exec_lo, exec_lo, s3
	s_waitcnt vmcnt(1)
	v_add_f64 v[8:9], v[16:17], 0
	v_mbcnt_lo_u32_b32 v23, -1, 0
	s_mov_b32 s6, exec_lo
	s_delay_alu instid0(VALU_DEP_1) | instskip(NEXT) | instid1(VALU_DEP_1)
	v_or_b32_e32 v20, 32, v23
	v_cmp_gt_i32_e64 s3, 64, v20
	s_delay_alu instid0(VALU_DEP_1) | instskip(NEXT) | instid1(VALU_DEP_1)
	v_cndmask_b32_e64 v20, v23, v20, s3
	v_lshlrev_b32_e32 v21, 2, v20
	v_add_f64 v[8:9], v[8:9], v[12:13]
	s_delay_alu instid0(VALU_DEP_1) | instskip(NEXT) | instid1(VALU_DEP_1)
	v_add_f64 v[8:9], v[8:9], v[4:5]
	v_add_f64 v[8:9], v[8:9], v[0:1]
	ds_bpermute_b32 v20, v21, v8
	ds_bpermute_b32 v21, v21, v9
	s_waitcnt lgkmcnt(0)
	v_add_f64 v[8:9], v[8:9], v[20:21]
	v_xor_b32_e32 v20, 16, v23
	s_delay_alu instid0(VALU_DEP_1) | instskip(NEXT) | instid1(VALU_DEP_1)
	v_cmp_gt_i32_e64 s3, 64, v20
	v_cndmask_b32_e64 v20, v23, v20, s3
	s_delay_alu instid0(VALU_DEP_1)
	v_lshlrev_b32_e32 v21, 2, v20
	ds_bpermute_b32 v20, v21, v8
	ds_bpermute_b32 v21, v21, v9
	s_waitcnt lgkmcnt(0)
	v_add_f64 v[8:9], v[8:9], v[20:21]
	v_xor_b32_e32 v20, 8, v23
	s_delay_alu instid0(VALU_DEP_1) | instskip(NEXT) | instid1(VALU_DEP_1)
	v_cmp_gt_i32_e64 s3, 64, v20
	v_cndmask_b32_e64 v20, v23, v20, s3
	s_delay_alu instid0(VALU_DEP_1)
	v_lshlrev_b32_e32 v21, 2, v20
	ds_bpermute_b32 v20, v21, v8
	ds_bpermute_b32 v21, v21, v9
	s_waitcnt lgkmcnt(0)
	v_add_f64 v[8:9], v[8:9], v[20:21]
	v_xor_b32_e32 v20, 4, v23
	s_delay_alu instid0(VALU_DEP_1) | instskip(NEXT) | instid1(VALU_DEP_1)
	v_cmp_gt_i32_e64 s3, 64, v20
	v_cndmask_b32_e64 v20, v23, v20, s3
	s_delay_alu instid0(VALU_DEP_1)
	v_lshlrev_b32_e32 v21, 2, v20
	ds_bpermute_b32 v20, v21, v8
	ds_bpermute_b32 v21, v21, v9
	s_waitcnt lgkmcnt(0)
	v_add_f64 v[8:9], v[8:9], v[20:21]
	v_xor_b32_e32 v20, 2, v23
	s_delay_alu instid0(VALU_DEP_1) | instskip(NEXT) | instid1(VALU_DEP_1)
	v_cmp_gt_i32_e64 s3, 64, v20
	v_cndmask_b32_e64 v20, v23, v20, s3
	s_delay_alu instid0(VALU_DEP_1)
	v_lshlrev_b32_e32 v21, 2, v20
	ds_bpermute_b32 v20, v21, v8
	ds_bpermute_b32 v21, v21, v9
	s_waitcnt lgkmcnt(0)
	v_add_f64 v[8:9], v[8:9], v[20:21]
	v_xor_b32_e32 v20, 1, v23
	s_delay_alu instid0(VALU_DEP_1) | instskip(NEXT) | instid1(VALU_DEP_1)
	v_cmp_gt_i32_e64 s3, 64, v20
	v_cndmask_b32_e64 v20, v23, v20, s3
	s_delay_alu instid0(VALU_DEP_1)
	v_lshlrev_b32_e32 v21, 2, v20
	ds_bpermute_b32 v20, v21, v8
	ds_bpermute_b32 v21, v21, v9
	v_cmpx_lt_i32_e32 0, v22
	s_cbranch_execz .LBB220_14
; %bb.9:
	s_waitcnt lgkmcnt(0)
	v_add_f64 v[8:9], v[8:9], v[20:21]
	v_add_co_u32 v6, s3, s4, v6
	s_delay_alu instid0(VALU_DEP_1)
	v_add_co_ci_u32_e64 v7, s3, s5, v7, s3
	s_and_saveexec_b32 s4, s2
	s_cbranch_execnz .LBB220_15
; %bb.10:
	s_or_b32 exec_lo, exec_lo, s4
	s_and_saveexec_b32 s3, s1
	s_cbranch_execnz .LBB220_16
.LBB220_11:
	s_or_b32 exec_lo, exec_lo, s3
	s_and_saveexec_b32 s2, s0
	s_cbranch_execnz .LBB220_17
.LBB220_12:
	s_or_b32 exec_lo, exec_lo, s2
	s_delay_alu instid0(SALU_CYCLE_1)
	s_and_b32 exec_lo, exec_lo, vcc_lo
	s_cbranch_execz .LBB220_14
.LBB220_13:
	s_mov_b32 s0, 0x652b82fe
	s_mov_b32 s1, 0x3ff71547
	;; [unrolled: 1-line block ×3, first 2 shown]
	s_waitcnt vmcnt(0)
	v_mul_f64 v[4:5], v[2:3], s[0:1]
	s_mov_b32 s0, 0xfefa39ef
	s_mov_b32 s1, 0xbfe62e42
	;; [unrolled: 1-line block ×3, first 2 shown]
	v_cmp_nlt_f64_e32 vcc_lo, 0x40900000, v[2:3]
	s_delay_alu instid0(VALU_DEP_2) | instskip(NEXT) | instid1(VALU_DEP_1)
	v_rndne_f64_e32 v[4:5], v[4:5]
	v_fma_f64 v[10:11], v[4:5], s[0:1], v[2:3]
	s_mov_b32 s0, 0x3b39803f
	s_mov_b32 s1, 0xbc7abc9e
	v_cvt_i32_f64_e32 v14, v[4:5]
	s_delay_alu instid0(VALU_DEP_2)
	v_fma_f64 v[10:11], v[4:5], s[0:1], v[10:11]
	s_mov_b32 s0, 0xfca7ab0c
	s_mov_b32 s1, 0x3e928af3
	s_delay_alu instid0(VALU_DEP_1) | instid1(SALU_CYCLE_1)
	v_fma_f64 v[12:13], v[10:11], s[2:3], s[0:1]
	s_mov_b32 s0, 0x623fde64
	s_mov_b32 s1, 0x3ec71dee
	s_delay_alu instid0(VALU_DEP_1) | instid1(SALU_CYCLE_1)
	;; [unrolled: 4-line block ×9, first 2 shown]
	v_fma_f64 v[12:13], v[10:11], v[12:13], s[0:1]
	v_cmp_ngt_f64_e64 s0, 0xc090cc00, v[2:3]
	s_delay_alu instid0(VALU_DEP_2) | instskip(NEXT) | instid1(VALU_DEP_1)
	v_fma_f64 v[12:13], v[10:11], v[12:13], 1.0
	v_fma_f64 v[4:5], v[10:11], v[12:13], 1.0
	s_delay_alu instid0(VALU_DEP_1) | instskip(NEXT) | instid1(VALU_DEP_1)
	v_ldexp_f64 v[4:5], v[4:5], v14
	v_cndmask_b32_e32 v5, 0x7ff00000, v5, vcc_lo
	s_and_b32 vcc_lo, s0, vcc_lo
	s_delay_alu instid0(VALU_DEP_2) | instskip(NEXT) | instid1(VALU_DEP_2)
	v_cndmask_b32_e32 v2, 0, v4, vcc_lo
	v_cndmask_b32_e64 v3, 0, v5, s0
	s_delay_alu instid0(VALU_DEP_1)
	v_fma_f64 v[0:1], -v[8:9], v[2:3], v[0:1]
	global_store_b64 v[6:7], v[0:1], off offset:1536
.LBB220_14:
	s_nop 0
	s_sendmsg sendmsg(MSG_DEALLOC_VGPRS)
	s_endpgm
.LBB220_15:
	s_mov_b32 s2, 0x652b82fe
	s_mov_b32 s3, 0x3ff71547
	;; [unrolled: 1-line block ×3, first 2 shown]
	s_waitcnt vmcnt(0)
	v_mul_f64 v[20:21], v[18:19], s[2:3]
	s_mov_b32 s2, 0xfefa39ef
	s_mov_b32 s3, 0xbfe62e42
	s_mov_b32 s7, 0x3e5ade15
	s_delay_alu instid0(VALU_DEP_1) | instskip(NEXT) | instid1(VALU_DEP_1)
	v_rndne_f64_e32 v[20:21], v[20:21]
	v_fma_f64 v[22:23], v[20:21], s[2:3], v[18:19]
	s_mov_b32 s2, 0x3b39803f
	s_mov_b32 s3, 0xbc7abc9e
	v_cvt_i32_f64_e32 v26, v[20:21]
	s_delay_alu instid0(VALU_DEP_2)
	v_fma_f64 v[22:23], v[20:21], s[2:3], v[22:23]
	s_mov_b32 s2, 0xfca7ab0c
	s_mov_b32 s3, 0x3e928af3
	s_delay_alu instid0(VALU_DEP_1) | instid1(SALU_CYCLE_1)
	v_fma_f64 v[24:25], v[22:23], s[6:7], s[2:3]
	s_mov_b32 s2, 0x623fde64
	s_mov_b32 s3, 0x3ec71dee
	s_delay_alu instid0(VALU_DEP_1) | instid1(SALU_CYCLE_1)
	;; [unrolled: 4-line block ×9, first 2 shown]
	v_fma_f64 v[24:25], v[22:23], v[24:25], s[2:3]
	v_cmp_nlt_f64_e64 s2, 0x40900000, v[18:19]
	v_cmp_ngt_f64_e64 s3, 0xc090cc00, v[18:19]
	s_delay_alu instid0(VALU_DEP_3) | instskip(NEXT) | instid1(VALU_DEP_1)
	v_fma_f64 v[24:25], v[22:23], v[24:25], 1.0
	v_fma_f64 v[20:21], v[22:23], v[24:25], 1.0
	s_delay_alu instid0(VALU_DEP_1) | instskip(NEXT) | instid1(VALU_DEP_1)
	v_ldexp_f64 v[20:21], v[20:21], v26
	v_cndmask_b32_e64 v21, 0x7ff00000, v21, s2
	s_and_b32 s2, s3, s2
	s_delay_alu instid0(VALU_DEP_2) | instid1(SALU_CYCLE_1)
	v_cndmask_b32_e64 v18, 0, v20, s2
	s_delay_alu instid0(VALU_DEP_2) | instskip(NEXT) | instid1(VALU_DEP_1)
	v_cndmask_b32_e64 v19, 0, v21, s3
	v_fma_f64 v[16:17], -v[8:9], v[18:19], v[16:17]
	global_store_b64 v[6:7], v[16:17], off
	s_or_b32 exec_lo, exec_lo, s4
	s_and_saveexec_b32 s3, s1
	s_cbranch_execz .LBB220_11
.LBB220_16:
	s_mov_b32 s4, 0x652b82fe
	s_mov_b32 s5, 0x3ff71547
	;; [unrolled: 1-line block ×3, first 2 shown]
	s_waitcnt vmcnt(0)
	v_mul_f64 v[16:17], v[14:15], s[4:5]
	s_mov_b32 s4, 0xfefa39ef
	s_mov_b32 s5, 0xbfe62e42
	;; [unrolled: 1-line block ×3, first 2 shown]
	v_cmp_nlt_f64_e64 s1, 0x40900000, v[14:15]
	v_cmp_ngt_f64_e64 s2, 0xc090cc00, v[14:15]
	s_delay_alu instid0(VALU_DEP_3) | instskip(NEXT) | instid1(VALU_DEP_1)
	v_rndne_f64_e32 v[16:17], v[16:17]
	v_fma_f64 v[18:19], v[16:17], s[4:5], v[14:15]
	s_mov_b32 s4, 0x3b39803f
	s_mov_b32 s5, 0xbc7abc9e
	v_cvt_i32_f64_e32 v22, v[16:17]
	s_delay_alu instid0(VALU_DEP_2)
	v_fma_f64 v[18:19], v[16:17], s[4:5], v[18:19]
	s_mov_b32 s4, 0xfca7ab0c
	s_mov_b32 s5, 0x3e928af3
	s_delay_alu instid0(VALU_DEP_1) | instid1(SALU_CYCLE_1)
	v_fma_f64 v[20:21], v[18:19], s[6:7], s[4:5]
	s_mov_b32 s4, 0x623fde64
	s_mov_b32 s5, 0x3ec71dee
	s_delay_alu instid0(VALU_DEP_1) | instid1(SALU_CYCLE_1)
	;; [unrolled: 4-line block ×9, first 2 shown]
	v_fma_f64 v[20:21], v[18:19], v[20:21], s[4:5]
	s_delay_alu instid0(VALU_DEP_1) | instskip(NEXT) | instid1(VALU_DEP_1)
	v_fma_f64 v[20:21], v[18:19], v[20:21], 1.0
	v_fma_f64 v[16:17], v[18:19], v[20:21], 1.0
	s_delay_alu instid0(VALU_DEP_1) | instskip(NEXT) | instid1(VALU_DEP_1)
	v_ldexp_f64 v[16:17], v[16:17], v22
	v_cndmask_b32_e64 v17, 0x7ff00000, v17, s1
	s_and_b32 s1, s2, s1
	s_delay_alu instid0(VALU_DEP_2) | instid1(SALU_CYCLE_1)
	v_cndmask_b32_e64 v14, 0, v16, s1
	s_delay_alu instid0(VALU_DEP_2) | instskip(NEXT) | instid1(VALU_DEP_1)
	v_cndmask_b32_e64 v15, 0, v17, s2
	v_fma_f64 v[12:13], -v[8:9], v[14:15], v[12:13]
	global_store_b64 v[6:7], v[12:13], off offset:512
	s_or_b32 exec_lo, exec_lo, s3
	s_and_saveexec_b32 s2, s0
	s_cbranch_execz .LBB220_12
.LBB220_17:
	s_mov_b32 s0, 0x652b82fe
	s_mov_b32 s1, 0x3ff71547
	;; [unrolled: 1-line block ×3, first 2 shown]
	s_waitcnt vmcnt(0)
	v_mul_f64 v[12:13], v[10:11], s[0:1]
	s_mov_b32 s0, 0xfefa39ef
	s_mov_b32 s1, 0xbfe62e42
	;; [unrolled: 1-line block ×3, first 2 shown]
	s_delay_alu instid0(VALU_DEP_1) | instskip(NEXT) | instid1(VALU_DEP_1)
	v_rndne_f64_e32 v[12:13], v[12:13]
	v_fma_f64 v[14:15], v[12:13], s[0:1], v[10:11]
	s_mov_b32 s0, 0x3b39803f
	s_mov_b32 s1, 0xbc7abc9e
	v_cvt_i32_f64_e32 v18, v[12:13]
	s_delay_alu instid0(VALU_DEP_2)
	v_fma_f64 v[14:15], v[12:13], s[0:1], v[14:15]
	s_mov_b32 s0, 0xfca7ab0c
	s_mov_b32 s1, 0x3e928af3
	s_delay_alu instid0(VALU_DEP_1) | instid1(SALU_CYCLE_1)
	v_fma_f64 v[16:17], v[14:15], s[4:5], s[0:1]
	s_mov_b32 s0, 0x623fde64
	s_mov_b32 s1, 0x3ec71dee
	s_delay_alu instid0(VALU_DEP_1) | instid1(SALU_CYCLE_1)
	;; [unrolled: 4-line block ×9, first 2 shown]
	v_fma_f64 v[16:17], v[14:15], v[16:17], s[0:1]
	v_cmp_nlt_f64_e64 s0, 0x40900000, v[10:11]
	v_cmp_ngt_f64_e64 s1, 0xc090cc00, v[10:11]
	s_delay_alu instid0(VALU_DEP_3) | instskip(NEXT) | instid1(VALU_DEP_1)
	v_fma_f64 v[16:17], v[14:15], v[16:17], 1.0
	v_fma_f64 v[12:13], v[14:15], v[16:17], 1.0
	s_delay_alu instid0(VALU_DEP_1) | instskip(NEXT) | instid1(VALU_DEP_1)
	v_ldexp_f64 v[12:13], v[12:13], v18
	v_cndmask_b32_e64 v13, 0x7ff00000, v13, s0
	s_and_b32 s0, s1, s0
	s_delay_alu instid0(VALU_DEP_2) | instid1(SALU_CYCLE_1)
	v_cndmask_b32_e64 v10, 0, v12, s0
	s_delay_alu instid0(VALU_DEP_2) | instskip(NEXT) | instid1(VALU_DEP_1)
	v_cndmask_b32_e64 v11, 0, v13, s1
	v_fma_f64 v[4:5], -v[8:9], v[10:11], v[4:5]
	global_store_b64 v[6:7], v[4:5], off offset:1024
	s_or_b32 exec_lo, exec_lo, s2
	s_delay_alu instid0(SALU_CYCLE_1)
	s_and_b32 exec_lo, exec_lo, vcc_lo
	s_cbranch_execnz .LBB220_13
	s_branch .LBB220_14
	.section	.rodata,"a",@progbits
	.p2align	6, 0x0
	.amdhsa_kernel _ZN12_GLOBAL__N_121softmax_warp_backwardIdddLi8ELb1ELb0ELi64EEEvPT0_PKT_S5_iiiPKb
		.amdhsa_group_segment_fixed_size 0
		.amdhsa_private_segment_fixed_size 0
		.amdhsa_kernarg_size 304
		.amdhsa_user_sgpr_count 15
		.amdhsa_user_sgpr_dispatch_ptr 0
		.amdhsa_user_sgpr_queue_ptr 0
		.amdhsa_user_sgpr_kernarg_segment_ptr 1
		.amdhsa_user_sgpr_dispatch_id 0
		.amdhsa_user_sgpr_private_segment_size 0
		.amdhsa_wavefront_size32 1
		.amdhsa_uses_dynamic_stack 0
		.amdhsa_enable_private_segment 0
		.amdhsa_system_sgpr_workgroup_id_x 1
		.amdhsa_system_sgpr_workgroup_id_y 0
		.amdhsa_system_sgpr_workgroup_id_z 0
		.amdhsa_system_sgpr_workgroup_info 0
		.amdhsa_system_vgpr_workitem_id 1
		.amdhsa_next_free_vgpr 27
		.amdhsa_next_free_sgpr 16
		.amdhsa_reserve_vcc 1
		.amdhsa_float_round_mode_32 0
		.amdhsa_float_round_mode_16_64 0
		.amdhsa_float_denorm_mode_32 3
		.amdhsa_float_denorm_mode_16_64 3
		.amdhsa_dx10_clamp 1
		.amdhsa_ieee_mode 1
		.amdhsa_fp16_overflow 0
		.amdhsa_workgroup_processor_mode 1
		.amdhsa_memory_ordered 1
		.amdhsa_forward_progress 0
		.amdhsa_shared_vgpr_count 0
		.amdhsa_exception_fp_ieee_invalid_op 0
		.amdhsa_exception_fp_denorm_src 0
		.amdhsa_exception_fp_ieee_div_zero 0
		.amdhsa_exception_fp_ieee_overflow 0
		.amdhsa_exception_fp_ieee_underflow 0
		.amdhsa_exception_fp_ieee_inexact 0
		.amdhsa_exception_int_div_zero 0
	.end_amdhsa_kernel
	.section	.text._ZN12_GLOBAL__N_121softmax_warp_backwardIdddLi8ELb1ELb0ELi64EEEvPT0_PKT_S5_iiiPKb,"axG",@progbits,_ZN12_GLOBAL__N_121softmax_warp_backwardIdddLi8ELb1ELb0ELi64EEEvPT0_PKT_S5_iiiPKb,comdat
.Lfunc_end220:
	.size	_ZN12_GLOBAL__N_121softmax_warp_backwardIdddLi8ELb1ELb0ELi64EEEvPT0_PKT_S5_iiiPKb, .Lfunc_end220-_ZN12_GLOBAL__N_121softmax_warp_backwardIdddLi8ELb1ELb0ELi64EEEvPT0_PKT_S5_iiiPKb
                                        ; -- End function
	.section	.AMDGPU.csdata,"",@progbits
; Kernel info:
; codeLenInByte = 2804
; NumSgprs: 18
; NumVgprs: 27
; ScratchSize: 0
; MemoryBound: 0
; FloatMode: 240
; IeeeMode: 1
; LDSByteSize: 0 bytes/workgroup (compile time only)
; SGPRBlocks: 2
; VGPRBlocks: 3
; NumSGPRsForWavesPerEU: 18
; NumVGPRsForWavesPerEU: 27
; Occupancy: 16
; WaveLimiterHint : 0
; COMPUTE_PGM_RSRC2:SCRATCH_EN: 0
; COMPUTE_PGM_RSRC2:USER_SGPR: 15
; COMPUTE_PGM_RSRC2:TRAP_HANDLER: 0
; COMPUTE_PGM_RSRC2:TGID_X_EN: 1
; COMPUTE_PGM_RSRC2:TGID_Y_EN: 0
; COMPUTE_PGM_RSRC2:TGID_Z_EN: 0
; COMPUTE_PGM_RSRC2:TIDIG_COMP_CNT: 1
	.section	.text._ZN12_GLOBAL__N_121softmax_warp_backwardIdddLi8ELb1ELb0ELi32EEEvPT0_PKT_S5_iiiPKb,"axG",@progbits,_ZN12_GLOBAL__N_121softmax_warp_backwardIdddLi8ELb1ELb0ELi32EEEvPT0_PKT_S5_iiiPKb,comdat
	.globl	_ZN12_GLOBAL__N_121softmax_warp_backwardIdddLi8ELb1ELb0ELi32EEEvPT0_PKT_S5_iiiPKb ; -- Begin function _ZN12_GLOBAL__N_121softmax_warp_backwardIdddLi8ELb1ELb0ELi32EEEvPT0_PKT_S5_iiiPKb
	.p2align	8
	.type	_ZN12_GLOBAL__N_121softmax_warp_backwardIdddLi8ELb1ELb0ELi32EEEvPT0_PKT_S5_iiiPKb,@function
_ZN12_GLOBAL__N_121softmax_warp_backwardIdddLi8ELb1ELb0ELi32EEEvPT0_PKT_S5_iiiPKb: ; @_ZN12_GLOBAL__N_121softmax_warp_backwardIdddLi8ELb1ELb0ELi32EEEvPT0_PKT_S5_iiiPKb
; %bb.0:
	s_clause 0x1
	s_load_b32 s2, s[0:1], 0x3c
	s_load_b128 s[16:19], s[0:1], 0x18
	v_bfe_u32 v1, v0, 10, 10
	s_load_b128 s[8:11], s[0:1], 0x0
	v_mov_b32_e32 v28, 0
	s_load_b64 s[0:1], s[0:1], 0x10
	v_mov_b32_e32 v29, 0
	s_delay_alu instid0(VALU_DEP_1) | instskip(SKIP_3) | instid1(SALU_CYCLE_1)
	v_dual_mov_b32 v33, v29 :: v_dual_mov_b32 v32, v28
	v_dual_mov_b32 v35, v29 :: v_dual_mov_b32 v34, v28
	s_waitcnt lgkmcnt(0)
	s_lshr_b32 s2, s2, 16
	v_mad_u64_u32 v[3:4], null, s15, s2, v[1:2]
	v_and_b32_e32 v2, 31, v0
	s_delay_alu instid0(VALU_DEP_1) | instskip(NEXT) | instid1(VALU_DEP_3)
	v_cmp_gt_i32_e64 s6, s18, v2
	v_mad_u64_u32 v[0:1], null, v3, s17, v[2:3]
	v_sub_nc_u32_e32 v38, s16, v3
	s_delay_alu instid0(VALU_DEP_1) | instskip(NEXT) | instid1(VALU_DEP_3)
	v_cmp_lt_i32_e64 s7, 0, v38
	v_ashrrev_i32_e32 v1, 31, v0
	s_delay_alu instid0(VALU_DEP_1) | instskip(NEXT) | instid1(VALU_DEP_1)
	v_lshlrev_b64 v[4:5], 3, v[0:1]
	v_add_co_u32 v6, vcc_lo, s10, v4
	s_delay_alu instid0(VALU_DEP_2) | instskip(SKIP_3) | instid1(SALU_CYCLE_1)
	v_add_co_ci_u32_e32 v7, vcc_lo, s11, v5, vcc_lo
	v_add_co_u32 v36, vcc_lo, s0, v4
	v_add_co_ci_u32_e32 v37, vcc_lo, s1, v5, vcc_lo
	s_and_b32 s1, s7, s6
	s_and_saveexec_b32 s0, s1
	s_cbranch_execz .LBB221_2
; %bb.1:
	global_load_b64 v[32:33], v[6:7], off
	global_load_b64 v[34:35], v[36:37], off
.LBB221_2:
	s_or_b32 exec_lo, exec_lo, s0
	v_or_b32_e32 v0, 32, v2
	v_dual_mov_b32 v31, v29 :: v_dual_mov_b32 v30, v28
	s_delay_alu instid0(VALU_DEP_2) | instskip(NEXT) | instid1(VALU_DEP_1)
	v_cmp_gt_i32_e64 s5, s18, v0
	s_and_b32 s1, s7, s5
	s_delay_alu instid0(SALU_CYCLE_1)
	s_and_saveexec_b32 s0, s1
	s_cbranch_execz .LBB221_4
; %bb.3:
	global_load_b64 v[28:29], v[6:7], off offset:256
	global_load_b64 v[30:31], v[36:37], off offset:256
.LBB221_4:
	s_or_b32 exec_lo, exec_lo, s0
	v_or_b32_e32 v0, 64, v2
	v_mov_b32_e32 v20, 0
	v_mov_b32_e32 v21, 0
	s_delay_alu instid0(VALU_DEP_3) | instskip(NEXT) | instid1(VALU_DEP_2)
	v_cmp_gt_i32_e64 s4, s18, v0
	v_dual_mov_b32 v25, v21 :: v_dual_mov_b32 v24, v20
	v_dual_mov_b32 v27, v21 :: v_dual_mov_b32 v26, v20
	s_delay_alu instid0(VALU_DEP_3) | instskip(NEXT) | instid1(SALU_CYCLE_1)
	s_and_b32 s1, s7, s4
	s_and_saveexec_b32 s0, s1
	s_cbranch_execz .LBB221_6
; %bb.5:
	global_load_b64 v[24:25], v[6:7], off offset:512
	global_load_b64 v[26:27], v[36:37], off offset:512
.LBB221_6:
	s_or_b32 exec_lo, exec_lo, s0
	v_or_b32_e32 v0, 0x60, v2
	v_dual_mov_b32 v23, v21 :: v_dual_mov_b32 v22, v20
	s_delay_alu instid0(VALU_DEP_2) | instskip(NEXT) | instid1(VALU_DEP_1)
	v_cmp_gt_i32_e64 s3, s18, v0
	s_and_b32 s1, s7, s3
	s_delay_alu instid0(SALU_CYCLE_1)
	s_and_saveexec_b32 s0, s1
	s_cbranch_execz .LBB221_8
; %bb.7:
	global_load_b64 v[20:21], v[6:7], off offset:768
	global_load_b64 v[22:23], v[36:37], off offset:768
.LBB221_8:
	s_or_b32 exec_lo, exec_lo, s0
	v_or_b32_e32 v0, 0x80, v2
	v_mov_b32_e32 v12, 0
	v_mov_b32_e32 v13, 0
	s_delay_alu instid0(VALU_DEP_3) | instskip(NEXT) | instid1(VALU_DEP_2)
	v_cmp_gt_i32_e64 s2, s18, v0
	v_dual_mov_b32 v17, v13 :: v_dual_mov_b32 v16, v12
	v_dual_mov_b32 v19, v13 :: v_dual_mov_b32 v18, v12
	s_delay_alu instid0(VALU_DEP_3) | instskip(NEXT) | instid1(SALU_CYCLE_1)
	s_and_b32 s1, s7, s2
	s_and_saveexec_b32 s0, s1
	s_cbranch_execz .LBB221_10
; %bb.9:
	global_load_b64 v[16:17], v[6:7], off offset:1024
	global_load_b64 v[18:19], v[36:37], off offset:1024
.LBB221_10:
	;; [unrolled: 29-line block ×3, first 2 shown]
	s_or_b32 exec_lo, exec_lo, s10
	v_or_b32_e32 v2, 0xe0, v2
	s_delay_alu instid0(VALU_DEP_1) | instskip(SKIP_2) | instid1(SALU_CYCLE_1)
	v_cmp_gt_i32_e32 vcc_lo, s18, v2
	v_dual_mov_b32 v3, v1 :: v_dual_mov_b32 v2, v0
	s_and_b32 s10, s7, vcc_lo
	s_and_saveexec_b32 s7, s10
	s_cbranch_execz .LBB221_16
; %bb.15:
	global_load_b64 v[0:1], v[6:7], off offset:1792
	global_load_b64 v[2:3], v[36:37], off offset:1792
.LBB221_16:
	s_or_b32 exec_lo, exec_lo, s7
	s_waitcnt vmcnt(1)
	v_add_f64 v[6:7], v[32:33], 0
	v_mbcnt_lo_u32_b32 v39, -1, 0
	s_mov_b32 s10, exec_lo
	s_delay_alu instid0(VALU_DEP_1) | instskip(NEXT) | instid1(VALU_DEP_1)
	v_xor_b32_e32 v36, 16, v39
	v_cmp_gt_i32_e64 s7, 32, v36
	s_delay_alu instid0(VALU_DEP_1) | instskip(NEXT) | instid1(VALU_DEP_1)
	v_cndmask_b32_e64 v36, v39, v36, s7
	v_lshlrev_b32_e32 v37, 2, v36
	v_add_f64 v[6:7], v[6:7], v[28:29]
	s_delay_alu instid0(VALU_DEP_1) | instskip(NEXT) | instid1(VALU_DEP_1)
	v_add_f64 v[6:7], v[6:7], v[24:25]
	v_add_f64 v[6:7], v[6:7], v[20:21]
	s_delay_alu instid0(VALU_DEP_1) | instskip(NEXT) | instid1(VALU_DEP_1)
	v_add_f64 v[6:7], v[6:7], v[16:17]
	;; [unrolled: 3-line block ×3, first 2 shown]
	v_add_f64 v[6:7], v[6:7], v[0:1]
	ds_bpermute_b32 v36, v37, v6
	ds_bpermute_b32 v37, v37, v7
	s_waitcnt lgkmcnt(0)
	v_add_f64 v[6:7], v[6:7], v[36:37]
	v_xor_b32_e32 v36, 8, v39
	s_delay_alu instid0(VALU_DEP_1) | instskip(NEXT) | instid1(VALU_DEP_1)
	v_cmp_gt_i32_e64 s7, 32, v36
	v_cndmask_b32_e64 v36, v39, v36, s7
	s_delay_alu instid0(VALU_DEP_1)
	v_lshlrev_b32_e32 v37, 2, v36
	ds_bpermute_b32 v36, v37, v6
	ds_bpermute_b32 v37, v37, v7
	s_waitcnt lgkmcnt(0)
	v_add_f64 v[6:7], v[6:7], v[36:37]
	v_xor_b32_e32 v36, 4, v39
	s_delay_alu instid0(VALU_DEP_1) | instskip(NEXT) | instid1(VALU_DEP_1)
	v_cmp_gt_i32_e64 s7, 32, v36
	v_cndmask_b32_e64 v36, v39, v36, s7
	s_delay_alu instid0(VALU_DEP_1)
	v_lshlrev_b32_e32 v37, 2, v36
	;; [unrolled: 10-line block ×4, first 2 shown]
	ds_bpermute_b32 v36, v37, v6
	ds_bpermute_b32 v37, v37, v7
	v_cmpx_lt_i32_e32 0, v38
	s_cbranch_execz .LBB221_26
; %bb.17:
	s_waitcnt lgkmcnt(0)
	v_add_f64 v[6:7], v[6:7], v[36:37]
	v_add_co_u32 v4, s7, s8, v4
	s_delay_alu instid0(VALU_DEP_1)
	v_add_co_ci_u32_e64 v5, s7, s9, v5, s7
	s_and_saveexec_b32 s8, s6
	s_cbranch_execnz .LBB221_27
; %bb.18:
	s_or_b32 exec_lo, exec_lo, s8
	s_and_saveexec_b32 s7, s5
	s_cbranch_execnz .LBB221_28
.LBB221_19:
	s_or_b32 exec_lo, exec_lo, s7
	s_and_saveexec_b32 s6, s4
	s_cbranch_execnz .LBB221_29
.LBB221_20:
	s_or_b32 exec_lo, exec_lo, s6
	s_and_saveexec_b32 s5, s3
	s_cbranch_execnz .LBB221_30
.LBB221_21:
	s_or_b32 exec_lo, exec_lo, s5
	s_and_saveexec_b32 s4, s2
	s_cbranch_execnz .LBB221_31
.LBB221_22:
	s_or_b32 exec_lo, exec_lo, s4
	s_and_saveexec_b32 s3, s1
	s_cbranch_execnz .LBB221_32
.LBB221_23:
	s_or_b32 exec_lo, exec_lo, s3
	s_and_saveexec_b32 s2, s0
	s_cbranch_execnz .LBB221_33
.LBB221_24:
	s_or_b32 exec_lo, exec_lo, s2
	s_delay_alu instid0(SALU_CYCLE_1)
	s_and_b32 exec_lo, exec_lo, vcc_lo
	s_cbranch_execz .LBB221_26
.LBB221_25:
	s_mov_b32 s0, 0x652b82fe
	s_mov_b32 s1, 0x3ff71547
	;; [unrolled: 1-line block ×3, first 2 shown]
	s_waitcnt vmcnt(0)
	v_mul_f64 v[8:9], v[2:3], s[0:1]
	s_mov_b32 s0, 0xfefa39ef
	s_mov_b32 s1, 0xbfe62e42
	;; [unrolled: 1-line block ×3, first 2 shown]
	v_cmp_nlt_f64_e32 vcc_lo, 0x40900000, v[2:3]
	s_delay_alu instid0(VALU_DEP_2) | instskip(NEXT) | instid1(VALU_DEP_1)
	v_rndne_f64_e32 v[8:9], v[8:9]
	v_fma_f64 v[10:11], v[8:9], s[0:1], v[2:3]
	s_mov_b32 s0, 0x3b39803f
	s_mov_b32 s1, 0xbc7abc9e
	v_cvt_i32_f64_e32 v14, v[8:9]
	s_delay_alu instid0(VALU_DEP_2)
	v_fma_f64 v[10:11], v[8:9], s[0:1], v[10:11]
	s_mov_b32 s0, 0xfca7ab0c
	s_mov_b32 s1, 0x3e928af3
	s_delay_alu instid0(VALU_DEP_1) | instid1(SALU_CYCLE_1)
	v_fma_f64 v[12:13], v[10:11], s[2:3], s[0:1]
	s_mov_b32 s0, 0x623fde64
	s_mov_b32 s1, 0x3ec71dee
	s_delay_alu instid0(VALU_DEP_1) | instid1(SALU_CYCLE_1)
	;; [unrolled: 4-line block ×9, first 2 shown]
	v_fma_f64 v[12:13], v[10:11], v[12:13], s[0:1]
	v_cmp_ngt_f64_e64 s0, 0xc090cc00, v[2:3]
	s_delay_alu instid0(VALU_DEP_2) | instskip(NEXT) | instid1(VALU_DEP_1)
	v_fma_f64 v[12:13], v[10:11], v[12:13], 1.0
	v_fma_f64 v[8:9], v[10:11], v[12:13], 1.0
	s_delay_alu instid0(VALU_DEP_1) | instskip(NEXT) | instid1(VALU_DEP_1)
	v_ldexp_f64 v[8:9], v[8:9], v14
	v_cndmask_b32_e32 v9, 0x7ff00000, v9, vcc_lo
	s_and_b32 vcc_lo, s0, vcc_lo
	s_delay_alu instid0(VALU_DEP_2) | instskip(NEXT) | instid1(VALU_DEP_2)
	v_cndmask_b32_e32 v2, 0, v8, vcc_lo
	v_cndmask_b32_e64 v3, 0, v9, s0
	s_delay_alu instid0(VALU_DEP_1)
	v_fma_f64 v[0:1], -v[6:7], v[2:3], v[0:1]
	global_store_b64 v[4:5], v[0:1], off offset:1792
.LBB221_26:
	s_nop 0
	s_sendmsg sendmsg(MSG_DEALLOC_VGPRS)
	s_endpgm
.LBB221_27:
	s_mov_b32 s6, 0x652b82fe
	s_mov_b32 s7, 0x3ff71547
	;; [unrolled: 1-line block ×3, first 2 shown]
	s_waitcnt vmcnt(0)
	v_mul_f64 v[36:37], v[34:35], s[6:7]
	s_mov_b32 s6, 0xfefa39ef
	s_mov_b32 s7, 0xbfe62e42
	;; [unrolled: 1-line block ×3, first 2 shown]
	s_delay_alu instid0(VALU_DEP_1) | instskip(NEXT) | instid1(VALU_DEP_1)
	v_rndne_f64_e32 v[36:37], v[36:37]
	v_fma_f64 v[38:39], v[36:37], s[6:7], v[34:35]
	s_mov_b32 s6, 0x3b39803f
	s_mov_b32 s7, 0xbc7abc9e
	v_cvt_i32_f64_e32 v42, v[36:37]
	s_delay_alu instid0(VALU_DEP_2)
	v_fma_f64 v[38:39], v[36:37], s[6:7], v[38:39]
	s_mov_b32 s6, 0xfca7ab0c
	s_mov_b32 s7, 0x3e928af3
	s_delay_alu instid0(VALU_DEP_1) | instid1(SALU_CYCLE_1)
	v_fma_f64 v[40:41], v[38:39], s[10:11], s[6:7]
	s_mov_b32 s6, 0x623fde64
	s_mov_b32 s7, 0x3ec71dee
	s_delay_alu instid0(VALU_DEP_1) | instid1(SALU_CYCLE_1)
	;; [unrolled: 4-line block ×9, first 2 shown]
	v_fma_f64 v[40:41], v[38:39], v[40:41], s[6:7]
	v_cmp_nlt_f64_e64 s6, 0x40900000, v[34:35]
	v_cmp_ngt_f64_e64 s7, 0xc090cc00, v[34:35]
	s_delay_alu instid0(VALU_DEP_3) | instskip(NEXT) | instid1(VALU_DEP_1)
	v_fma_f64 v[40:41], v[38:39], v[40:41], 1.0
	v_fma_f64 v[36:37], v[38:39], v[40:41], 1.0
	s_delay_alu instid0(VALU_DEP_1) | instskip(NEXT) | instid1(VALU_DEP_1)
	v_ldexp_f64 v[36:37], v[36:37], v42
	v_cndmask_b32_e64 v37, 0x7ff00000, v37, s6
	s_and_b32 s6, s7, s6
	s_delay_alu instid0(VALU_DEP_2) | instid1(SALU_CYCLE_1)
	v_cndmask_b32_e64 v34, 0, v36, s6
	s_delay_alu instid0(VALU_DEP_2) | instskip(NEXT) | instid1(VALU_DEP_1)
	v_cndmask_b32_e64 v35, 0, v37, s7
	v_fma_f64 v[32:33], -v[6:7], v[34:35], v[32:33]
	global_store_b64 v[4:5], v[32:33], off
	s_or_b32 exec_lo, exec_lo, s8
	s_and_saveexec_b32 s7, s5
	s_cbranch_execz .LBB221_19
.LBB221_28:
	s_mov_b32 s8, 0x652b82fe
	s_mov_b32 s9, 0x3ff71547
	s_mov_b32 s10, 0x6a5dcb37
	s_waitcnt vmcnt(0)
	v_mul_f64 v[32:33], v[30:31], s[8:9]
	s_mov_b32 s8, 0xfefa39ef
	s_mov_b32 s9, 0xbfe62e42
	;; [unrolled: 1-line block ×3, first 2 shown]
	v_cmp_nlt_f64_e64 s5, 0x40900000, v[30:31]
	v_cmp_ngt_f64_e64 s6, 0xc090cc00, v[30:31]
	s_delay_alu instid0(VALU_DEP_3) | instskip(NEXT) | instid1(VALU_DEP_1)
	v_rndne_f64_e32 v[32:33], v[32:33]
	v_fma_f64 v[34:35], v[32:33], s[8:9], v[30:31]
	s_mov_b32 s8, 0x3b39803f
	s_mov_b32 s9, 0xbc7abc9e
	v_cvt_i32_f64_e32 v38, v[32:33]
	s_delay_alu instid0(VALU_DEP_2)
	v_fma_f64 v[34:35], v[32:33], s[8:9], v[34:35]
	s_mov_b32 s8, 0xfca7ab0c
	s_mov_b32 s9, 0x3e928af3
	s_delay_alu instid0(VALU_DEP_1) | instid1(SALU_CYCLE_1)
	v_fma_f64 v[36:37], v[34:35], s[10:11], s[8:9]
	s_mov_b32 s8, 0x623fde64
	s_mov_b32 s9, 0x3ec71dee
	s_delay_alu instid0(VALU_DEP_1) | instid1(SALU_CYCLE_1)
	;; [unrolled: 4-line block ×9, first 2 shown]
	v_fma_f64 v[36:37], v[34:35], v[36:37], s[8:9]
	s_delay_alu instid0(VALU_DEP_1) | instskip(NEXT) | instid1(VALU_DEP_1)
	v_fma_f64 v[36:37], v[34:35], v[36:37], 1.0
	v_fma_f64 v[32:33], v[34:35], v[36:37], 1.0
	s_delay_alu instid0(VALU_DEP_1) | instskip(NEXT) | instid1(VALU_DEP_1)
	v_ldexp_f64 v[32:33], v[32:33], v38
	v_cndmask_b32_e64 v33, 0x7ff00000, v33, s5
	s_and_b32 s5, s6, s5
	s_delay_alu instid0(VALU_DEP_2) | instid1(SALU_CYCLE_1)
	v_cndmask_b32_e64 v30, 0, v32, s5
	s_delay_alu instid0(VALU_DEP_2) | instskip(NEXT) | instid1(VALU_DEP_1)
	v_cndmask_b32_e64 v31, 0, v33, s6
	v_fma_f64 v[28:29], -v[6:7], v[30:31], v[28:29]
	global_store_b64 v[4:5], v[28:29], off offset:256
	s_or_b32 exec_lo, exec_lo, s7
	s_and_saveexec_b32 s6, s4
	s_cbranch_execz .LBB221_20
.LBB221_29:
	s_mov_b32 s4, 0x652b82fe
	s_mov_b32 s5, 0x3ff71547
	s_mov_b32 s8, 0x6a5dcb37
	s_waitcnt vmcnt(0)
	v_mul_f64 v[28:29], v[26:27], s[4:5]
	s_mov_b32 s4, 0xfefa39ef
	s_mov_b32 s5, 0xbfe62e42
	;; [unrolled: 1-line block ×3, first 2 shown]
	s_delay_alu instid0(VALU_DEP_1) | instskip(NEXT) | instid1(VALU_DEP_1)
	v_rndne_f64_e32 v[28:29], v[28:29]
	v_fma_f64 v[30:31], v[28:29], s[4:5], v[26:27]
	s_mov_b32 s4, 0x3b39803f
	s_mov_b32 s5, 0xbc7abc9e
	v_cvt_i32_f64_e32 v34, v[28:29]
	s_delay_alu instid0(VALU_DEP_2)
	v_fma_f64 v[30:31], v[28:29], s[4:5], v[30:31]
	s_mov_b32 s4, 0xfca7ab0c
	s_mov_b32 s5, 0x3e928af3
	s_delay_alu instid0(VALU_DEP_1) | instid1(SALU_CYCLE_1)
	v_fma_f64 v[32:33], v[30:31], s[8:9], s[4:5]
	s_mov_b32 s4, 0x623fde64
	s_mov_b32 s5, 0x3ec71dee
	s_delay_alu instid0(VALU_DEP_1) | instid1(SALU_CYCLE_1)
	;; [unrolled: 4-line block ×9, first 2 shown]
	v_fma_f64 v[32:33], v[30:31], v[32:33], s[4:5]
	v_cmp_nlt_f64_e64 s4, 0x40900000, v[26:27]
	v_cmp_ngt_f64_e64 s5, 0xc090cc00, v[26:27]
	s_delay_alu instid0(VALU_DEP_3) | instskip(NEXT) | instid1(VALU_DEP_1)
	v_fma_f64 v[32:33], v[30:31], v[32:33], 1.0
	v_fma_f64 v[28:29], v[30:31], v[32:33], 1.0
	s_delay_alu instid0(VALU_DEP_1) | instskip(NEXT) | instid1(VALU_DEP_1)
	v_ldexp_f64 v[28:29], v[28:29], v34
	v_cndmask_b32_e64 v29, 0x7ff00000, v29, s4
	s_and_b32 s4, s5, s4
	s_delay_alu instid0(VALU_DEP_2) | instid1(SALU_CYCLE_1)
	v_cndmask_b32_e64 v26, 0, v28, s4
	s_delay_alu instid0(VALU_DEP_2) | instskip(NEXT) | instid1(VALU_DEP_1)
	v_cndmask_b32_e64 v27, 0, v29, s5
	v_fma_f64 v[24:25], -v[6:7], v[26:27], v[24:25]
	global_store_b64 v[4:5], v[24:25], off offset:512
	s_or_b32 exec_lo, exec_lo, s6
	s_and_saveexec_b32 s5, s3
	s_cbranch_execz .LBB221_21
.LBB221_30:
	s_mov_b32 s6, 0x652b82fe
	s_mov_b32 s7, 0x3ff71547
	;; [unrolled: 1-line block ×3, first 2 shown]
	s_waitcnt vmcnt(0)
	v_mul_f64 v[24:25], v[22:23], s[6:7]
	s_mov_b32 s6, 0xfefa39ef
	s_mov_b32 s7, 0xbfe62e42
	;; [unrolled: 1-line block ×3, first 2 shown]
	v_cmp_nlt_f64_e64 s3, 0x40900000, v[22:23]
	v_cmp_ngt_f64_e64 s4, 0xc090cc00, v[22:23]
	s_delay_alu instid0(VALU_DEP_3) | instskip(NEXT) | instid1(VALU_DEP_1)
	v_rndne_f64_e32 v[24:25], v[24:25]
	v_fma_f64 v[26:27], v[24:25], s[6:7], v[22:23]
	s_mov_b32 s6, 0x3b39803f
	s_mov_b32 s7, 0xbc7abc9e
	v_cvt_i32_f64_e32 v30, v[24:25]
	s_delay_alu instid0(VALU_DEP_2)
	v_fma_f64 v[26:27], v[24:25], s[6:7], v[26:27]
	s_mov_b32 s6, 0xfca7ab0c
	s_mov_b32 s7, 0x3e928af3
	s_delay_alu instid0(VALU_DEP_1) | instid1(SALU_CYCLE_1)
	v_fma_f64 v[28:29], v[26:27], s[8:9], s[6:7]
	s_mov_b32 s6, 0x623fde64
	s_mov_b32 s7, 0x3ec71dee
	s_delay_alu instid0(VALU_DEP_1) | instid1(SALU_CYCLE_1)
	;; [unrolled: 4-line block ×9, first 2 shown]
	v_fma_f64 v[28:29], v[26:27], v[28:29], s[6:7]
	s_delay_alu instid0(VALU_DEP_1) | instskip(NEXT) | instid1(VALU_DEP_1)
	v_fma_f64 v[28:29], v[26:27], v[28:29], 1.0
	v_fma_f64 v[24:25], v[26:27], v[28:29], 1.0
	s_delay_alu instid0(VALU_DEP_1) | instskip(NEXT) | instid1(VALU_DEP_1)
	v_ldexp_f64 v[24:25], v[24:25], v30
	v_cndmask_b32_e64 v25, 0x7ff00000, v25, s3
	s_and_b32 s3, s4, s3
	s_delay_alu instid0(VALU_DEP_2) | instid1(SALU_CYCLE_1)
	v_cndmask_b32_e64 v22, 0, v24, s3
	s_delay_alu instid0(VALU_DEP_2) | instskip(NEXT) | instid1(VALU_DEP_1)
	v_cndmask_b32_e64 v23, 0, v25, s4
	v_fma_f64 v[20:21], -v[6:7], v[22:23], v[20:21]
	global_store_b64 v[4:5], v[20:21], off offset:768
	s_or_b32 exec_lo, exec_lo, s5
	s_and_saveexec_b32 s4, s2
	s_cbranch_execz .LBB221_22
.LBB221_31:
	s_mov_b32 s2, 0x652b82fe
	s_mov_b32 s3, 0x3ff71547
	;; [unrolled: 1-line block ×3, first 2 shown]
	s_waitcnt vmcnt(0)
	v_mul_f64 v[20:21], v[18:19], s[2:3]
	s_mov_b32 s2, 0xfefa39ef
	s_mov_b32 s3, 0xbfe62e42
	;; [unrolled: 1-line block ×3, first 2 shown]
	s_delay_alu instid0(VALU_DEP_1) | instskip(NEXT) | instid1(VALU_DEP_1)
	v_rndne_f64_e32 v[20:21], v[20:21]
	v_fma_f64 v[22:23], v[20:21], s[2:3], v[18:19]
	s_mov_b32 s2, 0x3b39803f
	s_mov_b32 s3, 0xbc7abc9e
	v_cvt_i32_f64_e32 v26, v[20:21]
	s_delay_alu instid0(VALU_DEP_2)
	v_fma_f64 v[22:23], v[20:21], s[2:3], v[22:23]
	s_mov_b32 s2, 0xfca7ab0c
	s_mov_b32 s3, 0x3e928af3
	s_delay_alu instid0(VALU_DEP_1) | instid1(SALU_CYCLE_1)
	v_fma_f64 v[24:25], v[22:23], s[6:7], s[2:3]
	s_mov_b32 s2, 0x623fde64
	s_mov_b32 s3, 0x3ec71dee
	s_delay_alu instid0(VALU_DEP_1) | instid1(SALU_CYCLE_1)
	;; [unrolled: 4-line block ×9, first 2 shown]
	v_fma_f64 v[24:25], v[22:23], v[24:25], s[2:3]
	v_cmp_nlt_f64_e64 s2, 0x40900000, v[18:19]
	v_cmp_ngt_f64_e64 s3, 0xc090cc00, v[18:19]
	s_delay_alu instid0(VALU_DEP_3) | instskip(NEXT) | instid1(VALU_DEP_1)
	v_fma_f64 v[24:25], v[22:23], v[24:25], 1.0
	v_fma_f64 v[20:21], v[22:23], v[24:25], 1.0
	s_delay_alu instid0(VALU_DEP_1) | instskip(NEXT) | instid1(VALU_DEP_1)
	v_ldexp_f64 v[20:21], v[20:21], v26
	v_cndmask_b32_e64 v21, 0x7ff00000, v21, s2
	s_and_b32 s2, s3, s2
	s_delay_alu instid0(VALU_DEP_2) | instid1(SALU_CYCLE_1)
	v_cndmask_b32_e64 v18, 0, v20, s2
	s_delay_alu instid0(VALU_DEP_2) | instskip(NEXT) | instid1(VALU_DEP_1)
	v_cndmask_b32_e64 v19, 0, v21, s3
	v_fma_f64 v[16:17], -v[6:7], v[18:19], v[16:17]
	global_store_b64 v[4:5], v[16:17], off offset:1024
	s_or_b32 exec_lo, exec_lo, s4
	s_and_saveexec_b32 s3, s1
	s_cbranch_execz .LBB221_23
.LBB221_32:
	s_mov_b32 s4, 0x652b82fe
	s_mov_b32 s5, 0x3ff71547
	;; [unrolled: 1-line block ×3, first 2 shown]
	s_waitcnt vmcnt(0)
	v_mul_f64 v[16:17], v[14:15], s[4:5]
	s_mov_b32 s4, 0xfefa39ef
	s_mov_b32 s5, 0xbfe62e42
	;; [unrolled: 1-line block ×3, first 2 shown]
	v_cmp_nlt_f64_e64 s1, 0x40900000, v[14:15]
	v_cmp_ngt_f64_e64 s2, 0xc090cc00, v[14:15]
	s_delay_alu instid0(VALU_DEP_3) | instskip(NEXT) | instid1(VALU_DEP_1)
	v_rndne_f64_e32 v[16:17], v[16:17]
	v_fma_f64 v[18:19], v[16:17], s[4:5], v[14:15]
	s_mov_b32 s4, 0x3b39803f
	s_mov_b32 s5, 0xbc7abc9e
	v_cvt_i32_f64_e32 v22, v[16:17]
	s_delay_alu instid0(VALU_DEP_2)
	v_fma_f64 v[18:19], v[16:17], s[4:5], v[18:19]
	s_mov_b32 s4, 0xfca7ab0c
	s_mov_b32 s5, 0x3e928af3
	s_delay_alu instid0(VALU_DEP_1) | instid1(SALU_CYCLE_1)
	v_fma_f64 v[20:21], v[18:19], s[6:7], s[4:5]
	s_mov_b32 s4, 0x623fde64
	s_mov_b32 s5, 0x3ec71dee
	s_delay_alu instid0(VALU_DEP_1) | instid1(SALU_CYCLE_1)
	;; [unrolled: 4-line block ×9, first 2 shown]
	v_fma_f64 v[20:21], v[18:19], v[20:21], s[4:5]
	s_delay_alu instid0(VALU_DEP_1) | instskip(NEXT) | instid1(VALU_DEP_1)
	v_fma_f64 v[20:21], v[18:19], v[20:21], 1.0
	v_fma_f64 v[16:17], v[18:19], v[20:21], 1.0
	s_delay_alu instid0(VALU_DEP_1) | instskip(NEXT) | instid1(VALU_DEP_1)
	v_ldexp_f64 v[16:17], v[16:17], v22
	v_cndmask_b32_e64 v17, 0x7ff00000, v17, s1
	s_and_b32 s1, s2, s1
	s_delay_alu instid0(VALU_DEP_2) | instid1(SALU_CYCLE_1)
	v_cndmask_b32_e64 v14, 0, v16, s1
	s_delay_alu instid0(VALU_DEP_2) | instskip(NEXT) | instid1(VALU_DEP_1)
	v_cndmask_b32_e64 v15, 0, v17, s2
	v_fma_f64 v[12:13], -v[6:7], v[14:15], v[12:13]
	global_store_b64 v[4:5], v[12:13], off offset:1280
	s_or_b32 exec_lo, exec_lo, s3
	s_and_saveexec_b32 s2, s0
	s_cbranch_execz .LBB221_24
.LBB221_33:
	s_mov_b32 s0, 0x652b82fe
	s_mov_b32 s1, 0x3ff71547
	;; [unrolled: 1-line block ×3, first 2 shown]
	s_waitcnt vmcnt(0)
	v_mul_f64 v[12:13], v[10:11], s[0:1]
	s_mov_b32 s0, 0xfefa39ef
	s_mov_b32 s1, 0xbfe62e42
	;; [unrolled: 1-line block ×3, first 2 shown]
	s_delay_alu instid0(VALU_DEP_1) | instskip(NEXT) | instid1(VALU_DEP_1)
	v_rndne_f64_e32 v[12:13], v[12:13]
	v_fma_f64 v[14:15], v[12:13], s[0:1], v[10:11]
	s_mov_b32 s0, 0x3b39803f
	s_mov_b32 s1, 0xbc7abc9e
	v_cvt_i32_f64_e32 v18, v[12:13]
	s_delay_alu instid0(VALU_DEP_2)
	v_fma_f64 v[14:15], v[12:13], s[0:1], v[14:15]
	s_mov_b32 s0, 0xfca7ab0c
	s_mov_b32 s1, 0x3e928af3
	s_delay_alu instid0(VALU_DEP_1) | instid1(SALU_CYCLE_1)
	v_fma_f64 v[16:17], v[14:15], s[4:5], s[0:1]
	s_mov_b32 s0, 0x623fde64
	s_mov_b32 s1, 0x3ec71dee
	s_delay_alu instid0(VALU_DEP_1) | instid1(SALU_CYCLE_1)
	;; [unrolled: 4-line block ×9, first 2 shown]
	v_fma_f64 v[16:17], v[14:15], v[16:17], s[0:1]
	v_cmp_nlt_f64_e64 s0, 0x40900000, v[10:11]
	v_cmp_ngt_f64_e64 s1, 0xc090cc00, v[10:11]
	s_delay_alu instid0(VALU_DEP_3) | instskip(NEXT) | instid1(VALU_DEP_1)
	v_fma_f64 v[16:17], v[14:15], v[16:17], 1.0
	v_fma_f64 v[12:13], v[14:15], v[16:17], 1.0
	s_delay_alu instid0(VALU_DEP_1) | instskip(NEXT) | instid1(VALU_DEP_1)
	v_ldexp_f64 v[12:13], v[12:13], v18
	v_cndmask_b32_e64 v13, 0x7ff00000, v13, s0
	s_and_b32 s0, s1, s0
	s_delay_alu instid0(VALU_DEP_2) | instid1(SALU_CYCLE_1)
	v_cndmask_b32_e64 v10, 0, v12, s0
	s_delay_alu instid0(VALU_DEP_2) | instskip(NEXT) | instid1(VALU_DEP_1)
	v_cndmask_b32_e64 v11, 0, v13, s1
	v_fma_f64 v[8:9], -v[6:7], v[10:11], v[8:9]
	global_store_b64 v[4:5], v[8:9], off offset:1536
	s_or_b32 exec_lo, exec_lo, s2
	s_delay_alu instid0(SALU_CYCLE_1)
	s_and_b32 exec_lo, exec_lo, vcc_lo
	s_cbranch_execnz .LBB221_25
	s_branch .LBB221_26
	.section	.rodata,"a",@progbits
	.p2align	6, 0x0
	.amdhsa_kernel _ZN12_GLOBAL__N_121softmax_warp_backwardIdddLi8ELb1ELb0ELi32EEEvPT0_PKT_S5_iiiPKb
		.amdhsa_group_segment_fixed_size 0
		.amdhsa_private_segment_fixed_size 0
		.amdhsa_kernarg_size 304
		.amdhsa_user_sgpr_count 15
		.amdhsa_user_sgpr_dispatch_ptr 0
		.amdhsa_user_sgpr_queue_ptr 0
		.amdhsa_user_sgpr_kernarg_segment_ptr 1
		.amdhsa_user_sgpr_dispatch_id 0
		.amdhsa_user_sgpr_private_segment_size 0
		.amdhsa_wavefront_size32 1
		.amdhsa_uses_dynamic_stack 0
		.amdhsa_enable_private_segment 0
		.amdhsa_system_sgpr_workgroup_id_x 1
		.amdhsa_system_sgpr_workgroup_id_y 0
		.amdhsa_system_sgpr_workgroup_id_z 0
		.amdhsa_system_sgpr_workgroup_info 0
		.amdhsa_system_vgpr_workitem_id 1
		.amdhsa_next_free_vgpr 43
		.amdhsa_next_free_sgpr 20
		.amdhsa_reserve_vcc 1
		.amdhsa_float_round_mode_32 0
		.amdhsa_float_round_mode_16_64 0
		.amdhsa_float_denorm_mode_32 3
		.amdhsa_float_denorm_mode_16_64 3
		.amdhsa_dx10_clamp 1
		.amdhsa_ieee_mode 1
		.amdhsa_fp16_overflow 0
		.amdhsa_workgroup_processor_mode 1
		.amdhsa_memory_ordered 1
		.amdhsa_forward_progress 0
		.amdhsa_shared_vgpr_count 0
		.amdhsa_exception_fp_ieee_invalid_op 0
		.amdhsa_exception_fp_denorm_src 0
		.amdhsa_exception_fp_ieee_div_zero 0
		.amdhsa_exception_fp_ieee_overflow 0
		.amdhsa_exception_fp_ieee_underflow 0
		.amdhsa_exception_fp_ieee_inexact 0
		.amdhsa_exception_int_div_zero 0
	.end_amdhsa_kernel
	.section	.text._ZN12_GLOBAL__N_121softmax_warp_backwardIdddLi8ELb1ELb0ELi32EEEvPT0_PKT_S5_iiiPKb,"axG",@progbits,_ZN12_GLOBAL__N_121softmax_warp_backwardIdddLi8ELb1ELb0ELi32EEEvPT0_PKT_S5_iiiPKb,comdat
.Lfunc_end221:
	.size	_ZN12_GLOBAL__N_121softmax_warp_backwardIdddLi8ELb1ELb0ELi32EEEvPT0_PKT_S5_iiiPKb, .Lfunc_end221-_ZN12_GLOBAL__N_121softmax_warp_backwardIdddLi8ELb1ELb0ELi32EEEvPT0_PKT_S5_iiiPKb
                                        ; -- End function
	.section	.AMDGPU.csdata,"",@progbits
; Kernel info:
; codeLenInByte = 5036
; NumSgprs: 22
; NumVgprs: 43
; ScratchSize: 0
; MemoryBound: 0
; FloatMode: 240
; IeeeMode: 1
; LDSByteSize: 0 bytes/workgroup (compile time only)
; SGPRBlocks: 2
; VGPRBlocks: 5
; NumSGPRsForWavesPerEU: 22
; NumVGPRsForWavesPerEU: 43
; Occupancy: 16
; WaveLimiterHint : 0
; COMPUTE_PGM_RSRC2:SCRATCH_EN: 0
; COMPUTE_PGM_RSRC2:USER_SGPR: 15
; COMPUTE_PGM_RSRC2:TRAP_HANDLER: 0
; COMPUTE_PGM_RSRC2:TGID_X_EN: 1
; COMPUTE_PGM_RSRC2:TGID_Y_EN: 0
; COMPUTE_PGM_RSRC2:TGID_Z_EN: 0
; COMPUTE_PGM_RSRC2:TIDIG_COMP_CNT: 1
	.section	.text._ZN12_GLOBAL__N_121softmax_warp_backwardIdddLi9ELb1ELb0ELi64EEEvPT0_PKT_S5_iiiPKb,"axG",@progbits,_ZN12_GLOBAL__N_121softmax_warp_backwardIdddLi9ELb1ELb0ELi64EEEvPT0_PKT_S5_iiiPKb,comdat
	.globl	_ZN12_GLOBAL__N_121softmax_warp_backwardIdddLi9ELb1ELb0ELi64EEEvPT0_PKT_S5_iiiPKb ; -- Begin function _ZN12_GLOBAL__N_121softmax_warp_backwardIdddLi9ELb1ELb0ELi64EEEvPT0_PKT_S5_iiiPKb
	.p2align	8
	.type	_ZN12_GLOBAL__N_121softmax_warp_backwardIdddLi9ELb1ELb0ELi64EEEvPT0_PKT_S5_iiiPKb,@function
_ZN12_GLOBAL__N_121softmax_warp_backwardIdddLi9ELb1ELb0ELi64EEEvPT0_PKT_S5_iiiPKb: ; @_ZN12_GLOBAL__N_121softmax_warp_backwardIdddLi9ELb1ELb0ELi64EEEvPT0_PKT_S5_iiiPKb
; %bb.0:
	s_clause 0x1
	s_load_b32 s2, s[0:1], 0x3c
	s_load_b128 s[16:19], s[0:1], 0x18
	v_bfe_u32 v1, v0, 10, 10
	s_load_b128 s[8:11], s[0:1], 0x0
	v_mov_b32_e32 v28, 0
	s_load_b64 s[0:1], s[0:1], 0x10
	v_mov_b32_e32 v29, 0
	s_delay_alu instid0(VALU_DEP_1) | instskip(SKIP_3) | instid1(SALU_CYCLE_1)
	v_dual_mov_b32 v33, v29 :: v_dual_mov_b32 v32, v28
	v_dual_mov_b32 v35, v29 :: v_dual_mov_b32 v34, v28
	s_waitcnt lgkmcnt(0)
	s_lshr_b32 s2, s2, 16
	v_mad_u64_u32 v[3:4], null, s15, s2, v[1:2]
	v_and_b32_e32 v2, 63, v0
	s_delay_alu instid0(VALU_DEP_1) | instskip(NEXT) | instid1(VALU_DEP_3)
	v_cmp_gt_i32_e64 s6, s18, v2
	v_mad_u64_u32 v[0:1], null, v3, s17, v[2:3]
	v_sub_nc_u32_e32 v38, s16, v3
	s_delay_alu instid0(VALU_DEP_1) | instskip(NEXT) | instid1(VALU_DEP_3)
	v_cmp_lt_i32_e64 s7, 0, v38
	v_ashrrev_i32_e32 v1, 31, v0
	s_delay_alu instid0(VALU_DEP_1) | instskip(NEXT) | instid1(VALU_DEP_1)
	v_lshlrev_b64 v[6:7], 3, v[0:1]
	v_add_co_u32 v8, vcc_lo, s10, v6
	s_delay_alu instid0(VALU_DEP_2) | instskip(SKIP_3) | instid1(SALU_CYCLE_1)
	v_add_co_ci_u32_e32 v9, vcc_lo, s11, v7, vcc_lo
	v_add_co_u32 v36, vcc_lo, s0, v6
	v_add_co_ci_u32_e32 v37, vcc_lo, s1, v7, vcc_lo
	s_and_b32 s1, s7, s6
	s_and_saveexec_b32 s0, s1
	s_cbranch_execz .LBB222_2
; %bb.1:
	global_load_b64 v[32:33], v[8:9], off
	global_load_b64 v[34:35], v[36:37], off
.LBB222_2:
	s_or_b32 exec_lo, exec_lo, s0
	v_or_b32_e32 v0, 64, v2
	v_dual_mov_b32 v31, v29 :: v_dual_mov_b32 v30, v28
	s_delay_alu instid0(VALU_DEP_2) | instskip(NEXT) | instid1(VALU_DEP_1)
	v_cmp_gt_i32_e64 s5, s18, v0
	s_and_b32 s1, s7, s5
	s_delay_alu instid0(SALU_CYCLE_1)
	s_and_saveexec_b32 s0, s1
	s_cbranch_execz .LBB222_4
; %bb.3:
	global_load_b64 v[28:29], v[8:9], off offset:512
	global_load_b64 v[30:31], v[36:37], off offset:512
.LBB222_4:
	s_or_b32 exec_lo, exec_lo, s0
	v_or_b32_e32 v0, 0x80, v2
	v_mov_b32_e32 v20, 0
	v_mov_b32_e32 v21, 0
	s_delay_alu instid0(VALU_DEP_3) | instskip(NEXT) | instid1(VALU_DEP_2)
	v_cmp_gt_i32_e64 s4, s18, v0
	v_dual_mov_b32 v25, v21 :: v_dual_mov_b32 v24, v20
	v_dual_mov_b32 v27, v21 :: v_dual_mov_b32 v26, v20
	s_delay_alu instid0(VALU_DEP_3) | instskip(NEXT) | instid1(SALU_CYCLE_1)
	s_and_b32 s1, s7, s4
	s_and_saveexec_b32 s0, s1
	s_cbranch_execz .LBB222_6
; %bb.5:
	global_load_b64 v[24:25], v[8:9], off offset:1024
	global_load_b64 v[26:27], v[36:37], off offset:1024
.LBB222_6:
	s_or_b32 exec_lo, exec_lo, s0
	v_or_b32_e32 v0, 0xc0, v2
	v_dual_mov_b32 v23, v21 :: v_dual_mov_b32 v22, v20
	s_delay_alu instid0(VALU_DEP_2) | instskip(NEXT) | instid1(VALU_DEP_1)
	v_cmp_gt_i32_e64 s3, s18, v0
	s_and_b32 s1, s7, s3
	s_delay_alu instid0(SALU_CYCLE_1)
	s_and_saveexec_b32 s0, s1
	s_cbranch_execz .LBB222_8
; %bb.7:
	global_load_b64 v[20:21], v[8:9], off offset:1536
	global_load_b64 v[22:23], v[36:37], off offset:1536
.LBB222_8:
	s_or_b32 exec_lo, exec_lo, s0
	v_or_b32_e32 v0, 0x100, v2
	v_mov_b32_e32 v12, 0
	v_mov_b32_e32 v13, 0
	s_delay_alu instid0(VALU_DEP_3) | instskip(NEXT) | instid1(VALU_DEP_2)
	v_cmp_gt_i32_e64 s2, s18, v0
	v_dual_mov_b32 v17, v13 :: v_dual_mov_b32 v16, v12
	v_dual_mov_b32 v19, v13 :: v_dual_mov_b32 v18, v12
	s_delay_alu instid0(VALU_DEP_3) | instskip(NEXT) | instid1(SALU_CYCLE_1)
	s_and_b32 s1, s7, s2
	s_and_saveexec_b32 s0, s1
	s_cbranch_execz .LBB222_10
; %bb.9:
	global_load_b64 v[16:17], v[8:9], off offset:2048
	global_load_b64 v[18:19], v[36:37], off offset:2048
.LBB222_10:
	;; [unrolled: 29-line block ×3, first 2 shown]
	s_or_b32 exec_lo, exec_lo, s10
	v_or_b32_e32 v2, 0x1c0, v2
	s_delay_alu instid0(VALU_DEP_1) | instskip(SKIP_2) | instid1(SALU_CYCLE_1)
	v_cmp_gt_i32_e32 vcc_lo, s18, v2
	v_dual_mov_b32 v3, v1 :: v_dual_mov_b32 v2, v0
	s_and_b32 s10, s7, vcc_lo
	s_and_saveexec_b32 s7, s10
	s_cbranch_execz .LBB222_16
; %bb.15:
	global_load_b64 v[0:1], v[8:9], off offset:3584
	global_load_b64 v[2:3], v[36:37], off offset:3584
.LBB222_16:
	s_or_b32 exec_lo, exec_lo, s7
	s_waitcnt vmcnt(1)
	v_add_f64 v[8:9], v[32:33], 0
	v_mbcnt_lo_u32_b32 v39, -1, 0
	s_mov_b32 s10, exec_lo
	s_delay_alu instid0(VALU_DEP_1) | instskip(NEXT) | instid1(VALU_DEP_1)
	v_or_b32_e32 v36, 32, v39
	v_cmp_gt_i32_e64 s7, 64, v36
	s_delay_alu instid0(VALU_DEP_1) | instskip(NEXT) | instid1(VALU_DEP_1)
	v_cndmask_b32_e64 v36, v39, v36, s7
	v_lshlrev_b32_e32 v37, 2, v36
	v_add_f64 v[8:9], v[8:9], v[28:29]
	s_delay_alu instid0(VALU_DEP_1) | instskip(NEXT) | instid1(VALU_DEP_1)
	v_add_f64 v[8:9], v[8:9], v[24:25]
	v_add_f64 v[8:9], v[8:9], v[20:21]
	s_delay_alu instid0(VALU_DEP_1) | instskip(NEXT) | instid1(VALU_DEP_1)
	v_add_f64 v[8:9], v[8:9], v[16:17]
	;; [unrolled: 3-line block ×3, first 2 shown]
	v_add_f64 v[8:9], v[8:9], v[0:1]
	ds_bpermute_b32 v36, v37, v8
	ds_bpermute_b32 v37, v37, v9
	s_waitcnt lgkmcnt(0)
	v_add_f64 v[8:9], v[8:9], v[36:37]
	v_xor_b32_e32 v36, 16, v39
	s_delay_alu instid0(VALU_DEP_1) | instskip(NEXT) | instid1(VALU_DEP_1)
	v_cmp_gt_i32_e64 s7, 64, v36
	v_cndmask_b32_e64 v36, v39, v36, s7
	s_delay_alu instid0(VALU_DEP_1)
	v_lshlrev_b32_e32 v37, 2, v36
	ds_bpermute_b32 v36, v37, v8
	ds_bpermute_b32 v37, v37, v9
	s_waitcnt lgkmcnt(0)
	v_add_f64 v[8:9], v[8:9], v[36:37]
	v_xor_b32_e32 v36, 8, v39
	s_delay_alu instid0(VALU_DEP_1) | instskip(NEXT) | instid1(VALU_DEP_1)
	v_cmp_gt_i32_e64 s7, 64, v36
	v_cndmask_b32_e64 v36, v39, v36, s7
	s_delay_alu instid0(VALU_DEP_1)
	v_lshlrev_b32_e32 v37, 2, v36
	;; [unrolled: 10-line block ×5, first 2 shown]
	ds_bpermute_b32 v36, v37, v8
	ds_bpermute_b32 v37, v37, v9
	v_cmpx_lt_i32_e32 0, v38
	s_cbranch_execz .LBB222_26
; %bb.17:
	s_waitcnt lgkmcnt(0)
	v_add_f64 v[8:9], v[8:9], v[36:37]
	v_add_co_u32 v6, s7, s8, v6
	s_delay_alu instid0(VALU_DEP_1)
	v_add_co_ci_u32_e64 v7, s7, s9, v7, s7
	s_and_saveexec_b32 s8, s6
	s_cbranch_execnz .LBB222_27
; %bb.18:
	s_or_b32 exec_lo, exec_lo, s8
	s_and_saveexec_b32 s7, s5
	s_cbranch_execnz .LBB222_28
.LBB222_19:
	s_or_b32 exec_lo, exec_lo, s7
	s_and_saveexec_b32 s6, s4
	s_cbranch_execnz .LBB222_29
.LBB222_20:
	s_or_b32 exec_lo, exec_lo, s6
	s_and_saveexec_b32 s5, s3
	s_cbranch_execnz .LBB222_30
.LBB222_21:
	s_or_b32 exec_lo, exec_lo, s5
	s_and_saveexec_b32 s4, s2
	s_cbranch_execnz .LBB222_31
.LBB222_22:
	s_or_b32 exec_lo, exec_lo, s4
	s_and_saveexec_b32 s3, s1
	s_cbranch_execnz .LBB222_32
.LBB222_23:
	s_or_b32 exec_lo, exec_lo, s3
	s_and_saveexec_b32 s2, s0
	s_cbranch_execnz .LBB222_33
.LBB222_24:
	s_or_b32 exec_lo, exec_lo, s2
	s_delay_alu instid0(SALU_CYCLE_1)
	s_and_b32 exec_lo, exec_lo, vcc_lo
	s_cbranch_execz .LBB222_26
.LBB222_25:
	s_mov_b32 s0, 0x652b82fe
	s_mov_b32 s1, 0x3ff71547
	s_mov_b32 s2, 0x6a5dcb37
	s_waitcnt vmcnt(0)
	v_mul_f64 v[4:5], v[2:3], s[0:1]
	s_mov_b32 s0, 0xfefa39ef
	s_mov_b32 s1, 0xbfe62e42
	s_mov_b32 s3, 0x3e5ade15
	v_cmp_nlt_f64_e32 vcc_lo, 0x40900000, v[2:3]
	s_delay_alu instid0(VALU_DEP_2) | instskip(NEXT) | instid1(VALU_DEP_1)
	v_rndne_f64_e32 v[4:5], v[4:5]
	v_fma_f64 v[10:11], v[4:5], s[0:1], v[2:3]
	s_mov_b32 s0, 0x3b39803f
	s_mov_b32 s1, 0xbc7abc9e
	v_cvt_i32_f64_e32 v14, v[4:5]
	s_delay_alu instid0(VALU_DEP_2)
	v_fma_f64 v[10:11], v[4:5], s[0:1], v[10:11]
	s_mov_b32 s0, 0xfca7ab0c
	s_mov_b32 s1, 0x3e928af3
	s_delay_alu instid0(VALU_DEP_1) | instid1(SALU_CYCLE_1)
	v_fma_f64 v[12:13], v[10:11], s[2:3], s[0:1]
	s_mov_b32 s0, 0x623fde64
	s_mov_b32 s1, 0x3ec71dee
	s_delay_alu instid0(VALU_DEP_1) | instid1(SALU_CYCLE_1)
	;; [unrolled: 4-line block ×9, first 2 shown]
	v_fma_f64 v[12:13], v[10:11], v[12:13], s[0:1]
	v_cmp_ngt_f64_e64 s0, 0xc090cc00, v[2:3]
	s_delay_alu instid0(VALU_DEP_2) | instskip(NEXT) | instid1(VALU_DEP_1)
	v_fma_f64 v[12:13], v[10:11], v[12:13], 1.0
	v_fma_f64 v[4:5], v[10:11], v[12:13], 1.0
	s_delay_alu instid0(VALU_DEP_1) | instskip(NEXT) | instid1(VALU_DEP_1)
	v_ldexp_f64 v[4:5], v[4:5], v14
	v_cndmask_b32_e32 v5, 0x7ff00000, v5, vcc_lo
	s_and_b32 vcc_lo, s0, vcc_lo
	s_delay_alu instid0(VALU_DEP_2) | instskip(NEXT) | instid1(VALU_DEP_2)
	v_cndmask_b32_e32 v2, 0, v4, vcc_lo
	v_cndmask_b32_e64 v3, 0, v5, s0
	s_delay_alu instid0(VALU_DEP_1)
	v_fma_f64 v[0:1], -v[8:9], v[2:3], v[0:1]
	global_store_b64 v[6:7], v[0:1], off offset:3584
.LBB222_26:
	s_nop 0
	s_sendmsg sendmsg(MSG_DEALLOC_VGPRS)
	s_endpgm
.LBB222_27:
	s_mov_b32 s6, 0x652b82fe
	s_mov_b32 s7, 0x3ff71547
	;; [unrolled: 1-line block ×3, first 2 shown]
	s_waitcnt vmcnt(0)
	v_mul_f64 v[36:37], v[34:35], s[6:7]
	s_mov_b32 s6, 0xfefa39ef
	s_mov_b32 s7, 0xbfe62e42
	;; [unrolled: 1-line block ×3, first 2 shown]
	s_delay_alu instid0(VALU_DEP_1) | instskip(NEXT) | instid1(VALU_DEP_1)
	v_rndne_f64_e32 v[36:37], v[36:37]
	v_fma_f64 v[38:39], v[36:37], s[6:7], v[34:35]
	s_mov_b32 s6, 0x3b39803f
	s_mov_b32 s7, 0xbc7abc9e
	v_cvt_i32_f64_e32 v42, v[36:37]
	s_delay_alu instid0(VALU_DEP_2)
	v_fma_f64 v[38:39], v[36:37], s[6:7], v[38:39]
	s_mov_b32 s6, 0xfca7ab0c
	s_mov_b32 s7, 0x3e928af3
	s_delay_alu instid0(VALU_DEP_1) | instid1(SALU_CYCLE_1)
	v_fma_f64 v[40:41], v[38:39], s[10:11], s[6:7]
	s_mov_b32 s6, 0x623fde64
	s_mov_b32 s7, 0x3ec71dee
	s_delay_alu instid0(VALU_DEP_1) | instid1(SALU_CYCLE_1)
	v_fma_f64 v[40:41], v[38:39], v[40:41], s[6:7]
	s_mov_b32 s6, 0x7c89e6b0
	s_mov_b32 s7, 0x3efa0199
	s_delay_alu instid0(VALU_DEP_1) | instid1(SALU_CYCLE_1)
	v_fma_f64 v[40:41], v[38:39], v[40:41], s[6:7]
	s_mov_b32 s6, 0x14761f6e
	s_mov_b32 s7, 0x3f2a01a0
	s_delay_alu instid0(VALU_DEP_1) | instid1(SALU_CYCLE_1)
	v_fma_f64 v[40:41], v[38:39], v[40:41], s[6:7]
	s_mov_b32 s6, 0x1852b7b0
	s_mov_b32 s7, 0x3f56c16c
	s_delay_alu instid0(VALU_DEP_1) | instid1(SALU_CYCLE_1)
	v_fma_f64 v[40:41], v[38:39], v[40:41], s[6:7]
	s_mov_b32 s6, 0x11122322
	s_mov_b32 s7, 0x3f811111
	s_delay_alu instid0(VALU_DEP_1) | instid1(SALU_CYCLE_1)
	v_fma_f64 v[40:41], v[38:39], v[40:41], s[6:7]
	s_mov_b32 s6, 0x555502a1
	s_mov_b32 s7, 0x3fa55555
	s_delay_alu instid0(VALU_DEP_1) | instid1(SALU_CYCLE_1)
	v_fma_f64 v[40:41], v[38:39], v[40:41], s[6:7]
	s_mov_b32 s6, 0x55555511
	s_mov_b32 s7, 0x3fc55555
	s_delay_alu instid0(VALU_DEP_1) | instid1(SALU_CYCLE_1)
	v_fma_f64 v[40:41], v[38:39], v[40:41], s[6:7]
	s_mov_b32 s6, 11
	s_mov_b32 s7, 0x3fe00000
	s_delay_alu instid0(VALU_DEP_1) | instid1(SALU_CYCLE_1)
	v_fma_f64 v[40:41], v[38:39], v[40:41], s[6:7]
	v_cmp_nlt_f64_e64 s6, 0x40900000, v[34:35]
	v_cmp_ngt_f64_e64 s7, 0xc090cc00, v[34:35]
	s_delay_alu instid0(VALU_DEP_3) | instskip(NEXT) | instid1(VALU_DEP_1)
	v_fma_f64 v[40:41], v[38:39], v[40:41], 1.0
	v_fma_f64 v[36:37], v[38:39], v[40:41], 1.0
	s_delay_alu instid0(VALU_DEP_1) | instskip(NEXT) | instid1(VALU_DEP_1)
	v_ldexp_f64 v[36:37], v[36:37], v42
	v_cndmask_b32_e64 v37, 0x7ff00000, v37, s6
	s_and_b32 s6, s7, s6
	s_delay_alu instid0(VALU_DEP_2) | instid1(SALU_CYCLE_1)
	v_cndmask_b32_e64 v34, 0, v36, s6
	s_delay_alu instid0(VALU_DEP_2) | instskip(NEXT) | instid1(VALU_DEP_1)
	v_cndmask_b32_e64 v35, 0, v37, s7
	v_fma_f64 v[32:33], -v[8:9], v[34:35], v[32:33]
	global_store_b64 v[6:7], v[32:33], off
	s_or_b32 exec_lo, exec_lo, s8
	s_and_saveexec_b32 s7, s5
	s_cbranch_execz .LBB222_19
.LBB222_28:
	s_mov_b32 s8, 0x652b82fe
	s_mov_b32 s9, 0x3ff71547
	;; [unrolled: 1-line block ×3, first 2 shown]
	s_waitcnt vmcnt(0)
	v_mul_f64 v[32:33], v[30:31], s[8:9]
	s_mov_b32 s8, 0xfefa39ef
	s_mov_b32 s9, 0xbfe62e42
	;; [unrolled: 1-line block ×3, first 2 shown]
	v_cmp_nlt_f64_e64 s5, 0x40900000, v[30:31]
	v_cmp_ngt_f64_e64 s6, 0xc090cc00, v[30:31]
	s_delay_alu instid0(VALU_DEP_3) | instskip(NEXT) | instid1(VALU_DEP_1)
	v_rndne_f64_e32 v[32:33], v[32:33]
	v_fma_f64 v[34:35], v[32:33], s[8:9], v[30:31]
	s_mov_b32 s8, 0x3b39803f
	s_mov_b32 s9, 0xbc7abc9e
	v_cvt_i32_f64_e32 v38, v[32:33]
	s_delay_alu instid0(VALU_DEP_2)
	v_fma_f64 v[34:35], v[32:33], s[8:9], v[34:35]
	s_mov_b32 s8, 0xfca7ab0c
	s_mov_b32 s9, 0x3e928af3
	s_delay_alu instid0(VALU_DEP_1) | instid1(SALU_CYCLE_1)
	v_fma_f64 v[36:37], v[34:35], s[10:11], s[8:9]
	s_mov_b32 s8, 0x623fde64
	s_mov_b32 s9, 0x3ec71dee
	s_delay_alu instid0(VALU_DEP_1) | instid1(SALU_CYCLE_1)
	;; [unrolled: 4-line block ×9, first 2 shown]
	v_fma_f64 v[36:37], v[34:35], v[36:37], s[8:9]
	s_delay_alu instid0(VALU_DEP_1) | instskip(NEXT) | instid1(VALU_DEP_1)
	v_fma_f64 v[36:37], v[34:35], v[36:37], 1.0
	v_fma_f64 v[32:33], v[34:35], v[36:37], 1.0
	s_delay_alu instid0(VALU_DEP_1) | instskip(NEXT) | instid1(VALU_DEP_1)
	v_ldexp_f64 v[32:33], v[32:33], v38
	v_cndmask_b32_e64 v33, 0x7ff00000, v33, s5
	s_and_b32 s5, s6, s5
	s_delay_alu instid0(VALU_DEP_2) | instid1(SALU_CYCLE_1)
	v_cndmask_b32_e64 v30, 0, v32, s5
	s_delay_alu instid0(VALU_DEP_2) | instskip(NEXT) | instid1(VALU_DEP_1)
	v_cndmask_b32_e64 v31, 0, v33, s6
	v_fma_f64 v[28:29], -v[8:9], v[30:31], v[28:29]
	global_store_b64 v[6:7], v[28:29], off offset:512
	s_or_b32 exec_lo, exec_lo, s7
	s_and_saveexec_b32 s6, s4
	s_cbranch_execz .LBB222_20
.LBB222_29:
	s_mov_b32 s4, 0x652b82fe
	s_mov_b32 s5, 0x3ff71547
	;; [unrolled: 1-line block ×3, first 2 shown]
	s_waitcnt vmcnt(0)
	v_mul_f64 v[28:29], v[26:27], s[4:5]
	s_mov_b32 s4, 0xfefa39ef
	s_mov_b32 s5, 0xbfe62e42
	;; [unrolled: 1-line block ×3, first 2 shown]
	s_delay_alu instid0(VALU_DEP_1) | instskip(NEXT) | instid1(VALU_DEP_1)
	v_rndne_f64_e32 v[28:29], v[28:29]
	v_fma_f64 v[30:31], v[28:29], s[4:5], v[26:27]
	s_mov_b32 s4, 0x3b39803f
	s_mov_b32 s5, 0xbc7abc9e
	v_cvt_i32_f64_e32 v34, v[28:29]
	s_delay_alu instid0(VALU_DEP_2)
	v_fma_f64 v[30:31], v[28:29], s[4:5], v[30:31]
	s_mov_b32 s4, 0xfca7ab0c
	s_mov_b32 s5, 0x3e928af3
	s_delay_alu instid0(VALU_DEP_1) | instid1(SALU_CYCLE_1)
	v_fma_f64 v[32:33], v[30:31], s[8:9], s[4:5]
	s_mov_b32 s4, 0x623fde64
	s_mov_b32 s5, 0x3ec71dee
	s_delay_alu instid0(VALU_DEP_1) | instid1(SALU_CYCLE_1)
	v_fma_f64 v[32:33], v[30:31], v[32:33], s[4:5]
	s_mov_b32 s4, 0x7c89e6b0
	s_mov_b32 s5, 0x3efa0199
	s_delay_alu instid0(VALU_DEP_1) | instid1(SALU_CYCLE_1)
	v_fma_f64 v[32:33], v[30:31], v[32:33], s[4:5]
	s_mov_b32 s4, 0x14761f6e
	s_mov_b32 s5, 0x3f2a01a0
	s_delay_alu instid0(VALU_DEP_1) | instid1(SALU_CYCLE_1)
	v_fma_f64 v[32:33], v[30:31], v[32:33], s[4:5]
	s_mov_b32 s4, 0x1852b7b0
	s_mov_b32 s5, 0x3f56c16c
	s_delay_alu instid0(VALU_DEP_1) | instid1(SALU_CYCLE_1)
	v_fma_f64 v[32:33], v[30:31], v[32:33], s[4:5]
	s_mov_b32 s4, 0x11122322
	s_mov_b32 s5, 0x3f811111
	s_delay_alu instid0(VALU_DEP_1) | instid1(SALU_CYCLE_1)
	v_fma_f64 v[32:33], v[30:31], v[32:33], s[4:5]
	s_mov_b32 s4, 0x555502a1
	s_mov_b32 s5, 0x3fa55555
	s_delay_alu instid0(VALU_DEP_1) | instid1(SALU_CYCLE_1)
	v_fma_f64 v[32:33], v[30:31], v[32:33], s[4:5]
	s_mov_b32 s4, 0x55555511
	s_mov_b32 s5, 0x3fc55555
	s_delay_alu instid0(VALU_DEP_1) | instid1(SALU_CYCLE_1)
	v_fma_f64 v[32:33], v[30:31], v[32:33], s[4:5]
	s_mov_b32 s4, 11
	s_mov_b32 s5, 0x3fe00000
	s_delay_alu instid0(VALU_DEP_1) | instid1(SALU_CYCLE_1)
	v_fma_f64 v[32:33], v[30:31], v[32:33], s[4:5]
	v_cmp_nlt_f64_e64 s4, 0x40900000, v[26:27]
	v_cmp_ngt_f64_e64 s5, 0xc090cc00, v[26:27]
	s_delay_alu instid0(VALU_DEP_3) | instskip(NEXT) | instid1(VALU_DEP_1)
	v_fma_f64 v[32:33], v[30:31], v[32:33], 1.0
	v_fma_f64 v[28:29], v[30:31], v[32:33], 1.0
	s_delay_alu instid0(VALU_DEP_1) | instskip(NEXT) | instid1(VALU_DEP_1)
	v_ldexp_f64 v[28:29], v[28:29], v34
	v_cndmask_b32_e64 v29, 0x7ff00000, v29, s4
	s_and_b32 s4, s5, s4
	s_delay_alu instid0(VALU_DEP_2) | instid1(SALU_CYCLE_1)
	v_cndmask_b32_e64 v26, 0, v28, s4
	s_delay_alu instid0(VALU_DEP_2) | instskip(NEXT) | instid1(VALU_DEP_1)
	v_cndmask_b32_e64 v27, 0, v29, s5
	v_fma_f64 v[24:25], -v[8:9], v[26:27], v[24:25]
	global_store_b64 v[6:7], v[24:25], off offset:1024
	s_or_b32 exec_lo, exec_lo, s6
	s_and_saveexec_b32 s5, s3
	s_cbranch_execz .LBB222_21
.LBB222_30:
	s_mov_b32 s6, 0x652b82fe
	s_mov_b32 s7, 0x3ff71547
	;; [unrolled: 1-line block ×3, first 2 shown]
	s_waitcnt vmcnt(0)
	v_mul_f64 v[24:25], v[22:23], s[6:7]
	s_mov_b32 s6, 0xfefa39ef
	s_mov_b32 s7, 0xbfe62e42
	s_mov_b32 s9, 0x3e5ade15
	v_cmp_nlt_f64_e64 s3, 0x40900000, v[22:23]
	v_cmp_ngt_f64_e64 s4, 0xc090cc00, v[22:23]
	s_delay_alu instid0(VALU_DEP_3) | instskip(NEXT) | instid1(VALU_DEP_1)
	v_rndne_f64_e32 v[24:25], v[24:25]
	v_fma_f64 v[26:27], v[24:25], s[6:7], v[22:23]
	s_mov_b32 s6, 0x3b39803f
	s_mov_b32 s7, 0xbc7abc9e
	v_cvt_i32_f64_e32 v30, v[24:25]
	s_delay_alu instid0(VALU_DEP_2)
	v_fma_f64 v[26:27], v[24:25], s[6:7], v[26:27]
	s_mov_b32 s6, 0xfca7ab0c
	s_mov_b32 s7, 0x3e928af3
	s_delay_alu instid0(VALU_DEP_1) | instid1(SALU_CYCLE_1)
	v_fma_f64 v[28:29], v[26:27], s[8:9], s[6:7]
	s_mov_b32 s6, 0x623fde64
	s_mov_b32 s7, 0x3ec71dee
	s_delay_alu instid0(VALU_DEP_1) | instid1(SALU_CYCLE_1)
	;; [unrolled: 4-line block ×9, first 2 shown]
	v_fma_f64 v[28:29], v[26:27], v[28:29], s[6:7]
	s_delay_alu instid0(VALU_DEP_1) | instskip(NEXT) | instid1(VALU_DEP_1)
	v_fma_f64 v[28:29], v[26:27], v[28:29], 1.0
	v_fma_f64 v[24:25], v[26:27], v[28:29], 1.0
	s_delay_alu instid0(VALU_DEP_1) | instskip(NEXT) | instid1(VALU_DEP_1)
	v_ldexp_f64 v[24:25], v[24:25], v30
	v_cndmask_b32_e64 v25, 0x7ff00000, v25, s3
	s_and_b32 s3, s4, s3
	s_delay_alu instid0(VALU_DEP_2) | instid1(SALU_CYCLE_1)
	v_cndmask_b32_e64 v22, 0, v24, s3
	s_delay_alu instid0(VALU_DEP_2) | instskip(NEXT) | instid1(VALU_DEP_1)
	v_cndmask_b32_e64 v23, 0, v25, s4
	v_fma_f64 v[20:21], -v[8:9], v[22:23], v[20:21]
	global_store_b64 v[6:7], v[20:21], off offset:1536
	s_or_b32 exec_lo, exec_lo, s5
	s_and_saveexec_b32 s4, s2
	s_cbranch_execz .LBB222_22
.LBB222_31:
	s_mov_b32 s2, 0x652b82fe
	s_mov_b32 s3, 0x3ff71547
	;; [unrolled: 1-line block ×3, first 2 shown]
	s_waitcnt vmcnt(0)
	v_mul_f64 v[20:21], v[18:19], s[2:3]
	s_mov_b32 s2, 0xfefa39ef
	s_mov_b32 s3, 0xbfe62e42
	;; [unrolled: 1-line block ×3, first 2 shown]
	s_delay_alu instid0(VALU_DEP_1) | instskip(NEXT) | instid1(VALU_DEP_1)
	v_rndne_f64_e32 v[20:21], v[20:21]
	v_fma_f64 v[22:23], v[20:21], s[2:3], v[18:19]
	s_mov_b32 s2, 0x3b39803f
	s_mov_b32 s3, 0xbc7abc9e
	v_cvt_i32_f64_e32 v26, v[20:21]
	s_delay_alu instid0(VALU_DEP_2)
	v_fma_f64 v[22:23], v[20:21], s[2:3], v[22:23]
	s_mov_b32 s2, 0xfca7ab0c
	s_mov_b32 s3, 0x3e928af3
	s_delay_alu instid0(VALU_DEP_1) | instid1(SALU_CYCLE_1)
	v_fma_f64 v[24:25], v[22:23], s[6:7], s[2:3]
	s_mov_b32 s2, 0x623fde64
	s_mov_b32 s3, 0x3ec71dee
	s_delay_alu instid0(VALU_DEP_1) | instid1(SALU_CYCLE_1)
	v_fma_f64 v[24:25], v[22:23], v[24:25], s[2:3]
	s_mov_b32 s2, 0x7c89e6b0
	s_mov_b32 s3, 0x3efa0199
	s_delay_alu instid0(VALU_DEP_1) | instid1(SALU_CYCLE_1)
	v_fma_f64 v[24:25], v[22:23], v[24:25], s[2:3]
	s_mov_b32 s2, 0x14761f6e
	s_mov_b32 s3, 0x3f2a01a0
	s_delay_alu instid0(VALU_DEP_1) | instid1(SALU_CYCLE_1)
	v_fma_f64 v[24:25], v[22:23], v[24:25], s[2:3]
	s_mov_b32 s2, 0x1852b7b0
	s_mov_b32 s3, 0x3f56c16c
	s_delay_alu instid0(VALU_DEP_1) | instid1(SALU_CYCLE_1)
	v_fma_f64 v[24:25], v[22:23], v[24:25], s[2:3]
	s_mov_b32 s2, 0x11122322
	s_mov_b32 s3, 0x3f811111
	s_delay_alu instid0(VALU_DEP_1) | instid1(SALU_CYCLE_1)
	v_fma_f64 v[24:25], v[22:23], v[24:25], s[2:3]
	s_mov_b32 s2, 0x555502a1
	s_mov_b32 s3, 0x3fa55555
	s_delay_alu instid0(VALU_DEP_1) | instid1(SALU_CYCLE_1)
	v_fma_f64 v[24:25], v[22:23], v[24:25], s[2:3]
	s_mov_b32 s2, 0x55555511
	s_mov_b32 s3, 0x3fc55555
	s_delay_alu instid0(VALU_DEP_1) | instid1(SALU_CYCLE_1)
	v_fma_f64 v[24:25], v[22:23], v[24:25], s[2:3]
	s_mov_b32 s2, 11
	s_mov_b32 s3, 0x3fe00000
	s_delay_alu instid0(VALU_DEP_1) | instid1(SALU_CYCLE_1)
	v_fma_f64 v[24:25], v[22:23], v[24:25], s[2:3]
	v_cmp_nlt_f64_e64 s2, 0x40900000, v[18:19]
	v_cmp_ngt_f64_e64 s3, 0xc090cc00, v[18:19]
	s_delay_alu instid0(VALU_DEP_3) | instskip(NEXT) | instid1(VALU_DEP_1)
	v_fma_f64 v[24:25], v[22:23], v[24:25], 1.0
	v_fma_f64 v[20:21], v[22:23], v[24:25], 1.0
	s_delay_alu instid0(VALU_DEP_1) | instskip(NEXT) | instid1(VALU_DEP_1)
	v_ldexp_f64 v[20:21], v[20:21], v26
	v_cndmask_b32_e64 v21, 0x7ff00000, v21, s2
	s_and_b32 s2, s3, s2
	s_delay_alu instid0(VALU_DEP_2) | instid1(SALU_CYCLE_1)
	v_cndmask_b32_e64 v18, 0, v20, s2
	s_delay_alu instid0(VALU_DEP_2) | instskip(NEXT) | instid1(VALU_DEP_1)
	v_cndmask_b32_e64 v19, 0, v21, s3
	v_fma_f64 v[16:17], -v[8:9], v[18:19], v[16:17]
	global_store_b64 v[6:7], v[16:17], off offset:2048
	s_or_b32 exec_lo, exec_lo, s4
	s_and_saveexec_b32 s3, s1
	s_cbranch_execz .LBB222_23
.LBB222_32:
	s_mov_b32 s4, 0x652b82fe
	s_mov_b32 s5, 0x3ff71547
	;; [unrolled: 1-line block ×3, first 2 shown]
	s_waitcnt vmcnt(0)
	v_mul_f64 v[16:17], v[14:15], s[4:5]
	s_mov_b32 s4, 0xfefa39ef
	s_mov_b32 s5, 0xbfe62e42
	;; [unrolled: 1-line block ×3, first 2 shown]
	v_cmp_nlt_f64_e64 s1, 0x40900000, v[14:15]
	v_cmp_ngt_f64_e64 s2, 0xc090cc00, v[14:15]
	s_delay_alu instid0(VALU_DEP_3) | instskip(NEXT) | instid1(VALU_DEP_1)
	v_rndne_f64_e32 v[16:17], v[16:17]
	v_fma_f64 v[18:19], v[16:17], s[4:5], v[14:15]
	s_mov_b32 s4, 0x3b39803f
	s_mov_b32 s5, 0xbc7abc9e
	v_cvt_i32_f64_e32 v22, v[16:17]
	s_delay_alu instid0(VALU_DEP_2)
	v_fma_f64 v[18:19], v[16:17], s[4:5], v[18:19]
	s_mov_b32 s4, 0xfca7ab0c
	s_mov_b32 s5, 0x3e928af3
	s_delay_alu instid0(VALU_DEP_1) | instid1(SALU_CYCLE_1)
	v_fma_f64 v[20:21], v[18:19], s[6:7], s[4:5]
	s_mov_b32 s4, 0x623fde64
	s_mov_b32 s5, 0x3ec71dee
	s_delay_alu instid0(VALU_DEP_1) | instid1(SALU_CYCLE_1)
	v_fma_f64 v[20:21], v[18:19], v[20:21], s[4:5]
	s_mov_b32 s4, 0x7c89e6b0
	s_mov_b32 s5, 0x3efa0199
	s_delay_alu instid0(VALU_DEP_1) | instid1(SALU_CYCLE_1)
	v_fma_f64 v[20:21], v[18:19], v[20:21], s[4:5]
	s_mov_b32 s4, 0x14761f6e
	s_mov_b32 s5, 0x3f2a01a0
	s_delay_alu instid0(VALU_DEP_1) | instid1(SALU_CYCLE_1)
	v_fma_f64 v[20:21], v[18:19], v[20:21], s[4:5]
	s_mov_b32 s4, 0x1852b7b0
	s_mov_b32 s5, 0x3f56c16c
	s_delay_alu instid0(VALU_DEP_1) | instid1(SALU_CYCLE_1)
	v_fma_f64 v[20:21], v[18:19], v[20:21], s[4:5]
	s_mov_b32 s4, 0x11122322
	s_mov_b32 s5, 0x3f811111
	s_delay_alu instid0(VALU_DEP_1) | instid1(SALU_CYCLE_1)
	v_fma_f64 v[20:21], v[18:19], v[20:21], s[4:5]
	s_mov_b32 s4, 0x555502a1
	s_mov_b32 s5, 0x3fa55555
	s_delay_alu instid0(VALU_DEP_1) | instid1(SALU_CYCLE_1)
	v_fma_f64 v[20:21], v[18:19], v[20:21], s[4:5]
	s_mov_b32 s4, 0x55555511
	s_mov_b32 s5, 0x3fc55555
	s_delay_alu instid0(VALU_DEP_1) | instid1(SALU_CYCLE_1)
	v_fma_f64 v[20:21], v[18:19], v[20:21], s[4:5]
	s_mov_b32 s4, 11
	s_mov_b32 s5, 0x3fe00000
	s_delay_alu instid0(VALU_DEP_1) | instid1(SALU_CYCLE_1)
	v_fma_f64 v[20:21], v[18:19], v[20:21], s[4:5]
	s_delay_alu instid0(VALU_DEP_1) | instskip(NEXT) | instid1(VALU_DEP_1)
	v_fma_f64 v[20:21], v[18:19], v[20:21], 1.0
	v_fma_f64 v[16:17], v[18:19], v[20:21], 1.0
	s_delay_alu instid0(VALU_DEP_1) | instskip(NEXT) | instid1(VALU_DEP_1)
	v_ldexp_f64 v[16:17], v[16:17], v22
	v_cndmask_b32_e64 v17, 0x7ff00000, v17, s1
	s_and_b32 s1, s2, s1
	s_delay_alu instid0(VALU_DEP_2) | instid1(SALU_CYCLE_1)
	v_cndmask_b32_e64 v14, 0, v16, s1
	s_delay_alu instid0(VALU_DEP_2) | instskip(NEXT) | instid1(VALU_DEP_1)
	v_cndmask_b32_e64 v15, 0, v17, s2
	v_fma_f64 v[12:13], -v[8:9], v[14:15], v[12:13]
	global_store_b64 v[6:7], v[12:13], off offset:2560
	s_or_b32 exec_lo, exec_lo, s3
	s_and_saveexec_b32 s2, s0
	s_cbranch_execz .LBB222_24
.LBB222_33:
	s_mov_b32 s0, 0x652b82fe
	s_mov_b32 s1, 0x3ff71547
	;; [unrolled: 1-line block ×3, first 2 shown]
	s_waitcnt vmcnt(0)
	v_mul_f64 v[12:13], v[10:11], s[0:1]
	s_mov_b32 s0, 0xfefa39ef
	s_mov_b32 s1, 0xbfe62e42
	;; [unrolled: 1-line block ×3, first 2 shown]
	s_delay_alu instid0(VALU_DEP_1) | instskip(NEXT) | instid1(VALU_DEP_1)
	v_rndne_f64_e32 v[12:13], v[12:13]
	v_fma_f64 v[14:15], v[12:13], s[0:1], v[10:11]
	s_mov_b32 s0, 0x3b39803f
	s_mov_b32 s1, 0xbc7abc9e
	v_cvt_i32_f64_e32 v18, v[12:13]
	s_delay_alu instid0(VALU_DEP_2)
	v_fma_f64 v[14:15], v[12:13], s[0:1], v[14:15]
	s_mov_b32 s0, 0xfca7ab0c
	s_mov_b32 s1, 0x3e928af3
	s_delay_alu instid0(VALU_DEP_1) | instid1(SALU_CYCLE_1)
	v_fma_f64 v[16:17], v[14:15], s[4:5], s[0:1]
	s_mov_b32 s0, 0x623fde64
	s_mov_b32 s1, 0x3ec71dee
	s_delay_alu instid0(VALU_DEP_1) | instid1(SALU_CYCLE_1)
	v_fma_f64 v[16:17], v[14:15], v[16:17], s[0:1]
	s_mov_b32 s0, 0x7c89e6b0
	s_mov_b32 s1, 0x3efa0199
	s_delay_alu instid0(VALU_DEP_1) | instid1(SALU_CYCLE_1)
	v_fma_f64 v[16:17], v[14:15], v[16:17], s[0:1]
	s_mov_b32 s0, 0x14761f6e
	s_mov_b32 s1, 0x3f2a01a0
	s_delay_alu instid0(VALU_DEP_1) | instid1(SALU_CYCLE_1)
	v_fma_f64 v[16:17], v[14:15], v[16:17], s[0:1]
	s_mov_b32 s0, 0x1852b7b0
	s_mov_b32 s1, 0x3f56c16c
	s_delay_alu instid0(VALU_DEP_1) | instid1(SALU_CYCLE_1)
	v_fma_f64 v[16:17], v[14:15], v[16:17], s[0:1]
	s_mov_b32 s0, 0x11122322
	s_mov_b32 s1, 0x3f811111
	s_delay_alu instid0(VALU_DEP_1) | instid1(SALU_CYCLE_1)
	v_fma_f64 v[16:17], v[14:15], v[16:17], s[0:1]
	s_mov_b32 s0, 0x555502a1
	s_mov_b32 s1, 0x3fa55555
	s_delay_alu instid0(VALU_DEP_1) | instid1(SALU_CYCLE_1)
	v_fma_f64 v[16:17], v[14:15], v[16:17], s[0:1]
	s_mov_b32 s0, 0x55555511
	s_mov_b32 s1, 0x3fc55555
	s_delay_alu instid0(VALU_DEP_1) | instid1(SALU_CYCLE_1)
	v_fma_f64 v[16:17], v[14:15], v[16:17], s[0:1]
	s_mov_b32 s0, 11
	s_mov_b32 s1, 0x3fe00000
	s_delay_alu instid0(VALU_DEP_1) | instid1(SALU_CYCLE_1)
	v_fma_f64 v[16:17], v[14:15], v[16:17], s[0:1]
	v_cmp_nlt_f64_e64 s0, 0x40900000, v[10:11]
	v_cmp_ngt_f64_e64 s1, 0xc090cc00, v[10:11]
	s_delay_alu instid0(VALU_DEP_3) | instskip(NEXT) | instid1(VALU_DEP_1)
	v_fma_f64 v[16:17], v[14:15], v[16:17], 1.0
	v_fma_f64 v[12:13], v[14:15], v[16:17], 1.0
	s_delay_alu instid0(VALU_DEP_1) | instskip(NEXT) | instid1(VALU_DEP_1)
	v_ldexp_f64 v[12:13], v[12:13], v18
	v_cndmask_b32_e64 v13, 0x7ff00000, v13, s0
	s_and_b32 s0, s1, s0
	s_delay_alu instid0(VALU_DEP_2) | instid1(SALU_CYCLE_1)
	v_cndmask_b32_e64 v10, 0, v12, s0
	s_delay_alu instid0(VALU_DEP_2) | instskip(NEXT) | instid1(VALU_DEP_1)
	v_cndmask_b32_e64 v11, 0, v13, s1
	v_fma_f64 v[4:5], -v[8:9], v[10:11], v[4:5]
	global_store_b64 v[6:7], v[4:5], off offset:3072
	s_or_b32 exec_lo, exec_lo, s2
	s_delay_alu instid0(SALU_CYCLE_1)
	s_and_b32 exec_lo, exec_lo, vcc_lo
	s_cbranch_execnz .LBB222_25
	s_branch .LBB222_26
	.section	.rodata,"a",@progbits
	.p2align	6, 0x0
	.amdhsa_kernel _ZN12_GLOBAL__N_121softmax_warp_backwardIdddLi9ELb1ELb0ELi64EEEvPT0_PKT_S5_iiiPKb
		.amdhsa_group_segment_fixed_size 0
		.amdhsa_private_segment_fixed_size 0
		.amdhsa_kernarg_size 304
		.amdhsa_user_sgpr_count 15
		.amdhsa_user_sgpr_dispatch_ptr 0
		.amdhsa_user_sgpr_queue_ptr 0
		.amdhsa_user_sgpr_kernarg_segment_ptr 1
		.amdhsa_user_sgpr_dispatch_id 0
		.amdhsa_user_sgpr_private_segment_size 0
		.amdhsa_wavefront_size32 1
		.amdhsa_uses_dynamic_stack 0
		.amdhsa_enable_private_segment 0
		.amdhsa_system_sgpr_workgroup_id_x 1
		.amdhsa_system_sgpr_workgroup_id_y 0
		.amdhsa_system_sgpr_workgroup_id_z 0
		.amdhsa_system_sgpr_workgroup_info 0
		.amdhsa_system_vgpr_workitem_id 1
		.amdhsa_next_free_vgpr 43
		.amdhsa_next_free_sgpr 20
		.amdhsa_reserve_vcc 1
		.amdhsa_float_round_mode_32 0
		.amdhsa_float_round_mode_16_64 0
		.amdhsa_float_denorm_mode_32 3
		.amdhsa_float_denorm_mode_16_64 3
		.amdhsa_dx10_clamp 1
		.amdhsa_ieee_mode 1
		.amdhsa_fp16_overflow 0
		.amdhsa_workgroup_processor_mode 1
		.amdhsa_memory_ordered 1
		.amdhsa_forward_progress 0
		.amdhsa_shared_vgpr_count 0
		.amdhsa_exception_fp_ieee_invalid_op 0
		.amdhsa_exception_fp_denorm_src 0
		.amdhsa_exception_fp_ieee_div_zero 0
		.amdhsa_exception_fp_ieee_overflow 0
		.amdhsa_exception_fp_ieee_underflow 0
		.amdhsa_exception_fp_ieee_inexact 0
		.amdhsa_exception_int_div_zero 0
	.end_amdhsa_kernel
	.section	.text._ZN12_GLOBAL__N_121softmax_warp_backwardIdddLi9ELb1ELb0ELi64EEEvPT0_PKT_S5_iiiPKb,"axG",@progbits,_ZN12_GLOBAL__N_121softmax_warp_backwardIdddLi9ELb1ELb0ELi64EEEvPT0_PKT_S5_iiiPKb,comdat
.Lfunc_end222:
	.size	_ZN12_GLOBAL__N_121softmax_warp_backwardIdddLi9ELb1ELb0ELi64EEEvPT0_PKT_S5_iiiPKb, .Lfunc_end222-_ZN12_GLOBAL__N_121softmax_warp_backwardIdddLi9ELb1ELb0ELi64EEEvPT0_PKT_S5_iiiPKb
                                        ; -- End function
	.section	.AMDGPU.csdata,"",@progbits
; Kernel info:
; codeLenInByte = 5100
; NumSgprs: 22
; NumVgprs: 43
; ScratchSize: 0
; MemoryBound: 0
; FloatMode: 240
; IeeeMode: 1
; LDSByteSize: 0 bytes/workgroup (compile time only)
; SGPRBlocks: 2
; VGPRBlocks: 5
; NumSGPRsForWavesPerEU: 22
; NumVGPRsForWavesPerEU: 43
; Occupancy: 16
; WaveLimiterHint : 0
; COMPUTE_PGM_RSRC2:SCRATCH_EN: 0
; COMPUTE_PGM_RSRC2:USER_SGPR: 15
; COMPUTE_PGM_RSRC2:TRAP_HANDLER: 0
; COMPUTE_PGM_RSRC2:TGID_X_EN: 1
; COMPUTE_PGM_RSRC2:TGID_Y_EN: 0
; COMPUTE_PGM_RSRC2:TGID_Z_EN: 0
; COMPUTE_PGM_RSRC2:TIDIG_COMP_CNT: 1
	.section	.text._ZN12_GLOBAL__N_121softmax_warp_backwardIdddLi9ELb1ELb0ELi32EEEvPT0_PKT_S5_iiiPKb,"axG",@progbits,_ZN12_GLOBAL__N_121softmax_warp_backwardIdddLi9ELb1ELb0ELi32EEEvPT0_PKT_S5_iiiPKb,comdat
	.globl	_ZN12_GLOBAL__N_121softmax_warp_backwardIdddLi9ELb1ELb0ELi32EEEvPT0_PKT_S5_iiiPKb ; -- Begin function _ZN12_GLOBAL__N_121softmax_warp_backwardIdddLi9ELb1ELb0ELi32EEEvPT0_PKT_S5_iiiPKb
	.p2align	8
	.type	_ZN12_GLOBAL__N_121softmax_warp_backwardIdddLi9ELb1ELb0ELi32EEEvPT0_PKT_S5_iiiPKb,@function
_ZN12_GLOBAL__N_121softmax_warp_backwardIdddLi9ELb1ELb0ELi32EEEvPT0_PKT_S5_iiiPKb: ; @_ZN12_GLOBAL__N_121softmax_warp_backwardIdddLi9ELb1ELb0ELi32EEEvPT0_PKT_S5_iiiPKb
; %bb.0:
	s_clause 0x1
	s_load_b32 s2, s[0:1], 0x3c
	s_load_b128 s[20:23], s[0:1], 0x18
	v_bfe_u32 v1, v0, 10, 10
	s_load_b128 s[16:19], s[0:1], 0x0
	v_mov_b32_e32 v60, 0
	s_load_b64 s[0:1], s[0:1], 0x10
	v_mov_b32_e32 v61, 0
	s_delay_alu instid0(VALU_DEP_1) | instskip(SKIP_3) | instid1(SALU_CYCLE_1)
	v_dual_mov_b32 v65, v61 :: v_dual_mov_b32 v64, v60
	v_dual_mov_b32 v67, v61 :: v_dual_mov_b32 v66, v60
	s_waitcnt lgkmcnt(0)
	s_lshr_b32 s2, s2, 16
	v_mad_u64_u32 v[3:4], null, s15, s2, v[1:2]
	v_and_b32_e32 v2, 31, v0
	s_delay_alu instid0(VALU_DEP_1) | instskip(NEXT) | instid1(VALU_DEP_3)
	v_cmp_gt_i32_e64 s14, s22, v2
	v_mad_u64_u32 v[0:1], null, v3, s21, v[2:3]
	v_sub_nc_u32_e32 v70, s20, v3
	s_delay_alu instid0(VALU_DEP_1) | instskip(NEXT) | instid1(VALU_DEP_3)
	v_cmp_lt_i32_e64 s15, 0, v70
	v_ashrrev_i32_e32 v1, 31, v0
	s_delay_alu instid0(VALU_DEP_1) | instskip(NEXT) | instid1(VALU_DEP_1)
	v_lshlrev_b64 v[6:7], 3, v[0:1]
	v_add_co_u32 v8, vcc_lo, s18, v6
	s_delay_alu instid0(VALU_DEP_2) | instskip(SKIP_3) | instid1(SALU_CYCLE_1)
	v_add_co_ci_u32_e32 v9, vcc_lo, s19, v7, vcc_lo
	v_add_co_u32 v68, vcc_lo, s0, v6
	v_add_co_ci_u32_e32 v69, vcc_lo, s1, v7, vcc_lo
	s_and_b32 s1, s15, s14
	s_and_saveexec_b32 s0, s1
	s_cbranch_execz .LBB223_2
; %bb.1:
	global_load_b64 v[64:65], v[8:9], off
	global_load_b64 v[66:67], v[68:69], off
.LBB223_2:
	s_or_b32 exec_lo, exec_lo, s0
	v_or_b32_e32 v0, 32, v2
	v_dual_mov_b32 v63, v61 :: v_dual_mov_b32 v62, v60
	s_delay_alu instid0(VALU_DEP_2) | instskip(NEXT) | instid1(VALU_DEP_1)
	v_cmp_gt_i32_e64 s13, s22, v0
	s_and_b32 s1, s15, s13
	s_delay_alu instid0(SALU_CYCLE_1)
	s_and_saveexec_b32 s0, s1
	s_cbranch_execz .LBB223_4
; %bb.3:
	global_load_b64 v[60:61], v[8:9], off offset:256
	global_load_b64 v[62:63], v[68:69], off offset:256
.LBB223_4:
	s_or_b32 exec_lo, exec_lo, s0
	v_or_b32_e32 v0, 64, v2
	v_mov_b32_e32 v52, 0
	v_mov_b32_e32 v53, 0
	s_delay_alu instid0(VALU_DEP_3) | instskip(NEXT) | instid1(VALU_DEP_2)
	v_cmp_gt_i32_e64 s12, s22, v0
	v_dual_mov_b32 v57, v53 :: v_dual_mov_b32 v56, v52
	v_dual_mov_b32 v59, v53 :: v_dual_mov_b32 v58, v52
	s_delay_alu instid0(VALU_DEP_3) | instskip(NEXT) | instid1(SALU_CYCLE_1)
	s_and_b32 s1, s15, s12
	s_and_saveexec_b32 s0, s1
	s_cbranch_execz .LBB223_6
; %bb.5:
	global_load_b64 v[56:57], v[8:9], off offset:512
	global_load_b64 v[58:59], v[68:69], off offset:512
.LBB223_6:
	s_or_b32 exec_lo, exec_lo, s0
	v_or_b32_e32 v0, 0x60, v2
	v_dual_mov_b32 v55, v53 :: v_dual_mov_b32 v54, v52
	s_delay_alu instid0(VALU_DEP_2) | instskip(NEXT) | instid1(VALU_DEP_1)
	v_cmp_gt_i32_e64 s11, s22, v0
	s_and_b32 s1, s15, s11
	s_delay_alu instid0(SALU_CYCLE_1)
	s_and_saveexec_b32 s0, s1
	s_cbranch_execz .LBB223_8
; %bb.7:
	global_load_b64 v[52:53], v[8:9], off offset:768
	global_load_b64 v[54:55], v[68:69], off offset:768
.LBB223_8:
	s_or_b32 exec_lo, exec_lo, s0
	v_or_b32_e32 v0, 0x80, v2
	v_mov_b32_e32 v44, 0
	v_mov_b32_e32 v45, 0
	s_delay_alu instid0(VALU_DEP_3) | instskip(NEXT) | instid1(VALU_DEP_2)
	v_cmp_gt_i32_e64 s10, s22, v0
	v_dual_mov_b32 v49, v45 :: v_dual_mov_b32 v48, v44
	v_dual_mov_b32 v51, v45 :: v_dual_mov_b32 v50, v44
	s_delay_alu instid0(VALU_DEP_3) | instskip(NEXT) | instid1(SALU_CYCLE_1)
	s_and_b32 s1, s15, s10
	s_and_saveexec_b32 s0, s1
	s_cbranch_execz .LBB223_10
; %bb.9:
	global_load_b64 v[48:49], v[8:9], off offset:1024
	global_load_b64 v[50:51], v[68:69], off offset:1024
.LBB223_10:
	s_or_b32 exec_lo, exec_lo, s0
	v_or_b32_e32 v0, 0xa0, v2
	v_dual_mov_b32 v47, v45 :: v_dual_mov_b32 v46, v44
	s_delay_alu instid0(VALU_DEP_2) | instskip(NEXT) | instid1(VALU_DEP_1)
	v_cmp_gt_i32_e64 s9, s22, v0
	s_and_b32 s1, s15, s9
	s_delay_alu instid0(SALU_CYCLE_1)
	s_and_saveexec_b32 s0, s1
	s_cbranch_execz .LBB223_12
; %bb.11:
	global_load_b64 v[44:45], v[8:9], off offset:1280
	global_load_b64 v[46:47], v[68:69], off offset:1280
.LBB223_12:
	s_or_b32 exec_lo, exec_lo, s0
	v_or_b32_e32 v0, 0xc0, v2
	v_mov_b32_e32 v36, 0
	v_mov_b32_e32 v37, 0
	s_delay_alu instid0(VALU_DEP_3) | instskip(NEXT) | instid1(VALU_DEP_2)
	v_cmp_gt_i32_e64 s8, s22, v0
	v_dual_mov_b32 v41, v37 :: v_dual_mov_b32 v40, v36
	v_dual_mov_b32 v43, v37 :: v_dual_mov_b32 v42, v36
	s_delay_alu instid0(VALU_DEP_3) | instskip(NEXT) | instid1(SALU_CYCLE_1)
	s_and_b32 s1, s15, s8
	s_and_saveexec_b32 s0, s1
	s_cbranch_execz .LBB223_14
; %bb.13:
	global_load_b64 v[40:41], v[8:9], off offset:1536
	global_load_b64 v[42:43], v[68:69], off offset:1536
.LBB223_14:
	s_or_b32 exec_lo, exec_lo, s0
	v_or_b32_e32 v0, 0xe0, v2
	v_dual_mov_b32 v39, v37 :: v_dual_mov_b32 v38, v36
	s_delay_alu instid0(VALU_DEP_2) | instskip(NEXT) | instid1(VALU_DEP_1)
	v_cmp_gt_i32_e64 s7, s22, v0
	s_and_b32 s1, s15, s7
	s_delay_alu instid0(SALU_CYCLE_1)
	s_and_saveexec_b32 s0, s1
	s_cbranch_execz .LBB223_16
; %bb.15:
	global_load_b64 v[36:37], v[8:9], off offset:1792
	global_load_b64 v[38:39], v[68:69], off offset:1792
.LBB223_16:
	s_or_b32 exec_lo, exec_lo, s0
	v_or_b32_e32 v0, 0x100, v2
	v_mov_b32_e32 v28, 0
	v_mov_b32_e32 v29, 0
	s_delay_alu instid0(VALU_DEP_3) | instskip(NEXT) | instid1(VALU_DEP_2)
	v_cmp_gt_i32_e64 s6, s22, v0
	v_dual_mov_b32 v33, v29 :: v_dual_mov_b32 v32, v28
	v_dual_mov_b32 v35, v29 :: v_dual_mov_b32 v34, v28
	s_delay_alu instid0(VALU_DEP_3) | instskip(NEXT) | instid1(SALU_CYCLE_1)
	s_and_b32 s1, s15, s6
	s_and_saveexec_b32 s0, s1
	s_cbranch_execz .LBB223_18
; %bb.17:
	global_load_b64 v[32:33], v[8:9], off offset:2048
	global_load_b64 v[34:35], v[68:69], off offset:2048
.LBB223_18:
	s_or_b32 exec_lo, exec_lo, s0
	v_or_b32_e32 v0, 0x120, v2
	v_dual_mov_b32 v31, v29 :: v_dual_mov_b32 v30, v28
	s_delay_alu instid0(VALU_DEP_2) | instskip(NEXT) | instid1(VALU_DEP_1)
	v_cmp_gt_i32_e64 s5, s22, v0
	s_and_b32 s1, s15, s5
	s_delay_alu instid0(SALU_CYCLE_1)
	s_and_saveexec_b32 s0, s1
	s_cbranch_execz .LBB223_20
; %bb.19:
	global_load_b64 v[28:29], v[8:9], off offset:2304
	global_load_b64 v[30:31], v[68:69], off offset:2304
.LBB223_20:
	s_or_b32 exec_lo, exec_lo, s0
	v_or_b32_e32 v0, 0x140, v2
	v_mov_b32_e32 v20, 0
	v_mov_b32_e32 v21, 0
	s_delay_alu instid0(VALU_DEP_3) | instskip(NEXT) | instid1(VALU_DEP_2)
	v_cmp_gt_i32_e64 s4, s22, v0
	v_dual_mov_b32 v25, v21 :: v_dual_mov_b32 v24, v20
	v_dual_mov_b32 v27, v21 :: v_dual_mov_b32 v26, v20
	s_delay_alu instid0(VALU_DEP_3) | instskip(NEXT) | instid1(SALU_CYCLE_1)
	s_and_b32 s1, s15, s4
	s_and_saveexec_b32 s0, s1
	s_cbranch_execz .LBB223_22
; %bb.21:
	global_load_b64 v[24:25], v[8:9], off offset:2560
	global_load_b64 v[26:27], v[68:69], off offset:2560
.LBB223_22:
	s_or_b32 exec_lo, exec_lo, s0
	v_or_b32_e32 v0, 0x160, v2
	v_dual_mov_b32 v23, v21 :: v_dual_mov_b32 v22, v20
	s_delay_alu instid0(VALU_DEP_2) | instskip(NEXT) | instid1(VALU_DEP_1)
	v_cmp_gt_i32_e64 s3, s22, v0
	s_and_b32 s1, s15, s3
	s_delay_alu instid0(SALU_CYCLE_1)
	s_and_saveexec_b32 s0, s1
	s_cbranch_execz .LBB223_24
; %bb.23:
	global_load_b64 v[20:21], v[8:9], off offset:2816
	global_load_b64 v[22:23], v[68:69], off offset:2816
.LBB223_24:
	s_or_b32 exec_lo, exec_lo, s0
	v_or_b32_e32 v0, 0x180, v2
	v_mov_b32_e32 v12, 0
	v_mov_b32_e32 v13, 0
	s_delay_alu instid0(VALU_DEP_3) | instskip(NEXT) | instid1(VALU_DEP_2)
	v_cmp_gt_i32_e64 s2, s22, v0
	v_dual_mov_b32 v17, v13 :: v_dual_mov_b32 v16, v12
	v_dual_mov_b32 v19, v13 :: v_dual_mov_b32 v18, v12
	s_delay_alu instid0(VALU_DEP_3) | instskip(NEXT) | instid1(SALU_CYCLE_1)
	s_and_b32 s1, s15, s2
	s_and_saveexec_b32 s0, s1
	s_cbranch_execz .LBB223_26
; %bb.25:
	global_load_b64 v[16:17], v[8:9], off offset:3072
	global_load_b64 v[18:19], v[68:69], off offset:3072
.LBB223_26:
	s_or_b32 exec_lo, exec_lo, s0
	v_or_b32_e32 v0, 0x1a0, v2
	v_dual_mov_b32 v15, v13 :: v_dual_mov_b32 v14, v12
	s_delay_alu instid0(VALU_DEP_2) | instskip(NEXT) | instid1(VALU_DEP_1)
	v_cmp_gt_i32_e64 s1, s22, v0
	s_and_b32 s18, s15, s1
	s_delay_alu instid0(SALU_CYCLE_1)
	s_and_saveexec_b32 s0, s18
	s_cbranch_execz .LBB223_28
; %bb.27:
	global_load_b64 v[12:13], v[8:9], off offset:3328
	global_load_b64 v[14:15], v[68:69], off offset:3328
.LBB223_28:
	s_or_b32 exec_lo, exec_lo, s0
	v_or_b32_e32 v3, 0x1c0, v2
	v_mov_b32_e32 v0, 0
	v_mov_b32_e32 v1, 0
	s_delay_alu instid0(VALU_DEP_3) | instskip(NEXT) | instid1(VALU_DEP_2)
	v_cmp_gt_i32_e64 s0, s22, v3
	v_dual_mov_b32 v5, v1 :: v_dual_mov_b32 v4, v0
	v_dual_mov_b32 v11, v1 :: v_dual_mov_b32 v10, v0
	s_delay_alu instid0(VALU_DEP_3) | instskip(NEXT) | instid1(SALU_CYCLE_1)
	s_and_b32 s19, s15, s0
	s_and_saveexec_b32 s18, s19
	s_cbranch_execz .LBB223_30
; %bb.29:
	global_load_b64 v[4:5], v[8:9], off offset:3584
	global_load_b64 v[10:11], v[68:69], off offset:3584
.LBB223_30:
	s_or_b32 exec_lo, exec_lo, s18
	v_or_b32_e32 v2, 0x1e0, v2
	s_delay_alu instid0(VALU_DEP_1) | instskip(SKIP_2) | instid1(SALU_CYCLE_1)
	v_cmp_gt_i32_e32 vcc_lo, s22, v2
	v_dual_mov_b32 v3, v1 :: v_dual_mov_b32 v2, v0
	s_and_b32 s18, s15, vcc_lo
	s_and_saveexec_b32 s15, s18
	s_cbranch_execz .LBB223_32
; %bb.31:
	global_load_b64 v[0:1], v[8:9], off offset:3840
	global_load_b64 v[2:3], v[68:69], off offset:3840
.LBB223_32:
	s_or_b32 exec_lo, exec_lo, s15
	s_waitcnt vmcnt(1)
	v_add_f64 v[8:9], v[64:65], 0
	v_mbcnt_lo_u32_b32 v71, -1, 0
	s_mov_b32 s18, exec_lo
	s_delay_alu instid0(VALU_DEP_1) | instskip(NEXT) | instid1(VALU_DEP_1)
	v_xor_b32_e32 v68, 16, v71
	v_cmp_gt_i32_e64 s15, 32, v68
	s_delay_alu instid0(VALU_DEP_1) | instskip(NEXT) | instid1(VALU_DEP_1)
	v_cndmask_b32_e64 v68, v71, v68, s15
	v_lshlrev_b32_e32 v69, 2, v68
	v_add_f64 v[8:9], v[8:9], v[60:61]
	s_delay_alu instid0(VALU_DEP_1) | instskip(NEXT) | instid1(VALU_DEP_1)
	v_add_f64 v[8:9], v[8:9], v[56:57]
	v_add_f64 v[8:9], v[8:9], v[52:53]
	s_delay_alu instid0(VALU_DEP_1) | instskip(NEXT) | instid1(VALU_DEP_1)
	v_add_f64 v[8:9], v[8:9], v[48:49]
	;; [unrolled: 3-line block ×7, first 2 shown]
	v_add_f64 v[8:9], v[8:9], v[0:1]
	ds_bpermute_b32 v68, v69, v8
	ds_bpermute_b32 v69, v69, v9
	s_waitcnt lgkmcnt(0)
	v_add_f64 v[8:9], v[8:9], v[68:69]
	v_xor_b32_e32 v68, 8, v71
	s_delay_alu instid0(VALU_DEP_1) | instskip(NEXT) | instid1(VALU_DEP_1)
	v_cmp_gt_i32_e64 s15, 32, v68
	v_cndmask_b32_e64 v68, v71, v68, s15
	s_delay_alu instid0(VALU_DEP_1)
	v_lshlrev_b32_e32 v69, 2, v68
	ds_bpermute_b32 v68, v69, v8
	ds_bpermute_b32 v69, v69, v9
	s_waitcnt lgkmcnt(0)
	v_add_f64 v[8:9], v[8:9], v[68:69]
	v_xor_b32_e32 v68, 4, v71
	s_delay_alu instid0(VALU_DEP_1) | instskip(NEXT) | instid1(VALU_DEP_1)
	v_cmp_gt_i32_e64 s15, 32, v68
	v_cndmask_b32_e64 v68, v71, v68, s15
	s_delay_alu instid0(VALU_DEP_1)
	v_lshlrev_b32_e32 v69, 2, v68
	;; [unrolled: 10-line block ×4, first 2 shown]
	ds_bpermute_b32 v68, v69, v8
	ds_bpermute_b32 v69, v69, v9
	v_cmpx_lt_i32_e32 0, v70
	s_cbranch_execz .LBB223_50
; %bb.33:
	s_waitcnt lgkmcnt(0)
	v_add_f64 v[8:9], v[8:9], v[68:69]
	v_add_co_u32 v6, s15, s16, v6
	s_delay_alu instid0(VALU_DEP_1)
	v_add_co_ci_u32_e64 v7, s15, s17, v7, s15
	s_and_saveexec_b32 s16, s14
	s_cbranch_execnz .LBB223_51
; %bb.34:
	s_or_b32 exec_lo, exec_lo, s16
	s_and_saveexec_b32 s15, s13
	s_cbranch_execnz .LBB223_52
.LBB223_35:
	s_or_b32 exec_lo, exec_lo, s15
	s_and_saveexec_b32 s14, s12
	s_cbranch_execnz .LBB223_53
.LBB223_36:
	s_or_b32 exec_lo, exec_lo, s14
	s_and_saveexec_b32 s13, s11
	s_cbranch_execnz .LBB223_54
.LBB223_37:
	s_or_b32 exec_lo, exec_lo, s13
	s_and_saveexec_b32 s12, s10
	s_cbranch_execnz .LBB223_55
.LBB223_38:
	s_or_b32 exec_lo, exec_lo, s12
	s_and_saveexec_b32 s11, s9
	s_cbranch_execnz .LBB223_56
.LBB223_39:
	s_or_b32 exec_lo, exec_lo, s11
	s_and_saveexec_b32 s10, s8
	s_cbranch_execnz .LBB223_57
.LBB223_40:
	s_or_b32 exec_lo, exec_lo, s10
	s_and_saveexec_b32 s9, s7
	s_cbranch_execnz .LBB223_58
.LBB223_41:
	s_or_b32 exec_lo, exec_lo, s9
	s_and_saveexec_b32 s8, s6
	s_cbranch_execnz .LBB223_59
.LBB223_42:
	s_or_b32 exec_lo, exec_lo, s8
	s_and_saveexec_b32 s7, s5
	s_cbranch_execnz .LBB223_60
.LBB223_43:
	s_or_b32 exec_lo, exec_lo, s7
	s_and_saveexec_b32 s6, s4
	s_cbranch_execnz .LBB223_61
.LBB223_44:
	s_or_b32 exec_lo, exec_lo, s6
	s_and_saveexec_b32 s5, s3
	s_cbranch_execnz .LBB223_62
.LBB223_45:
	s_or_b32 exec_lo, exec_lo, s5
	s_and_saveexec_b32 s4, s2
	s_cbranch_execnz .LBB223_63
.LBB223_46:
	s_or_b32 exec_lo, exec_lo, s4
	s_and_saveexec_b32 s3, s1
	s_cbranch_execnz .LBB223_64
.LBB223_47:
	s_or_b32 exec_lo, exec_lo, s3
	s_and_saveexec_b32 s2, s0
	s_cbranch_execnz .LBB223_65
.LBB223_48:
	s_or_b32 exec_lo, exec_lo, s2
	s_delay_alu instid0(SALU_CYCLE_1)
	s_and_b32 exec_lo, exec_lo, vcc_lo
	s_cbranch_execz .LBB223_50
.LBB223_49:
	s_mov_b32 s0, 0x652b82fe
	s_mov_b32 s1, 0x3ff71547
	;; [unrolled: 1-line block ×3, first 2 shown]
	s_waitcnt vmcnt(0)
	v_mul_f64 v[4:5], v[2:3], s[0:1]
	s_mov_b32 s0, 0xfefa39ef
	s_mov_b32 s1, 0xbfe62e42
	;; [unrolled: 1-line block ×3, first 2 shown]
	v_cmp_nlt_f64_e32 vcc_lo, 0x40900000, v[2:3]
	s_delay_alu instid0(VALU_DEP_2) | instskip(NEXT) | instid1(VALU_DEP_1)
	v_rndne_f64_e32 v[4:5], v[4:5]
	v_fma_f64 v[10:11], v[4:5], s[0:1], v[2:3]
	s_mov_b32 s0, 0x3b39803f
	s_mov_b32 s1, 0xbc7abc9e
	v_cvt_i32_f64_e32 v14, v[4:5]
	s_delay_alu instid0(VALU_DEP_2)
	v_fma_f64 v[10:11], v[4:5], s[0:1], v[10:11]
	s_mov_b32 s0, 0xfca7ab0c
	s_mov_b32 s1, 0x3e928af3
	s_delay_alu instid0(VALU_DEP_1) | instid1(SALU_CYCLE_1)
	v_fma_f64 v[12:13], v[10:11], s[2:3], s[0:1]
	s_mov_b32 s0, 0x623fde64
	s_mov_b32 s1, 0x3ec71dee
	s_delay_alu instid0(VALU_DEP_1) | instid1(SALU_CYCLE_1)
	;; [unrolled: 4-line block ×9, first 2 shown]
	v_fma_f64 v[12:13], v[10:11], v[12:13], s[0:1]
	v_cmp_ngt_f64_e64 s0, 0xc090cc00, v[2:3]
	s_delay_alu instid0(VALU_DEP_2) | instskip(NEXT) | instid1(VALU_DEP_1)
	v_fma_f64 v[12:13], v[10:11], v[12:13], 1.0
	v_fma_f64 v[4:5], v[10:11], v[12:13], 1.0
	s_delay_alu instid0(VALU_DEP_1) | instskip(NEXT) | instid1(VALU_DEP_1)
	v_ldexp_f64 v[4:5], v[4:5], v14
	v_cndmask_b32_e32 v5, 0x7ff00000, v5, vcc_lo
	s_and_b32 vcc_lo, s0, vcc_lo
	s_delay_alu instid0(VALU_DEP_2) | instskip(NEXT) | instid1(VALU_DEP_2)
	v_cndmask_b32_e32 v2, 0, v4, vcc_lo
	v_cndmask_b32_e64 v3, 0, v5, s0
	s_delay_alu instid0(VALU_DEP_1)
	v_fma_f64 v[0:1], -v[8:9], v[2:3], v[0:1]
	global_store_b64 v[6:7], v[0:1], off offset:3840
.LBB223_50:
	s_nop 0
	s_sendmsg sendmsg(MSG_DEALLOC_VGPRS)
	s_endpgm
.LBB223_51:
	s_mov_b32 s14, 0x652b82fe
	s_mov_b32 s15, 0x3ff71547
	;; [unrolled: 1-line block ×3, first 2 shown]
	s_waitcnt vmcnt(0)
	v_mul_f64 v[68:69], v[66:67], s[14:15]
	s_mov_b32 s14, 0xfefa39ef
	s_mov_b32 s15, 0xbfe62e42
	;; [unrolled: 1-line block ×3, first 2 shown]
	s_delay_alu instid0(VALU_DEP_1) | instskip(NEXT) | instid1(VALU_DEP_1)
	v_rndne_f64_e32 v[68:69], v[68:69]
	v_fma_f64 v[70:71], v[68:69], s[14:15], v[66:67]
	s_mov_b32 s14, 0x3b39803f
	s_mov_b32 s15, 0xbc7abc9e
	v_cvt_i32_f64_e32 v74, v[68:69]
	s_delay_alu instid0(VALU_DEP_2)
	v_fma_f64 v[70:71], v[68:69], s[14:15], v[70:71]
	s_mov_b32 s14, 0xfca7ab0c
	s_mov_b32 s15, 0x3e928af3
	s_delay_alu instid0(VALU_DEP_1) | instid1(SALU_CYCLE_1)
	v_fma_f64 v[72:73], v[70:71], s[18:19], s[14:15]
	s_mov_b32 s14, 0x623fde64
	s_mov_b32 s15, 0x3ec71dee
	s_delay_alu instid0(VALU_DEP_1) | instid1(SALU_CYCLE_1)
	;; [unrolled: 4-line block ×9, first 2 shown]
	v_fma_f64 v[72:73], v[70:71], v[72:73], s[14:15]
	v_cmp_nlt_f64_e64 s14, 0x40900000, v[66:67]
	v_cmp_ngt_f64_e64 s15, 0xc090cc00, v[66:67]
	s_delay_alu instid0(VALU_DEP_3) | instskip(NEXT) | instid1(VALU_DEP_1)
	v_fma_f64 v[72:73], v[70:71], v[72:73], 1.0
	v_fma_f64 v[68:69], v[70:71], v[72:73], 1.0
	s_delay_alu instid0(VALU_DEP_1) | instskip(NEXT) | instid1(VALU_DEP_1)
	v_ldexp_f64 v[68:69], v[68:69], v74
	v_cndmask_b32_e64 v69, 0x7ff00000, v69, s14
	s_and_b32 s14, s15, s14
	s_delay_alu instid0(VALU_DEP_2) | instid1(SALU_CYCLE_1)
	v_cndmask_b32_e64 v66, 0, v68, s14
	s_delay_alu instid0(VALU_DEP_2) | instskip(NEXT) | instid1(VALU_DEP_1)
	v_cndmask_b32_e64 v67, 0, v69, s15
	v_fma_f64 v[64:65], -v[8:9], v[66:67], v[64:65]
	global_store_b64 v[6:7], v[64:65], off
	s_or_b32 exec_lo, exec_lo, s16
	s_and_saveexec_b32 s15, s13
	s_cbranch_execz .LBB223_35
.LBB223_52:
	s_mov_b32 s16, 0x652b82fe
	s_mov_b32 s17, 0x3ff71547
	;; [unrolled: 1-line block ×3, first 2 shown]
	s_waitcnt vmcnt(0)
	v_mul_f64 v[64:65], v[62:63], s[16:17]
	s_mov_b32 s16, 0xfefa39ef
	s_mov_b32 s17, 0xbfe62e42
	;; [unrolled: 1-line block ×3, first 2 shown]
	v_cmp_nlt_f64_e64 s13, 0x40900000, v[62:63]
	v_cmp_ngt_f64_e64 s14, 0xc090cc00, v[62:63]
	s_delay_alu instid0(VALU_DEP_3) | instskip(NEXT) | instid1(VALU_DEP_1)
	v_rndne_f64_e32 v[64:65], v[64:65]
	v_fma_f64 v[66:67], v[64:65], s[16:17], v[62:63]
	s_mov_b32 s16, 0x3b39803f
	s_mov_b32 s17, 0xbc7abc9e
	v_cvt_i32_f64_e32 v70, v[64:65]
	s_delay_alu instid0(VALU_DEP_2)
	v_fma_f64 v[66:67], v[64:65], s[16:17], v[66:67]
	s_mov_b32 s16, 0xfca7ab0c
	s_mov_b32 s17, 0x3e928af3
	s_delay_alu instid0(VALU_DEP_1) | instid1(SALU_CYCLE_1)
	v_fma_f64 v[68:69], v[66:67], s[18:19], s[16:17]
	s_mov_b32 s16, 0x623fde64
	s_mov_b32 s17, 0x3ec71dee
	s_delay_alu instid0(VALU_DEP_1) | instid1(SALU_CYCLE_1)
	;; [unrolled: 4-line block ×9, first 2 shown]
	v_fma_f64 v[68:69], v[66:67], v[68:69], s[16:17]
	s_delay_alu instid0(VALU_DEP_1) | instskip(NEXT) | instid1(VALU_DEP_1)
	v_fma_f64 v[68:69], v[66:67], v[68:69], 1.0
	v_fma_f64 v[64:65], v[66:67], v[68:69], 1.0
	s_delay_alu instid0(VALU_DEP_1) | instskip(NEXT) | instid1(VALU_DEP_1)
	v_ldexp_f64 v[64:65], v[64:65], v70
	v_cndmask_b32_e64 v65, 0x7ff00000, v65, s13
	s_and_b32 s13, s14, s13
	s_delay_alu instid0(VALU_DEP_2) | instid1(SALU_CYCLE_1)
	v_cndmask_b32_e64 v62, 0, v64, s13
	s_delay_alu instid0(VALU_DEP_2) | instskip(NEXT) | instid1(VALU_DEP_1)
	v_cndmask_b32_e64 v63, 0, v65, s14
	v_fma_f64 v[60:61], -v[8:9], v[62:63], v[60:61]
	global_store_b64 v[6:7], v[60:61], off offset:256
	s_or_b32 exec_lo, exec_lo, s15
	s_and_saveexec_b32 s14, s12
	s_cbranch_execz .LBB223_36
.LBB223_53:
	s_mov_b32 s12, 0x652b82fe
	s_mov_b32 s13, 0x3ff71547
	;; [unrolled: 1-line block ×3, first 2 shown]
	s_waitcnt vmcnt(0)
	v_mul_f64 v[60:61], v[58:59], s[12:13]
	s_mov_b32 s12, 0xfefa39ef
	s_mov_b32 s13, 0xbfe62e42
	;; [unrolled: 1-line block ×3, first 2 shown]
	s_delay_alu instid0(VALU_DEP_1) | instskip(NEXT) | instid1(VALU_DEP_1)
	v_rndne_f64_e32 v[60:61], v[60:61]
	v_fma_f64 v[62:63], v[60:61], s[12:13], v[58:59]
	s_mov_b32 s12, 0x3b39803f
	s_mov_b32 s13, 0xbc7abc9e
	v_cvt_i32_f64_e32 v66, v[60:61]
	s_delay_alu instid0(VALU_DEP_2)
	v_fma_f64 v[62:63], v[60:61], s[12:13], v[62:63]
	s_mov_b32 s12, 0xfca7ab0c
	s_mov_b32 s13, 0x3e928af3
	s_delay_alu instid0(VALU_DEP_1) | instid1(SALU_CYCLE_1)
	v_fma_f64 v[64:65], v[62:63], s[16:17], s[12:13]
	s_mov_b32 s12, 0x623fde64
	s_mov_b32 s13, 0x3ec71dee
	s_delay_alu instid0(VALU_DEP_1) | instid1(SALU_CYCLE_1)
	;; [unrolled: 4-line block ×9, first 2 shown]
	v_fma_f64 v[64:65], v[62:63], v[64:65], s[12:13]
	v_cmp_nlt_f64_e64 s12, 0x40900000, v[58:59]
	v_cmp_ngt_f64_e64 s13, 0xc090cc00, v[58:59]
	s_delay_alu instid0(VALU_DEP_3) | instskip(NEXT) | instid1(VALU_DEP_1)
	v_fma_f64 v[64:65], v[62:63], v[64:65], 1.0
	v_fma_f64 v[60:61], v[62:63], v[64:65], 1.0
	s_delay_alu instid0(VALU_DEP_1) | instskip(NEXT) | instid1(VALU_DEP_1)
	v_ldexp_f64 v[60:61], v[60:61], v66
	v_cndmask_b32_e64 v61, 0x7ff00000, v61, s12
	s_and_b32 s12, s13, s12
	s_delay_alu instid0(VALU_DEP_2) | instid1(SALU_CYCLE_1)
	v_cndmask_b32_e64 v58, 0, v60, s12
	s_delay_alu instid0(VALU_DEP_2) | instskip(NEXT) | instid1(VALU_DEP_1)
	v_cndmask_b32_e64 v59, 0, v61, s13
	v_fma_f64 v[56:57], -v[8:9], v[58:59], v[56:57]
	global_store_b64 v[6:7], v[56:57], off offset:512
	s_or_b32 exec_lo, exec_lo, s14
	s_and_saveexec_b32 s13, s11
	s_cbranch_execz .LBB223_37
.LBB223_54:
	s_mov_b32 s14, 0x652b82fe
	s_mov_b32 s15, 0x3ff71547
	;; [unrolled: 1-line block ×3, first 2 shown]
	s_waitcnt vmcnt(0)
	v_mul_f64 v[56:57], v[54:55], s[14:15]
	s_mov_b32 s14, 0xfefa39ef
	s_mov_b32 s15, 0xbfe62e42
	;; [unrolled: 1-line block ×3, first 2 shown]
	v_cmp_nlt_f64_e64 s11, 0x40900000, v[54:55]
	v_cmp_ngt_f64_e64 s12, 0xc090cc00, v[54:55]
	s_delay_alu instid0(VALU_DEP_3) | instskip(NEXT) | instid1(VALU_DEP_1)
	v_rndne_f64_e32 v[56:57], v[56:57]
	v_fma_f64 v[58:59], v[56:57], s[14:15], v[54:55]
	s_mov_b32 s14, 0x3b39803f
	s_mov_b32 s15, 0xbc7abc9e
	v_cvt_i32_f64_e32 v62, v[56:57]
	s_delay_alu instid0(VALU_DEP_2)
	v_fma_f64 v[58:59], v[56:57], s[14:15], v[58:59]
	s_mov_b32 s14, 0xfca7ab0c
	s_mov_b32 s15, 0x3e928af3
	s_delay_alu instid0(VALU_DEP_1) | instid1(SALU_CYCLE_1)
	v_fma_f64 v[60:61], v[58:59], s[16:17], s[14:15]
	s_mov_b32 s14, 0x623fde64
	s_mov_b32 s15, 0x3ec71dee
	s_delay_alu instid0(VALU_DEP_1) | instid1(SALU_CYCLE_1)
	;; [unrolled: 4-line block ×9, first 2 shown]
	v_fma_f64 v[60:61], v[58:59], v[60:61], s[14:15]
	s_delay_alu instid0(VALU_DEP_1) | instskip(NEXT) | instid1(VALU_DEP_1)
	v_fma_f64 v[60:61], v[58:59], v[60:61], 1.0
	v_fma_f64 v[56:57], v[58:59], v[60:61], 1.0
	s_delay_alu instid0(VALU_DEP_1) | instskip(NEXT) | instid1(VALU_DEP_1)
	v_ldexp_f64 v[56:57], v[56:57], v62
	v_cndmask_b32_e64 v57, 0x7ff00000, v57, s11
	s_and_b32 s11, s12, s11
	s_delay_alu instid0(VALU_DEP_2) | instid1(SALU_CYCLE_1)
	v_cndmask_b32_e64 v54, 0, v56, s11
	s_delay_alu instid0(VALU_DEP_2) | instskip(NEXT) | instid1(VALU_DEP_1)
	v_cndmask_b32_e64 v55, 0, v57, s12
	v_fma_f64 v[52:53], -v[8:9], v[54:55], v[52:53]
	global_store_b64 v[6:7], v[52:53], off offset:768
	s_or_b32 exec_lo, exec_lo, s13
	s_and_saveexec_b32 s12, s10
	s_cbranch_execz .LBB223_38
.LBB223_55:
	s_mov_b32 s10, 0x652b82fe
	s_mov_b32 s11, 0x3ff71547
	;; [unrolled: 1-line block ×3, first 2 shown]
	s_waitcnt vmcnt(0)
	v_mul_f64 v[52:53], v[50:51], s[10:11]
	s_mov_b32 s10, 0xfefa39ef
	s_mov_b32 s11, 0xbfe62e42
	;; [unrolled: 1-line block ×3, first 2 shown]
	s_delay_alu instid0(VALU_DEP_1) | instskip(NEXT) | instid1(VALU_DEP_1)
	v_rndne_f64_e32 v[52:53], v[52:53]
	v_fma_f64 v[54:55], v[52:53], s[10:11], v[50:51]
	s_mov_b32 s10, 0x3b39803f
	s_mov_b32 s11, 0xbc7abc9e
	v_cvt_i32_f64_e32 v58, v[52:53]
	s_delay_alu instid0(VALU_DEP_2)
	v_fma_f64 v[54:55], v[52:53], s[10:11], v[54:55]
	s_mov_b32 s10, 0xfca7ab0c
	s_mov_b32 s11, 0x3e928af3
	s_delay_alu instid0(VALU_DEP_1) | instid1(SALU_CYCLE_1)
	v_fma_f64 v[56:57], v[54:55], s[14:15], s[10:11]
	s_mov_b32 s10, 0x623fde64
	s_mov_b32 s11, 0x3ec71dee
	s_delay_alu instid0(VALU_DEP_1) | instid1(SALU_CYCLE_1)
	v_fma_f64 v[56:57], v[54:55], v[56:57], s[10:11]
	s_mov_b32 s10, 0x7c89e6b0
	s_mov_b32 s11, 0x3efa0199
	s_delay_alu instid0(VALU_DEP_1) | instid1(SALU_CYCLE_1)
	v_fma_f64 v[56:57], v[54:55], v[56:57], s[10:11]
	s_mov_b32 s10, 0x14761f6e
	s_mov_b32 s11, 0x3f2a01a0
	s_delay_alu instid0(VALU_DEP_1) | instid1(SALU_CYCLE_1)
	v_fma_f64 v[56:57], v[54:55], v[56:57], s[10:11]
	s_mov_b32 s10, 0x1852b7b0
	s_mov_b32 s11, 0x3f56c16c
	s_delay_alu instid0(VALU_DEP_1) | instid1(SALU_CYCLE_1)
	v_fma_f64 v[56:57], v[54:55], v[56:57], s[10:11]
	s_mov_b32 s10, 0x11122322
	s_mov_b32 s11, 0x3f811111
	s_delay_alu instid0(VALU_DEP_1) | instid1(SALU_CYCLE_1)
	v_fma_f64 v[56:57], v[54:55], v[56:57], s[10:11]
	s_mov_b32 s10, 0x555502a1
	s_mov_b32 s11, 0x3fa55555
	s_delay_alu instid0(VALU_DEP_1) | instid1(SALU_CYCLE_1)
	v_fma_f64 v[56:57], v[54:55], v[56:57], s[10:11]
	s_mov_b32 s10, 0x55555511
	s_mov_b32 s11, 0x3fc55555
	s_delay_alu instid0(VALU_DEP_1) | instid1(SALU_CYCLE_1)
	v_fma_f64 v[56:57], v[54:55], v[56:57], s[10:11]
	s_mov_b32 s10, 11
	s_mov_b32 s11, 0x3fe00000
	s_delay_alu instid0(VALU_DEP_1) | instid1(SALU_CYCLE_1)
	v_fma_f64 v[56:57], v[54:55], v[56:57], s[10:11]
	v_cmp_nlt_f64_e64 s10, 0x40900000, v[50:51]
	v_cmp_ngt_f64_e64 s11, 0xc090cc00, v[50:51]
	s_delay_alu instid0(VALU_DEP_3) | instskip(NEXT) | instid1(VALU_DEP_1)
	v_fma_f64 v[56:57], v[54:55], v[56:57], 1.0
	v_fma_f64 v[52:53], v[54:55], v[56:57], 1.0
	s_delay_alu instid0(VALU_DEP_1) | instskip(NEXT) | instid1(VALU_DEP_1)
	v_ldexp_f64 v[52:53], v[52:53], v58
	v_cndmask_b32_e64 v53, 0x7ff00000, v53, s10
	s_and_b32 s10, s11, s10
	s_delay_alu instid0(VALU_DEP_2) | instid1(SALU_CYCLE_1)
	v_cndmask_b32_e64 v50, 0, v52, s10
	s_delay_alu instid0(VALU_DEP_2) | instskip(NEXT) | instid1(VALU_DEP_1)
	v_cndmask_b32_e64 v51, 0, v53, s11
	v_fma_f64 v[48:49], -v[8:9], v[50:51], v[48:49]
	global_store_b64 v[6:7], v[48:49], off offset:1024
	s_or_b32 exec_lo, exec_lo, s12
	s_and_saveexec_b32 s11, s9
	s_cbranch_execz .LBB223_39
.LBB223_56:
	s_mov_b32 s12, 0x652b82fe
	s_mov_b32 s13, 0x3ff71547
	;; [unrolled: 1-line block ×3, first 2 shown]
	s_waitcnt vmcnt(0)
	v_mul_f64 v[48:49], v[46:47], s[12:13]
	s_mov_b32 s12, 0xfefa39ef
	s_mov_b32 s13, 0xbfe62e42
	;; [unrolled: 1-line block ×3, first 2 shown]
	v_cmp_nlt_f64_e64 s9, 0x40900000, v[46:47]
	v_cmp_ngt_f64_e64 s10, 0xc090cc00, v[46:47]
	s_delay_alu instid0(VALU_DEP_3) | instskip(NEXT) | instid1(VALU_DEP_1)
	v_rndne_f64_e32 v[48:49], v[48:49]
	v_fma_f64 v[50:51], v[48:49], s[12:13], v[46:47]
	s_mov_b32 s12, 0x3b39803f
	s_mov_b32 s13, 0xbc7abc9e
	v_cvt_i32_f64_e32 v54, v[48:49]
	s_delay_alu instid0(VALU_DEP_2)
	v_fma_f64 v[50:51], v[48:49], s[12:13], v[50:51]
	s_mov_b32 s12, 0xfca7ab0c
	s_mov_b32 s13, 0x3e928af3
	s_delay_alu instid0(VALU_DEP_1) | instid1(SALU_CYCLE_1)
	v_fma_f64 v[52:53], v[50:51], s[14:15], s[12:13]
	s_mov_b32 s12, 0x623fde64
	s_mov_b32 s13, 0x3ec71dee
	s_delay_alu instid0(VALU_DEP_1) | instid1(SALU_CYCLE_1)
	;; [unrolled: 4-line block ×9, first 2 shown]
	v_fma_f64 v[52:53], v[50:51], v[52:53], s[12:13]
	s_delay_alu instid0(VALU_DEP_1) | instskip(NEXT) | instid1(VALU_DEP_1)
	v_fma_f64 v[52:53], v[50:51], v[52:53], 1.0
	v_fma_f64 v[48:49], v[50:51], v[52:53], 1.0
	s_delay_alu instid0(VALU_DEP_1) | instskip(NEXT) | instid1(VALU_DEP_1)
	v_ldexp_f64 v[48:49], v[48:49], v54
	v_cndmask_b32_e64 v49, 0x7ff00000, v49, s9
	s_and_b32 s9, s10, s9
	s_delay_alu instid0(VALU_DEP_2) | instid1(SALU_CYCLE_1)
	v_cndmask_b32_e64 v46, 0, v48, s9
	s_delay_alu instid0(VALU_DEP_2) | instskip(NEXT) | instid1(VALU_DEP_1)
	v_cndmask_b32_e64 v47, 0, v49, s10
	v_fma_f64 v[44:45], -v[8:9], v[46:47], v[44:45]
	global_store_b64 v[6:7], v[44:45], off offset:1280
	s_or_b32 exec_lo, exec_lo, s11
	s_and_saveexec_b32 s10, s8
	s_cbranch_execz .LBB223_40
.LBB223_57:
	s_mov_b32 s8, 0x652b82fe
	s_mov_b32 s9, 0x3ff71547
	;; [unrolled: 1-line block ×3, first 2 shown]
	s_waitcnt vmcnt(0)
	v_mul_f64 v[44:45], v[42:43], s[8:9]
	s_mov_b32 s8, 0xfefa39ef
	s_mov_b32 s9, 0xbfe62e42
	s_mov_b32 s13, 0x3e5ade15
	s_delay_alu instid0(VALU_DEP_1) | instskip(NEXT) | instid1(VALU_DEP_1)
	v_rndne_f64_e32 v[44:45], v[44:45]
	v_fma_f64 v[46:47], v[44:45], s[8:9], v[42:43]
	s_mov_b32 s8, 0x3b39803f
	s_mov_b32 s9, 0xbc7abc9e
	v_cvt_i32_f64_e32 v50, v[44:45]
	s_delay_alu instid0(VALU_DEP_2)
	v_fma_f64 v[46:47], v[44:45], s[8:9], v[46:47]
	s_mov_b32 s8, 0xfca7ab0c
	s_mov_b32 s9, 0x3e928af3
	s_delay_alu instid0(VALU_DEP_1) | instid1(SALU_CYCLE_1)
	v_fma_f64 v[48:49], v[46:47], s[12:13], s[8:9]
	s_mov_b32 s8, 0x623fde64
	s_mov_b32 s9, 0x3ec71dee
	s_delay_alu instid0(VALU_DEP_1) | instid1(SALU_CYCLE_1)
	;; [unrolled: 4-line block ×9, first 2 shown]
	v_fma_f64 v[48:49], v[46:47], v[48:49], s[8:9]
	v_cmp_nlt_f64_e64 s8, 0x40900000, v[42:43]
	v_cmp_ngt_f64_e64 s9, 0xc090cc00, v[42:43]
	s_delay_alu instid0(VALU_DEP_3) | instskip(NEXT) | instid1(VALU_DEP_1)
	v_fma_f64 v[48:49], v[46:47], v[48:49], 1.0
	v_fma_f64 v[44:45], v[46:47], v[48:49], 1.0
	s_delay_alu instid0(VALU_DEP_1) | instskip(NEXT) | instid1(VALU_DEP_1)
	v_ldexp_f64 v[44:45], v[44:45], v50
	v_cndmask_b32_e64 v45, 0x7ff00000, v45, s8
	s_and_b32 s8, s9, s8
	s_delay_alu instid0(VALU_DEP_2) | instid1(SALU_CYCLE_1)
	v_cndmask_b32_e64 v42, 0, v44, s8
	s_delay_alu instid0(VALU_DEP_2) | instskip(NEXT) | instid1(VALU_DEP_1)
	v_cndmask_b32_e64 v43, 0, v45, s9
	v_fma_f64 v[40:41], -v[8:9], v[42:43], v[40:41]
	global_store_b64 v[6:7], v[40:41], off offset:1536
	s_or_b32 exec_lo, exec_lo, s10
	s_and_saveexec_b32 s9, s7
	s_cbranch_execz .LBB223_41
.LBB223_58:
	s_mov_b32 s10, 0x652b82fe
	s_mov_b32 s11, 0x3ff71547
	;; [unrolled: 1-line block ×3, first 2 shown]
	s_waitcnt vmcnt(0)
	v_mul_f64 v[40:41], v[38:39], s[10:11]
	s_mov_b32 s10, 0xfefa39ef
	s_mov_b32 s11, 0xbfe62e42
	;; [unrolled: 1-line block ×3, first 2 shown]
	v_cmp_nlt_f64_e64 s7, 0x40900000, v[38:39]
	v_cmp_ngt_f64_e64 s8, 0xc090cc00, v[38:39]
	s_delay_alu instid0(VALU_DEP_3) | instskip(NEXT) | instid1(VALU_DEP_1)
	v_rndne_f64_e32 v[40:41], v[40:41]
	v_fma_f64 v[42:43], v[40:41], s[10:11], v[38:39]
	s_mov_b32 s10, 0x3b39803f
	s_mov_b32 s11, 0xbc7abc9e
	v_cvt_i32_f64_e32 v46, v[40:41]
	s_delay_alu instid0(VALU_DEP_2)
	v_fma_f64 v[42:43], v[40:41], s[10:11], v[42:43]
	s_mov_b32 s10, 0xfca7ab0c
	s_mov_b32 s11, 0x3e928af3
	s_delay_alu instid0(VALU_DEP_1) | instid1(SALU_CYCLE_1)
	v_fma_f64 v[44:45], v[42:43], s[12:13], s[10:11]
	s_mov_b32 s10, 0x623fde64
	s_mov_b32 s11, 0x3ec71dee
	s_delay_alu instid0(VALU_DEP_1) | instid1(SALU_CYCLE_1)
	;; [unrolled: 4-line block ×9, first 2 shown]
	v_fma_f64 v[44:45], v[42:43], v[44:45], s[10:11]
	s_delay_alu instid0(VALU_DEP_1) | instskip(NEXT) | instid1(VALU_DEP_1)
	v_fma_f64 v[44:45], v[42:43], v[44:45], 1.0
	v_fma_f64 v[40:41], v[42:43], v[44:45], 1.0
	s_delay_alu instid0(VALU_DEP_1) | instskip(NEXT) | instid1(VALU_DEP_1)
	v_ldexp_f64 v[40:41], v[40:41], v46
	v_cndmask_b32_e64 v41, 0x7ff00000, v41, s7
	s_and_b32 s7, s8, s7
	s_delay_alu instid0(VALU_DEP_2) | instid1(SALU_CYCLE_1)
	v_cndmask_b32_e64 v38, 0, v40, s7
	s_delay_alu instid0(VALU_DEP_2) | instskip(NEXT) | instid1(VALU_DEP_1)
	v_cndmask_b32_e64 v39, 0, v41, s8
	v_fma_f64 v[36:37], -v[8:9], v[38:39], v[36:37]
	global_store_b64 v[6:7], v[36:37], off offset:1792
	s_or_b32 exec_lo, exec_lo, s9
	s_and_saveexec_b32 s8, s6
	s_cbranch_execz .LBB223_42
.LBB223_59:
	s_mov_b32 s6, 0x652b82fe
	s_mov_b32 s7, 0x3ff71547
	;; [unrolled: 1-line block ×3, first 2 shown]
	s_waitcnt vmcnt(0)
	v_mul_f64 v[36:37], v[34:35], s[6:7]
	s_mov_b32 s6, 0xfefa39ef
	s_mov_b32 s7, 0xbfe62e42
	;; [unrolled: 1-line block ×3, first 2 shown]
	s_delay_alu instid0(VALU_DEP_1) | instskip(NEXT) | instid1(VALU_DEP_1)
	v_rndne_f64_e32 v[36:37], v[36:37]
	v_fma_f64 v[38:39], v[36:37], s[6:7], v[34:35]
	s_mov_b32 s6, 0x3b39803f
	s_mov_b32 s7, 0xbc7abc9e
	v_cvt_i32_f64_e32 v42, v[36:37]
	s_delay_alu instid0(VALU_DEP_2)
	v_fma_f64 v[38:39], v[36:37], s[6:7], v[38:39]
	s_mov_b32 s6, 0xfca7ab0c
	s_mov_b32 s7, 0x3e928af3
	s_delay_alu instid0(VALU_DEP_1) | instid1(SALU_CYCLE_1)
	v_fma_f64 v[40:41], v[38:39], s[10:11], s[6:7]
	s_mov_b32 s6, 0x623fde64
	s_mov_b32 s7, 0x3ec71dee
	s_delay_alu instid0(VALU_DEP_1) | instid1(SALU_CYCLE_1)
	;; [unrolled: 4-line block ×9, first 2 shown]
	v_fma_f64 v[40:41], v[38:39], v[40:41], s[6:7]
	v_cmp_nlt_f64_e64 s6, 0x40900000, v[34:35]
	v_cmp_ngt_f64_e64 s7, 0xc090cc00, v[34:35]
	s_delay_alu instid0(VALU_DEP_3) | instskip(NEXT) | instid1(VALU_DEP_1)
	v_fma_f64 v[40:41], v[38:39], v[40:41], 1.0
	v_fma_f64 v[36:37], v[38:39], v[40:41], 1.0
	s_delay_alu instid0(VALU_DEP_1) | instskip(NEXT) | instid1(VALU_DEP_1)
	v_ldexp_f64 v[36:37], v[36:37], v42
	v_cndmask_b32_e64 v37, 0x7ff00000, v37, s6
	s_and_b32 s6, s7, s6
	s_delay_alu instid0(VALU_DEP_2) | instid1(SALU_CYCLE_1)
	v_cndmask_b32_e64 v34, 0, v36, s6
	s_delay_alu instid0(VALU_DEP_2) | instskip(NEXT) | instid1(VALU_DEP_1)
	v_cndmask_b32_e64 v35, 0, v37, s7
	v_fma_f64 v[32:33], -v[8:9], v[34:35], v[32:33]
	global_store_b64 v[6:7], v[32:33], off offset:2048
	s_or_b32 exec_lo, exec_lo, s8
	s_and_saveexec_b32 s7, s5
	s_cbranch_execz .LBB223_43
.LBB223_60:
	s_mov_b32 s8, 0x652b82fe
	s_mov_b32 s9, 0x3ff71547
	;; [unrolled: 1-line block ×3, first 2 shown]
	s_waitcnt vmcnt(0)
	v_mul_f64 v[32:33], v[30:31], s[8:9]
	s_mov_b32 s8, 0xfefa39ef
	s_mov_b32 s9, 0xbfe62e42
	;; [unrolled: 1-line block ×3, first 2 shown]
	v_cmp_nlt_f64_e64 s5, 0x40900000, v[30:31]
	v_cmp_ngt_f64_e64 s6, 0xc090cc00, v[30:31]
	s_delay_alu instid0(VALU_DEP_3) | instskip(NEXT) | instid1(VALU_DEP_1)
	v_rndne_f64_e32 v[32:33], v[32:33]
	v_fma_f64 v[34:35], v[32:33], s[8:9], v[30:31]
	s_mov_b32 s8, 0x3b39803f
	s_mov_b32 s9, 0xbc7abc9e
	v_cvt_i32_f64_e32 v38, v[32:33]
	s_delay_alu instid0(VALU_DEP_2)
	v_fma_f64 v[34:35], v[32:33], s[8:9], v[34:35]
	s_mov_b32 s8, 0xfca7ab0c
	s_mov_b32 s9, 0x3e928af3
	s_delay_alu instid0(VALU_DEP_1) | instid1(SALU_CYCLE_1)
	v_fma_f64 v[36:37], v[34:35], s[10:11], s[8:9]
	s_mov_b32 s8, 0x623fde64
	s_mov_b32 s9, 0x3ec71dee
	s_delay_alu instid0(VALU_DEP_1) | instid1(SALU_CYCLE_1)
	;; [unrolled: 4-line block ×9, first 2 shown]
	v_fma_f64 v[36:37], v[34:35], v[36:37], s[8:9]
	s_delay_alu instid0(VALU_DEP_1) | instskip(NEXT) | instid1(VALU_DEP_1)
	v_fma_f64 v[36:37], v[34:35], v[36:37], 1.0
	v_fma_f64 v[32:33], v[34:35], v[36:37], 1.0
	s_delay_alu instid0(VALU_DEP_1) | instskip(NEXT) | instid1(VALU_DEP_1)
	v_ldexp_f64 v[32:33], v[32:33], v38
	v_cndmask_b32_e64 v33, 0x7ff00000, v33, s5
	s_and_b32 s5, s6, s5
	s_delay_alu instid0(VALU_DEP_2) | instid1(SALU_CYCLE_1)
	v_cndmask_b32_e64 v30, 0, v32, s5
	s_delay_alu instid0(VALU_DEP_2) | instskip(NEXT) | instid1(VALU_DEP_1)
	v_cndmask_b32_e64 v31, 0, v33, s6
	v_fma_f64 v[28:29], -v[8:9], v[30:31], v[28:29]
	global_store_b64 v[6:7], v[28:29], off offset:2304
	s_or_b32 exec_lo, exec_lo, s7
	s_and_saveexec_b32 s6, s4
	s_cbranch_execz .LBB223_44
.LBB223_61:
	s_mov_b32 s4, 0x652b82fe
	s_mov_b32 s5, 0x3ff71547
	;; [unrolled: 1-line block ×3, first 2 shown]
	s_waitcnt vmcnt(0)
	v_mul_f64 v[28:29], v[26:27], s[4:5]
	s_mov_b32 s4, 0xfefa39ef
	s_mov_b32 s5, 0xbfe62e42
	;; [unrolled: 1-line block ×3, first 2 shown]
	s_delay_alu instid0(VALU_DEP_1) | instskip(NEXT) | instid1(VALU_DEP_1)
	v_rndne_f64_e32 v[28:29], v[28:29]
	v_fma_f64 v[30:31], v[28:29], s[4:5], v[26:27]
	s_mov_b32 s4, 0x3b39803f
	s_mov_b32 s5, 0xbc7abc9e
	v_cvt_i32_f64_e32 v34, v[28:29]
	s_delay_alu instid0(VALU_DEP_2)
	v_fma_f64 v[30:31], v[28:29], s[4:5], v[30:31]
	s_mov_b32 s4, 0xfca7ab0c
	s_mov_b32 s5, 0x3e928af3
	s_delay_alu instid0(VALU_DEP_1) | instid1(SALU_CYCLE_1)
	v_fma_f64 v[32:33], v[30:31], s[8:9], s[4:5]
	s_mov_b32 s4, 0x623fde64
	s_mov_b32 s5, 0x3ec71dee
	s_delay_alu instid0(VALU_DEP_1) | instid1(SALU_CYCLE_1)
	;; [unrolled: 4-line block ×9, first 2 shown]
	v_fma_f64 v[32:33], v[30:31], v[32:33], s[4:5]
	v_cmp_nlt_f64_e64 s4, 0x40900000, v[26:27]
	v_cmp_ngt_f64_e64 s5, 0xc090cc00, v[26:27]
	s_delay_alu instid0(VALU_DEP_3) | instskip(NEXT) | instid1(VALU_DEP_1)
	v_fma_f64 v[32:33], v[30:31], v[32:33], 1.0
	v_fma_f64 v[28:29], v[30:31], v[32:33], 1.0
	s_delay_alu instid0(VALU_DEP_1) | instskip(NEXT) | instid1(VALU_DEP_1)
	v_ldexp_f64 v[28:29], v[28:29], v34
	v_cndmask_b32_e64 v29, 0x7ff00000, v29, s4
	s_and_b32 s4, s5, s4
	s_delay_alu instid0(VALU_DEP_2) | instid1(SALU_CYCLE_1)
	v_cndmask_b32_e64 v26, 0, v28, s4
	s_delay_alu instid0(VALU_DEP_2) | instskip(NEXT) | instid1(VALU_DEP_1)
	v_cndmask_b32_e64 v27, 0, v29, s5
	v_fma_f64 v[24:25], -v[8:9], v[26:27], v[24:25]
	global_store_b64 v[6:7], v[24:25], off offset:2560
	s_or_b32 exec_lo, exec_lo, s6
	s_and_saveexec_b32 s5, s3
	s_cbranch_execz .LBB223_45
.LBB223_62:
	s_mov_b32 s6, 0x652b82fe
	s_mov_b32 s7, 0x3ff71547
	;; [unrolled: 1-line block ×3, first 2 shown]
	s_waitcnt vmcnt(0)
	v_mul_f64 v[24:25], v[22:23], s[6:7]
	s_mov_b32 s6, 0xfefa39ef
	s_mov_b32 s7, 0xbfe62e42
	;; [unrolled: 1-line block ×3, first 2 shown]
	v_cmp_nlt_f64_e64 s3, 0x40900000, v[22:23]
	v_cmp_ngt_f64_e64 s4, 0xc090cc00, v[22:23]
	s_delay_alu instid0(VALU_DEP_3) | instskip(NEXT) | instid1(VALU_DEP_1)
	v_rndne_f64_e32 v[24:25], v[24:25]
	v_fma_f64 v[26:27], v[24:25], s[6:7], v[22:23]
	s_mov_b32 s6, 0x3b39803f
	s_mov_b32 s7, 0xbc7abc9e
	v_cvt_i32_f64_e32 v30, v[24:25]
	s_delay_alu instid0(VALU_DEP_2)
	v_fma_f64 v[26:27], v[24:25], s[6:7], v[26:27]
	s_mov_b32 s6, 0xfca7ab0c
	s_mov_b32 s7, 0x3e928af3
	s_delay_alu instid0(VALU_DEP_1) | instid1(SALU_CYCLE_1)
	v_fma_f64 v[28:29], v[26:27], s[8:9], s[6:7]
	s_mov_b32 s6, 0x623fde64
	s_mov_b32 s7, 0x3ec71dee
	s_delay_alu instid0(VALU_DEP_1) | instid1(SALU_CYCLE_1)
	;; [unrolled: 4-line block ×9, first 2 shown]
	v_fma_f64 v[28:29], v[26:27], v[28:29], s[6:7]
	s_delay_alu instid0(VALU_DEP_1) | instskip(NEXT) | instid1(VALU_DEP_1)
	v_fma_f64 v[28:29], v[26:27], v[28:29], 1.0
	v_fma_f64 v[24:25], v[26:27], v[28:29], 1.0
	s_delay_alu instid0(VALU_DEP_1) | instskip(NEXT) | instid1(VALU_DEP_1)
	v_ldexp_f64 v[24:25], v[24:25], v30
	v_cndmask_b32_e64 v25, 0x7ff00000, v25, s3
	s_and_b32 s3, s4, s3
	s_delay_alu instid0(VALU_DEP_2) | instid1(SALU_CYCLE_1)
	v_cndmask_b32_e64 v22, 0, v24, s3
	s_delay_alu instid0(VALU_DEP_2) | instskip(NEXT) | instid1(VALU_DEP_1)
	v_cndmask_b32_e64 v23, 0, v25, s4
	v_fma_f64 v[20:21], -v[8:9], v[22:23], v[20:21]
	global_store_b64 v[6:7], v[20:21], off offset:2816
	s_or_b32 exec_lo, exec_lo, s5
	s_and_saveexec_b32 s4, s2
	s_cbranch_execz .LBB223_46
.LBB223_63:
	s_mov_b32 s2, 0x652b82fe
	s_mov_b32 s3, 0x3ff71547
	;; [unrolled: 1-line block ×3, first 2 shown]
	s_waitcnt vmcnt(0)
	v_mul_f64 v[20:21], v[18:19], s[2:3]
	s_mov_b32 s2, 0xfefa39ef
	s_mov_b32 s3, 0xbfe62e42
	s_mov_b32 s7, 0x3e5ade15
	s_delay_alu instid0(VALU_DEP_1) | instskip(NEXT) | instid1(VALU_DEP_1)
	v_rndne_f64_e32 v[20:21], v[20:21]
	v_fma_f64 v[22:23], v[20:21], s[2:3], v[18:19]
	s_mov_b32 s2, 0x3b39803f
	s_mov_b32 s3, 0xbc7abc9e
	v_cvt_i32_f64_e32 v26, v[20:21]
	s_delay_alu instid0(VALU_DEP_2)
	v_fma_f64 v[22:23], v[20:21], s[2:3], v[22:23]
	s_mov_b32 s2, 0xfca7ab0c
	s_mov_b32 s3, 0x3e928af3
	s_delay_alu instid0(VALU_DEP_1) | instid1(SALU_CYCLE_1)
	v_fma_f64 v[24:25], v[22:23], s[6:7], s[2:3]
	s_mov_b32 s2, 0x623fde64
	s_mov_b32 s3, 0x3ec71dee
	s_delay_alu instid0(VALU_DEP_1) | instid1(SALU_CYCLE_1)
	;; [unrolled: 4-line block ×9, first 2 shown]
	v_fma_f64 v[24:25], v[22:23], v[24:25], s[2:3]
	v_cmp_nlt_f64_e64 s2, 0x40900000, v[18:19]
	v_cmp_ngt_f64_e64 s3, 0xc090cc00, v[18:19]
	s_delay_alu instid0(VALU_DEP_3) | instskip(NEXT) | instid1(VALU_DEP_1)
	v_fma_f64 v[24:25], v[22:23], v[24:25], 1.0
	v_fma_f64 v[20:21], v[22:23], v[24:25], 1.0
	s_delay_alu instid0(VALU_DEP_1) | instskip(NEXT) | instid1(VALU_DEP_1)
	v_ldexp_f64 v[20:21], v[20:21], v26
	v_cndmask_b32_e64 v21, 0x7ff00000, v21, s2
	s_and_b32 s2, s3, s2
	s_delay_alu instid0(VALU_DEP_2) | instid1(SALU_CYCLE_1)
	v_cndmask_b32_e64 v18, 0, v20, s2
	s_delay_alu instid0(VALU_DEP_2) | instskip(NEXT) | instid1(VALU_DEP_1)
	v_cndmask_b32_e64 v19, 0, v21, s3
	v_fma_f64 v[16:17], -v[8:9], v[18:19], v[16:17]
	global_store_b64 v[6:7], v[16:17], off offset:3072
	s_or_b32 exec_lo, exec_lo, s4
	s_and_saveexec_b32 s3, s1
	s_cbranch_execz .LBB223_47
.LBB223_64:
	s_mov_b32 s4, 0x652b82fe
	s_mov_b32 s5, 0x3ff71547
	;; [unrolled: 1-line block ×3, first 2 shown]
	s_waitcnt vmcnt(0)
	v_mul_f64 v[16:17], v[14:15], s[4:5]
	s_mov_b32 s4, 0xfefa39ef
	s_mov_b32 s5, 0xbfe62e42
	;; [unrolled: 1-line block ×3, first 2 shown]
	v_cmp_nlt_f64_e64 s1, 0x40900000, v[14:15]
	v_cmp_ngt_f64_e64 s2, 0xc090cc00, v[14:15]
	s_delay_alu instid0(VALU_DEP_3) | instskip(NEXT) | instid1(VALU_DEP_1)
	v_rndne_f64_e32 v[16:17], v[16:17]
	v_fma_f64 v[18:19], v[16:17], s[4:5], v[14:15]
	s_mov_b32 s4, 0x3b39803f
	s_mov_b32 s5, 0xbc7abc9e
	v_cvt_i32_f64_e32 v22, v[16:17]
	s_delay_alu instid0(VALU_DEP_2)
	v_fma_f64 v[18:19], v[16:17], s[4:5], v[18:19]
	s_mov_b32 s4, 0xfca7ab0c
	s_mov_b32 s5, 0x3e928af3
	s_delay_alu instid0(VALU_DEP_1) | instid1(SALU_CYCLE_1)
	v_fma_f64 v[20:21], v[18:19], s[6:7], s[4:5]
	s_mov_b32 s4, 0x623fde64
	s_mov_b32 s5, 0x3ec71dee
	s_delay_alu instid0(VALU_DEP_1) | instid1(SALU_CYCLE_1)
	;; [unrolled: 4-line block ×9, first 2 shown]
	v_fma_f64 v[20:21], v[18:19], v[20:21], s[4:5]
	s_delay_alu instid0(VALU_DEP_1) | instskip(NEXT) | instid1(VALU_DEP_1)
	v_fma_f64 v[20:21], v[18:19], v[20:21], 1.0
	v_fma_f64 v[16:17], v[18:19], v[20:21], 1.0
	s_delay_alu instid0(VALU_DEP_1) | instskip(NEXT) | instid1(VALU_DEP_1)
	v_ldexp_f64 v[16:17], v[16:17], v22
	v_cndmask_b32_e64 v17, 0x7ff00000, v17, s1
	s_and_b32 s1, s2, s1
	s_delay_alu instid0(VALU_DEP_2) | instid1(SALU_CYCLE_1)
	v_cndmask_b32_e64 v14, 0, v16, s1
	s_delay_alu instid0(VALU_DEP_2) | instskip(NEXT) | instid1(VALU_DEP_1)
	v_cndmask_b32_e64 v15, 0, v17, s2
	v_fma_f64 v[12:13], -v[8:9], v[14:15], v[12:13]
	global_store_b64 v[6:7], v[12:13], off offset:3328
	s_or_b32 exec_lo, exec_lo, s3
	s_and_saveexec_b32 s2, s0
	s_cbranch_execz .LBB223_48
.LBB223_65:
	s_mov_b32 s0, 0x652b82fe
	s_mov_b32 s1, 0x3ff71547
	s_mov_b32 s4, 0x6a5dcb37
	s_waitcnt vmcnt(0)
	v_mul_f64 v[12:13], v[10:11], s[0:1]
	s_mov_b32 s0, 0xfefa39ef
	s_mov_b32 s1, 0xbfe62e42
	;; [unrolled: 1-line block ×3, first 2 shown]
	s_delay_alu instid0(VALU_DEP_1) | instskip(NEXT) | instid1(VALU_DEP_1)
	v_rndne_f64_e32 v[12:13], v[12:13]
	v_fma_f64 v[14:15], v[12:13], s[0:1], v[10:11]
	s_mov_b32 s0, 0x3b39803f
	s_mov_b32 s1, 0xbc7abc9e
	v_cvt_i32_f64_e32 v18, v[12:13]
	s_delay_alu instid0(VALU_DEP_2)
	v_fma_f64 v[14:15], v[12:13], s[0:1], v[14:15]
	s_mov_b32 s0, 0xfca7ab0c
	s_mov_b32 s1, 0x3e928af3
	s_delay_alu instid0(VALU_DEP_1) | instid1(SALU_CYCLE_1)
	v_fma_f64 v[16:17], v[14:15], s[4:5], s[0:1]
	s_mov_b32 s0, 0x623fde64
	s_mov_b32 s1, 0x3ec71dee
	s_delay_alu instid0(VALU_DEP_1) | instid1(SALU_CYCLE_1)
	;; [unrolled: 4-line block ×9, first 2 shown]
	v_fma_f64 v[16:17], v[14:15], v[16:17], s[0:1]
	v_cmp_nlt_f64_e64 s0, 0x40900000, v[10:11]
	v_cmp_ngt_f64_e64 s1, 0xc090cc00, v[10:11]
	s_delay_alu instid0(VALU_DEP_3) | instskip(NEXT) | instid1(VALU_DEP_1)
	v_fma_f64 v[16:17], v[14:15], v[16:17], 1.0
	v_fma_f64 v[12:13], v[14:15], v[16:17], 1.0
	s_delay_alu instid0(VALU_DEP_1) | instskip(NEXT) | instid1(VALU_DEP_1)
	v_ldexp_f64 v[12:13], v[12:13], v18
	v_cndmask_b32_e64 v13, 0x7ff00000, v13, s0
	s_and_b32 s0, s1, s0
	s_delay_alu instid0(VALU_DEP_2) | instid1(SALU_CYCLE_1)
	v_cndmask_b32_e64 v10, 0, v12, s0
	s_delay_alu instid0(VALU_DEP_2) | instskip(NEXT) | instid1(VALU_DEP_1)
	v_cndmask_b32_e64 v11, 0, v13, s1
	v_fma_f64 v[4:5], -v[8:9], v[10:11], v[4:5]
	global_store_b64 v[6:7], v[4:5], off offset:3584
	s_or_b32 exec_lo, exec_lo, s2
	s_delay_alu instid0(SALU_CYCLE_1)
	s_and_b32 exec_lo, exec_lo, vcc_lo
	s_cbranch_execnz .LBB223_49
	s_branch .LBB223_50
	.section	.rodata,"a",@progbits
	.p2align	6, 0x0
	.amdhsa_kernel _ZN12_GLOBAL__N_121softmax_warp_backwardIdddLi9ELb1ELb0ELi32EEEvPT0_PKT_S5_iiiPKb
		.amdhsa_group_segment_fixed_size 0
		.amdhsa_private_segment_fixed_size 0
		.amdhsa_kernarg_size 304
		.amdhsa_user_sgpr_count 15
		.amdhsa_user_sgpr_dispatch_ptr 0
		.amdhsa_user_sgpr_queue_ptr 0
		.amdhsa_user_sgpr_kernarg_segment_ptr 1
		.amdhsa_user_sgpr_dispatch_id 0
		.amdhsa_user_sgpr_private_segment_size 0
		.amdhsa_wavefront_size32 1
		.amdhsa_uses_dynamic_stack 0
		.amdhsa_enable_private_segment 0
		.amdhsa_system_sgpr_workgroup_id_x 1
		.amdhsa_system_sgpr_workgroup_id_y 0
		.amdhsa_system_sgpr_workgroup_id_z 0
		.amdhsa_system_sgpr_workgroup_info 0
		.amdhsa_system_vgpr_workitem_id 1
		.amdhsa_next_free_vgpr 75
		.amdhsa_next_free_sgpr 24
		.amdhsa_reserve_vcc 1
		.amdhsa_float_round_mode_32 0
		.amdhsa_float_round_mode_16_64 0
		.amdhsa_float_denorm_mode_32 3
		.amdhsa_float_denorm_mode_16_64 3
		.amdhsa_dx10_clamp 1
		.amdhsa_ieee_mode 1
		.amdhsa_fp16_overflow 0
		.amdhsa_workgroup_processor_mode 1
		.amdhsa_memory_ordered 1
		.amdhsa_forward_progress 0
		.amdhsa_shared_vgpr_count 0
		.amdhsa_exception_fp_ieee_invalid_op 0
		.amdhsa_exception_fp_denorm_src 0
		.amdhsa_exception_fp_ieee_div_zero 0
		.amdhsa_exception_fp_ieee_overflow 0
		.amdhsa_exception_fp_ieee_underflow 0
		.amdhsa_exception_fp_ieee_inexact 0
		.amdhsa_exception_int_div_zero 0
	.end_amdhsa_kernel
	.section	.text._ZN12_GLOBAL__N_121softmax_warp_backwardIdddLi9ELb1ELb0ELi32EEEvPT0_PKT_S5_iiiPKb,"axG",@progbits,_ZN12_GLOBAL__N_121softmax_warp_backwardIdddLi9ELb1ELb0ELi32EEEvPT0_PKT_S5_iiiPKb,comdat
.Lfunc_end223:
	.size	_ZN12_GLOBAL__N_121softmax_warp_backwardIdddLi9ELb1ELb0ELi32EEEvPT0_PKT_S5_iiiPKb, .Lfunc_end223-_ZN12_GLOBAL__N_121softmax_warp_backwardIdddLi9ELb1ELb0ELi32EEEvPT0_PKT_S5_iiiPKb
                                        ; -- End function
	.section	.AMDGPU.csdata,"",@progbits
; Kernel info:
; codeLenInByte = 9628
; NumSgprs: 26
; NumVgprs: 75
; ScratchSize: 0
; MemoryBound: 0
; FloatMode: 240
; IeeeMode: 1
; LDSByteSize: 0 bytes/workgroup (compile time only)
; SGPRBlocks: 3
; VGPRBlocks: 9
; NumSGPRsForWavesPerEU: 26
; NumVGPRsForWavesPerEU: 75
; Occupancy: 16
; WaveLimiterHint : 0
; COMPUTE_PGM_RSRC2:SCRATCH_EN: 0
; COMPUTE_PGM_RSRC2:USER_SGPR: 15
; COMPUTE_PGM_RSRC2:TRAP_HANDLER: 0
; COMPUTE_PGM_RSRC2:TGID_X_EN: 1
; COMPUTE_PGM_RSRC2:TGID_Y_EN: 0
; COMPUTE_PGM_RSRC2:TGID_Z_EN: 0
; COMPUTE_PGM_RSRC2:TIDIG_COMP_CNT: 1
	.section	.text._ZN12_GLOBAL__N_121softmax_warp_backwardIdddLi10ELb1ELb0ELi64EEEvPT0_PKT_S5_iiiPKb,"axG",@progbits,_ZN12_GLOBAL__N_121softmax_warp_backwardIdddLi10ELb1ELb0ELi64EEEvPT0_PKT_S5_iiiPKb,comdat
	.globl	_ZN12_GLOBAL__N_121softmax_warp_backwardIdddLi10ELb1ELb0ELi64EEEvPT0_PKT_S5_iiiPKb ; -- Begin function _ZN12_GLOBAL__N_121softmax_warp_backwardIdddLi10ELb1ELb0ELi64EEEvPT0_PKT_S5_iiiPKb
	.p2align	8
	.type	_ZN12_GLOBAL__N_121softmax_warp_backwardIdddLi10ELb1ELb0ELi64EEEvPT0_PKT_S5_iiiPKb,@function
_ZN12_GLOBAL__N_121softmax_warp_backwardIdddLi10ELb1ELb0ELi64EEEvPT0_PKT_S5_iiiPKb: ; @_ZN12_GLOBAL__N_121softmax_warp_backwardIdddLi10ELb1ELb0ELi64EEEvPT0_PKT_S5_iiiPKb
; %bb.0:
	s_clause 0x1
	s_load_b32 s2, s[0:1], 0x3c
	s_load_b128 s[20:23], s[0:1], 0x18
	v_bfe_u32 v1, v0, 10, 10
	v_and_b32_e32 v2, 0x3ff, v0
	v_mov_b32_e32 v60, 0
	v_mov_b32_e32 v61, 0
	s_clause 0x1
	s_load_b128 s[16:19], s[0:1], 0x0
	s_load_b64 s[0:1], s[0:1], 0x10
	s_delay_alu instid0(VALU_DEP_1)
	v_dual_mov_b32 v65, v61 :: v_dual_and_b32 v0, 63, v2
	v_dual_mov_b32 v64, v60 :: v_dual_mov_b32 v67, v61
	v_mov_b32_e32 v66, v60
	s_waitcnt lgkmcnt(0)
	s_lshr_b32 s2, s2, 16
	v_cmp_gt_i32_e64 s14, s22, v0
	v_mad_u64_u32 v[3:4], null, s15, s2, v[1:2]
	s_delay_alu instid0(VALU_DEP_1) | instskip(SKIP_1) | instid1(VALU_DEP_1)
	v_mad_u64_u32 v[4:5], null, v3, s21, v[0:1]
	v_sub_nc_u32_e32 v70, s20, v3
	v_cmp_lt_i32_e64 s15, 0, v70
	s_delay_alu instid0(VALU_DEP_3) | instskip(NEXT) | instid1(VALU_DEP_1)
	v_ashrrev_i32_e32 v5, 31, v4
	v_lshlrev_b64 v[8:9], 3, v[4:5]
	s_delay_alu instid0(VALU_DEP_1) | instskip(NEXT) | instid1(VALU_DEP_2)
	v_add_co_u32 v68, vcc_lo, s18, v8
	v_add_co_ci_u32_e32 v69, vcc_lo, s19, v9, vcc_lo
	v_add_co_u32 v10, vcc_lo, s0, v8
	v_add_co_ci_u32_e32 v11, vcc_lo, s1, v9, vcc_lo
	s_and_b32 s1, s15, s14
	s_delay_alu instid0(SALU_CYCLE_1)
	s_and_saveexec_b32 s0, s1
	s_cbranch_execz .LBB224_2
; %bb.1:
	global_load_b64 v[64:65], v[68:69], off
	global_load_b64 v[66:67], v[10:11], off
.LBB224_2:
	s_or_b32 exec_lo, exec_lo, s0
	v_or_b32_e32 v1, 64, v0
	v_dual_mov_b32 v63, v61 :: v_dual_mov_b32 v62, v60
	s_delay_alu instid0(VALU_DEP_2) | instskip(NEXT) | instid1(VALU_DEP_1)
	v_cmp_gt_i32_e64 s13, s22, v1
	s_and_b32 s1, s15, s13
	s_delay_alu instid0(SALU_CYCLE_1)
	s_and_saveexec_b32 s0, s1
	s_cbranch_execz .LBB224_4
; %bb.3:
	global_load_b64 v[60:61], v[68:69], off offset:512
	global_load_b64 v[62:63], v[10:11], off offset:512
.LBB224_4:
	s_or_b32 exec_lo, exec_lo, s0
	v_or_b32_e32 v1, 0x80, v0
	v_mov_b32_e32 v52, 0
	v_mov_b32_e32 v53, 0
	s_delay_alu instid0(VALU_DEP_3) | instskip(NEXT) | instid1(VALU_DEP_2)
	v_cmp_gt_i32_e64 s12, s22, v1
	v_dual_mov_b32 v57, v53 :: v_dual_mov_b32 v56, v52
	v_dual_mov_b32 v59, v53 :: v_dual_mov_b32 v58, v52
	s_delay_alu instid0(VALU_DEP_3) | instskip(NEXT) | instid1(SALU_CYCLE_1)
	s_and_b32 s1, s15, s12
	s_and_saveexec_b32 s0, s1
	s_cbranch_execz .LBB224_6
; %bb.5:
	global_load_b64 v[56:57], v[68:69], off offset:1024
	global_load_b64 v[58:59], v[10:11], off offset:1024
.LBB224_6:
	s_or_b32 exec_lo, exec_lo, s0
	v_or_b32_e32 v1, 0xc0, v0
	v_dual_mov_b32 v55, v53 :: v_dual_mov_b32 v54, v52
	s_delay_alu instid0(VALU_DEP_2) | instskip(NEXT) | instid1(VALU_DEP_1)
	v_cmp_gt_i32_e64 s11, s22, v1
	s_and_b32 s1, s15, s11
	s_delay_alu instid0(SALU_CYCLE_1)
	s_and_saveexec_b32 s0, s1
	s_cbranch_execz .LBB224_8
; %bb.7:
	global_load_b64 v[52:53], v[68:69], off offset:1536
	global_load_b64 v[54:55], v[10:11], off offset:1536
.LBB224_8:
	s_or_b32 exec_lo, exec_lo, s0
	v_or_b32_e32 v1, 0x100, v0
	v_mov_b32_e32 v44, 0
	v_mov_b32_e32 v45, 0
	s_delay_alu instid0(VALU_DEP_3) | instskip(NEXT) | instid1(VALU_DEP_2)
	v_cmp_gt_i32_e64 s10, s22, v1
	v_dual_mov_b32 v49, v45 :: v_dual_mov_b32 v48, v44
	v_dual_mov_b32 v51, v45 :: v_dual_mov_b32 v50, v44
	s_delay_alu instid0(VALU_DEP_3) | instskip(NEXT) | instid1(SALU_CYCLE_1)
	s_and_b32 s1, s15, s10
	s_and_saveexec_b32 s0, s1
	s_cbranch_execz .LBB224_10
; %bb.9:
	global_load_b64 v[48:49], v[68:69], off offset:2048
	global_load_b64 v[50:51], v[10:11], off offset:2048
.LBB224_10:
	;; [unrolled: 29-line block ×3, first 2 shown]
	s_or_b32 exec_lo, exec_lo, s0
	v_or_b32_e32 v1, 0x1c0, v0
	v_dual_mov_b32 v39, v37 :: v_dual_mov_b32 v38, v36
	s_delay_alu instid0(VALU_DEP_2) | instskip(NEXT) | instid1(VALU_DEP_1)
	v_cmp_gt_i32_e64 s7, s22, v1
	s_and_b32 s1, s15, s7
	s_delay_alu instid0(SALU_CYCLE_1)
	s_and_saveexec_b32 s0, s1
	s_cbranch_execz .LBB224_16
; %bb.15:
	global_load_b64 v[36:37], v[68:69], off offset:3584
	global_load_b64 v[38:39], v[10:11], off offset:3584
.LBB224_16:
	s_or_b32 exec_lo, exec_lo, s0
	v_or_b32_e32 v1, 0x200, v0
	v_mov_b32_e32 v28, 0
	v_mov_b32_e32 v29, 0
	s_delay_alu instid0(VALU_DEP_3) | instskip(NEXT) | instid1(VALU_DEP_2)
	v_cmp_gt_i32_e64 s6, s22, v1
	v_dual_mov_b32 v33, v29 :: v_dual_mov_b32 v32, v28
	v_dual_mov_b32 v35, v29 :: v_dual_mov_b32 v34, v28
	s_delay_alu instid0(VALU_DEP_3) | instskip(NEXT) | instid1(SALU_CYCLE_1)
	s_and_b32 s1, s15, s6
	s_and_saveexec_b32 s0, s1
	s_cbranch_execz .LBB224_18
; %bb.17:
	v_add_co_u32 v3, vcc_lo, 0x1000, v68
	v_add_co_ci_u32_e32 v4, vcc_lo, 0, v69, vcc_lo
	v_add_co_u32 v5, vcc_lo, 0x1000, v10
	v_add_co_ci_u32_e32 v6, vcc_lo, 0, v11, vcc_lo
	global_load_b64 v[32:33], v[3:4], off
	global_load_b64 v[34:35], v[5:6], off
.LBB224_18:
	s_or_b32 exec_lo, exec_lo, s0
	v_or_b32_e32 v1, 0x240, v0
	v_dual_mov_b32 v31, v29 :: v_dual_mov_b32 v30, v28
	s_delay_alu instid0(VALU_DEP_2) | instskip(NEXT) | instid1(VALU_DEP_1)
	v_cmp_gt_i32_e64 s5, s22, v1
	s_and_b32 s1, s15, s5
	s_delay_alu instid0(SALU_CYCLE_1)
	s_and_saveexec_b32 s0, s1
	s_cbranch_execz .LBB224_20
; %bb.19:
	v_add_co_u32 v3, vcc_lo, 0x1000, v68
	v_add_co_ci_u32_e32 v4, vcc_lo, 0, v69, vcc_lo
	v_add_co_u32 v5, vcc_lo, 0x1000, v10
	v_add_co_ci_u32_e32 v6, vcc_lo, 0, v11, vcc_lo
	global_load_b64 v[28:29], v[3:4], off offset:512
	global_load_b64 v[30:31], v[5:6], off offset:512
.LBB224_20:
	s_or_b32 exec_lo, exec_lo, s0
	v_or_b32_e32 v1, 0x280, v0
	v_mov_b32_e32 v20, 0
	v_mov_b32_e32 v21, 0
	s_delay_alu instid0(VALU_DEP_3) | instskip(NEXT) | instid1(VALU_DEP_2)
	v_cmp_gt_i32_e64 s4, s22, v1
	v_dual_mov_b32 v25, v21 :: v_dual_mov_b32 v24, v20
	v_dual_mov_b32 v27, v21 :: v_dual_mov_b32 v26, v20
	s_delay_alu instid0(VALU_DEP_3) | instskip(NEXT) | instid1(SALU_CYCLE_1)
	s_and_b32 s1, s15, s4
	s_and_saveexec_b32 s0, s1
	s_cbranch_execz .LBB224_22
; %bb.21:
	v_add_co_u32 v3, vcc_lo, 0x1000, v68
	v_add_co_ci_u32_e32 v4, vcc_lo, 0, v69, vcc_lo
	v_add_co_u32 v5, vcc_lo, 0x1000, v10
	v_add_co_ci_u32_e32 v6, vcc_lo, 0, v11, vcc_lo
	global_load_b64 v[24:25], v[3:4], off offset:1024
	global_load_b64 v[26:27], v[5:6], off offset:1024
.LBB224_22:
	s_or_b32 exec_lo, exec_lo, s0
	v_or_b32_e32 v1, 0x2c0, v0
	v_dual_mov_b32 v23, v21 :: v_dual_mov_b32 v22, v20
	s_delay_alu instid0(VALU_DEP_2) | instskip(NEXT) | instid1(VALU_DEP_1)
	v_cmp_gt_i32_e64 s3, s22, v1
	s_and_b32 s1, s15, s3
	s_delay_alu instid0(SALU_CYCLE_1)
	s_and_saveexec_b32 s0, s1
	s_cbranch_execz .LBB224_24
; %bb.23:
	v_add_co_u32 v3, vcc_lo, 0x1000, v68
	v_add_co_ci_u32_e32 v4, vcc_lo, 0, v69, vcc_lo
	v_add_co_u32 v5, vcc_lo, 0x1000, v10
	v_add_co_ci_u32_e32 v6, vcc_lo, 0, v11, vcc_lo
	global_load_b64 v[20:21], v[3:4], off offset:1536
	global_load_b64 v[22:23], v[5:6], off offset:1536
.LBB224_24:
	s_or_b32 exec_lo, exec_lo, s0
	v_or_b32_e32 v1, 0x300, v0
	v_mov_b32_e32 v12, 0
	v_mov_b32_e32 v13, 0
	s_delay_alu instid0(VALU_DEP_3) | instskip(NEXT) | instid1(VALU_DEP_2)
	v_cmp_gt_i32_e64 s2, s22, v1
	v_dual_mov_b32 v17, v13 :: v_dual_mov_b32 v16, v12
	v_dual_mov_b32 v19, v13 :: v_dual_mov_b32 v18, v12
	s_delay_alu instid0(VALU_DEP_3) | instskip(NEXT) | instid1(SALU_CYCLE_1)
	s_and_b32 s1, s15, s2
	s_and_saveexec_b32 s0, s1
	s_cbranch_execz .LBB224_26
; %bb.25:
	v_add_co_u32 v3, vcc_lo, 0x1000, v68
	v_add_co_ci_u32_e32 v4, vcc_lo, 0, v69, vcc_lo
	v_add_co_u32 v5, vcc_lo, 0x1000, v10
	v_add_co_ci_u32_e32 v6, vcc_lo, 0, v11, vcc_lo
	global_load_b64 v[16:17], v[3:4], off offset:2048
	global_load_b64 v[18:19], v[5:6], off offset:2048
.LBB224_26:
	;; [unrolled: 37-line block ×3, first 2 shown]
	s_or_b32 exec_lo, exec_lo, s18
	v_or_b32_e32 v2, 0x3c0, v2
	s_delay_alu instid0(VALU_DEP_1) | instskip(SKIP_2) | instid1(SALU_CYCLE_1)
	v_cmp_gt_i32_e32 vcc_lo, s22, v2
	v_dual_mov_b32 v3, v1 :: v_dual_mov_b32 v2, v0
	s_and_b32 s15, s15, vcc_lo
	s_and_saveexec_b32 s18, s15
	s_cbranch_execz .LBB224_32
; %bb.31:
	v_add_co_u32 v0, s15, 0x1000, v68
	s_delay_alu instid0(VALU_DEP_1) | instskip(SKIP_1) | instid1(VALU_DEP_1)
	v_add_co_ci_u32_e64 v1, s15, 0, v69, s15
	v_add_co_u32 v2, s15, 0x1000, v10
	v_add_co_ci_u32_e64 v3, s15, 0, v11, s15
	global_load_b64 v[0:1], v[0:1], off offset:3584
	global_load_b64 v[2:3], v[2:3], off offset:3584
.LBB224_32:
	s_or_b32 exec_lo, exec_lo, s18
	s_waitcnt vmcnt(1)
	v_add_f64 v[10:11], v[64:65], 0
	v_mbcnt_lo_u32_b32 v71, -1, 0
	s_mov_b32 s18, exec_lo
	s_delay_alu instid0(VALU_DEP_1) | instskip(NEXT) | instid1(VALU_DEP_1)
	v_or_b32_e32 v68, 32, v71
	v_cmp_gt_i32_e64 s15, 64, v68
	s_delay_alu instid0(VALU_DEP_1) | instskip(NEXT) | instid1(VALU_DEP_1)
	v_cndmask_b32_e64 v68, v71, v68, s15
	v_lshlrev_b32_e32 v69, 2, v68
	v_add_f64 v[10:11], v[10:11], v[60:61]
	s_delay_alu instid0(VALU_DEP_1) | instskip(NEXT) | instid1(VALU_DEP_1)
	v_add_f64 v[10:11], v[10:11], v[56:57]
	v_add_f64 v[10:11], v[10:11], v[52:53]
	s_delay_alu instid0(VALU_DEP_1) | instskip(NEXT) | instid1(VALU_DEP_1)
	v_add_f64 v[10:11], v[10:11], v[48:49]
	;; [unrolled: 3-line block ×7, first 2 shown]
	v_add_f64 v[10:11], v[10:11], v[0:1]
	ds_bpermute_b32 v68, v69, v10
	ds_bpermute_b32 v69, v69, v11
	s_waitcnt lgkmcnt(0)
	v_add_f64 v[10:11], v[10:11], v[68:69]
	v_xor_b32_e32 v68, 16, v71
	s_delay_alu instid0(VALU_DEP_1) | instskip(NEXT) | instid1(VALU_DEP_1)
	v_cmp_gt_i32_e64 s15, 64, v68
	v_cndmask_b32_e64 v68, v71, v68, s15
	s_delay_alu instid0(VALU_DEP_1)
	v_lshlrev_b32_e32 v69, 2, v68
	ds_bpermute_b32 v68, v69, v10
	ds_bpermute_b32 v69, v69, v11
	s_waitcnt lgkmcnt(0)
	v_add_f64 v[10:11], v[10:11], v[68:69]
	v_xor_b32_e32 v68, 8, v71
	s_delay_alu instid0(VALU_DEP_1) | instskip(NEXT) | instid1(VALU_DEP_1)
	v_cmp_gt_i32_e64 s15, 64, v68
	v_cndmask_b32_e64 v68, v71, v68, s15
	s_delay_alu instid0(VALU_DEP_1)
	v_lshlrev_b32_e32 v69, 2, v68
	;; [unrolled: 10-line block ×5, first 2 shown]
	ds_bpermute_b32 v68, v69, v10
	ds_bpermute_b32 v69, v69, v11
	v_cmpx_lt_i32_e32 0, v70
	s_cbranch_execz .LBB224_50
; %bb.33:
	s_waitcnt lgkmcnt(0)
	v_add_f64 v[10:11], v[10:11], v[68:69]
	v_add_co_u32 v8, s15, s16, v8
	s_delay_alu instid0(VALU_DEP_1)
	v_add_co_ci_u32_e64 v9, s15, s17, v9, s15
	s_and_saveexec_b32 s16, s14
	s_cbranch_execnz .LBB224_51
; %bb.34:
	s_or_b32 exec_lo, exec_lo, s16
	s_and_saveexec_b32 s15, s13
	s_cbranch_execnz .LBB224_52
.LBB224_35:
	s_or_b32 exec_lo, exec_lo, s15
	s_and_saveexec_b32 s14, s12
	s_cbranch_execnz .LBB224_53
.LBB224_36:
	s_or_b32 exec_lo, exec_lo, s14
	s_and_saveexec_b32 s13, s11
	s_cbranch_execnz .LBB224_54
.LBB224_37:
	s_or_b32 exec_lo, exec_lo, s13
	s_and_saveexec_b32 s12, s10
	s_cbranch_execnz .LBB224_55
.LBB224_38:
	s_or_b32 exec_lo, exec_lo, s12
	s_and_saveexec_b32 s11, s9
	s_cbranch_execnz .LBB224_56
.LBB224_39:
	s_or_b32 exec_lo, exec_lo, s11
	s_and_saveexec_b32 s10, s8
	s_cbranch_execnz .LBB224_57
.LBB224_40:
	s_or_b32 exec_lo, exec_lo, s10
	s_and_saveexec_b32 s9, s7
	s_cbranch_execnz .LBB224_58
.LBB224_41:
	s_or_b32 exec_lo, exec_lo, s9
	s_and_saveexec_b32 s8, s6
	s_cbranch_execnz .LBB224_59
.LBB224_42:
	s_or_b32 exec_lo, exec_lo, s8
	s_and_saveexec_b32 s7, s5
	s_cbranch_execnz .LBB224_60
.LBB224_43:
	s_or_b32 exec_lo, exec_lo, s7
	s_and_saveexec_b32 s6, s4
	s_cbranch_execnz .LBB224_61
.LBB224_44:
	s_or_b32 exec_lo, exec_lo, s6
	s_and_saveexec_b32 s5, s3
	s_cbranch_execnz .LBB224_62
.LBB224_45:
	s_or_b32 exec_lo, exec_lo, s5
	s_and_saveexec_b32 s4, s2
	s_cbranch_execnz .LBB224_63
.LBB224_46:
	s_or_b32 exec_lo, exec_lo, s4
	s_and_saveexec_b32 s3, s1
	s_cbranch_execnz .LBB224_64
.LBB224_47:
	s_or_b32 exec_lo, exec_lo, s3
	s_and_saveexec_b32 s2, s0
	s_cbranch_execnz .LBB224_65
.LBB224_48:
	s_or_b32 exec_lo, exec_lo, s2
	s_delay_alu instid0(SALU_CYCLE_1)
	s_and_b32 exec_lo, exec_lo, vcc_lo
	s_cbranch_execz .LBB224_50
.LBB224_49:
	s_mov_b32 s0, 0x652b82fe
	s_mov_b32 s1, 0x3ff71547
	;; [unrolled: 1-line block ×3, first 2 shown]
	s_waitcnt vmcnt(0)
	v_mul_f64 v[4:5], v[2:3], s[0:1]
	s_mov_b32 s0, 0xfefa39ef
	s_mov_b32 s1, 0xbfe62e42
	;; [unrolled: 1-line block ×3, first 2 shown]
	v_cmp_nlt_f64_e32 vcc_lo, 0x40900000, v[2:3]
	s_delay_alu instid0(VALU_DEP_2) | instskip(NEXT) | instid1(VALU_DEP_1)
	v_rndne_f64_e32 v[4:5], v[4:5]
	v_fma_f64 v[6:7], v[4:5], s[0:1], v[2:3]
	s_mov_b32 s0, 0x3b39803f
	s_mov_b32 s1, 0xbc7abc9e
	v_cvt_i32_f64_e32 v14, v[4:5]
	s_delay_alu instid0(VALU_DEP_2)
	v_fma_f64 v[6:7], v[4:5], s[0:1], v[6:7]
	s_mov_b32 s0, 0xfca7ab0c
	s_mov_b32 s1, 0x3e928af3
	s_delay_alu instid0(VALU_DEP_1) | instid1(SALU_CYCLE_1)
	v_fma_f64 v[12:13], v[6:7], s[2:3], s[0:1]
	s_mov_b32 s0, 0x623fde64
	s_mov_b32 s1, 0x3ec71dee
	s_delay_alu instid0(VALU_DEP_1) | instid1(SALU_CYCLE_1)
	;; [unrolled: 4-line block ×9, first 2 shown]
	v_fma_f64 v[12:13], v[6:7], v[12:13], s[0:1]
	v_cmp_ngt_f64_e64 s0, 0xc090cc00, v[2:3]
	s_delay_alu instid0(VALU_DEP_2) | instskip(NEXT) | instid1(VALU_DEP_1)
	v_fma_f64 v[12:13], v[6:7], v[12:13], 1.0
	v_fma_f64 v[4:5], v[6:7], v[12:13], 1.0
	s_delay_alu instid0(VALU_DEP_1) | instskip(NEXT) | instid1(VALU_DEP_1)
	v_ldexp_f64 v[4:5], v[4:5], v14
	v_cndmask_b32_e32 v5, 0x7ff00000, v5, vcc_lo
	s_and_b32 vcc_lo, s0, vcc_lo
	s_delay_alu instid0(VALU_DEP_2) | instskip(NEXT) | instid1(VALU_DEP_2)
	v_cndmask_b32_e32 v2, 0, v4, vcc_lo
	v_cndmask_b32_e64 v3, 0, v5, s0
	s_delay_alu instid0(VALU_DEP_1)
	v_fma_f64 v[0:1], -v[10:11], v[2:3], v[0:1]
	v_add_co_u32 v2, vcc_lo, 0x1000, v8
	v_add_co_ci_u32_e32 v3, vcc_lo, 0, v9, vcc_lo
	global_store_b64 v[2:3], v[0:1], off offset:3584
.LBB224_50:
	s_nop 0
	s_sendmsg sendmsg(MSG_DEALLOC_VGPRS)
	s_endpgm
.LBB224_51:
	s_mov_b32 s14, 0x652b82fe
	s_mov_b32 s15, 0x3ff71547
	;; [unrolled: 1-line block ×3, first 2 shown]
	s_waitcnt vmcnt(0)
	v_mul_f64 v[68:69], v[66:67], s[14:15]
	s_mov_b32 s14, 0xfefa39ef
	s_mov_b32 s15, 0xbfe62e42
	;; [unrolled: 1-line block ×3, first 2 shown]
	s_delay_alu instid0(VALU_DEP_1) | instskip(NEXT) | instid1(VALU_DEP_1)
	v_rndne_f64_e32 v[68:69], v[68:69]
	v_fma_f64 v[70:71], v[68:69], s[14:15], v[66:67]
	s_mov_b32 s14, 0x3b39803f
	s_mov_b32 s15, 0xbc7abc9e
	v_cvt_i32_f64_e32 v74, v[68:69]
	s_delay_alu instid0(VALU_DEP_2)
	v_fma_f64 v[70:71], v[68:69], s[14:15], v[70:71]
	s_mov_b32 s14, 0xfca7ab0c
	s_mov_b32 s15, 0x3e928af3
	s_delay_alu instid0(VALU_DEP_1) | instid1(SALU_CYCLE_1)
	v_fma_f64 v[72:73], v[70:71], s[18:19], s[14:15]
	s_mov_b32 s14, 0x623fde64
	s_mov_b32 s15, 0x3ec71dee
	s_delay_alu instid0(VALU_DEP_1) | instid1(SALU_CYCLE_1)
	;; [unrolled: 4-line block ×9, first 2 shown]
	v_fma_f64 v[72:73], v[70:71], v[72:73], s[14:15]
	v_cmp_nlt_f64_e64 s14, 0x40900000, v[66:67]
	v_cmp_ngt_f64_e64 s15, 0xc090cc00, v[66:67]
	s_delay_alu instid0(VALU_DEP_3) | instskip(NEXT) | instid1(VALU_DEP_1)
	v_fma_f64 v[72:73], v[70:71], v[72:73], 1.0
	v_fma_f64 v[68:69], v[70:71], v[72:73], 1.0
	s_delay_alu instid0(VALU_DEP_1) | instskip(NEXT) | instid1(VALU_DEP_1)
	v_ldexp_f64 v[68:69], v[68:69], v74
	v_cndmask_b32_e64 v69, 0x7ff00000, v69, s14
	s_and_b32 s14, s15, s14
	s_delay_alu instid0(VALU_DEP_2) | instid1(SALU_CYCLE_1)
	v_cndmask_b32_e64 v66, 0, v68, s14
	s_delay_alu instid0(VALU_DEP_2) | instskip(NEXT) | instid1(VALU_DEP_1)
	v_cndmask_b32_e64 v67, 0, v69, s15
	v_fma_f64 v[64:65], -v[10:11], v[66:67], v[64:65]
	global_store_b64 v[8:9], v[64:65], off
	s_or_b32 exec_lo, exec_lo, s16
	s_and_saveexec_b32 s15, s13
	s_cbranch_execz .LBB224_35
.LBB224_52:
	s_mov_b32 s16, 0x652b82fe
	s_mov_b32 s17, 0x3ff71547
	;; [unrolled: 1-line block ×3, first 2 shown]
	s_waitcnt vmcnt(0)
	v_mul_f64 v[64:65], v[62:63], s[16:17]
	s_mov_b32 s16, 0xfefa39ef
	s_mov_b32 s17, 0xbfe62e42
	;; [unrolled: 1-line block ×3, first 2 shown]
	v_cmp_nlt_f64_e64 s13, 0x40900000, v[62:63]
	v_cmp_ngt_f64_e64 s14, 0xc090cc00, v[62:63]
	s_delay_alu instid0(VALU_DEP_3) | instskip(NEXT) | instid1(VALU_DEP_1)
	v_rndne_f64_e32 v[64:65], v[64:65]
	v_fma_f64 v[66:67], v[64:65], s[16:17], v[62:63]
	s_mov_b32 s16, 0x3b39803f
	s_mov_b32 s17, 0xbc7abc9e
	v_cvt_i32_f64_e32 v70, v[64:65]
	s_delay_alu instid0(VALU_DEP_2)
	v_fma_f64 v[66:67], v[64:65], s[16:17], v[66:67]
	s_mov_b32 s16, 0xfca7ab0c
	s_mov_b32 s17, 0x3e928af3
	s_delay_alu instid0(VALU_DEP_1) | instid1(SALU_CYCLE_1)
	v_fma_f64 v[68:69], v[66:67], s[18:19], s[16:17]
	s_mov_b32 s16, 0x623fde64
	s_mov_b32 s17, 0x3ec71dee
	s_delay_alu instid0(VALU_DEP_1) | instid1(SALU_CYCLE_1)
	;; [unrolled: 4-line block ×9, first 2 shown]
	v_fma_f64 v[68:69], v[66:67], v[68:69], s[16:17]
	s_delay_alu instid0(VALU_DEP_1) | instskip(NEXT) | instid1(VALU_DEP_1)
	v_fma_f64 v[68:69], v[66:67], v[68:69], 1.0
	v_fma_f64 v[64:65], v[66:67], v[68:69], 1.0
	s_delay_alu instid0(VALU_DEP_1) | instskip(NEXT) | instid1(VALU_DEP_1)
	v_ldexp_f64 v[64:65], v[64:65], v70
	v_cndmask_b32_e64 v65, 0x7ff00000, v65, s13
	s_and_b32 s13, s14, s13
	s_delay_alu instid0(VALU_DEP_2) | instid1(SALU_CYCLE_1)
	v_cndmask_b32_e64 v62, 0, v64, s13
	s_delay_alu instid0(VALU_DEP_2) | instskip(NEXT) | instid1(VALU_DEP_1)
	v_cndmask_b32_e64 v63, 0, v65, s14
	v_fma_f64 v[60:61], -v[10:11], v[62:63], v[60:61]
	global_store_b64 v[8:9], v[60:61], off offset:512
	s_or_b32 exec_lo, exec_lo, s15
	s_and_saveexec_b32 s14, s12
	s_cbranch_execz .LBB224_36
.LBB224_53:
	s_mov_b32 s12, 0x652b82fe
	s_mov_b32 s13, 0x3ff71547
	;; [unrolled: 1-line block ×3, first 2 shown]
	s_waitcnt vmcnt(0)
	v_mul_f64 v[60:61], v[58:59], s[12:13]
	s_mov_b32 s12, 0xfefa39ef
	s_mov_b32 s13, 0xbfe62e42
	;; [unrolled: 1-line block ×3, first 2 shown]
	s_delay_alu instid0(VALU_DEP_1) | instskip(NEXT) | instid1(VALU_DEP_1)
	v_rndne_f64_e32 v[60:61], v[60:61]
	v_fma_f64 v[62:63], v[60:61], s[12:13], v[58:59]
	s_mov_b32 s12, 0x3b39803f
	s_mov_b32 s13, 0xbc7abc9e
	v_cvt_i32_f64_e32 v66, v[60:61]
	s_delay_alu instid0(VALU_DEP_2)
	v_fma_f64 v[62:63], v[60:61], s[12:13], v[62:63]
	s_mov_b32 s12, 0xfca7ab0c
	s_mov_b32 s13, 0x3e928af3
	s_delay_alu instid0(VALU_DEP_1) | instid1(SALU_CYCLE_1)
	v_fma_f64 v[64:65], v[62:63], s[16:17], s[12:13]
	s_mov_b32 s12, 0x623fde64
	s_mov_b32 s13, 0x3ec71dee
	s_delay_alu instid0(VALU_DEP_1) | instid1(SALU_CYCLE_1)
	;; [unrolled: 4-line block ×9, first 2 shown]
	v_fma_f64 v[64:65], v[62:63], v[64:65], s[12:13]
	v_cmp_nlt_f64_e64 s12, 0x40900000, v[58:59]
	v_cmp_ngt_f64_e64 s13, 0xc090cc00, v[58:59]
	s_delay_alu instid0(VALU_DEP_3) | instskip(NEXT) | instid1(VALU_DEP_1)
	v_fma_f64 v[64:65], v[62:63], v[64:65], 1.0
	v_fma_f64 v[60:61], v[62:63], v[64:65], 1.0
	s_delay_alu instid0(VALU_DEP_1) | instskip(NEXT) | instid1(VALU_DEP_1)
	v_ldexp_f64 v[60:61], v[60:61], v66
	v_cndmask_b32_e64 v61, 0x7ff00000, v61, s12
	s_and_b32 s12, s13, s12
	s_delay_alu instid0(VALU_DEP_2) | instid1(SALU_CYCLE_1)
	v_cndmask_b32_e64 v58, 0, v60, s12
	s_delay_alu instid0(VALU_DEP_2) | instskip(NEXT) | instid1(VALU_DEP_1)
	v_cndmask_b32_e64 v59, 0, v61, s13
	v_fma_f64 v[56:57], -v[10:11], v[58:59], v[56:57]
	global_store_b64 v[8:9], v[56:57], off offset:1024
	s_or_b32 exec_lo, exec_lo, s14
	s_and_saveexec_b32 s13, s11
	s_cbranch_execz .LBB224_37
.LBB224_54:
	s_mov_b32 s14, 0x652b82fe
	s_mov_b32 s15, 0x3ff71547
	;; [unrolled: 1-line block ×3, first 2 shown]
	s_waitcnt vmcnt(0)
	v_mul_f64 v[56:57], v[54:55], s[14:15]
	s_mov_b32 s14, 0xfefa39ef
	s_mov_b32 s15, 0xbfe62e42
	s_mov_b32 s17, 0x3e5ade15
	v_cmp_nlt_f64_e64 s11, 0x40900000, v[54:55]
	v_cmp_ngt_f64_e64 s12, 0xc090cc00, v[54:55]
	s_delay_alu instid0(VALU_DEP_3) | instskip(NEXT) | instid1(VALU_DEP_1)
	v_rndne_f64_e32 v[56:57], v[56:57]
	v_fma_f64 v[58:59], v[56:57], s[14:15], v[54:55]
	s_mov_b32 s14, 0x3b39803f
	s_mov_b32 s15, 0xbc7abc9e
	v_cvt_i32_f64_e32 v62, v[56:57]
	s_delay_alu instid0(VALU_DEP_2)
	v_fma_f64 v[58:59], v[56:57], s[14:15], v[58:59]
	s_mov_b32 s14, 0xfca7ab0c
	s_mov_b32 s15, 0x3e928af3
	s_delay_alu instid0(VALU_DEP_1) | instid1(SALU_CYCLE_1)
	v_fma_f64 v[60:61], v[58:59], s[16:17], s[14:15]
	s_mov_b32 s14, 0x623fde64
	s_mov_b32 s15, 0x3ec71dee
	s_delay_alu instid0(VALU_DEP_1) | instid1(SALU_CYCLE_1)
	;; [unrolled: 4-line block ×9, first 2 shown]
	v_fma_f64 v[60:61], v[58:59], v[60:61], s[14:15]
	s_delay_alu instid0(VALU_DEP_1) | instskip(NEXT) | instid1(VALU_DEP_1)
	v_fma_f64 v[60:61], v[58:59], v[60:61], 1.0
	v_fma_f64 v[56:57], v[58:59], v[60:61], 1.0
	s_delay_alu instid0(VALU_DEP_1) | instskip(NEXT) | instid1(VALU_DEP_1)
	v_ldexp_f64 v[56:57], v[56:57], v62
	v_cndmask_b32_e64 v57, 0x7ff00000, v57, s11
	s_and_b32 s11, s12, s11
	s_delay_alu instid0(VALU_DEP_2) | instid1(SALU_CYCLE_1)
	v_cndmask_b32_e64 v54, 0, v56, s11
	s_delay_alu instid0(VALU_DEP_2) | instskip(NEXT) | instid1(VALU_DEP_1)
	v_cndmask_b32_e64 v55, 0, v57, s12
	v_fma_f64 v[52:53], -v[10:11], v[54:55], v[52:53]
	global_store_b64 v[8:9], v[52:53], off offset:1536
	s_or_b32 exec_lo, exec_lo, s13
	s_and_saveexec_b32 s12, s10
	s_cbranch_execz .LBB224_38
.LBB224_55:
	s_mov_b32 s10, 0x652b82fe
	s_mov_b32 s11, 0x3ff71547
	;; [unrolled: 1-line block ×3, first 2 shown]
	s_waitcnt vmcnt(0)
	v_mul_f64 v[52:53], v[50:51], s[10:11]
	s_mov_b32 s10, 0xfefa39ef
	s_mov_b32 s11, 0xbfe62e42
	;; [unrolled: 1-line block ×3, first 2 shown]
	s_delay_alu instid0(VALU_DEP_1) | instskip(NEXT) | instid1(VALU_DEP_1)
	v_rndne_f64_e32 v[52:53], v[52:53]
	v_fma_f64 v[54:55], v[52:53], s[10:11], v[50:51]
	s_mov_b32 s10, 0x3b39803f
	s_mov_b32 s11, 0xbc7abc9e
	v_cvt_i32_f64_e32 v58, v[52:53]
	s_delay_alu instid0(VALU_DEP_2)
	v_fma_f64 v[54:55], v[52:53], s[10:11], v[54:55]
	s_mov_b32 s10, 0xfca7ab0c
	s_mov_b32 s11, 0x3e928af3
	s_delay_alu instid0(VALU_DEP_1) | instid1(SALU_CYCLE_1)
	v_fma_f64 v[56:57], v[54:55], s[14:15], s[10:11]
	s_mov_b32 s10, 0x623fde64
	s_mov_b32 s11, 0x3ec71dee
	s_delay_alu instid0(VALU_DEP_1) | instid1(SALU_CYCLE_1)
	;; [unrolled: 4-line block ×9, first 2 shown]
	v_fma_f64 v[56:57], v[54:55], v[56:57], s[10:11]
	v_cmp_nlt_f64_e64 s10, 0x40900000, v[50:51]
	v_cmp_ngt_f64_e64 s11, 0xc090cc00, v[50:51]
	s_delay_alu instid0(VALU_DEP_3) | instskip(NEXT) | instid1(VALU_DEP_1)
	v_fma_f64 v[56:57], v[54:55], v[56:57], 1.0
	v_fma_f64 v[52:53], v[54:55], v[56:57], 1.0
	s_delay_alu instid0(VALU_DEP_1) | instskip(NEXT) | instid1(VALU_DEP_1)
	v_ldexp_f64 v[52:53], v[52:53], v58
	v_cndmask_b32_e64 v53, 0x7ff00000, v53, s10
	s_and_b32 s10, s11, s10
	s_delay_alu instid0(VALU_DEP_2) | instid1(SALU_CYCLE_1)
	v_cndmask_b32_e64 v50, 0, v52, s10
	s_delay_alu instid0(VALU_DEP_2) | instskip(NEXT) | instid1(VALU_DEP_1)
	v_cndmask_b32_e64 v51, 0, v53, s11
	v_fma_f64 v[48:49], -v[10:11], v[50:51], v[48:49]
	global_store_b64 v[8:9], v[48:49], off offset:2048
	s_or_b32 exec_lo, exec_lo, s12
	s_and_saveexec_b32 s11, s9
	s_cbranch_execz .LBB224_39
.LBB224_56:
	s_mov_b32 s12, 0x652b82fe
	s_mov_b32 s13, 0x3ff71547
	;; [unrolled: 1-line block ×3, first 2 shown]
	s_waitcnt vmcnt(0)
	v_mul_f64 v[48:49], v[46:47], s[12:13]
	s_mov_b32 s12, 0xfefa39ef
	s_mov_b32 s13, 0xbfe62e42
	;; [unrolled: 1-line block ×3, first 2 shown]
	v_cmp_nlt_f64_e64 s9, 0x40900000, v[46:47]
	v_cmp_ngt_f64_e64 s10, 0xc090cc00, v[46:47]
	s_delay_alu instid0(VALU_DEP_3) | instskip(NEXT) | instid1(VALU_DEP_1)
	v_rndne_f64_e32 v[48:49], v[48:49]
	v_fma_f64 v[50:51], v[48:49], s[12:13], v[46:47]
	s_mov_b32 s12, 0x3b39803f
	s_mov_b32 s13, 0xbc7abc9e
	v_cvt_i32_f64_e32 v54, v[48:49]
	s_delay_alu instid0(VALU_DEP_2)
	v_fma_f64 v[50:51], v[48:49], s[12:13], v[50:51]
	s_mov_b32 s12, 0xfca7ab0c
	s_mov_b32 s13, 0x3e928af3
	s_delay_alu instid0(VALU_DEP_1) | instid1(SALU_CYCLE_1)
	v_fma_f64 v[52:53], v[50:51], s[14:15], s[12:13]
	s_mov_b32 s12, 0x623fde64
	s_mov_b32 s13, 0x3ec71dee
	s_delay_alu instid0(VALU_DEP_1) | instid1(SALU_CYCLE_1)
	v_fma_f64 v[52:53], v[50:51], v[52:53], s[12:13]
	s_mov_b32 s12, 0x7c89e6b0
	s_mov_b32 s13, 0x3efa0199
	s_delay_alu instid0(VALU_DEP_1) | instid1(SALU_CYCLE_1)
	v_fma_f64 v[52:53], v[50:51], v[52:53], s[12:13]
	s_mov_b32 s12, 0x14761f6e
	s_mov_b32 s13, 0x3f2a01a0
	s_delay_alu instid0(VALU_DEP_1) | instid1(SALU_CYCLE_1)
	v_fma_f64 v[52:53], v[50:51], v[52:53], s[12:13]
	s_mov_b32 s12, 0x1852b7b0
	s_mov_b32 s13, 0x3f56c16c
	s_delay_alu instid0(VALU_DEP_1) | instid1(SALU_CYCLE_1)
	v_fma_f64 v[52:53], v[50:51], v[52:53], s[12:13]
	s_mov_b32 s12, 0x11122322
	s_mov_b32 s13, 0x3f811111
	s_delay_alu instid0(VALU_DEP_1) | instid1(SALU_CYCLE_1)
	v_fma_f64 v[52:53], v[50:51], v[52:53], s[12:13]
	s_mov_b32 s12, 0x555502a1
	s_mov_b32 s13, 0x3fa55555
	s_delay_alu instid0(VALU_DEP_1) | instid1(SALU_CYCLE_1)
	v_fma_f64 v[52:53], v[50:51], v[52:53], s[12:13]
	s_mov_b32 s12, 0x55555511
	s_mov_b32 s13, 0x3fc55555
	s_delay_alu instid0(VALU_DEP_1) | instid1(SALU_CYCLE_1)
	v_fma_f64 v[52:53], v[50:51], v[52:53], s[12:13]
	s_mov_b32 s12, 11
	s_mov_b32 s13, 0x3fe00000
	s_delay_alu instid0(VALU_DEP_1) | instid1(SALU_CYCLE_1)
	v_fma_f64 v[52:53], v[50:51], v[52:53], s[12:13]
	s_delay_alu instid0(VALU_DEP_1) | instskip(NEXT) | instid1(VALU_DEP_1)
	v_fma_f64 v[52:53], v[50:51], v[52:53], 1.0
	v_fma_f64 v[48:49], v[50:51], v[52:53], 1.0
	s_delay_alu instid0(VALU_DEP_1) | instskip(NEXT) | instid1(VALU_DEP_1)
	v_ldexp_f64 v[48:49], v[48:49], v54
	v_cndmask_b32_e64 v49, 0x7ff00000, v49, s9
	s_and_b32 s9, s10, s9
	s_delay_alu instid0(VALU_DEP_2) | instid1(SALU_CYCLE_1)
	v_cndmask_b32_e64 v46, 0, v48, s9
	s_delay_alu instid0(VALU_DEP_2) | instskip(NEXT) | instid1(VALU_DEP_1)
	v_cndmask_b32_e64 v47, 0, v49, s10
	v_fma_f64 v[44:45], -v[10:11], v[46:47], v[44:45]
	global_store_b64 v[8:9], v[44:45], off offset:2560
	s_or_b32 exec_lo, exec_lo, s11
	s_and_saveexec_b32 s10, s8
	s_cbranch_execz .LBB224_40
.LBB224_57:
	s_mov_b32 s8, 0x652b82fe
	s_mov_b32 s9, 0x3ff71547
	;; [unrolled: 1-line block ×3, first 2 shown]
	s_waitcnt vmcnt(0)
	v_mul_f64 v[44:45], v[42:43], s[8:9]
	s_mov_b32 s8, 0xfefa39ef
	s_mov_b32 s9, 0xbfe62e42
	;; [unrolled: 1-line block ×3, first 2 shown]
	s_delay_alu instid0(VALU_DEP_1) | instskip(NEXT) | instid1(VALU_DEP_1)
	v_rndne_f64_e32 v[44:45], v[44:45]
	v_fma_f64 v[46:47], v[44:45], s[8:9], v[42:43]
	s_mov_b32 s8, 0x3b39803f
	s_mov_b32 s9, 0xbc7abc9e
	v_cvt_i32_f64_e32 v50, v[44:45]
	s_delay_alu instid0(VALU_DEP_2)
	v_fma_f64 v[46:47], v[44:45], s[8:9], v[46:47]
	s_mov_b32 s8, 0xfca7ab0c
	s_mov_b32 s9, 0x3e928af3
	s_delay_alu instid0(VALU_DEP_1) | instid1(SALU_CYCLE_1)
	v_fma_f64 v[48:49], v[46:47], s[12:13], s[8:9]
	s_mov_b32 s8, 0x623fde64
	s_mov_b32 s9, 0x3ec71dee
	s_delay_alu instid0(VALU_DEP_1) | instid1(SALU_CYCLE_1)
	;; [unrolled: 4-line block ×9, first 2 shown]
	v_fma_f64 v[48:49], v[46:47], v[48:49], s[8:9]
	v_cmp_nlt_f64_e64 s8, 0x40900000, v[42:43]
	v_cmp_ngt_f64_e64 s9, 0xc090cc00, v[42:43]
	s_delay_alu instid0(VALU_DEP_3) | instskip(NEXT) | instid1(VALU_DEP_1)
	v_fma_f64 v[48:49], v[46:47], v[48:49], 1.0
	v_fma_f64 v[44:45], v[46:47], v[48:49], 1.0
	s_delay_alu instid0(VALU_DEP_1) | instskip(NEXT) | instid1(VALU_DEP_1)
	v_ldexp_f64 v[44:45], v[44:45], v50
	v_cndmask_b32_e64 v45, 0x7ff00000, v45, s8
	s_and_b32 s8, s9, s8
	s_delay_alu instid0(VALU_DEP_2) | instid1(SALU_CYCLE_1)
	v_cndmask_b32_e64 v42, 0, v44, s8
	s_delay_alu instid0(VALU_DEP_2) | instskip(NEXT) | instid1(VALU_DEP_1)
	v_cndmask_b32_e64 v43, 0, v45, s9
	v_fma_f64 v[40:41], -v[10:11], v[42:43], v[40:41]
	global_store_b64 v[8:9], v[40:41], off offset:3072
	s_or_b32 exec_lo, exec_lo, s10
	s_and_saveexec_b32 s9, s7
	s_cbranch_execz .LBB224_41
.LBB224_58:
	s_mov_b32 s10, 0x652b82fe
	s_mov_b32 s11, 0x3ff71547
	;; [unrolled: 1-line block ×3, first 2 shown]
	s_waitcnt vmcnt(0)
	v_mul_f64 v[40:41], v[38:39], s[10:11]
	s_mov_b32 s10, 0xfefa39ef
	s_mov_b32 s11, 0xbfe62e42
	;; [unrolled: 1-line block ×3, first 2 shown]
	v_cmp_nlt_f64_e64 s7, 0x40900000, v[38:39]
	v_cmp_ngt_f64_e64 s8, 0xc090cc00, v[38:39]
	s_delay_alu instid0(VALU_DEP_3) | instskip(NEXT) | instid1(VALU_DEP_1)
	v_rndne_f64_e32 v[40:41], v[40:41]
	v_fma_f64 v[42:43], v[40:41], s[10:11], v[38:39]
	s_mov_b32 s10, 0x3b39803f
	s_mov_b32 s11, 0xbc7abc9e
	v_cvt_i32_f64_e32 v46, v[40:41]
	s_delay_alu instid0(VALU_DEP_2)
	v_fma_f64 v[42:43], v[40:41], s[10:11], v[42:43]
	s_mov_b32 s10, 0xfca7ab0c
	s_mov_b32 s11, 0x3e928af3
	s_delay_alu instid0(VALU_DEP_1) | instid1(SALU_CYCLE_1)
	v_fma_f64 v[44:45], v[42:43], s[12:13], s[10:11]
	s_mov_b32 s10, 0x623fde64
	s_mov_b32 s11, 0x3ec71dee
	s_delay_alu instid0(VALU_DEP_1) | instid1(SALU_CYCLE_1)
	;; [unrolled: 4-line block ×9, first 2 shown]
	v_fma_f64 v[44:45], v[42:43], v[44:45], s[10:11]
	s_delay_alu instid0(VALU_DEP_1) | instskip(NEXT) | instid1(VALU_DEP_1)
	v_fma_f64 v[44:45], v[42:43], v[44:45], 1.0
	v_fma_f64 v[40:41], v[42:43], v[44:45], 1.0
	s_delay_alu instid0(VALU_DEP_1) | instskip(NEXT) | instid1(VALU_DEP_1)
	v_ldexp_f64 v[40:41], v[40:41], v46
	v_cndmask_b32_e64 v41, 0x7ff00000, v41, s7
	s_and_b32 s7, s8, s7
	s_delay_alu instid0(VALU_DEP_2) | instid1(SALU_CYCLE_1)
	v_cndmask_b32_e64 v38, 0, v40, s7
	s_delay_alu instid0(VALU_DEP_2) | instskip(NEXT) | instid1(VALU_DEP_1)
	v_cndmask_b32_e64 v39, 0, v41, s8
	v_fma_f64 v[36:37], -v[10:11], v[38:39], v[36:37]
	global_store_b64 v[8:9], v[36:37], off offset:3584
	s_or_b32 exec_lo, exec_lo, s9
	s_and_saveexec_b32 s8, s6
	s_cbranch_execz .LBB224_42
.LBB224_59:
	s_mov_b32 s6, 0x652b82fe
	s_mov_b32 s7, 0x3ff71547
	;; [unrolled: 1-line block ×3, first 2 shown]
	s_waitcnt vmcnt(0)
	v_mul_f64 v[36:37], v[34:35], s[6:7]
	s_mov_b32 s6, 0xfefa39ef
	s_mov_b32 s7, 0xbfe62e42
	;; [unrolled: 1-line block ×3, first 2 shown]
	s_delay_alu instid0(VALU_DEP_1) | instskip(NEXT) | instid1(VALU_DEP_1)
	v_rndne_f64_e32 v[36:37], v[36:37]
	v_fma_f64 v[38:39], v[36:37], s[6:7], v[34:35]
	s_mov_b32 s6, 0x3b39803f
	s_mov_b32 s7, 0xbc7abc9e
	v_cvt_i32_f64_e32 v42, v[36:37]
	s_delay_alu instid0(VALU_DEP_2)
	v_fma_f64 v[38:39], v[36:37], s[6:7], v[38:39]
	s_mov_b32 s6, 0xfca7ab0c
	s_mov_b32 s7, 0x3e928af3
	s_delay_alu instid0(VALU_DEP_1) | instid1(SALU_CYCLE_1)
	v_fma_f64 v[40:41], v[38:39], s[10:11], s[6:7]
	s_mov_b32 s6, 0x623fde64
	s_mov_b32 s7, 0x3ec71dee
	s_delay_alu instid0(VALU_DEP_1) | instid1(SALU_CYCLE_1)
	;; [unrolled: 4-line block ×9, first 2 shown]
	v_fma_f64 v[40:41], v[38:39], v[40:41], s[6:7]
	v_cmp_nlt_f64_e64 s6, 0x40900000, v[34:35]
	v_cmp_ngt_f64_e64 s7, 0xc090cc00, v[34:35]
	s_delay_alu instid0(VALU_DEP_3) | instskip(NEXT) | instid1(VALU_DEP_1)
	v_fma_f64 v[40:41], v[38:39], v[40:41], 1.0
	v_fma_f64 v[36:37], v[38:39], v[40:41], 1.0
	s_delay_alu instid0(VALU_DEP_1) | instskip(NEXT) | instid1(VALU_DEP_1)
	v_ldexp_f64 v[36:37], v[36:37], v42
	v_cndmask_b32_e64 v37, 0x7ff00000, v37, s6
	s_and_b32 s6, s7, s6
	s_delay_alu instid0(VALU_DEP_2) | instid1(SALU_CYCLE_1)
	v_cndmask_b32_e64 v34, 0, v36, s6
	s_delay_alu instid0(VALU_DEP_2) | instskip(NEXT) | instid1(VALU_DEP_1)
	v_cndmask_b32_e64 v35, 0, v37, s7
	v_fma_f64 v[32:33], -v[10:11], v[34:35], v[32:33]
	v_add_co_u32 v34, s6, 0x1000, v8
	s_delay_alu instid0(VALU_DEP_1)
	v_add_co_ci_u32_e64 v35, s6, 0, v9, s6
	global_store_b64 v[34:35], v[32:33], off
	s_or_b32 exec_lo, exec_lo, s8
	s_and_saveexec_b32 s7, s5
	s_cbranch_execz .LBB224_43
.LBB224_60:
	s_mov_b32 s8, 0x652b82fe
	s_mov_b32 s9, 0x3ff71547
	s_mov_b32 s10, 0x6a5dcb37
	s_waitcnt vmcnt(0)
	v_mul_f64 v[32:33], v[30:31], s[8:9]
	s_mov_b32 s8, 0xfefa39ef
	s_mov_b32 s9, 0xbfe62e42
	s_mov_b32 s11, 0x3e5ade15
	v_cmp_nlt_f64_e64 s5, 0x40900000, v[30:31]
	v_cmp_ngt_f64_e64 s6, 0xc090cc00, v[30:31]
	s_delay_alu instid0(VALU_DEP_3) | instskip(NEXT) | instid1(VALU_DEP_1)
	v_rndne_f64_e32 v[32:33], v[32:33]
	v_fma_f64 v[34:35], v[32:33], s[8:9], v[30:31]
	s_mov_b32 s8, 0x3b39803f
	s_mov_b32 s9, 0xbc7abc9e
	v_cvt_i32_f64_e32 v38, v[32:33]
	s_delay_alu instid0(VALU_DEP_2)
	v_fma_f64 v[34:35], v[32:33], s[8:9], v[34:35]
	s_mov_b32 s8, 0xfca7ab0c
	s_mov_b32 s9, 0x3e928af3
	s_delay_alu instid0(VALU_DEP_1) | instid1(SALU_CYCLE_1)
	v_fma_f64 v[36:37], v[34:35], s[10:11], s[8:9]
	s_mov_b32 s8, 0x623fde64
	s_mov_b32 s9, 0x3ec71dee
	s_delay_alu instid0(VALU_DEP_1) | instid1(SALU_CYCLE_1)
	;; [unrolled: 4-line block ×9, first 2 shown]
	v_fma_f64 v[36:37], v[34:35], v[36:37], s[8:9]
	s_delay_alu instid0(VALU_DEP_1) | instskip(NEXT) | instid1(VALU_DEP_1)
	v_fma_f64 v[36:37], v[34:35], v[36:37], 1.0
	v_fma_f64 v[32:33], v[34:35], v[36:37], 1.0
	s_delay_alu instid0(VALU_DEP_1) | instskip(NEXT) | instid1(VALU_DEP_1)
	v_ldexp_f64 v[32:33], v[32:33], v38
	v_cndmask_b32_e64 v33, 0x7ff00000, v33, s5
	s_and_b32 s5, s6, s5
	s_delay_alu instid0(VALU_DEP_2) | instid1(SALU_CYCLE_1)
	v_cndmask_b32_e64 v30, 0, v32, s5
	s_delay_alu instid0(VALU_DEP_2) | instskip(NEXT) | instid1(VALU_DEP_1)
	v_cndmask_b32_e64 v31, 0, v33, s6
	v_fma_f64 v[28:29], -v[10:11], v[30:31], v[28:29]
	v_add_co_u32 v30, s5, 0x1000, v8
	s_delay_alu instid0(VALU_DEP_1)
	v_add_co_ci_u32_e64 v31, s5, 0, v9, s5
	global_store_b64 v[30:31], v[28:29], off offset:512
	s_or_b32 exec_lo, exec_lo, s7
	s_and_saveexec_b32 s6, s4
	s_cbranch_execz .LBB224_44
.LBB224_61:
	s_mov_b32 s4, 0x652b82fe
	s_mov_b32 s5, 0x3ff71547
	;; [unrolled: 1-line block ×3, first 2 shown]
	s_waitcnt vmcnt(0)
	v_mul_f64 v[28:29], v[26:27], s[4:5]
	s_mov_b32 s4, 0xfefa39ef
	s_mov_b32 s5, 0xbfe62e42
	;; [unrolled: 1-line block ×3, first 2 shown]
	s_delay_alu instid0(VALU_DEP_1) | instskip(NEXT) | instid1(VALU_DEP_1)
	v_rndne_f64_e32 v[28:29], v[28:29]
	v_fma_f64 v[30:31], v[28:29], s[4:5], v[26:27]
	s_mov_b32 s4, 0x3b39803f
	s_mov_b32 s5, 0xbc7abc9e
	v_cvt_i32_f64_e32 v34, v[28:29]
	s_delay_alu instid0(VALU_DEP_2)
	v_fma_f64 v[30:31], v[28:29], s[4:5], v[30:31]
	s_mov_b32 s4, 0xfca7ab0c
	s_mov_b32 s5, 0x3e928af3
	s_delay_alu instid0(VALU_DEP_1) | instid1(SALU_CYCLE_1)
	v_fma_f64 v[32:33], v[30:31], s[8:9], s[4:5]
	s_mov_b32 s4, 0x623fde64
	s_mov_b32 s5, 0x3ec71dee
	s_delay_alu instid0(VALU_DEP_1) | instid1(SALU_CYCLE_1)
	;; [unrolled: 4-line block ×9, first 2 shown]
	v_fma_f64 v[32:33], v[30:31], v[32:33], s[4:5]
	v_cmp_nlt_f64_e64 s4, 0x40900000, v[26:27]
	v_cmp_ngt_f64_e64 s5, 0xc090cc00, v[26:27]
	s_delay_alu instid0(VALU_DEP_3) | instskip(NEXT) | instid1(VALU_DEP_1)
	v_fma_f64 v[32:33], v[30:31], v[32:33], 1.0
	v_fma_f64 v[28:29], v[30:31], v[32:33], 1.0
	s_delay_alu instid0(VALU_DEP_1) | instskip(NEXT) | instid1(VALU_DEP_1)
	v_ldexp_f64 v[28:29], v[28:29], v34
	v_cndmask_b32_e64 v29, 0x7ff00000, v29, s4
	s_and_b32 s4, s5, s4
	s_delay_alu instid0(VALU_DEP_2) | instid1(SALU_CYCLE_1)
	v_cndmask_b32_e64 v26, 0, v28, s4
	s_delay_alu instid0(VALU_DEP_2) | instskip(NEXT) | instid1(VALU_DEP_1)
	v_cndmask_b32_e64 v27, 0, v29, s5
	v_fma_f64 v[24:25], -v[10:11], v[26:27], v[24:25]
	v_add_co_u32 v26, s4, 0x1000, v8
	s_delay_alu instid0(VALU_DEP_1)
	v_add_co_ci_u32_e64 v27, s4, 0, v9, s4
	global_store_b64 v[26:27], v[24:25], off offset:1024
	s_or_b32 exec_lo, exec_lo, s6
	s_and_saveexec_b32 s5, s3
	s_cbranch_execz .LBB224_45
.LBB224_62:
	s_mov_b32 s6, 0x652b82fe
	s_mov_b32 s7, 0x3ff71547
	;; [unrolled: 1-line block ×3, first 2 shown]
	s_waitcnt vmcnt(0)
	v_mul_f64 v[24:25], v[22:23], s[6:7]
	s_mov_b32 s6, 0xfefa39ef
	s_mov_b32 s7, 0xbfe62e42
	;; [unrolled: 1-line block ×3, first 2 shown]
	v_cmp_nlt_f64_e64 s3, 0x40900000, v[22:23]
	v_cmp_ngt_f64_e64 s4, 0xc090cc00, v[22:23]
	s_delay_alu instid0(VALU_DEP_3) | instskip(NEXT) | instid1(VALU_DEP_1)
	v_rndne_f64_e32 v[24:25], v[24:25]
	v_fma_f64 v[26:27], v[24:25], s[6:7], v[22:23]
	s_mov_b32 s6, 0x3b39803f
	s_mov_b32 s7, 0xbc7abc9e
	v_cvt_i32_f64_e32 v30, v[24:25]
	s_delay_alu instid0(VALU_DEP_2)
	v_fma_f64 v[26:27], v[24:25], s[6:7], v[26:27]
	s_mov_b32 s6, 0xfca7ab0c
	s_mov_b32 s7, 0x3e928af3
	s_delay_alu instid0(VALU_DEP_1) | instid1(SALU_CYCLE_1)
	v_fma_f64 v[28:29], v[26:27], s[8:9], s[6:7]
	s_mov_b32 s6, 0x623fde64
	s_mov_b32 s7, 0x3ec71dee
	s_delay_alu instid0(VALU_DEP_1) | instid1(SALU_CYCLE_1)
	;; [unrolled: 4-line block ×9, first 2 shown]
	v_fma_f64 v[28:29], v[26:27], v[28:29], s[6:7]
	s_delay_alu instid0(VALU_DEP_1) | instskip(NEXT) | instid1(VALU_DEP_1)
	v_fma_f64 v[28:29], v[26:27], v[28:29], 1.0
	v_fma_f64 v[24:25], v[26:27], v[28:29], 1.0
	s_delay_alu instid0(VALU_DEP_1) | instskip(NEXT) | instid1(VALU_DEP_1)
	v_ldexp_f64 v[24:25], v[24:25], v30
	v_cndmask_b32_e64 v25, 0x7ff00000, v25, s3
	s_and_b32 s3, s4, s3
	s_delay_alu instid0(VALU_DEP_2) | instid1(SALU_CYCLE_1)
	v_cndmask_b32_e64 v22, 0, v24, s3
	s_delay_alu instid0(VALU_DEP_2) | instskip(NEXT) | instid1(VALU_DEP_1)
	v_cndmask_b32_e64 v23, 0, v25, s4
	v_fma_f64 v[20:21], -v[10:11], v[22:23], v[20:21]
	v_add_co_u32 v22, s3, 0x1000, v8
	s_delay_alu instid0(VALU_DEP_1)
	v_add_co_ci_u32_e64 v23, s3, 0, v9, s3
	global_store_b64 v[22:23], v[20:21], off offset:1536
	s_or_b32 exec_lo, exec_lo, s5
	s_and_saveexec_b32 s4, s2
	s_cbranch_execz .LBB224_46
.LBB224_63:
	s_mov_b32 s2, 0x652b82fe
	s_mov_b32 s3, 0x3ff71547
	;; [unrolled: 1-line block ×3, first 2 shown]
	s_waitcnt vmcnt(0)
	v_mul_f64 v[20:21], v[18:19], s[2:3]
	s_mov_b32 s2, 0xfefa39ef
	s_mov_b32 s3, 0xbfe62e42
	;; [unrolled: 1-line block ×3, first 2 shown]
	s_delay_alu instid0(VALU_DEP_1) | instskip(NEXT) | instid1(VALU_DEP_1)
	v_rndne_f64_e32 v[20:21], v[20:21]
	v_fma_f64 v[22:23], v[20:21], s[2:3], v[18:19]
	s_mov_b32 s2, 0x3b39803f
	s_mov_b32 s3, 0xbc7abc9e
	v_cvt_i32_f64_e32 v26, v[20:21]
	s_delay_alu instid0(VALU_DEP_2)
	v_fma_f64 v[22:23], v[20:21], s[2:3], v[22:23]
	s_mov_b32 s2, 0xfca7ab0c
	s_mov_b32 s3, 0x3e928af3
	s_delay_alu instid0(VALU_DEP_1) | instid1(SALU_CYCLE_1)
	v_fma_f64 v[24:25], v[22:23], s[6:7], s[2:3]
	s_mov_b32 s2, 0x623fde64
	s_mov_b32 s3, 0x3ec71dee
	s_delay_alu instid0(VALU_DEP_1) | instid1(SALU_CYCLE_1)
	;; [unrolled: 4-line block ×9, first 2 shown]
	v_fma_f64 v[24:25], v[22:23], v[24:25], s[2:3]
	v_cmp_nlt_f64_e64 s2, 0x40900000, v[18:19]
	v_cmp_ngt_f64_e64 s3, 0xc090cc00, v[18:19]
	s_delay_alu instid0(VALU_DEP_3) | instskip(NEXT) | instid1(VALU_DEP_1)
	v_fma_f64 v[24:25], v[22:23], v[24:25], 1.0
	v_fma_f64 v[20:21], v[22:23], v[24:25], 1.0
	s_delay_alu instid0(VALU_DEP_1) | instskip(NEXT) | instid1(VALU_DEP_1)
	v_ldexp_f64 v[20:21], v[20:21], v26
	v_cndmask_b32_e64 v21, 0x7ff00000, v21, s2
	s_and_b32 s2, s3, s2
	s_delay_alu instid0(VALU_DEP_2) | instid1(SALU_CYCLE_1)
	v_cndmask_b32_e64 v18, 0, v20, s2
	s_delay_alu instid0(VALU_DEP_2) | instskip(NEXT) | instid1(VALU_DEP_1)
	v_cndmask_b32_e64 v19, 0, v21, s3
	v_fma_f64 v[16:17], -v[10:11], v[18:19], v[16:17]
	v_add_co_u32 v18, s2, 0x1000, v8
	s_delay_alu instid0(VALU_DEP_1)
	v_add_co_ci_u32_e64 v19, s2, 0, v9, s2
	global_store_b64 v[18:19], v[16:17], off offset:2048
	s_or_b32 exec_lo, exec_lo, s4
	s_and_saveexec_b32 s3, s1
	s_cbranch_execz .LBB224_47
.LBB224_64:
	s_mov_b32 s4, 0x652b82fe
	s_mov_b32 s5, 0x3ff71547
	;; [unrolled: 1-line block ×3, first 2 shown]
	s_waitcnt vmcnt(0)
	v_mul_f64 v[16:17], v[14:15], s[4:5]
	s_mov_b32 s4, 0xfefa39ef
	s_mov_b32 s5, 0xbfe62e42
	;; [unrolled: 1-line block ×3, first 2 shown]
	v_cmp_nlt_f64_e64 s1, 0x40900000, v[14:15]
	v_cmp_ngt_f64_e64 s2, 0xc090cc00, v[14:15]
	s_delay_alu instid0(VALU_DEP_3) | instskip(NEXT) | instid1(VALU_DEP_1)
	v_rndne_f64_e32 v[16:17], v[16:17]
	v_fma_f64 v[18:19], v[16:17], s[4:5], v[14:15]
	s_mov_b32 s4, 0x3b39803f
	s_mov_b32 s5, 0xbc7abc9e
	v_cvt_i32_f64_e32 v22, v[16:17]
	s_delay_alu instid0(VALU_DEP_2)
	v_fma_f64 v[18:19], v[16:17], s[4:5], v[18:19]
	s_mov_b32 s4, 0xfca7ab0c
	s_mov_b32 s5, 0x3e928af3
	s_delay_alu instid0(VALU_DEP_1) | instid1(SALU_CYCLE_1)
	v_fma_f64 v[20:21], v[18:19], s[6:7], s[4:5]
	s_mov_b32 s4, 0x623fde64
	s_mov_b32 s5, 0x3ec71dee
	s_delay_alu instid0(VALU_DEP_1) | instid1(SALU_CYCLE_1)
	;; [unrolled: 4-line block ×9, first 2 shown]
	v_fma_f64 v[20:21], v[18:19], v[20:21], s[4:5]
	s_delay_alu instid0(VALU_DEP_1) | instskip(NEXT) | instid1(VALU_DEP_1)
	v_fma_f64 v[20:21], v[18:19], v[20:21], 1.0
	v_fma_f64 v[16:17], v[18:19], v[20:21], 1.0
	s_delay_alu instid0(VALU_DEP_1) | instskip(NEXT) | instid1(VALU_DEP_1)
	v_ldexp_f64 v[16:17], v[16:17], v22
	v_cndmask_b32_e64 v17, 0x7ff00000, v17, s1
	s_and_b32 s1, s2, s1
	s_delay_alu instid0(VALU_DEP_2) | instid1(SALU_CYCLE_1)
	v_cndmask_b32_e64 v14, 0, v16, s1
	s_delay_alu instid0(VALU_DEP_2) | instskip(NEXT) | instid1(VALU_DEP_1)
	v_cndmask_b32_e64 v15, 0, v17, s2
	v_fma_f64 v[12:13], -v[10:11], v[14:15], v[12:13]
	v_add_co_u32 v14, s1, 0x1000, v8
	s_delay_alu instid0(VALU_DEP_1)
	v_add_co_ci_u32_e64 v15, s1, 0, v9, s1
	global_store_b64 v[14:15], v[12:13], off offset:2560
	s_or_b32 exec_lo, exec_lo, s3
	s_and_saveexec_b32 s2, s0
	s_cbranch_execz .LBB224_48
.LBB224_65:
	s_mov_b32 s0, 0x652b82fe
	s_mov_b32 s1, 0x3ff71547
	;; [unrolled: 1-line block ×3, first 2 shown]
	s_waitcnt vmcnt(0)
	v_mul_f64 v[12:13], v[6:7], s[0:1]
	s_mov_b32 s0, 0xfefa39ef
	s_mov_b32 s1, 0xbfe62e42
	s_mov_b32 s5, 0x3e5ade15
	s_delay_alu instid0(VALU_DEP_1) | instskip(NEXT) | instid1(VALU_DEP_1)
	v_rndne_f64_e32 v[12:13], v[12:13]
	v_fma_f64 v[14:15], v[12:13], s[0:1], v[6:7]
	s_mov_b32 s0, 0x3b39803f
	s_mov_b32 s1, 0xbc7abc9e
	v_cvt_i32_f64_e32 v18, v[12:13]
	s_delay_alu instid0(VALU_DEP_2)
	v_fma_f64 v[14:15], v[12:13], s[0:1], v[14:15]
	s_mov_b32 s0, 0xfca7ab0c
	s_mov_b32 s1, 0x3e928af3
	s_delay_alu instid0(VALU_DEP_1) | instid1(SALU_CYCLE_1)
	v_fma_f64 v[16:17], v[14:15], s[4:5], s[0:1]
	s_mov_b32 s0, 0x623fde64
	s_mov_b32 s1, 0x3ec71dee
	s_delay_alu instid0(VALU_DEP_1) | instid1(SALU_CYCLE_1)
	;; [unrolled: 4-line block ×9, first 2 shown]
	v_fma_f64 v[16:17], v[14:15], v[16:17], s[0:1]
	v_cmp_nlt_f64_e64 s0, 0x40900000, v[6:7]
	v_cmp_ngt_f64_e64 s1, 0xc090cc00, v[6:7]
	s_delay_alu instid0(VALU_DEP_3) | instskip(NEXT) | instid1(VALU_DEP_1)
	v_fma_f64 v[16:17], v[14:15], v[16:17], 1.0
	v_fma_f64 v[12:13], v[14:15], v[16:17], 1.0
	s_delay_alu instid0(VALU_DEP_1) | instskip(NEXT) | instid1(VALU_DEP_1)
	v_ldexp_f64 v[12:13], v[12:13], v18
	v_cndmask_b32_e64 v13, 0x7ff00000, v13, s0
	s_and_b32 s0, s1, s0
	s_delay_alu instid0(VALU_DEP_2) | instid1(SALU_CYCLE_1)
	v_cndmask_b32_e64 v6, 0, v12, s0
	s_delay_alu instid0(VALU_DEP_2) | instskip(NEXT) | instid1(VALU_DEP_1)
	v_cndmask_b32_e64 v7, 0, v13, s1
	v_fma_f64 v[4:5], -v[10:11], v[6:7], v[4:5]
	v_add_co_u32 v6, s0, 0x1000, v8
	s_delay_alu instid0(VALU_DEP_1) | instskip(SKIP_2) | instid1(SALU_CYCLE_1)
	v_add_co_ci_u32_e64 v7, s0, 0, v9, s0
	global_store_b64 v[6:7], v[4:5], off offset:3072
	s_or_b32 exec_lo, exec_lo, s2
	s_and_b32 exec_lo, exec_lo, vcc_lo
	s_cbranch_execnz .LBB224_49
	s_branch .LBB224_50
	.section	.rodata,"a",@progbits
	.p2align	6, 0x0
	.amdhsa_kernel _ZN12_GLOBAL__N_121softmax_warp_backwardIdddLi10ELb1ELb0ELi64EEEvPT0_PKT_S5_iiiPKb
		.amdhsa_group_segment_fixed_size 0
		.amdhsa_private_segment_fixed_size 0
		.amdhsa_kernarg_size 304
		.amdhsa_user_sgpr_count 15
		.amdhsa_user_sgpr_dispatch_ptr 0
		.amdhsa_user_sgpr_queue_ptr 0
		.amdhsa_user_sgpr_kernarg_segment_ptr 1
		.amdhsa_user_sgpr_dispatch_id 0
		.amdhsa_user_sgpr_private_segment_size 0
		.amdhsa_wavefront_size32 1
		.amdhsa_uses_dynamic_stack 0
		.amdhsa_enable_private_segment 0
		.amdhsa_system_sgpr_workgroup_id_x 1
		.amdhsa_system_sgpr_workgroup_id_y 0
		.amdhsa_system_sgpr_workgroup_id_z 0
		.amdhsa_system_sgpr_workgroup_info 0
		.amdhsa_system_vgpr_workitem_id 1
		.amdhsa_next_free_vgpr 75
		.amdhsa_next_free_sgpr 24
		.amdhsa_reserve_vcc 1
		.amdhsa_float_round_mode_32 0
		.amdhsa_float_round_mode_16_64 0
		.amdhsa_float_denorm_mode_32 3
		.amdhsa_float_denorm_mode_16_64 3
		.amdhsa_dx10_clamp 1
		.amdhsa_ieee_mode 1
		.amdhsa_fp16_overflow 0
		.amdhsa_workgroup_processor_mode 1
		.amdhsa_memory_ordered 1
		.amdhsa_forward_progress 0
		.amdhsa_shared_vgpr_count 0
		.amdhsa_exception_fp_ieee_invalid_op 0
		.amdhsa_exception_fp_denorm_src 0
		.amdhsa_exception_fp_ieee_div_zero 0
		.amdhsa_exception_fp_ieee_overflow 0
		.amdhsa_exception_fp_ieee_underflow 0
		.amdhsa_exception_fp_ieee_inexact 0
		.amdhsa_exception_int_div_zero 0
	.end_amdhsa_kernel
	.section	.text._ZN12_GLOBAL__N_121softmax_warp_backwardIdddLi10ELb1ELb0ELi64EEEvPT0_PKT_S5_iiiPKb,"axG",@progbits,_ZN12_GLOBAL__N_121softmax_warp_backwardIdddLi10ELb1ELb0ELi64EEEvPT0_PKT_S5_iiiPKb,comdat
.Lfunc_end224:
	.size	_ZN12_GLOBAL__N_121softmax_warp_backwardIdddLi10ELb1ELb0ELi64EEEvPT0_PKT_S5_iiiPKb, .Lfunc_end224-_ZN12_GLOBAL__N_121softmax_warp_backwardIdddLi10ELb1ELb0ELi64EEEvPT0_PKT_S5_iiiPKb
                                        ; -- End function
	.section	.AMDGPU.csdata,"",@progbits
; Kernel info:
; codeLenInByte = 10152
; NumSgprs: 26
; NumVgprs: 75
; ScratchSize: 0
; MemoryBound: 0
; FloatMode: 240
; IeeeMode: 1
; LDSByteSize: 0 bytes/workgroup (compile time only)
; SGPRBlocks: 3
; VGPRBlocks: 9
; NumSGPRsForWavesPerEU: 26
; NumVGPRsForWavesPerEU: 75
; Occupancy: 16
; WaveLimiterHint : 0
; COMPUTE_PGM_RSRC2:SCRATCH_EN: 0
; COMPUTE_PGM_RSRC2:USER_SGPR: 15
; COMPUTE_PGM_RSRC2:TRAP_HANDLER: 0
; COMPUTE_PGM_RSRC2:TGID_X_EN: 1
; COMPUTE_PGM_RSRC2:TGID_Y_EN: 0
; COMPUTE_PGM_RSRC2:TGID_Z_EN: 0
; COMPUTE_PGM_RSRC2:TIDIG_COMP_CNT: 1
	.section	.text._ZN12_GLOBAL__N_121softmax_warp_backwardIdddLi10ELb1ELb0ELi32EEEvPT0_PKT_S5_iiiPKb,"axG",@progbits,_ZN12_GLOBAL__N_121softmax_warp_backwardIdddLi10ELb1ELb0ELi32EEEvPT0_PKT_S5_iiiPKb,comdat
	.globl	_ZN12_GLOBAL__N_121softmax_warp_backwardIdddLi10ELb1ELb0ELi32EEEvPT0_PKT_S5_iiiPKb ; -- Begin function _ZN12_GLOBAL__N_121softmax_warp_backwardIdddLi10ELb1ELb0ELi32EEEvPT0_PKT_S5_iiiPKb
	.p2align	8
	.type	_ZN12_GLOBAL__N_121softmax_warp_backwardIdddLi10ELb1ELb0ELi32EEEvPT0_PKT_S5_iiiPKb,@function
_ZN12_GLOBAL__N_121softmax_warp_backwardIdddLi10ELb1ELb0ELi32EEEvPT0_PKT_S5_iiiPKb: ; @_ZN12_GLOBAL__N_121softmax_warp_backwardIdddLi10ELb1ELb0ELi32EEEvPT0_PKT_S5_iiiPKb
; %bb.0:
	s_clause 0x1
	s_load_b32 s2, s[0:1], 0x3c
	s_load_b128 s[40:43], s[0:1], 0x18
	v_bfe_u32 v1, v0, 10, 10
	v_and_b32_e32 v2, 0x3ff, v0
	v_mov_b32_e32 v124, 0
	v_mov_b32_e32 v125, 0
	s_clause 0x1
	s_load_b128 s[36:39], s[0:1], 0x0
	s_load_b64 s[0:1], s[0:1], 0x10
	s_delay_alu instid0(VALU_DEP_1)
	v_dual_mov_b32 v129, v125 :: v_dual_and_b32 v0, 31, v2
	v_dual_mov_b32 v128, v124 :: v_dual_mov_b32 v131, v125
	v_mov_b32_e32 v130, v124
	s_waitcnt lgkmcnt(0)
	s_lshr_b32 s2, s2, 16
	v_cmp_gt_i32_e64 s30, s42, v0
	v_mad_u64_u32 v[3:4], null, s15, s2, v[1:2]
	s_delay_alu instid0(VALU_DEP_1) | instskip(SKIP_1) | instid1(VALU_DEP_1)
	v_mad_u64_u32 v[4:5], null, v3, s41, v[0:1]
	v_sub_nc_u32_e32 v134, s40, v3
	v_cmp_lt_i32_e64 s31, 0, v134
	s_delay_alu instid0(VALU_DEP_3) | instskip(NEXT) | instid1(VALU_DEP_1)
	v_ashrrev_i32_e32 v5, 31, v4
	v_lshlrev_b64 v[8:9], 3, v[4:5]
	s_delay_alu instid0(VALU_DEP_1) | instskip(NEXT) | instid1(VALU_DEP_2)
	v_add_co_u32 v132, vcc_lo, s38, v8
	v_add_co_ci_u32_e32 v133, vcc_lo, s39, v9, vcc_lo
	v_add_co_u32 v10, vcc_lo, s0, v8
	v_add_co_ci_u32_e32 v11, vcc_lo, s1, v9, vcc_lo
	s_and_b32 s1, s31, s30
	s_delay_alu instid0(SALU_CYCLE_1)
	s_and_saveexec_b32 s0, s1
	s_cbranch_execz .LBB225_2
; %bb.1:
	global_load_b64 v[128:129], v[132:133], off
	global_load_b64 v[130:131], v[10:11], off
.LBB225_2:
	s_or_b32 exec_lo, exec_lo, s0
	v_or_b32_e32 v1, 32, v0
	v_dual_mov_b32 v127, v125 :: v_dual_mov_b32 v126, v124
	s_delay_alu instid0(VALU_DEP_2) | instskip(NEXT) | instid1(VALU_DEP_1)
	v_cmp_gt_i32_e64 s29, s42, v1
	s_and_b32 s1, s31, s29
	s_delay_alu instid0(SALU_CYCLE_1)
	s_and_saveexec_b32 s0, s1
	s_cbranch_execz .LBB225_4
; %bb.3:
	global_load_b64 v[124:125], v[132:133], off offset:256
	global_load_b64 v[126:127], v[10:11], off offset:256
.LBB225_4:
	s_or_b32 exec_lo, exec_lo, s0
	v_or_b32_e32 v1, 64, v0
	v_mov_b32_e32 v116, 0
	v_mov_b32_e32 v117, 0
	s_delay_alu instid0(VALU_DEP_3) | instskip(NEXT) | instid1(VALU_DEP_2)
	v_cmp_gt_i32_e64 s28, s42, v1
	v_dual_mov_b32 v121, v117 :: v_dual_mov_b32 v120, v116
	v_dual_mov_b32 v123, v117 :: v_dual_mov_b32 v122, v116
	s_delay_alu instid0(VALU_DEP_3) | instskip(NEXT) | instid1(SALU_CYCLE_1)
	s_and_b32 s1, s31, s28
	s_and_saveexec_b32 s0, s1
	s_cbranch_execz .LBB225_6
; %bb.5:
	global_load_b64 v[120:121], v[132:133], off offset:512
	global_load_b64 v[122:123], v[10:11], off offset:512
.LBB225_6:
	s_or_b32 exec_lo, exec_lo, s0
	v_or_b32_e32 v1, 0x60, v0
	v_dual_mov_b32 v119, v117 :: v_dual_mov_b32 v118, v116
	s_delay_alu instid0(VALU_DEP_2) | instskip(NEXT) | instid1(VALU_DEP_1)
	v_cmp_gt_i32_e64 s27, s42, v1
	s_and_b32 s1, s31, s27
	s_delay_alu instid0(SALU_CYCLE_1)
	s_and_saveexec_b32 s0, s1
	s_cbranch_execz .LBB225_8
; %bb.7:
	global_load_b64 v[116:117], v[132:133], off offset:768
	global_load_b64 v[118:119], v[10:11], off offset:768
.LBB225_8:
	s_or_b32 exec_lo, exec_lo, s0
	v_or_b32_e32 v1, 0x80, v0
	v_mov_b32_e32 v108, 0
	v_mov_b32_e32 v109, 0
	s_delay_alu instid0(VALU_DEP_3) | instskip(NEXT) | instid1(VALU_DEP_2)
	v_cmp_gt_i32_e64 s26, s42, v1
	v_dual_mov_b32 v113, v109 :: v_dual_mov_b32 v112, v108
	v_dual_mov_b32 v115, v109 :: v_dual_mov_b32 v114, v108
	s_delay_alu instid0(VALU_DEP_3) | instskip(NEXT) | instid1(SALU_CYCLE_1)
	s_and_b32 s1, s31, s26
	s_and_saveexec_b32 s0, s1
	s_cbranch_execz .LBB225_10
; %bb.9:
	global_load_b64 v[112:113], v[132:133], off offset:1024
	global_load_b64 v[114:115], v[10:11], off offset:1024
.LBB225_10:
	;; [unrolled: 29-line block ×7, first 2 shown]
	s_or_b32 exec_lo, exec_lo, s0
	v_or_b32_e32 v1, 0x1e0, v0
	v_dual_mov_b32 v71, v69 :: v_dual_mov_b32 v70, v68
	s_delay_alu instid0(VALU_DEP_2) | instskip(NEXT) | instid1(VALU_DEP_1)
	v_cmp_gt_i32_e64 s15, s42, v1
	s_and_b32 s1, s31, s15
	s_delay_alu instid0(SALU_CYCLE_1)
	s_and_saveexec_b32 s0, s1
	s_cbranch_execz .LBB225_32
; %bb.31:
	global_load_b64 v[68:69], v[132:133], off offset:3840
	global_load_b64 v[70:71], v[10:11], off offset:3840
.LBB225_32:
	s_or_b32 exec_lo, exec_lo, s0
	v_or_b32_e32 v1, 0x200, v0
	v_mov_b32_e32 v60, 0
	v_mov_b32_e32 v61, 0
	s_delay_alu instid0(VALU_DEP_3) | instskip(NEXT) | instid1(VALU_DEP_2)
	v_cmp_gt_i32_e64 s14, s42, v1
	v_dual_mov_b32 v65, v61 :: v_dual_mov_b32 v64, v60
	v_dual_mov_b32 v67, v61 :: v_dual_mov_b32 v66, v60
	s_delay_alu instid0(VALU_DEP_3) | instskip(NEXT) | instid1(SALU_CYCLE_1)
	s_and_b32 s1, s31, s14
	s_and_saveexec_b32 s0, s1
	s_cbranch_execz .LBB225_34
; %bb.33:
	v_add_co_u32 v3, vcc_lo, 0x1000, v132
	v_add_co_ci_u32_e32 v4, vcc_lo, 0, v133, vcc_lo
	v_add_co_u32 v5, vcc_lo, 0x1000, v10
	v_add_co_ci_u32_e32 v6, vcc_lo, 0, v11, vcc_lo
	global_load_b64 v[64:65], v[3:4], off
	global_load_b64 v[66:67], v[5:6], off
.LBB225_34:
	s_or_b32 exec_lo, exec_lo, s0
	v_or_b32_e32 v1, 0x220, v0
	v_dual_mov_b32 v63, v61 :: v_dual_mov_b32 v62, v60
	s_delay_alu instid0(VALU_DEP_2) | instskip(NEXT) | instid1(VALU_DEP_1)
	v_cmp_gt_i32_e64 s13, s42, v1
	s_and_b32 s1, s31, s13
	s_delay_alu instid0(SALU_CYCLE_1)
	s_and_saveexec_b32 s0, s1
	s_cbranch_execz .LBB225_36
; %bb.35:
	v_add_co_u32 v3, vcc_lo, 0x1000, v132
	v_add_co_ci_u32_e32 v4, vcc_lo, 0, v133, vcc_lo
	v_add_co_u32 v5, vcc_lo, 0x1000, v10
	v_add_co_ci_u32_e32 v6, vcc_lo, 0, v11, vcc_lo
	global_load_b64 v[60:61], v[3:4], off offset:256
	global_load_b64 v[62:63], v[5:6], off offset:256
.LBB225_36:
	s_or_b32 exec_lo, exec_lo, s0
	v_or_b32_e32 v1, 0x240, v0
	v_mov_b32_e32 v52, 0
	v_mov_b32_e32 v53, 0
	s_delay_alu instid0(VALU_DEP_3) | instskip(NEXT) | instid1(VALU_DEP_2)
	v_cmp_gt_i32_e64 s12, s42, v1
	v_dual_mov_b32 v57, v53 :: v_dual_mov_b32 v56, v52
	v_dual_mov_b32 v59, v53 :: v_dual_mov_b32 v58, v52
	s_delay_alu instid0(VALU_DEP_3) | instskip(NEXT) | instid1(SALU_CYCLE_1)
	s_and_b32 s1, s31, s12
	s_and_saveexec_b32 s0, s1
	s_cbranch_execz .LBB225_38
; %bb.37:
	v_add_co_u32 v3, vcc_lo, 0x1000, v132
	v_add_co_ci_u32_e32 v4, vcc_lo, 0, v133, vcc_lo
	v_add_co_u32 v5, vcc_lo, 0x1000, v10
	v_add_co_ci_u32_e32 v6, vcc_lo, 0, v11, vcc_lo
	global_load_b64 v[56:57], v[3:4], off offset:512
	global_load_b64 v[58:59], v[5:6], off offset:512
.LBB225_38:
	s_or_b32 exec_lo, exec_lo, s0
	v_or_b32_e32 v1, 0x260, v0
	v_dual_mov_b32 v55, v53 :: v_dual_mov_b32 v54, v52
	s_delay_alu instid0(VALU_DEP_2) | instskip(NEXT) | instid1(VALU_DEP_1)
	v_cmp_gt_i32_e64 s11, s42, v1
	s_and_b32 s1, s31, s11
	s_delay_alu instid0(SALU_CYCLE_1)
	s_and_saveexec_b32 s0, s1
	s_cbranch_execz .LBB225_40
; %bb.39:
	v_add_co_u32 v3, vcc_lo, 0x1000, v132
	v_add_co_ci_u32_e32 v4, vcc_lo, 0, v133, vcc_lo
	v_add_co_u32 v5, vcc_lo, 0x1000, v10
	v_add_co_ci_u32_e32 v6, vcc_lo, 0, v11, vcc_lo
	global_load_b64 v[52:53], v[3:4], off offset:768
	global_load_b64 v[54:55], v[5:6], off offset:768
.LBB225_40:
	s_or_b32 exec_lo, exec_lo, s0
	v_or_b32_e32 v1, 0x280, v0
	v_mov_b32_e32 v44, 0
	v_mov_b32_e32 v45, 0
	s_delay_alu instid0(VALU_DEP_3) | instskip(NEXT) | instid1(VALU_DEP_2)
	v_cmp_gt_i32_e64 s10, s42, v1
	v_dual_mov_b32 v49, v45 :: v_dual_mov_b32 v48, v44
	v_dual_mov_b32 v51, v45 :: v_dual_mov_b32 v50, v44
	s_delay_alu instid0(VALU_DEP_3) | instskip(NEXT) | instid1(SALU_CYCLE_1)
	s_and_b32 s1, s31, s10
	s_and_saveexec_b32 s0, s1
	s_cbranch_execz .LBB225_42
; %bb.41:
	v_add_co_u32 v3, vcc_lo, 0x1000, v132
	v_add_co_ci_u32_e32 v4, vcc_lo, 0, v133, vcc_lo
	v_add_co_u32 v5, vcc_lo, 0x1000, v10
	v_add_co_ci_u32_e32 v6, vcc_lo, 0, v11, vcc_lo
	global_load_b64 v[48:49], v[3:4], off offset:1024
	global_load_b64 v[50:51], v[5:6], off offset:1024
.LBB225_42:
	;; [unrolled: 37-line block ×7, first 2 shown]
	s_or_b32 exec_lo, exec_lo, s33
	v_or_b32_e32 v2, 0x3e0, v2
	s_delay_alu instid0(VALU_DEP_1) | instskip(SKIP_2) | instid1(SALU_CYCLE_1)
	v_cmp_gt_i32_e32 vcc_lo, s42, v2
	v_dual_mov_b32 v3, v1 :: v_dual_mov_b32 v2, v0
	s_and_b32 s31, s31, vcc_lo
	s_and_saveexec_b32 s33, s31
	s_cbranch_execz .LBB225_64
; %bb.63:
	v_add_co_u32 v0, s31, 0x1000, v132
	s_delay_alu instid0(VALU_DEP_1) | instskip(SKIP_1) | instid1(VALU_DEP_1)
	v_add_co_ci_u32_e64 v1, s31, 0, v133, s31
	v_add_co_u32 v2, s31, 0x1000, v10
	v_add_co_ci_u32_e64 v3, s31, 0, v11, s31
	global_load_b64 v[0:1], v[0:1], off offset:3840
	global_load_b64 v[2:3], v[2:3], off offset:3840
.LBB225_64:
	s_or_b32 exec_lo, exec_lo, s33
	s_waitcnt vmcnt(1)
	v_add_f64 v[10:11], v[128:129], 0
	v_mbcnt_lo_u32_b32 v135, -1, 0
	s_mov_b32 s33, exec_lo
	s_delay_alu instid0(VALU_DEP_1) | instskip(NEXT) | instid1(VALU_DEP_1)
	v_xor_b32_e32 v132, 16, v135
	v_cmp_gt_i32_e64 s31, 32, v132
	s_delay_alu instid0(VALU_DEP_1) | instskip(NEXT) | instid1(VALU_DEP_1)
	v_cndmask_b32_e64 v132, v135, v132, s31
	v_lshlrev_b32_e32 v133, 2, v132
	v_add_f64 v[10:11], v[10:11], v[124:125]
	s_delay_alu instid0(VALU_DEP_1) | instskip(NEXT) | instid1(VALU_DEP_1)
	v_add_f64 v[10:11], v[10:11], v[120:121]
	v_add_f64 v[10:11], v[10:11], v[116:117]
	s_delay_alu instid0(VALU_DEP_1) | instskip(NEXT) | instid1(VALU_DEP_1)
	v_add_f64 v[10:11], v[10:11], v[112:113]
	;; [unrolled: 3-line block ×15, first 2 shown]
	v_add_f64 v[10:11], v[10:11], v[0:1]
	ds_bpermute_b32 v132, v133, v10
	ds_bpermute_b32 v133, v133, v11
	s_waitcnt lgkmcnt(0)
	v_add_f64 v[10:11], v[10:11], v[132:133]
	v_xor_b32_e32 v132, 8, v135
	s_delay_alu instid0(VALU_DEP_1) | instskip(NEXT) | instid1(VALU_DEP_1)
	v_cmp_gt_i32_e64 s31, 32, v132
	v_cndmask_b32_e64 v132, v135, v132, s31
	s_delay_alu instid0(VALU_DEP_1)
	v_lshlrev_b32_e32 v133, 2, v132
	ds_bpermute_b32 v132, v133, v10
	ds_bpermute_b32 v133, v133, v11
	s_waitcnt lgkmcnt(0)
	v_add_f64 v[10:11], v[10:11], v[132:133]
	v_xor_b32_e32 v132, 4, v135
	s_delay_alu instid0(VALU_DEP_1) | instskip(NEXT) | instid1(VALU_DEP_1)
	v_cmp_gt_i32_e64 s31, 32, v132
	v_cndmask_b32_e64 v132, v135, v132, s31
	s_delay_alu instid0(VALU_DEP_1)
	v_lshlrev_b32_e32 v133, 2, v132
	;; [unrolled: 10-line block ×4, first 2 shown]
	ds_bpermute_b32 v132, v133, v10
	ds_bpermute_b32 v133, v133, v11
	v_cmpx_lt_i32_e32 0, v134
	s_cbranch_execz .LBB225_98
; %bb.65:
	s_waitcnt lgkmcnt(0)
	v_add_f64 v[10:11], v[10:11], v[132:133]
	v_add_co_u32 v8, s31, s36, v8
	s_delay_alu instid0(VALU_DEP_1)
	v_add_co_ci_u32_e64 v9, s31, s37, v9, s31
	s_and_saveexec_b32 s33, s30
	s_cbranch_execnz .LBB225_99
; %bb.66:
	s_or_b32 exec_lo, exec_lo, s33
	s_and_saveexec_b32 s31, s29
	s_cbranch_execnz .LBB225_100
.LBB225_67:
	s_or_b32 exec_lo, exec_lo, s31
	s_and_saveexec_b32 s30, s28
	s_cbranch_execnz .LBB225_101
.LBB225_68:
	s_or_b32 exec_lo, exec_lo, s30
	s_and_saveexec_b32 s29, s27
	s_cbranch_execnz .LBB225_102
.LBB225_69:
	s_or_b32 exec_lo, exec_lo, s29
	s_and_saveexec_b32 s28, s26
	s_cbranch_execnz .LBB225_103
.LBB225_70:
	s_or_b32 exec_lo, exec_lo, s28
	s_and_saveexec_b32 s27, s25
	s_cbranch_execnz .LBB225_104
.LBB225_71:
	s_or_b32 exec_lo, exec_lo, s27
	s_and_saveexec_b32 s26, s24
	s_cbranch_execnz .LBB225_105
.LBB225_72:
	s_or_b32 exec_lo, exec_lo, s26
	s_and_saveexec_b32 s25, s23
	s_cbranch_execnz .LBB225_106
.LBB225_73:
	s_or_b32 exec_lo, exec_lo, s25
	s_and_saveexec_b32 s24, s22
	s_cbranch_execnz .LBB225_107
.LBB225_74:
	s_or_b32 exec_lo, exec_lo, s24
	s_and_saveexec_b32 s23, s21
	s_cbranch_execnz .LBB225_108
.LBB225_75:
	s_or_b32 exec_lo, exec_lo, s23
	s_and_saveexec_b32 s22, s20
	s_cbranch_execnz .LBB225_109
.LBB225_76:
	s_or_b32 exec_lo, exec_lo, s22
	s_and_saveexec_b32 s21, s19
	s_cbranch_execnz .LBB225_110
.LBB225_77:
	s_or_b32 exec_lo, exec_lo, s21
	s_and_saveexec_b32 s20, s18
	s_cbranch_execnz .LBB225_111
.LBB225_78:
	s_or_b32 exec_lo, exec_lo, s20
	s_and_saveexec_b32 s19, s17
	s_cbranch_execnz .LBB225_112
.LBB225_79:
	s_or_b32 exec_lo, exec_lo, s19
	s_and_saveexec_b32 s18, s16
	s_cbranch_execnz .LBB225_113
.LBB225_80:
	s_or_b32 exec_lo, exec_lo, s18
	s_and_saveexec_b32 s17, s15
	s_cbranch_execnz .LBB225_114
.LBB225_81:
	s_or_b32 exec_lo, exec_lo, s17
	s_and_saveexec_b32 s16, s14
	s_cbranch_execnz .LBB225_115
.LBB225_82:
	s_or_b32 exec_lo, exec_lo, s16
	s_and_saveexec_b32 s15, s13
	s_cbranch_execnz .LBB225_116
.LBB225_83:
	s_or_b32 exec_lo, exec_lo, s15
	s_and_saveexec_b32 s14, s12
	s_cbranch_execnz .LBB225_117
.LBB225_84:
	s_or_b32 exec_lo, exec_lo, s14
	s_and_saveexec_b32 s13, s11
	s_cbranch_execnz .LBB225_118
.LBB225_85:
	s_or_b32 exec_lo, exec_lo, s13
	s_and_saveexec_b32 s12, s10
	s_cbranch_execnz .LBB225_119
.LBB225_86:
	s_or_b32 exec_lo, exec_lo, s12
	s_and_saveexec_b32 s11, s9
	s_cbranch_execnz .LBB225_120
.LBB225_87:
	s_or_b32 exec_lo, exec_lo, s11
	s_and_saveexec_b32 s10, s8
	s_cbranch_execnz .LBB225_121
.LBB225_88:
	s_or_b32 exec_lo, exec_lo, s10
	s_and_saveexec_b32 s9, s7
	s_cbranch_execnz .LBB225_122
.LBB225_89:
	s_or_b32 exec_lo, exec_lo, s9
	s_and_saveexec_b32 s8, s6
	s_cbranch_execnz .LBB225_123
.LBB225_90:
	s_or_b32 exec_lo, exec_lo, s8
	s_and_saveexec_b32 s7, s5
	s_cbranch_execnz .LBB225_124
.LBB225_91:
	s_or_b32 exec_lo, exec_lo, s7
	s_and_saveexec_b32 s6, s4
	s_cbranch_execnz .LBB225_125
.LBB225_92:
	s_or_b32 exec_lo, exec_lo, s6
	s_and_saveexec_b32 s5, s3
	s_cbranch_execnz .LBB225_126
.LBB225_93:
	s_or_b32 exec_lo, exec_lo, s5
	s_and_saveexec_b32 s4, s2
	s_cbranch_execnz .LBB225_127
.LBB225_94:
	s_or_b32 exec_lo, exec_lo, s4
	s_and_saveexec_b32 s3, s1
	s_cbranch_execnz .LBB225_128
.LBB225_95:
	s_or_b32 exec_lo, exec_lo, s3
	s_and_saveexec_b32 s2, s0
	s_cbranch_execnz .LBB225_129
.LBB225_96:
	s_or_b32 exec_lo, exec_lo, s2
	s_delay_alu instid0(SALU_CYCLE_1)
	s_and_b32 exec_lo, exec_lo, vcc_lo
	s_cbranch_execz .LBB225_98
.LBB225_97:
	s_mov_b32 s0, 0x652b82fe
	s_mov_b32 s1, 0x3ff71547
	;; [unrolled: 1-line block ×3, first 2 shown]
	s_waitcnt vmcnt(0)
	v_mul_f64 v[4:5], v[2:3], s[0:1]
	s_mov_b32 s0, 0xfefa39ef
	s_mov_b32 s1, 0xbfe62e42
	;; [unrolled: 1-line block ×3, first 2 shown]
	v_cmp_nlt_f64_e32 vcc_lo, 0x40900000, v[2:3]
	s_delay_alu instid0(VALU_DEP_2) | instskip(NEXT) | instid1(VALU_DEP_1)
	v_rndne_f64_e32 v[4:5], v[4:5]
	v_fma_f64 v[6:7], v[4:5], s[0:1], v[2:3]
	s_mov_b32 s0, 0x3b39803f
	s_mov_b32 s1, 0xbc7abc9e
	v_cvt_i32_f64_e32 v14, v[4:5]
	s_delay_alu instid0(VALU_DEP_2)
	v_fma_f64 v[6:7], v[4:5], s[0:1], v[6:7]
	s_mov_b32 s0, 0xfca7ab0c
	s_mov_b32 s1, 0x3e928af3
	s_delay_alu instid0(VALU_DEP_1) | instid1(SALU_CYCLE_1)
	v_fma_f64 v[12:13], v[6:7], s[2:3], s[0:1]
	s_mov_b32 s0, 0x623fde64
	s_mov_b32 s1, 0x3ec71dee
	s_delay_alu instid0(VALU_DEP_1) | instid1(SALU_CYCLE_1)
	v_fma_f64 v[12:13], v[6:7], v[12:13], s[0:1]
	s_mov_b32 s0, 0x7c89e6b0
	s_mov_b32 s1, 0x3efa0199
	s_delay_alu instid0(VALU_DEP_1) | instid1(SALU_CYCLE_1)
	v_fma_f64 v[12:13], v[6:7], v[12:13], s[0:1]
	s_mov_b32 s0, 0x14761f6e
	s_mov_b32 s1, 0x3f2a01a0
	s_delay_alu instid0(VALU_DEP_1) | instid1(SALU_CYCLE_1)
	v_fma_f64 v[12:13], v[6:7], v[12:13], s[0:1]
	s_mov_b32 s0, 0x1852b7b0
	s_mov_b32 s1, 0x3f56c16c
	s_delay_alu instid0(VALU_DEP_1) | instid1(SALU_CYCLE_1)
	v_fma_f64 v[12:13], v[6:7], v[12:13], s[0:1]
	s_mov_b32 s0, 0x11122322
	s_mov_b32 s1, 0x3f811111
	s_delay_alu instid0(VALU_DEP_1) | instid1(SALU_CYCLE_1)
	v_fma_f64 v[12:13], v[6:7], v[12:13], s[0:1]
	s_mov_b32 s0, 0x555502a1
	s_mov_b32 s1, 0x3fa55555
	s_delay_alu instid0(VALU_DEP_1) | instid1(SALU_CYCLE_1)
	v_fma_f64 v[12:13], v[6:7], v[12:13], s[0:1]
	s_mov_b32 s0, 0x55555511
	s_mov_b32 s1, 0x3fc55555
	s_delay_alu instid0(VALU_DEP_1) | instid1(SALU_CYCLE_1)
	v_fma_f64 v[12:13], v[6:7], v[12:13], s[0:1]
	s_mov_b32 s0, 11
	s_mov_b32 s1, 0x3fe00000
	s_delay_alu instid0(VALU_DEP_1) | instid1(SALU_CYCLE_1)
	v_fma_f64 v[12:13], v[6:7], v[12:13], s[0:1]
	v_cmp_ngt_f64_e64 s0, 0xc090cc00, v[2:3]
	s_delay_alu instid0(VALU_DEP_2) | instskip(NEXT) | instid1(VALU_DEP_1)
	v_fma_f64 v[12:13], v[6:7], v[12:13], 1.0
	v_fma_f64 v[4:5], v[6:7], v[12:13], 1.0
	s_delay_alu instid0(VALU_DEP_1) | instskip(NEXT) | instid1(VALU_DEP_1)
	v_ldexp_f64 v[4:5], v[4:5], v14
	v_cndmask_b32_e32 v5, 0x7ff00000, v5, vcc_lo
	s_and_b32 vcc_lo, s0, vcc_lo
	s_delay_alu instid0(VALU_DEP_2) | instskip(NEXT) | instid1(VALU_DEP_2)
	v_cndmask_b32_e32 v2, 0, v4, vcc_lo
	v_cndmask_b32_e64 v3, 0, v5, s0
	s_delay_alu instid0(VALU_DEP_1)
	v_fma_f64 v[0:1], -v[10:11], v[2:3], v[0:1]
	v_add_co_u32 v2, vcc_lo, 0x1000, v8
	v_add_co_ci_u32_e32 v3, vcc_lo, 0, v9, vcc_lo
	global_store_b64 v[2:3], v[0:1], off offset:3840
.LBB225_98:
	s_nop 0
	s_sendmsg sendmsg(MSG_DEALLOC_VGPRS)
	s_endpgm
.LBB225_99:
	s_mov_b32 s30, 0x652b82fe
	s_mov_b32 s31, 0x3ff71547
	;; [unrolled: 1-line block ×3, first 2 shown]
	s_waitcnt vmcnt(0)
	v_mul_f64 v[132:133], v[130:131], s[30:31]
	s_mov_b32 s30, 0xfefa39ef
	s_mov_b32 s31, 0xbfe62e42
	;; [unrolled: 1-line block ×3, first 2 shown]
	s_delay_alu instid0(VALU_DEP_1) | instskip(NEXT) | instid1(VALU_DEP_1)
	v_rndne_f64_e32 v[132:133], v[132:133]
	v_fma_f64 v[134:135], v[132:133], s[30:31], v[130:131]
	s_mov_b32 s30, 0x3b39803f
	s_mov_b32 s31, 0xbc7abc9e
	v_cvt_i32_f64_e32 v138, v[132:133]
	s_delay_alu instid0(VALU_DEP_2)
	v_fma_f64 v[134:135], v[132:133], s[30:31], v[134:135]
	s_mov_b32 s30, 0xfca7ab0c
	s_mov_b32 s31, 0x3e928af3
	s_delay_alu instid0(VALU_DEP_1) | instid1(SALU_CYCLE_1)
	v_fma_f64 v[136:137], v[134:135], s[34:35], s[30:31]
	s_mov_b32 s30, 0x623fde64
	s_mov_b32 s31, 0x3ec71dee
	s_delay_alu instid0(VALU_DEP_1) | instid1(SALU_CYCLE_1)
	;; [unrolled: 4-line block ×9, first 2 shown]
	v_fma_f64 v[136:137], v[134:135], v[136:137], s[30:31]
	v_cmp_nlt_f64_e64 s30, 0x40900000, v[130:131]
	v_cmp_ngt_f64_e64 s31, 0xc090cc00, v[130:131]
	s_delay_alu instid0(VALU_DEP_3) | instskip(NEXT) | instid1(VALU_DEP_1)
	v_fma_f64 v[136:137], v[134:135], v[136:137], 1.0
	v_fma_f64 v[132:133], v[134:135], v[136:137], 1.0
	s_delay_alu instid0(VALU_DEP_1) | instskip(NEXT) | instid1(VALU_DEP_1)
	v_ldexp_f64 v[132:133], v[132:133], v138
	v_cndmask_b32_e64 v133, 0x7ff00000, v133, s30
	s_and_b32 s30, s31, s30
	s_delay_alu instid0(VALU_DEP_2) | instid1(SALU_CYCLE_1)
	v_cndmask_b32_e64 v130, 0, v132, s30
	s_delay_alu instid0(VALU_DEP_2) | instskip(NEXT) | instid1(VALU_DEP_1)
	v_cndmask_b32_e64 v131, 0, v133, s31
	v_fma_f64 v[128:129], -v[10:11], v[130:131], v[128:129]
	global_store_b64 v[8:9], v[128:129], off
	s_or_b32 exec_lo, exec_lo, s33
	s_and_saveexec_b32 s31, s29
	s_cbranch_execz .LBB225_67
.LBB225_100:
	s_mov_b32 s34, 0x652b82fe
	s_mov_b32 s35, 0x3ff71547
	;; [unrolled: 1-line block ×3, first 2 shown]
	s_waitcnt vmcnt(0)
	v_mul_f64 v[128:129], v[126:127], s[34:35]
	s_mov_b32 s34, 0xfefa39ef
	s_mov_b32 s35, 0xbfe62e42
	s_mov_b32 s37, 0x3e5ade15
	v_cmp_nlt_f64_e64 s29, 0x40900000, v[126:127]
	v_cmp_ngt_f64_e64 s30, 0xc090cc00, v[126:127]
	s_delay_alu instid0(VALU_DEP_3) | instskip(NEXT) | instid1(VALU_DEP_1)
	v_rndne_f64_e32 v[128:129], v[128:129]
	v_fma_f64 v[130:131], v[128:129], s[34:35], v[126:127]
	s_mov_b32 s34, 0x3b39803f
	s_mov_b32 s35, 0xbc7abc9e
	v_cvt_i32_f64_e32 v134, v[128:129]
	s_delay_alu instid0(VALU_DEP_2)
	v_fma_f64 v[130:131], v[128:129], s[34:35], v[130:131]
	s_mov_b32 s34, 0xfca7ab0c
	s_mov_b32 s35, 0x3e928af3
	s_delay_alu instid0(VALU_DEP_1) | instid1(SALU_CYCLE_1)
	v_fma_f64 v[132:133], v[130:131], s[36:37], s[34:35]
	s_mov_b32 s34, 0x623fde64
	s_mov_b32 s35, 0x3ec71dee
	s_delay_alu instid0(VALU_DEP_1) | instid1(SALU_CYCLE_1)
	;; [unrolled: 4-line block ×9, first 2 shown]
	v_fma_f64 v[132:133], v[130:131], v[132:133], s[34:35]
	s_delay_alu instid0(VALU_DEP_1) | instskip(NEXT) | instid1(VALU_DEP_1)
	v_fma_f64 v[132:133], v[130:131], v[132:133], 1.0
	v_fma_f64 v[128:129], v[130:131], v[132:133], 1.0
	s_delay_alu instid0(VALU_DEP_1) | instskip(NEXT) | instid1(VALU_DEP_1)
	v_ldexp_f64 v[128:129], v[128:129], v134
	v_cndmask_b32_e64 v129, 0x7ff00000, v129, s29
	s_and_b32 s29, s30, s29
	s_delay_alu instid0(VALU_DEP_2) | instid1(SALU_CYCLE_1)
	v_cndmask_b32_e64 v126, 0, v128, s29
	s_delay_alu instid0(VALU_DEP_2) | instskip(NEXT) | instid1(VALU_DEP_1)
	v_cndmask_b32_e64 v127, 0, v129, s30
	v_fma_f64 v[124:125], -v[10:11], v[126:127], v[124:125]
	global_store_b64 v[8:9], v[124:125], off offset:256
	s_or_b32 exec_lo, exec_lo, s31
	s_and_saveexec_b32 s30, s28
	s_cbranch_execz .LBB225_68
.LBB225_101:
	s_mov_b32 s28, 0x652b82fe
	s_mov_b32 s29, 0x3ff71547
	;; [unrolled: 1-line block ×3, first 2 shown]
	s_waitcnt vmcnt(0)
	v_mul_f64 v[124:125], v[122:123], s[28:29]
	s_mov_b32 s28, 0xfefa39ef
	s_mov_b32 s29, 0xbfe62e42
	;; [unrolled: 1-line block ×3, first 2 shown]
	s_delay_alu instid0(VALU_DEP_1) | instskip(NEXT) | instid1(VALU_DEP_1)
	v_rndne_f64_e32 v[124:125], v[124:125]
	v_fma_f64 v[126:127], v[124:125], s[28:29], v[122:123]
	s_mov_b32 s28, 0x3b39803f
	s_mov_b32 s29, 0xbc7abc9e
	v_cvt_i32_f64_e32 v130, v[124:125]
	s_delay_alu instid0(VALU_DEP_2)
	v_fma_f64 v[126:127], v[124:125], s[28:29], v[126:127]
	s_mov_b32 s28, 0xfca7ab0c
	s_mov_b32 s29, 0x3e928af3
	s_delay_alu instid0(VALU_DEP_1) | instid1(SALU_CYCLE_1)
	v_fma_f64 v[128:129], v[126:127], s[34:35], s[28:29]
	s_mov_b32 s28, 0x623fde64
	s_mov_b32 s29, 0x3ec71dee
	s_delay_alu instid0(VALU_DEP_1) | instid1(SALU_CYCLE_1)
	;; [unrolled: 4-line block ×9, first 2 shown]
	v_fma_f64 v[128:129], v[126:127], v[128:129], s[28:29]
	v_cmp_nlt_f64_e64 s28, 0x40900000, v[122:123]
	v_cmp_ngt_f64_e64 s29, 0xc090cc00, v[122:123]
	s_delay_alu instid0(VALU_DEP_3) | instskip(NEXT) | instid1(VALU_DEP_1)
	v_fma_f64 v[128:129], v[126:127], v[128:129], 1.0
	v_fma_f64 v[124:125], v[126:127], v[128:129], 1.0
	s_delay_alu instid0(VALU_DEP_1) | instskip(NEXT) | instid1(VALU_DEP_1)
	v_ldexp_f64 v[124:125], v[124:125], v130
	v_cndmask_b32_e64 v125, 0x7ff00000, v125, s28
	s_and_b32 s28, s29, s28
	s_delay_alu instid0(VALU_DEP_2) | instid1(SALU_CYCLE_1)
	v_cndmask_b32_e64 v122, 0, v124, s28
	s_delay_alu instid0(VALU_DEP_2) | instskip(NEXT) | instid1(VALU_DEP_1)
	v_cndmask_b32_e64 v123, 0, v125, s29
	v_fma_f64 v[120:121], -v[10:11], v[122:123], v[120:121]
	global_store_b64 v[8:9], v[120:121], off offset:512
	s_or_b32 exec_lo, exec_lo, s30
	s_and_saveexec_b32 s29, s27
	s_cbranch_execz .LBB225_69
.LBB225_102:
	s_mov_b32 s30, 0x652b82fe
	s_mov_b32 s31, 0x3ff71547
	;; [unrolled: 1-line block ×3, first 2 shown]
	s_waitcnt vmcnt(0)
	v_mul_f64 v[120:121], v[118:119], s[30:31]
	s_mov_b32 s30, 0xfefa39ef
	s_mov_b32 s31, 0xbfe62e42
	;; [unrolled: 1-line block ×3, first 2 shown]
	v_cmp_nlt_f64_e64 s27, 0x40900000, v[118:119]
	v_cmp_ngt_f64_e64 s28, 0xc090cc00, v[118:119]
	s_delay_alu instid0(VALU_DEP_3) | instskip(NEXT) | instid1(VALU_DEP_1)
	v_rndne_f64_e32 v[120:121], v[120:121]
	v_fma_f64 v[122:123], v[120:121], s[30:31], v[118:119]
	s_mov_b32 s30, 0x3b39803f
	s_mov_b32 s31, 0xbc7abc9e
	v_cvt_i32_f64_e32 v126, v[120:121]
	s_delay_alu instid0(VALU_DEP_2)
	v_fma_f64 v[122:123], v[120:121], s[30:31], v[122:123]
	s_mov_b32 s30, 0xfca7ab0c
	s_mov_b32 s31, 0x3e928af3
	s_delay_alu instid0(VALU_DEP_1) | instid1(SALU_CYCLE_1)
	v_fma_f64 v[124:125], v[122:123], s[34:35], s[30:31]
	s_mov_b32 s30, 0x623fde64
	s_mov_b32 s31, 0x3ec71dee
	s_delay_alu instid0(VALU_DEP_1) | instid1(SALU_CYCLE_1)
	;; [unrolled: 4-line block ×9, first 2 shown]
	v_fma_f64 v[124:125], v[122:123], v[124:125], s[30:31]
	s_delay_alu instid0(VALU_DEP_1) | instskip(NEXT) | instid1(VALU_DEP_1)
	v_fma_f64 v[124:125], v[122:123], v[124:125], 1.0
	v_fma_f64 v[120:121], v[122:123], v[124:125], 1.0
	s_delay_alu instid0(VALU_DEP_1) | instskip(NEXT) | instid1(VALU_DEP_1)
	v_ldexp_f64 v[120:121], v[120:121], v126
	v_cndmask_b32_e64 v121, 0x7ff00000, v121, s27
	s_and_b32 s27, s28, s27
	s_delay_alu instid0(VALU_DEP_2) | instid1(SALU_CYCLE_1)
	v_cndmask_b32_e64 v118, 0, v120, s27
	s_delay_alu instid0(VALU_DEP_2) | instskip(NEXT) | instid1(VALU_DEP_1)
	v_cndmask_b32_e64 v119, 0, v121, s28
	v_fma_f64 v[116:117], -v[10:11], v[118:119], v[116:117]
	global_store_b64 v[8:9], v[116:117], off offset:768
	s_or_b32 exec_lo, exec_lo, s29
	s_and_saveexec_b32 s28, s26
	s_cbranch_execz .LBB225_70
.LBB225_103:
	s_mov_b32 s26, 0x652b82fe
	s_mov_b32 s27, 0x3ff71547
	;; [unrolled: 1-line block ×3, first 2 shown]
	s_waitcnt vmcnt(0)
	v_mul_f64 v[116:117], v[114:115], s[26:27]
	s_mov_b32 s26, 0xfefa39ef
	s_mov_b32 s27, 0xbfe62e42
	;; [unrolled: 1-line block ×3, first 2 shown]
	s_delay_alu instid0(VALU_DEP_1) | instskip(NEXT) | instid1(VALU_DEP_1)
	v_rndne_f64_e32 v[116:117], v[116:117]
	v_fma_f64 v[118:119], v[116:117], s[26:27], v[114:115]
	s_mov_b32 s26, 0x3b39803f
	s_mov_b32 s27, 0xbc7abc9e
	v_cvt_i32_f64_e32 v122, v[116:117]
	s_delay_alu instid0(VALU_DEP_2)
	v_fma_f64 v[118:119], v[116:117], s[26:27], v[118:119]
	s_mov_b32 s26, 0xfca7ab0c
	s_mov_b32 s27, 0x3e928af3
	s_delay_alu instid0(VALU_DEP_1) | instid1(SALU_CYCLE_1)
	v_fma_f64 v[120:121], v[118:119], s[30:31], s[26:27]
	s_mov_b32 s26, 0x623fde64
	s_mov_b32 s27, 0x3ec71dee
	s_delay_alu instid0(VALU_DEP_1) | instid1(SALU_CYCLE_1)
	;; [unrolled: 4-line block ×9, first 2 shown]
	v_fma_f64 v[120:121], v[118:119], v[120:121], s[26:27]
	v_cmp_nlt_f64_e64 s26, 0x40900000, v[114:115]
	v_cmp_ngt_f64_e64 s27, 0xc090cc00, v[114:115]
	s_delay_alu instid0(VALU_DEP_3) | instskip(NEXT) | instid1(VALU_DEP_1)
	v_fma_f64 v[120:121], v[118:119], v[120:121], 1.0
	v_fma_f64 v[116:117], v[118:119], v[120:121], 1.0
	s_delay_alu instid0(VALU_DEP_1) | instskip(NEXT) | instid1(VALU_DEP_1)
	v_ldexp_f64 v[116:117], v[116:117], v122
	v_cndmask_b32_e64 v117, 0x7ff00000, v117, s26
	s_and_b32 s26, s27, s26
	s_delay_alu instid0(VALU_DEP_2) | instid1(SALU_CYCLE_1)
	v_cndmask_b32_e64 v114, 0, v116, s26
	s_delay_alu instid0(VALU_DEP_2) | instskip(NEXT) | instid1(VALU_DEP_1)
	v_cndmask_b32_e64 v115, 0, v117, s27
	v_fma_f64 v[112:113], -v[10:11], v[114:115], v[112:113]
	global_store_b64 v[8:9], v[112:113], off offset:1024
	s_or_b32 exec_lo, exec_lo, s28
	s_and_saveexec_b32 s27, s25
	s_cbranch_execz .LBB225_71
.LBB225_104:
	s_mov_b32 s28, 0x652b82fe
	s_mov_b32 s29, 0x3ff71547
	;; [unrolled: 1-line block ×3, first 2 shown]
	s_waitcnt vmcnt(0)
	v_mul_f64 v[112:113], v[110:111], s[28:29]
	s_mov_b32 s28, 0xfefa39ef
	s_mov_b32 s29, 0xbfe62e42
	;; [unrolled: 1-line block ×3, first 2 shown]
	v_cmp_nlt_f64_e64 s25, 0x40900000, v[110:111]
	v_cmp_ngt_f64_e64 s26, 0xc090cc00, v[110:111]
	s_delay_alu instid0(VALU_DEP_3) | instskip(NEXT) | instid1(VALU_DEP_1)
	v_rndne_f64_e32 v[112:113], v[112:113]
	v_fma_f64 v[114:115], v[112:113], s[28:29], v[110:111]
	s_mov_b32 s28, 0x3b39803f
	s_mov_b32 s29, 0xbc7abc9e
	v_cvt_i32_f64_e32 v118, v[112:113]
	s_delay_alu instid0(VALU_DEP_2)
	v_fma_f64 v[114:115], v[112:113], s[28:29], v[114:115]
	s_mov_b32 s28, 0xfca7ab0c
	s_mov_b32 s29, 0x3e928af3
	s_delay_alu instid0(VALU_DEP_1) | instid1(SALU_CYCLE_1)
	v_fma_f64 v[116:117], v[114:115], s[30:31], s[28:29]
	s_mov_b32 s28, 0x623fde64
	s_mov_b32 s29, 0x3ec71dee
	s_delay_alu instid0(VALU_DEP_1) | instid1(SALU_CYCLE_1)
	v_fma_f64 v[116:117], v[114:115], v[116:117], s[28:29]
	s_mov_b32 s28, 0x7c89e6b0
	s_mov_b32 s29, 0x3efa0199
	s_delay_alu instid0(VALU_DEP_1) | instid1(SALU_CYCLE_1)
	v_fma_f64 v[116:117], v[114:115], v[116:117], s[28:29]
	s_mov_b32 s28, 0x14761f6e
	s_mov_b32 s29, 0x3f2a01a0
	s_delay_alu instid0(VALU_DEP_1) | instid1(SALU_CYCLE_1)
	v_fma_f64 v[116:117], v[114:115], v[116:117], s[28:29]
	s_mov_b32 s28, 0x1852b7b0
	s_mov_b32 s29, 0x3f56c16c
	s_delay_alu instid0(VALU_DEP_1) | instid1(SALU_CYCLE_1)
	v_fma_f64 v[116:117], v[114:115], v[116:117], s[28:29]
	s_mov_b32 s28, 0x11122322
	s_mov_b32 s29, 0x3f811111
	s_delay_alu instid0(VALU_DEP_1) | instid1(SALU_CYCLE_1)
	v_fma_f64 v[116:117], v[114:115], v[116:117], s[28:29]
	s_mov_b32 s28, 0x555502a1
	s_mov_b32 s29, 0x3fa55555
	s_delay_alu instid0(VALU_DEP_1) | instid1(SALU_CYCLE_1)
	v_fma_f64 v[116:117], v[114:115], v[116:117], s[28:29]
	s_mov_b32 s28, 0x55555511
	s_mov_b32 s29, 0x3fc55555
	s_delay_alu instid0(VALU_DEP_1) | instid1(SALU_CYCLE_1)
	v_fma_f64 v[116:117], v[114:115], v[116:117], s[28:29]
	s_mov_b32 s28, 11
	s_mov_b32 s29, 0x3fe00000
	s_delay_alu instid0(VALU_DEP_1) | instid1(SALU_CYCLE_1)
	v_fma_f64 v[116:117], v[114:115], v[116:117], s[28:29]
	s_delay_alu instid0(VALU_DEP_1) | instskip(NEXT) | instid1(VALU_DEP_1)
	v_fma_f64 v[116:117], v[114:115], v[116:117], 1.0
	v_fma_f64 v[112:113], v[114:115], v[116:117], 1.0
	s_delay_alu instid0(VALU_DEP_1) | instskip(NEXT) | instid1(VALU_DEP_1)
	v_ldexp_f64 v[112:113], v[112:113], v118
	v_cndmask_b32_e64 v113, 0x7ff00000, v113, s25
	s_and_b32 s25, s26, s25
	s_delay_alu instid0(VALU_DEP_2) | instid1(SALU_CYCLE_1)
	v_cndmask_b32_e64 v110, 0, v112, s25
	s_delay_alu instid0(VALU_DEP_2) | instskip(NEXT) | instid1(VALU_DEP_1)
	v_cndmask_b32_e64 v111, 0, v113, s26
	v_fma_f64 v[108:109], -v[10:11], v[110:111], v[108:109]
	global_store_b64 v[8:9], v[108:109], off offset:1280
	s_or_b32 exec_lo, exec_lo, s27
	s_and_saveexec_b32 s26, s24
	s_cbranch_execz .LBB225_72
.LBB225_105:
	s_mov_b32 s24, 0x652b82fe
	s_mov_b32 s25, 0x3ff71547
	;; [unrolled: 1-line block ×3, first 2 shown]
	s_waitcnt vmcnt(0)
	v_mul_f64 v[108:109], v[106:107], s[24:25]
	s_mov_b32 s24, 0xfefa39ef
	s_mov_b32 s25, 0xbfe62e42
	;; [unrolled: 1-line block ×3, first 2 shown]
	s_delay_alu instid0(VALU_DEP_1) | instskip(NEXT) | instid1(VALU_DEP_1)
	v_rndne_f64_e32 v[108:109], v[108:109]
	v_fma_f64 v[110:111], v[108:109], s[24:25], v[106:107]
	s_mov_b32 s24, 0x3b39803f
	s_mov_b32 s25, 0xbc7abc9e
	v_cvt_i32_f64_e32 v114, v[108:109]
	s_delay_alu instid0(VALU_DEP_2)
	v_fma_f64 v[110:111], v[108:109], s[24:25], v[110:111]
	s_mov_b32 s24, 0xfca7ab0c
	s_mov_b32 s25, 0x3e928af3
	s_delay_alu instid0(VALU_DEP_1) | instid1(SALU_CYCLE_1)
	v_fma_f64 v[112:113], v[110:111], s[28:29], s[24:25]
	s_mov_b32 s24, 0x623fde64
	s_mov_b32 s25, 0x3ec71dee
	s_delay_alu instid0(VALU_DEP_1) | instid1(SALU_CYCLE_1)
	;; [unrolled: 4-line block ×9, first 2 shown]
	v_fma_f64 v[112:113], v[110:111], v[112:113], s[24:25]
	v_cmp_nlt_f64_e64 s24, 0x40900000, v[106:107]
	v_cmp_ngt_f64_e64 s25, 0xc090cc00, v[106:107]
	s_delay_alu instid0(VALU_DEP_3) | instskip(NEXT) | instid1(VALU_DEP_1)
	v_fma_f64 v[112:113], v[110:111], v[112:113], 1.0
	v_fma_f64 v[108:109], v[110:111], v[112:113], 1.0
	s_delay_alu instid0(VALU_DEP_1) | instskip(NEXT) | instid1(VALU_DEP_1)
	v_ldexp_f64 v[108:109], v[108:109], v114
	v_cndmask_b32_e64 v109, 0x7ff00000, v109, s24
	s_and_b32 s24, s25, s24
	s_delay_alu instid0(VALU_DEP_2) | instid1(SALU_CYCLE_1)
	v_cndmask_b32_e64 v106, 0, v108, s24
	s_delay_alu instid0(VALU_DEP_2) | instskip(NEXT) | instid1(VALU_DEP_1)
	v_cndmask_b32_e64 v107, 0, v109, s25
	v_fma_f64 v[104:105], -v[10:11], v[106:107], v[104:105]
	global_store_b64 v[8:9], v[104:105], off offset:1536
	s_or_b32 exec_lo, exec_lo, s26
	s_and_saveexec_b32 s25, s23
	s_cbranch_execz .LBB225_73
.LBB225_106:
	s_mov_b32 s26, 0x652b82fe
	s_mov_b32 s27, 0x3ff71547
	;; [unrolled: 1-line block ×3, first 2 shown]
	s_waitcnt vmcnt(0)
	v_mul_f64 v[104:105], v[102:103], s[26:27]
	s_mov_b32 s26, 0xfefa39ef
	s_mov_b32 s27, 0xbfe62e42
	;; [unrolled: 1-line block ×3, first 2 shown]
	v_cmp_nlt_f64_e64 s23, 0x40900000, v[102:103]
	v_cmp_ngt_f64_e64 s24, 0xc090cc00, v[102:103]
	s_delay_alu instid0(VALU_DEP_3) | instskip(NEXT) | instid1(VALU_DEP_1)
	v_rndne_f64_e32 v[104:105], v[104:105]
	v_fma_f64 v[106:107], v[104:105], s[26:27], v[102:103]
	s_mov_b32 s26, 0x3b39803f
	s_mov_b32 s27, 0xbc7abc9e
	v_cvt_i32_f64_e32 v110, v[104:105]
	s_delay_alu instid0(VALU_DEP_2)
	v_fma_f64 v[106:107], v[104:105], s[26:27], v[106:107]
	s_mov_b32 s26, 0xfca7ab0c
	s_mov_b32 s27, 0x3e928af3
	s_delay_alu instid0(VALU_DEP_1) | instid1(SALU_CYCLE_1)
	v_fma_f64 v[108:109], v[106:107], s[28:29], s[26:27]
	s_mov_b32 s26, 0x623fde64
	s_mov_b32 s27, 0x3ec71dee
	s_delay_alu instid0(VALU_DEP_1) | instid1(SALU_CYCLE_1)
	;; [unrolled: 4-line block ×9, first 2 shown]
	v_fma_f64 v[108:109], v[106:107], v[108:109], s[26:27]
	s_delay_alu instid0(VALU_DEP_1) | instskip(NEXT) | instid1(VALU_DEP_1)
	v_fma_f64 v[108:109], v[106:107], v[108:109], 1.0
	v_fma_f64 v[104:105], v[106:107], v[108:109], 1.0
	s_delay_alu instid0(VALU_DEP_1) | instskip(NEXT) | instid1(VALU_DEP_1)
	v_ldexp_f64 v[104:105], v[104:105], v110
	v_cndmask_b32_e64 v105, 0x7ff00000, v105, s23
	s_and_b32 s23, s24, s23
	s_delay_alu instid0(VALU_DEP_2) | instid1(SALU_CYCLE_1)
	v_cndmask_b32_e64 v102, 0, v104, s23
	s_delay_alu instid0(VALU_DEP_2) | instskip(NEXT) | instid1(VALU_DEP_1)
	v_cndmask_b32_e64 v103, 0, v105, s24
	v_fma_f64 v[100:101], -v[10:11], v[102:103], v[100:101]
	global_store_b64 v[8:9], v[100:101], off offset:1792
	s_or_b32 exec_lo, exec_lo, s25
	s_and_saveexec_b32 s24, s22
	s_cbranch_execz .LBB225_74
.LBB225_107:
	s_mov_b32 s22, 0x652b82fe
	s_mov_b32 s23, 0x3ff71547
	;; [unrolled: 1-line block ×3, first 2 shown]
	s_waitcnt vmcnt(0)
	v_mul_f64 v[100:101], v[98:99], s[22:23]
	s_mov_b32 s22, 0xfefa39ef
	s_mov_b32 s23, 0xbfe62e42
	;; [unrolled: 1-line block ×3, first 2 shown]
	s_delay_alu instid0(VALU_DEP_1) | instskip(NEXT) | instid1(VALU_DEP_1)
	v_rndne_f64_e32 v[100:101], v[100:101]
	v_fma_f64 v[102:103], v[100:101], s[22:23], v[98:99]
	s_mov_b32 s22, 0x3b39803f
	s_mov_b32 s23, 0xbc7abc9e
	v_cvt_i32_f64_e32 v106, v[100:101]
	s_delay_alu instid0(VALU_DEP_2)
	v_fma_f64 v[102:103], v[100:101], s[22:23], v[102:103]
	s_mov_b32 s22, 0xfca7ab0c
	s_mov_b32 s23, 0x3e928af3
	s_delay_alu instid0(VALU_DEP_1) | instid1(SALU_CYCLE_1)
	v_fma_f64 v[104:105], v[102:103], s[26:27], s[22:23]
	s_mov_b32 s22, 0x623fde64
	s_mov_b32 s23, 0x3ec71dee
	s_delay_alu instid0(VALU_DEP_1) | instid1(SALU_CYCLE_1)
	;; [unrolled: 4-line block ×9, first 2 shown]
	v_fma_f64 v[104:105], v[102:103], v[104:105], s[22:23]
	v_cmp_nlt_f64_e64 s22, 0x40900000, v[98:99]
	v_cmp_ngt_f64_e64 s23, 0xc090cc00, v[98:99]
	s_delay_alu instid0(VALU_DEP_3) | instskip(NEXT) | instid1(VALU_DEP_1)
	v_fma_f64 v[104:105], v[102:103], v[104:105], 1.0
	v_fma_f64 v[100:101], v[102:103], v[104:105], 1.0
	s_delay_alu instid0(VALU_DEP_1) | instskip(NEXT) | instid1(VALU_DEP_1)
	v_ldexp_f64 v[100:101], v[100:101], v106
	v_cndmask_b32_e64 v101, 0x7ff00000, v101, s22
	s_and_b32 s22, s23, s22
	s_delay_alu instid0(VALU_DEP_2) | instid1(SALU_CYCLE_1)
	v_cndmask_b32_e64 v98, 0, v100, s22
	s_delay_alu instid0(VALU_DEP_2) | instskip(NEXT) | instid1(VALU_DEP_1)
	v_cndmask_b32_e64 v99, 0, v101, s23
	v_fma_f64 v[96:97], -v[10:11], v[98:99], v[96:97]
	global_store_b64 v[8:9], v[96:97], off offset:2048
	s_or_b32 exec_lo, exec_lo, s24
	s_and_saveexec_b32 s23, s21
	s_cbranch_execz .LBB225_75
.LBB225_108:
	s_mov_b32 s24, 0x652b82fe
	s_mov_b32 s25, 0x3ff71547
	;; [unrolled: 1-line block ×3, first 2 shown]
	s_waitcnt vmcnt(0)
	v_mul_f64 v[96:97], v[94:95], s[24:25]
	s_mov_b32 s24, 0xfefa39ef
	s_mov_b32 s25, 0xbfe62e42
	;; [unrolled: 1-line block ×3, first 2 shown]
	v_cmp_nlt_f64_e64 s21, 0x40900000, v[94:95]
	v_cmp_ngt_f64_e64 s22, 0xc090cc00, v[94:95]
	s_delay_alu instid0(VALU_DEP_3) | instskip(NEXT) | instid1(VALU_DEP_1)
	v_rndne_f64_e32 v[96:97], v[96:97]
	v_fma_f64 v[98:99], v[96:97], s[24:25], v[94:95]
	s_mov_b32 s24, 0x3b39803f
	s_mov_b32 s25, 0xbc7abc9e
	v_cvt_i32_f64_e32 v102, v[96:97]
	s_delay_alu instid0(VALU_DEP_2)
	v_fma_f64 v[98:99], v[96:97], s[24:25], v[98:99]
	s_mov_b32 s24, 0xfca7ab0c
	s_mov_b32 s25, 0x3e928af3
	s_delay_alu instid0(VALU_DEP_1) | instid1(SALU_CYCLE_1)
	v_fma_f64 v[100:101], v[98:99], s[26:27], s[24:25]
	s_mov_b32 s24, 0x623fde64
	s_mov_b32 s25, 0x3ec71dee
	s_delay_alu instid0(VALU_DEP_1) | instid1(SALU_CYCLE_1)
	;; [unrolled: 4-line block ×9, first 2 shown]
	v_fma_f64 v[100:101], v[98:99], v[100:101], s[24:25]
	s_delay_alu instid0(VALU_DEP_1) | instskip(NEXT) | instid1(VALU_DEP_1)
	v_fma_f64 v[100:101], v[98:99], v[100:101], 1.0
	v_fma_f64 v[96:97], v[98:99], v[100:101], 1.0
	s_delay_alu instid0(VALU_DEP_1) | instskip(NEXT) | instid1(VALU_DEP_1)
	v_ldexp_f64 v[96:97], v[96:97], v102
	v_cndmask_b32_e64 v97, 0x7ff00000, v97, s21
	s_and_b32 s21, s22, s21
	s_delay_alu instid0(VALU_DEP_2) | instid1(SALU_CYCLE_1)
	v_cndmask_b32_e64 v94, 0, v96, s21
	s_delay_alu instid0(VALU_DEP_2) | instskip(NEXT) | instid1(VALU_DEP_1)
	v_cndmask_b32_e64 v95, 0, v97, s22
	v_fma_f64 v[92:93], -v[10:11], v[94:95], v[92:93]
	global_store_b64 v[8:9], v[92:93], off offset:2304
	s_or_b32 exec_lo, exec_lo, s23
	s_and_saveexec_b32 s22, s20
	s_cbranch_execz .LBB225_76
.LBB225_109:
	s_mov_b32 s20, 0x652b82fe
	s_mov_b32 s21, 0x3ff71547
	;; [unrolled: 1-line block ×3, first 2 shown]
	s_waitcnt vmcnt(0)
	v_mul_f64 v[92:93], v[90:91], s[20:21]
	s_mov_b32 s20, 0xfefa39ef
	s_mov_b32 s21, 0xbfe62e42
	;; [unrolled: 1-line block ×3, first 2 shown]
	s_delay_alu instid0(VALU_DEP_1) | instskip(NEXT) | instid1(VALU_DEP_1)
	v_rndne_f64_e32 v[92:93], v[92:93]
	v_fma_f64 v[94:95], v[92:93], s[20:21], v[90:91]
	s_mov_b32 s20, 0x3b39803f
	s_mov_b32 s21, 0xbc7abc9e
	v_cvt_i32_f64_e32 v98, v[92:93]
	s_delay_alu instid0(VALU_DEP_2)
	v_fma_f64 v[94:95], v[92:93], s[20:21], v[94:95]
	s_mov_b32 s20, 0xfca7ab0c
	s_mov_b32 s21, 0x3e928af3
	s_delay_alu instid0(VALU_DEP_1) | instid1(SALU_CYCLE_1)
	v_fma_f64 v[96:97], v[94:95], s[24:25], s[20:21]
	s_mov_b32 s20, 0x623fde64
	s_mov_b32 s21, 0x3ec71dee
	s_delay_alu instid0(VALU_DEP_1) | instid1(SALU_CYCLE_1)
	;; [unrolled: 4-line block ×9, first 2 shown]
	v_fma_f64 v[96:97], v[94:95], v[96:97], s[20:21]
	v_cmp_nlt_f64_e64 s20, 0x40900000, v[90:91]
	v_cmp_ngt_f64_e64 s21, 0xc090cc00, v[90:91]
	s_delay_alu instid0(VALU_DEP_3) | instskip(NEXT) | instid1(VALU_DEP_1)
	v_fma_f64 v[96:97], v[94:95], v[96:97], 1.0
	v_fma_f64 v[92:93], v[94:95], v[96:97], 1.0
	s_delay_alu instid0(VALU_DEP_1) | instskip(NEXT) | instid1(VALU_DEP_1)
	v_ldexp_f64 v[92:93], v[92:93], v98
	v_cndmask_b32_e64 v93, 0x7ff00000, v93, s20
	s_and_b32 s20, s21, s20
	s_delay_alu instid0(VALU_DEP_2) | instid1(SALU_CYCLE_1)
	v_cndmask_b32_e64 v90, 0, v92, s20
	s_delay_alu instid0(VALU_DEP_2) | instskip(NEXT) | instid1(VALU_DEP_1)
	v_cndmask_b32_e64 v91, 0, v93, s21
	v_fma_f64 v[88:89], -v[10:11], v[90:91], v[88:89]
	global_store_b64 v[8:9], v[88:89], off offset:2560
	s_or_b32 exec_lo, exec_lo, s22
	s_and_saveexec_b32 s21, s19
	s_cbranch_execz .LBB225_77
.LBB225_110:
	s_mov_b32 s22, 0x652b82fe
	s_mov_b32 s23, 0x3ff71547
	;; [unrolled: 1-line block ×3, first 2 shown]
	s_waitcnt vmcnt(0)
	v_mul_f64 v[88:89], v[86:87], s[22:23]
	s_mov_b32 s22, 0xfefa39ef
	s_mov_b32 s23, 0xbfe62e42
	;; [unrolled: 1-line block ×3, first 2 shown]
	v_cmp_nlt_f64_e64 s19, 0x40900000, v[86:87]
	v_cmp_ngt_f64_e64 s20, 0xc090cc00, v[86:87]
	s_delay_alu instid0(VALU_DEP_3) | instskip(NEXT) | instid1(VALU_DEP_1)
	v_rndne_f64_e32 v[88:89], v[88:89]
	v_fma_f64 v[90:91], v[88:89], s[22:23], v[86:87]
	s_mov_b32 s22, 0x3b39803f
	s_mov_b32 s23, 0xbc7abc9e
	v_cvt_i32_f64_e32 v94, v[88:89]
	s_delay_alu instid0(VALU_DEP_2)
	v_fma_f64 v[90:91], v[88:89], s[22:23], v[90:91]
	s_mov_b32 s22, 0xfca7ab0c
	s_mov_b32 s23, 0x3e928af3
	s_delay_alu instid0(VALU_DEP_1) | instid1(SALU_CYCLE_1)
	v_fma_f64 v[92:93], v[90:91], s[24:25], s[22:23]
	s_mov_b32 s22, 0x623fde64
	s_mov_b32 s23, 0x3ec71dee
	s_delay_alu instid0(VALU_DEP_1) | instid1(SALU_CYCLE_1)
	;; [unrolled: 4-line block ×9, first 2 shown]
	v_fma_f64 v[92:93], v[90:91], v[92:93], s[22:23]
	s_delay_alu instid0(VALU_DEP_1) | instskip(NEXT) | instid1(VALU_DEP_1)
	v_fma_f64 v[92:93], v[90:91], v[92:93], 1.0
	v_fma_f64 v[88:89], v[90:91], v[92:93], 1.0
	s_delay_alu instid0(VALU_DEP_1) | instskip(NEXT) | instid1(VALU_DEP_1)
	v_ldexp_f64 v[88:89], v[88:89], v94
	v_cndmask_b32_e64 v89, 0x7ff00000, v89, s19
	s_and_b32 s19, s20, s19
	s_delay_alu instid0(VALU_DEP_2) | instid1(SALU_CYCLE_1)
	v_cndmask_b32_e64 v86, 0, v88, s19
	s_delay_alu instid0(VALU_DEP_2) | instskip(NEXT) | instid1(VALU_DEP_1)
	v_cndmask_b32_e64 v87, 0, v89, s20
	v_fma_f64 v[84:85], -v[10:11], v[86:87], v[84:85]
	global_store_b64 v[8:9], v[84:85], off offset:2816
	s_or_b32 exec_lo, exec_lo, s21
	s_and_saveexec_b32 s20, s18
	s_cbranch_execz .LBB225_78
.LBB225_111:
	s_mov_b32 s18, 0x652b82fe
	s_mov_b32 s19, 0x3ff71547
	;; [unrolled: 1-line block ×3, first 2 shown]
	s_waitcnt vmcnt(0)
	v_mul_f64 v[84:85], v[82:83], s[18:19]
	s_mov_b32 s18, 0xfefa39ef
	s_mov_b32 s19, 0xbfe62e42
	;; [unrolled: 1-line block ×3, first 2 shown]
	s_delay_alu instid0(VALU_DEP_1) | instskip(NEXT) | instid1(VALU_DEP_1)
	v_rndne_f64_e32 v[84:85], v[84:85]
	v_fma_f64 v[86:87], v[84:85], s[18:19], v[82:83]
	s_mov_b32 s18, 0x3b39803f
	s_mov_b32 s19, 0xbc7abc9e
	v_cvt_i32_f64_e32 v90, v[84:85]
	s_delay_alu instid0(VALU_DEP_2)
	v_fma_f64 v[86:87], v[84:85], s[18:19], v[86:87]
	s_mov_b32 s18, 0xfca7ab0c
	s_mov_b32 s19, 0x3e928af3
	s_delay_alu instid0(VALU_DEP_1) | instid1(SALU_CYCLE_1)
	v_fma_f64 v[88:89], v[86:87], s[22:23], s[18:19]
	s_mov_b32 s18, 0x623fde64
	s_mov_b32 s19, 0x3ec71dee
	s_delay_alu instid0(VALU_DEP_1) | instid1(SALU_CYCLE_1)
	;; [unrolled: 4-line block ×9, first 2 shown]
	v_fma_f64 v[88:89], v[86:87], v[88:89], s[18:19]
	v_cmp_nlt_f64_e64 s18, 0x40900000, v[82:83]
	v_cmp_ngt_f64_e64 s19, 0xc090cc00, v[82:83]
	s_delay_alu instid0(VALU_DEP_3) | instskip(NEXT) | instid1(VALU_DEP_1)
	v_fma_f64 v[88:89], v[86:87], v[88:89], 1.0
	v_fma_f64 v[84:85], v[86:87], v[88:89], 1.0
	s_delay_alu instid0(VALU_DEP_1) | instskip(NEXT) | instid1(VALU_DEP_1)
	v_ldexp_f64 v[84:85], v[84:85], v90
	v_cndmask_b32_e64 v85, 0x7ff00000, v85, s18
	s_and_b32 s18, s19, s18
	s_delay_alu instid0(VALU_DEP_2) | instid1(SALU_CYCLE_1)
	v_cndmask_b32_e64 v82, 0, v84, s18
	s_delay_alu instid0(VALU_DEP_2) | instskip(NEXT) | instid1(VALU_DEP_1)
	v_cndmask_b32_e64 v83, 0, v85, s19
	v_fma_f64 v[80:81], -v[10:11], v[82:83], v[80:81]
	global_store_b64 v[8:9], v[80:81], off offset:3072
	s_or_b32 exec_lo, exec_lo, s20
	s_and_saveexec_b32 s19, s17
	s_cbranch_execz .LBB225_79
.LBB225_112:
	s_mov_b32 s20, 0x652b82fe
	s_mov_b32 s21, 0x3ff71547
	;; [unrolled: 1-line block ×3, first 2 shown]
	s_waitcnt vmcnt(0)
	v_mul_f64 v[80:81], v[78:79], s[20:21]
	s_mov_b32 s20, 0xfefa39ef
	s_mov_b32 s21, 0xbfe62e42
	;; [unrolled: 1-line block ×3, first 2 shown]
	v_cmp_nlt_f64_e64 s17, 0x40900000, v[78:79]
	v_cmp_ngt_f64_e64 s18, 0xc090cc00, v[78:79]
	s_delay_alu instid0(VALU_DEP_3) | instskip(NEXT) | instid1(VALU_DEP_1)
	v_rndne_f64_e32 v[80:81], v[80:81]
	v_fma_f64 v[82:83], v[80:81], s[20:21], v[78:79]
	s_mov_b32 s20, 0x3b39803f
	s_mov_b32 s21, 0xbc7abc9e
	v_cvt_i32_f64_e32 v86, v[80:81]
	s_delay_alu instid0(VALU_DEP_2)
	v_fma_f64 v[82:83], v[80:81], s[20:21], v[82:83]
	s_mov_b32 s20, 0xfca7ab0c
	s_mov_b32 s21, 0x3e928af3
	s_delay_alu instid0(VALU_DEP_1) | instid1(SALU_CYCLE_1)
	v_fma_f64 v[84:85], v[82:83], s[22:23], s[20:21]
	s_mov_b32 s20, 0x623fde64
	s_mov_b32 s21, 0x3ec71dee
	s_delay_alu instid0(VALU_DEP_1) | instid1(SALU_CYCLE_1)
	;; [unrolled: 4-line block ×9, first 2 shown]
	v_fma_f64 v[84:85], v[82:83], v[84:85], s[20:21]
	s_delay_alu instid0(VALU_DEP_1) | instskip(NEXT) | instid1(VALU_DEP_1)
	v_fma_f64 v[84:85], v[82:83], v[84:85], 1.0
	v_fma_f64 v[80:81], v[82:83], v[84:85], 1.0
	s_delay_alu instid0(VALU_DEP_1) | instskip(NEXT) | instid1(VALU_DEP_1)
	v_ldexp_f64 v[80:81], v[80:81], v86
	v_cndmask_b32_e64 v81, 0x7ff00000, v81, s17
	s_and_b32 s17, s18, s17
	s_delay_alu instid0(VALU_DEP_2) | instid1(SALU_CYCLE_1)
	v_cndmask_b32_e64 v78, 0, v80, s17
	s_delay_alu instid0(VALU_DEP_2) | instskip(NEXT) | instid1(VALU_DEP_1)
	v_cndmask_b32_e64 v79, 0, v81, s18
	v_fma_f64 v[76:77], -v[10:11], v[78:79], v[76:77]
	global_store_b64 v[8:9], v[76:77], off offset:3328
	s_or_b32 exec_lo, exec_lo, s19
	s_and_saveexec_b32 s18, s16
	s_cbranch_execz .LBB225_80
.LBB225_113:
	s_mov_b32 s16, 0x652b82fe
	s_mov_b32 s17, 0x3ff71547
	;; [unrolled: 1-line block ×3, first 2 shown]
	s_waitcnt vmcnt(0)
	v_mul_f64 v[76:77], v[74:75], s[16:17]
	s_mov_b32 s16, 0xfefa39ef
	s_mov_b32 s17, 0xbfe62e42
	;; [unrolled: 1-line block ×3, first 2 shown]
	s_delay_alu instid0(VALU_DEP_1) | instskip(NEXT) | instid1(VALU_DEP_1)
	v_rndne_f64_e32 v[76:77], v[76:77]
	v_fma_f64 v[78:79], v[76:77], s[16:17], v[74:75]
	s_mov_b32 s16, 0x3b39803f
	s_mov_b32 s17, 0xbc7abc9e
	v_cvt_i32_f64_e32 v82, v[76:77]
	s_delay_alu instid0(VALU_DEP_2)
	v_fma_f64 v[78:79], v[76:77], s[16:17], v[78:79]
	s_mov_b32 s16, 0xfca7ab0c
	s_mov_b32 s17, 0x3e928af3
	s_delay_alu instid0(VALU_DEP_1) | instid1(SALU_CYCLE_1)
	v_fma_f64 v[80:81], v[78:79], s[20:21], s[16:17]
	s_mov_b32 s16, 0x623fde64
	s_mov_b32 s17, 0x3ec71dee
	s_delay_alu instid0(VALU_DEP_1) | instid1(SALU_CYCLE_1)
	;; [unrolled: 4-line block ×9, first 2 shown]
	v_fma_f64 v[80:81], v[78:79], v[80:81], s[16:17]
	v_cmp_nlt_f64_e64 s16, 0x40900000, v[74:75]
	v_cmp_ngt_f64_e64 s17, 0xc090cc00, v[74:75]
	s_delay_alu instid0(VALU_DEP_3) | instskip(NEXT) | instid1(VALU_DEP_1)
	v_fma_f64 v[80:81], v[78:79], v[80:81], 1.0
	v_fma_f64 v[76:77], v[78:79], v[80:81], 1.0
	s_delay_alu instid0(VALU_DEP_1) | instskip(NEXT) | instid1(VALU_DEP_1)
	v_ldexp_f64 v[76:77], v[76:77], v82
	v_cndmask_b32_e64 v77, 0x7ff00000, v77, s16
	s_and_b32 s16, s17, s16
	s_delay_alu instid0(VALU_DEP_2) | instid1(SALU_CYCLE_1)
	v_cndmask_b32_e64 v74, 0, v76, s16
	s_delay_alu instid0(VALU_DEP_2) | instskip(NEXT) | instid1(VALU_DEP_1)
	v_cndmask_b32_e64 v75, 0, v77, s17
	v_fma_f64 v[72:73], -v[10:11], v[74:75], v[72:73]
	global_store_b64 v[8:9], v[72:73], off offset:3584
	s_or_b32 exec_lo, exec_lo, s18
	s_and_saveexec_b32 s17, s15
	s_cbranch_execz .LBB225_81
.LBB225_114:
	s_mov_b32 s18, 0x652b82fe
	s_mov_b32 s19, 0x3ff71547
	;; [unrolled: 1-line block ×3, first 2 shown]
	s_waitcnt vmcnt(0)
	v_mul_f64 v[72:73], v[70:71], s[18:19]
	s_mov_b32 s18, 0xfefa39ef
	s_mov_b32 s19, 0xbfe62e42
	s_mov_b32 s21, 0x3e5ade15
	v_cmp_nlt_f64_e64 s15, 0x40900000, v[70:71]
	v_cmp_ngt_f64_e64 s16, 0xc090cc00, v[70:71]
	s_delay_alu instid0(VALU_DEP_3) | instskip(NEXT) | instid1(VALU_DEP_1)
	v_rndne_f64_e32 v[72:73], v[72:73]
	v_fma_f64 v[74:75], v[72:73], s[18:19], v[70:71]
	s_mov_b32 s18, 0x3b39803f
	s_mov_b32 s19, 0xbc7abc9e
	v_cvt_i32_f64_e32 v78, v[72:73]
	s_delay_alu instid0(VALU_DEP_2)
	v_fma_f64 v[74:75], v[72:73], s[18:19], v[74:75]
	s_mov_b32 s18, 0xfca7ab0c
	s_mov_b32 s19, 0x3e928af3
	s_delay_alu instid0(VALU_DEP_1) | instid1(SALU_CYCLE_1)
	v_fma_f64 v[76:77], v[74:75], s[20:21], s[18:19]
	s_mov_b32 s18, 0x623fde64
	s_mov_b32 s19, 0x3ec71dee
	s_delay_alu instid0(VALU_DEP_1) | instid1(SALU_CYCLE_1)
	;; [unrolled: 4-line block ×9, first 2 shown]
	v_fma_f64 v[76:77], v[74:75], v[76:77], s[18:19]
	s_delay_alu instid0(VALU_DEP_1) | instskip(NEXT) | instid1(VALU_DEP_1)
	v_fma_f64 v[76:77], v[74:75], v[76:77], 1.0
	v_fma_f64 v[72:73], v[74:75], v[76:77], 1.0
	s_delay_alu instid0(VALU_DEP_1) | instskip(NEXT) | instid1(VALU_DEP_1)
	v_ldexp_f64 v[72:73], v[72:73], v78
	v_cndmask_b32_e64 v73, 0x7ff00000, v73, s15
	s_and_b32 s15, s16, s15
	s_delay_alu instid0(VALU_DEP_2) | instid1(SALU_CYCLE_1)
	v_cndmask_b32_e64 v70, 0, v72, s15
	s_delay_alu instid0(VALU_DEP_2) | instskip(NEXT) | instid1(VALU_DEP_1)
	v_cndmask_b32_e64 v71, 0, v73, s16
	v_fma_f64 v[68:69], -v[10:11], v[70:71], v[68:69]
	global_store_b64 v[8:9], v[68:69], off offset:3840
	s_or_b32 exec_lo, exec_lo, s17
	s_and_saveexec_b32 s16, s14
	s_cbranch_execz .LBB225_82
.LBB225_115:
	s_mov_b32 s14, 0x652b82fe
	s_mov_b32 s15, 0x3ff71547
	;; [unrolled: 1-line block ×3, first 2 shown]
	s_waitcnt vmcnt(0)
	v_mul_f64 v[68:69], v[66:67], s[14:15]
	s_mov_b32 s14, 0xfefa39ef
	s_mov_b32 s15, 0xbfe62e42
	;; [unrolled: 1-line block ×3, first 2 shown]
	s_delay_alu instid0(VALU_DEP_1) | instskip(NEXT) | instid1(VALU_DEP_1)
	v_rndne_f64_e32 v[68:69], v[68:69]
	v_fma_f64 v[70:71], v[68:69], s[14:15], v[66:67]
	s_mov_b32 s14, 0x3b39803f
	s_mov_b32 s15, 0xbc7abc9e
	v_cvt_i32_f64_e32 v74, v[68:69]
	s_delay_alu instid0(VALU_DEP_2)
	v_fma_f64 v[70:71], v[68:69], s[14:15], v[70:71]
	s_mov_b32 s14, 0xfca7ab0c
	s_mov_b32 s15, 0x3e928af3
	s_delay_alu instid0(VALU_DEP_1) | instid1(SALU_CYCLE_1)
	v_fma_f64 v[72:73], v[70:71], s[18:19], s[14:15]
	s_mov_b32 s14, 0x623fde64
	s_mov_b32 s15, 0x3ec71dee
	s_delay_alu instid0(VALU_DEP_1) | instid1(SALU_CYCLE_1)
	;; [unrolled: 4-line block ×9, first 2 shown]
	v_fma_f64 v[72:73], v[70:71], v[72:73], s[14:15]
	v_cmp_nlt_f64_e64 s14, 0x40900000, v[66:67]
	v_cmp_ngt_f64_e64 s15, 0xc090cc00, v[66:67]
	s_delay_alu instid0(VALU_DEP_3) | instskip(NEXT) | instid1(VALU_DEP_1)
	v_fma_f64 v[72:73], v[70:71], v[72:73], 1.0
	v_fma_f64 v[68:69], v[70:71], v[72:73], 1.0
	s_delay_alu instid0(VALU_DEP_1) | instskip(NEXT) | instid1(VALU_DEP_1)
	v_ldexp_f64 v[68:69], v[68:69], v74
	v_cndmask_b32_e64 v69, 0x7ff00000, v69, s14
	s_and_b32 s14, s15, s14
	s_delay_alu instid0(VALU_DEP_2) | instid1(SALU_CYCLE_1)
	v_cndmask_b32_e64 v66, 0, v68, s14
	s_delay_alu instid0(VALU_DEP_2) | instskip(NEXT) | instid1(VALU_DEP_1)
	v_cndmask_b32_e64 v67, 0, v69, s15
	v_fma_f64 v[64:65], -v[10:11], v[66:67], v[64:65]
	v_add_co_u32 v66, s14, 0x1000, v8
	s_delay_alu instid0(VALU_DEP_1)
	v_add_co_ci_u32_e64 v67, s14, 0, v9, s14
	global_store_b64 v[66:67], v[64:65], off
	s_or_b32 exec_lo, exec_lo, s16
	s_and_saveexec_b32 s15, s13
	s_cbranch_execz .LBB225_83
.LBB225_116:
	s_mov_b32 s16, 0x652b82fe
	s_mov_b32 s17, 0x3ff71547
	s_mov_b32 s18, 0x6a5dcb37
	s_waitcnt vmcnt(0)
	v_mul_f64 v[64:65], v[62:63], s[16:17]
	s_mov_b32 s16, 0xfefa39ef
	s_mov_b32 s17, 0xbfe62e42
	;; [unrolled: 1-line block ×3, first 2 shown]
	v_cmp_nlt_f64_e64 s13, 0x40900000, v[62:63]
	v_cmp_ngt_f64_e64 s14, 0xc090cc00, v[62:63]
	s_delay_alu instid0(VALU_DEP_3) | instskip(NEXT) | instid1(VALU_DEP_1)
	v_rndne_f64_e32 v[64:65], v[64:65]
	v_fma_f64 v[66:67], v[64:65], s[16:17], v[62:63]
	s_mov_b32 s16, 0x3b39803f
	s_mov_b32 s17, 0xbc7abc9e
	v_cvt_i32_f64_e32 v70, v[64:65]
	s_delay_alu instid0(VALU_DEP_2)
	v_fma_f64 v[66:67], v[64:65], s[16:17], v[66:67]
	s_mov_b32 s16, 0xfca7ab0c
	s_mov_b32 s17, 0x3e928af3
	s_delay_alu instid0(VALU_DEP_1) | instid1(SALU_CYCLE_1)
	v_fma_f64 v[68:69], v[66:67], s[18:19], s[16:17]
	s_mov_b32 s16, 0x623fde64
	s_mov_b32 s17, 0x3ec71dee
	s_delay_alu instid0(VALU_DEP_1) | instid1(SALU_CYCLE_1)
	;; [unrolled: 4-line block ×9, first 2 shown]
	v_fma_f64 v[68:69], v[66:67], v[68:69], s[16:17]
	s_delay_alu instid0(VALU_DEP_1) | instskip(NEXT) | instid1(VALU_DEP_1)
	v_fma_f64 v[68:69], v[66:67], v[68:69], 1.0
	v_fma_f64 v[64:65], v[66:67], v[68:69], 1.0
	s_delay_alu instid0(VALU_DEP_1) | instskip(NEXT) | instid1(VALU_DEP_1)
	v_ldexp_f64 v[64:65], v[64:65], v70
	v_cndmask_b32_e64 v65, 0x7ff00000, v65, s13
	s_and_b32 s13, s14, s13
	s_delay_alu instid0(VALU_DEP_2) | instid1(SALU_CYCLE_1)
	v_cndmask_b32_e64 v62, 0, v64, s13
	s_delay_alu instid0(VALU_DEP_2) | instskip(NEXT) | instid1(VALU_DEP_1)
	v_cndmask_b32_e64 v63, 0, v65, s14
	v_fma_f64 v[60:61], -v[10:11], v[62:63], v[60:61]
	v_add_co_u32 v62, s13, 0x1000, v8
	s_delay_alu instid0(VALU_DEP_1)
	v_add_co_ci_u32_e64 v63, s13, 0, v9, s13
	global_store_b64 v[62:63], v[60:61], off offset:256
	s_or_b32 exec_lo, exec_lo, s15
	s_and_saveexec_b32 s14, s12
	s_cbranch_execz .LBB225_84
.LBB225_117:
	s_mov_b32 s12, 0x652b82fe
	s_mov_b32 s13, 0x3ff71547
	;; [unrolled: 1-line block ×3, first 2 shown]
	s_waitcnt vmcnt(0)
	v_mul_f64 v[60:61], v[58:59], s[12:13]
	s_mov_b32 s12, 0xfefa39ef
	s_mov_b32 s13, 0xbfe62e42
	s_mov_b32 s17, 0x3e5ade15
	s_delay_alu instid0(VALU_DEP_1) | instskip(NEXT) | instid1(VALU_DEP_1)
	v_rndne_f64_e32 v[60:61], v[60:61]
	v_fma_f64 v[62:63], v[60:61], s[12:13], v[58:59]
	s_mov_b32 s12, 0x3b39803f
	s_mov_b32 s13, 0xbc7abc9e
	v_cvt_i32_f64_e32 v66, v[60:61]
	s_delay_alu instid0(VALU_DEP_2)
	v_fma_f64 v[62:63], v[60:61], s[12:13], v[62:63]
	s_mov_b32 s12, 0xfca7ab0c
	s_mov_b32 s13, 0x3e928af3
	s_delay_alu instid0(VALU_DEP_1) | instid1(SALU_CYCLE_1)
	v_fma_f64 v[64:65], v[62:63], s[16:17], s[12:13]
	s_mov_b32 s12, 0x623fde64
	s_mov_b32 s13, 0x3ec71dee
	s_delay_alu instid0(VALU_DEP_1) | instid1(SALU_CYCLE_1)
	;; [unrolled: 4-line block ×9, first 2 shown]
	v_fma_f64 v[64:65], v[62:63], v[64:65], s[12:13]
	v_cmp_nlt_f64_e64 s12, 0x40900000, v[58:59]
	v_cmp_ngt_f64_e64 s13, 0xc090cc00, v[58:59]
	s_delay_alu instid0(VALU_DEP_3) | instskip(NEXT) | instid1(VALU_DEP_1)
	v_fma_f64 v[64:65], v[62:63], v[64:65], 1.0
	v_fma_f64 v[60:61], v[62:63], v[64:65], 1.0
	s_delay_alu instid0(VALU_DEP_1) | instskip(NEXT) | instid1(VALU_DEP_1)
	v_ldexp_f64 v[60:61], v[60:61], v66
	v_cndmask_b32_e64 v61, 0x7ff00000, v61, s12
	s_and_b32 s12, s13, s12
	s_delay_alu instid0(VALU_DEP_2) | instid1(SALU_CYCLE_1)
	v_cndmask_b32_e64 v58, 0, v60, s12
	s_delay_alu instid0(VALU_DEP_2) | instskip(NEXT) | instid1(VALU_DEP_1)
	v_cndmask_b32_e64 v59, 0, v61, s13
	v_fma_f64 v[56:57], -v[10:11], v[58:59], v[56:57]
	v_add_co_u32 v58, s12, 0x1000, v8
	s_delay_alu instid0(VALU_DEP_1)
	v_add_co_ci_u32_e64 v59, s12, 0, v9, s12
	global_store_b64 v[58:59], v[56:57], off offset:512
	s_or_b32 exec_lo, exec_lo, s14
	s_and_saveexec_b32 s13, s11
	s_cbranch_execz .LBB225_85
.LBB225_118:
	s_mov_b32 s14, 0x652b82fe
	s_mov_b32 s15, 0x3ff71547
	;; [unrolled: 1-line block ×3, first 2 shown]
	s_waitcnt vmcnt(0)
	v_mul_f64 v[56:57], v[54:55], s[14:15]
	s_mov_b32 s14, 0xfefa39ef
	s_mov_b32 s15, 0xbfe62e42
	;; [unrolled: 1-line block ×3, first 2 shown]
	v_cmp_nlt_f64_e64 s11, 0x40900000, v[54:55]
	v_cmp_ngt_f64_e64 s12, 0xc090cc00, v[54:55]
	s_delay_alu instid0(VALU_DEP_3) | instskip(NEXT) | instid1(VALU_DEP_1)
	v_rndne_f64_e32 v[56:57], v[56:57]
	v_fma_f64 v[58:59], v[56:57], s[14:15], v[54:55]
	s_mov_b32 s14, 0x3b39803f
	s_mov_b32 s15, 0xbc7abc9e
	v_cvt_i32_f64_e32 v62, v[56:57]
	s_delay_alu instid0(VALU_DEP_2)
	v_fma_f64 v[58:59], v[56:57], s[14:15], v[58:59]
	s_mov_b32 s14, 0xfca7ab0c
	s_mov_b32 s15, 0x3e928af3
	s_delay_alu instid0(VALU_DEP_1) | instid1(SALU_CYCLE_1)
	v_fma_f64 v[60:61], v[58:59], s[16:17], s[14:15]
	s_mov_b32 s14, 0x623fde64
	s_mov_b32 s15, 0x3ec71dee
	s_delay_alu instid0(VALU_DEP_1) | instid1(SALU_CYCLE_1)
	;; [unrolled: 4-line block ×9, first 2 shown]
	v_fma_f64 v[60:61], v[58:59], v[60:61], s[14:15]
	s_delay_alu instid0(VALU_DEP_1) | instskip(NEXT) | instid1(VALU_DEP_1)
	v_fma_f64 v[60:61], v[58:59], v[60:61], 1.0
	v_fma_f64 v[56:57], v[58:59], v[60:61], 1.0
	s_delay_alu instid0(VALU_DEP_1) | instskip(NEXT) | instid1(VALU_DEP_1)
	v_ldexp_f64 v[56:57], v[56:57], v62
	v_cndmask_b32_e64 v57, 0x7ff00000, v57, s11
	s_and_b32 s11, s12, s11
	s_delay_alu instid0(VALU_DEP_2) | instid1(SALU_CYCLE_1)
	v_cndmask_b32_e64 v54, 0, v56, s11
	s_delay_alu instid0(VALU_DEP_2) | instskip(NEXT) | instid1(VALU_DEP_1)
	v_cndmask_b32_e64 v55, 0, v57, s12
	v_fma_f64 v[52:53], -v[10:11], v[54:55], v[52:53]
	v_add_co_u32 v54, s11, 0x1000, v8
	s_delay_alu instid0(VALU_DEP_1)
	v_add_co_ci_u32_e64 v55, s11, 0, v9, s11
	global_store_b64 v[54:55], v[52:53], off offset:768
	s_or_b32 exec_lo, exec_lo, s13
	s_and_saveexec_b32 s12, s10
	s_cbranch_execz .LBB225_86
.LBB225_119:
	s_mov_b32 s10, 0x652b82fe
	s_mov_b32 s11, 0x3ff71547
	;; [unrolled: 1-line block ×3, first 2 shown]
	s_waitcnt vmcnt(0)
	v_mul_f64 v[52:53], v[50:51], s[10:11]
	s_mov_b32 s10, 0xfefa39ef
	s_mov_b32 s11, 0xbfe62e42
	;; [unrolled: 1-line block ×3, first 2 shown]
	s_delay_alu instid0(VALU_DEP_1) | instskip(NEXT) | instid1(VALU_DEP_1)
	v_rndne_f64_e32 v[52:53], v[52:53]
	v_fma_f64 v[54:55], v[52:53], s[10:11], v[50:51]
	s_mov_b32 s10, 0x3b39803f
	s_mov_b32 s11, 0xbc7abc9e
	v_cvt_i32_f64_e32 v58, v[52:53]
	s_delay_alu instid0(VALU_DEP_2)
	v_fma_f64 v[54:55], v[52:53], s[10:11], v[54:55]
	s_mov_b32 s10, 0xfca7ab0c
	s_mov_b32 s11, 0x3e928af3
	s_delay_alu instid0(VALU_DEP_1) | instid1(SALU_CYCLE_1)
	v_fma_f64 v[56:57], v[54:55], s[14:15], s[10:11]
	s_mov_b32 s10, 0x623fde64
	s_mov_b32 s11, 0x3ec71dee
	s_delay_alu instid0(VALU_DEP_1) | instid1(SALU_CYCLE_1)
	;; [unrolled: 4-line block ×9, first 2 shown]
	v_fma_f64 v[56:57], v[54:55], v[56:57], s[10:11]
	v_cmp_nlt_f64_e64 s10, 0x40900000, v[50:51]
	v_cmp_ngt_f64_e64 s11, 0xc090cc00, v[50:51]
	s_delay_alu instid0(VALU_DEP_3) | instskip(NEXT) | instid1(VALU_DEP_1)
	v_fma_f64 v[56:57], v[54:55], v[56:57], 1.0
	v_fma_f64 v[52:53], v[54:55], v[56:57], 1.0
	s_delay_alu instid0(VALU_DEP_1) | instskip(NEXT) | instid1(VALU_DEP_1)
	v_ldexp_f64 v[52:53], v[52:53], v58
	v_cndmask_b32_e64 v53, 0x7ff00000, v53, s10
	s_and_b32 s10, s11, s10
	s_delay_alu instid0(VALU_DEP_2) | instid1(SALU_CYCLE_1)
	v_cndmask_b32_e64 v50, 0, v52, s10
	s_delay_alu instid0(VALU_DEP_2) | instskip(NEXT) | instid1(VALU_DEP_1)
	v_cndmask_b32_e64 v51, 0, v53, s11
	v_fma_f64 v[48:49], -v[10:11], v[50:51], v[48:49]
	v_add_co_u32 v50, s10, 0x1000, v8
	s_delay_alu instid0(VALU_DEP_1)
	v_add_co_ci_u32_e64 v51, s10, 0, v9, s10
	global_store_b64 v[50:51], v[48:49], off offset:1024
	s_or_b32 exec_lo, exec_lo, s12
	s_and_saveexec_b32 s11, s9
	s_cbranch_execz .LBB225_87
.LBB225_120:
	s_mov_b32 s12, 0x652b82fe
	s_mov_b32 s13, 0x3ff71547
	;; [unrolled: 1-line block ×3, first 2 shown]
	s_waitcnt vmcnt(0)
	v_mul_f64 v[48:49], v[46:47], s[12:13]
	s_mov_b32 s12, 0xfefa39ef
	s_mov_b32 s13, 0xbfe62e42
	;; [unrolled: 1-line block ×3, first 2 shown]
	v_cmp_nlt_f64_e64 s9, 0x40900000, v[46:47]
	v_cmp_ngt_f64_e64 s10, 0xc090cc00, v[46:47]
	s_delay_alu instid0(VALU_DEP_3) | instskip(NEXT) | instid1(VALU_DEP_1)
	v_rndne_f64_e32 v[48:49], v[48:49]
	v_fma_f64 v[50:51], v[48:49], s[12:13], v[46:47]
	s_mov_b32 s12, 0x3b39803f
	s_mov_b32 s13, 0xbc7abc9e
	v_cvt_i32_f64_e32 v54, v[48:49]
	s_delay_alu instid0(VALU_DEP_2)
	v_fma_f64 v[50:51], v[48:49], s[12:13], v[50:51]
	s_mov_b32 s12, 0xfca7ab0c
	s_mov_b32 s13, 0x3e928af3
	s_delay_alu instid0(VALU_DEP_1) | instid1(SALU_CYCLE_1)
	v_fma_f64 v[52:53], v[50:51], s[14:15], s[12:13]
	s_mov_b32 s12, 0x623fde64
	s_mov_b32 s13, 0x3ec71dee
	s_delay_alu instid0(VALU_DEP_1) | instid1(SALU_CYCLE_1)
	;; [unrolled: 4-line block ×9, first 2 shown]
	v_fma_f64 v[52:53], v[50:51], v[52:53], s[12:13]
	s_delay_alu instid0(VALU_DEP_1) | instskip(NEXT) | instid1(VALU_DEP_1)
	v_fma_f64 v[52:53], v[50:51], v[52:53], 1.0
	v_fma_f64 v[48:49], v[50:51], v[52:53], 1.0
	s_delay_alu instid0(VALU_DEP_1) | instskip(NEXT) | instid1(VALU_DEP_1)
	v_ldexp_f64 v[48:49], v[48:49], v54
	v_cndmask_b32_e64 v49, 0x7ff00000, v49, s9
	s_and_b32 s9, s10, s9
	s_delay_alu instid0(VALU_DEP_2) | instid1(SALU_CYCLE_1)
	v_cndmask_b32_e64 v46, 0, v48, s9
	s_delay_alu instid0(VALU_DEP_2) | instskip(NEXT) | instid1(VALU_DEP_1)
	v_cndmask_b32_e64 v47, 0, v49, s10
	v_fma_f64 v[44:45], -v[10:11], v[46:47], v[44:45]
	v_add_co_u32 v46, s9, 0x1000, v8
	s_delay_alu instid0(VALU_DEP_1)
	v_add_co_ci_u32_e64 v47, s9, 0, v9, s9
	global_store_b64 v[46:47], v[44:45], off offset:1280
	s_or_b32 exec_lo, exec_lo, s11
	s_and_saveexec_b32 s10, s8
	s_cbranch_execz .LBB225_88
.LBB225_121:
	s_mov_b32 s8, 0x652b82fe
	s_mov_b32 s9, 0x3ff71547
	;; [unrolled: 1-line block ×3, first 2 shown]
	s_waitcnt vmcnt(0)
	v_mul_f64 v[44:45], v[42:43], s[8:9]
	s_mov_b32 s8, 0xfefa39ef
	s_mov_b32 s9, 0xbfe62e42
	;; [unrolled: 1-line block ×3, first 2 shown]
	s_delay_alu instid0(VALU_DEP_1) | instskip(NEXT) | instid1(VALU_DEP_1)
	v_rndne_f64_e32 v[44:45], v[44:45]
	v_fma_f64 v[46:47], v[44:45], s[8:9], v[42:43]
	s_mov_b32 s8, 0x3b39803f
	s_mov_b32 s9, 0xbc7abc9e
	v_cvt_i32_f64_e32 v50, v[44:45]
	s_delay_alu instid0(VALU_DEP_2)
	v_fma_f64 v[46:47], v[44:45], s[8:9], v[46:47]
	s_mov_b32 s8, 0xfca7ab0c
	s_mov_b32 s9, 0x3e928af3
	s_delay_alu instid0(VALU_DEP_1) | instid1(SALU_CYCLE_1)
	v_fma_f64 v[48:49], v[46:47], s[12:13], s[8:9]
	s_mov_b32 s8, 0x623fde64
	s_mov_b32 s9, 0x3ec71dee
	s_delay_alu instid0(VALU_DEP_1) | instid1(SALU_CYCLE_1)
	;; [unrolled: 4-line block ×9, first 2 shown]
	v_fma_f64 v[48:49], v[46:47], v[48:49], s[8:9]
	v_cmp_nlt_f64_e64 s8, 0x40900000, v[42:43]
	v_cmp_ngt_f64_e64 s9, 0xc090cc00, v[42:43]
	s_delay_alu instid0(VALU_DEP_3) | instskip(NEXT) | instid1(VALU_DEP_1)
	v_fma_f64 v[48:49], v[46:47], v[48:49], 1.0
	v_fma_f64 v[44:45], v[46:47], v[48:49], 1.0
	s_delay_alu instid0(VALU_DEP_1) | instskip(NEXT) | instid1(VALU_DEP_1)
	v_ldexp_f64 v[44:45], v[44:45], v50
	v_cndmask_b32_e64 v45, 0x7ff00000, v45, s8
	s_and_b32 s8, s9, s8
	s_delay_alu instid0(VALU_DEP_2) | instid1(SALU_CYCLE_1)
	v_cndmask_b32_e64 v42, 0, v44, s8
	s_delay_alu instid0(VALU_DEP_2) | instskip(NEXT) | instid1(VALU_DEP_1)
	v_cndmask_b32_e64 v43, 0, v45, s9
	v_fma_f64 v[40:41], -v[10:11], v[42:43], v[40:41]
	v_add_co_u32 v42, s8, 0x1000, v8
	s_delay_alu instid0(VALU_DEP_1)
	v_add_co_ci_u32_e64 v43, s8, 0, v9, s8
	global_store_b64 v[42:43], v[40:41], off offset:1536
	s_or_b32 exec_lo, exec_lo, s10
	s_and_saveexec_b32 s9, s7
	s_cbranch_execz .LBB225_89
.LBB225_122:
	s_mov_b32 s10, 0x652b82fe
	s_mov_b32 s11, 0x3ff71547
	;; [unrolled: 1-line block ×3, first 2 shown]
	s_waitcnt vmcnt(0)
	v_mul_f64 v[40:41], v[38:39], s[10:11]
	s_mov_b32 s10, 0xfefa39ef
	s_mov_b32 s11, 0xbfe62e42
	;; [unrolled: 1-line block ×3, first 2 shown]
	v_cmp_nlt_f64_e64 s7, 0x40900000, v[38:39]
	v_cmp_ngt_f64_e64 s8, 0xc090cc00, v[38:39]
	s_delay_alu instid0(VALU_DEP_3) | instskip(NEXT) | instid1(VALU_DEP_1)
	v_rndne_f64_e32 v[40:41], v[40:41]
	v_fma_f64 v[42:43], v[40:41], s[10:11], v[38:39]
	s_mov_b32 s10, 0x3b39803f
	s_mov_b32 s11, 0xbc7abc9e
	v_cvt_i32_f64_e32 v46, v[40:41]
	s_delay_alu instid0(VALU_DEP_2)
	v_fma_f64 v[42:43], v[40:41], s[10:11], v[42:43]
	s_mov_b32 s10, 0xfca7ab0c
	s_mov_b32 s11, 0x3e928af3
	s_delay_alu instid0(VALU_DEP_1) | instid1(SALU_CYCLE_1)
	v_fma_f64 v[44:45], v[42:43], s[12:13], s[10:11]
	s_mov_b32 s10, 0x623fde64
	s_mov_b32 s11, 0x3ec71dee
	s_delay_alu instid0(VALU_DEP_1) | instid1(SALU_CYCLE_1)
	v_fma_f64 v[44:45], v[42:43], v[44:45], s[10:11]
	s_mov_b32 s10, 0x7c89e6b0
	s_mov_b32 s11, 0x3efa0199
	s_delay_alu instid0(VALU_DEP_1) | instid1(SALU_CYCLE_1)
	v_fma_f64 v[44:45], v[42:43], v[44:45], s[10:11]
	s_mov_b32 s10, 0x14761f6e
	s_mov_b32 s11, 0x3f2a01a0
	s_delay_alu instid0(VALU_DEP_1) | instid1(SALU_CYCLE_1)
	v_fma_f64 v[44:45], v[42:43], v[44:45], s[10:11]
	s_mov_b32 s10, 0x1852b7b0
	s_mov_b32 s11, 0x3f56c16c
	s_delay_alu instid0(VALU_DEP_1) | instid1(SALU_CYCLE_1)
	v_fma_f64 v[44:45], v[42:43], v[44:45], s[10:11]
	s_mov_b32 s10, 0x11122322
	s_mov_b32 s11, 0x3f811111
	s_delay_alu instid0(VALU_DEP_1) | instid1(SALU_CYCLE_1)
	v_fma_f64 v[44:45], v[42:43], v[44:45], s[10:11]
	s_mov_b32 s10, 0x555502a1
	s_mov_b32 s11, 0x3fa55555
	s_delay_alu instid0(VALU_DEP_1) | instid1(SALU_CYCLE_1)
	v_fma_f64 v[44:45], v[42:43], v[44:45], s[10:11]
	s_mov_b32 s10, 0x55555511
	s_mov_b32 s11, 0x3fc55555
	s_delay_alu instid0(VALU_DEP_1) | instid1(SALU_CYCLE_1)
	v_fma_f64 v[44:45], v[42:43], v[44:45], s[10:11]
	s_mov_b32 s10, 11
	s_mov_b32 s11, 0x3fe00000
	s_delay_alu instid0(VALU_DEP_1) | instid1(SALU_CYCLE_1)
	v_fma_f64 v[44:45], v[42:43], v[44:45], s[10:11]
	s_delay_alu instid0(VALU_DEP_1) | instskip(NEXT) | instid1(VALU_DEP_1)
	v_fma_f64 v[44:45], v[42:43], v[44:45], 1.0
	v_fma_f64 v[40:41], v[42:43], v[44:45], 1.0
	s_delay_alu instid0(VALU_DEP_1) | instskip(NEXT) | instid1(VALU_DEP_1)
	v_ldexp_f64 v[40:41], v[40:41], v46
	v_cndmask_b32_e64 v41, 0x7ff00000, v41, s7
	s_and_b32 s7, s8, s7
	s_delay_alu instid0(VALU_DEP_2) | instid1(SALU_CYCLE_1)
	v_cndmask_b32_e64 v38, 0, v40, s7
	s_delay_alu instid0(VALU_DEP_2) | instskip(NEXT) | instid1(VALU_DEP_1)
	v_cndmask_b32_e64 v39, 0, v41, s8
	v_fma_f64 v[36:37], -v[10:11], v[38:39], v[36:37]
	v_add_co_u32 v38, s7, 0x1000, v8
	s_delay_alu instid0(VALU_DEP_1)
	v_add_co_ci_u32_e64 v39, s7, 0, v9, s7
	global_store_b64 v[38:39], v[36:37], off offset:1792
	s_or_b32 exec_lo, exec_lo, s9
	s_and_saveexec_b32 s8, s6
	s_cbranch_execz .LBB225_90
.LBB225_123:
	s_mov_b32 s6, 0x652b82fe
	s_mov_b32 s7, 0x3ff71547
	;; [unrolled: 1-line block ×3, first 2 shown]
	s_waitcnt vmcnt(0)
	v_mul_f64 v[36:37], v[34:35], s[6:7]
	s_mov_b32 s6, 0xfefa39ef
	s_mov_b32 s7, 0xbfe62e42
	;; [unrolled: 1-line block ×3, first 2 shown]
	s_delay_alu instid0(VALU_DEP_1) | instskip(NEXT) | instid1(VALU_DEP_1)
	v_rndne_f64_e32 v[36:37], v[36:37]
	v_fma_f64 v[38:39], v[36:37], s[6:7], v[34:35]
	s_mov_b32 s6, 0x3b39803f
	s_mov_b32 s7, 0xbc7abc9e
	v_cvt_i32_f64_e32 v42, v[36:37]
	s_delay_alu instid0(VALU_DEP_2)
	v_fma_f64 v[38:39], v[36:37], s[6:7], v[38:39]
	s_mov_b32 s6, 0xfca7ab0c
	s_mov_b32 s7, 0x3e928af3
	s_delay_alu instid0(VALU_DEP_1) | instid1(SALU_CYCLE_1)
	v_fma_f64 v[40:41], v[38:39], s[10:11], s[6:7]
	s_mov_b32 s6, 0x623fde64
	s_mov_b32 s7, 0x3ec71dee
	s_delay_alu instid0(VALU_DEP_1) | instid1(SALU_CYCLE_1)
	;; [unrolled: 4-line block ×9, first 2 shown]
	v_fma_f64 v[40:41], v[38:39], v[40:41], s[6:7]
	v_cmp_nlt_f64_e64 s6, 0x40900000, v[34:35]
	v_cmp_ngt_f64_e64 s7, 0xc090cc00, v[34:35]
	s_delay_alu instid0(VALU_DEP_3) | instskip(NEXT) | instid1(VALU_DEP_1)
	v_fma_f64 v[40:41], v[38:39], v[40:41], 1.0
	v_fma_f64 v[36:37], v[38:39], v[40:41], 1.0
	s_delay_alu instid0(VALU_DEP_1) | instskip(NEXT) | instid1(VALU_DEP_1)
	v_ldexp_f64 v[36:37], v[36:37], v42
	v_cndmask_b32_e64 v37, 0x7ff00000, v37, s6
	s_and_b32 s6, s7, s6
	s_delay_alu instid0(VALU_DEP_2) | instid1(SALU_CYCLE_1)
	v_cndmask_b32_e64 v34, 0, v36, s6
	s_delay_alu instid0(VALU_DEP_2) | instskip(NEXT) | instid1(VALU_DEP_1)
	v_cndmask_b32_e64 v35, 0, v37, s7
	v_fma_f64 v[32:33], -v[10:11], v[34:35], v[32:33]
	v_add_co_u32 v34, s6, 0x1000, v8
	s_delay_alu instid0(VALU_DEP_1)
	v_add_co_ci_u32_e64 v35, s6, 0, v9, s6
	global_store_b64 v[34:35], v[32:33], off offset:2048
	s_or_b32 exec_lo, exec_lo, s8
	s_and_saveexec_b32 s7, s5
	s_cbranch_execz .LBB225_91
.LBB225_124:
	s_mov_b32 s8, 0x652b82fe
	s_mov_b32 s9, 0x3ff71547
	;; [unrolled: 1-line block ×3, first 2 shown]
	s_waitcnt vmcnt(0)
	v_mul_f64 v[32:33], v[30:31], s[8:9]
	s_mov_b32 s8, 0xfefa39ef
	s_mov_b32 s9, 0xbfe62e42
	s_mov_b32 s11, 0x3e5ade15
	v_cmp_nlt_f64_e64 s5, 0x40900000, v[30:31]
	v_cmp_ngt_f64_e64 s6, 0xc090cc00, v[30:31]
	s_delay_alu instid0(VALU_DEP_3) | instskip(NEXT) | instid1(VALU_DEP_1)
	v_rndne_f64_e32 v[32:33], v[32:33]
	v_fma_f64 v[34:35], v[32:33], s[8:9], v[30:31]
	s_mov_b32 s8, 0x3b39803f
	s_mov_b32 s9, 0xbc7abc9e
	v_cvt_i32_f64_e32 v38, v[32:33]
	s_delay_alu instid0(VALU_DEP_2)
	v_fma_f64 v[34:35], v[32:33], s[8:9], v[34:35]
	s_mov_b32 s8, 0xfca7ab0c
	s_mov_b32 s9, 0x3e928af3
	s_delay_alu instid0(VALU_DEP_1) | instid1(SALU_CYCLE_1)
	v_fma_f64 v[36:37], v[34:35], s[10:11], s[8:9]
	s_mov_b32 s8, 0x623fde64
	s_mov_b32 s9, 0x3ec71dee
	s_delay_alu instid0(VALU_DEP_1) | instid1(SALU_CYCLE_1)
	;; [unrolled: 4-line block ×9, first 2 shown]
	v_fma_f64 v[36:37], v[34:35], v[36:37], s[8:9]
	s_delay_alu instid0(VALU_DEP_1) | instskip(NEXT) | instid1(VALU_DEP_1)
	v_fma_f64 v[36:37], v[34:35], v[36:37], 1.0
	v_fma_f64 v[32:33], v[34:35], v[36:37], 1.0
	s_delay_alu instid0(VALU_DEP_1) | instskip(NEXT) | instid1(VALU_DEP_1)
	v_ldexp_f64 v[32:33], v[32:33], v38
	v_cndmask_b32_e64 v33, 0x7ff00000, v33, s5
	s_and_b32 s5, s6, s5
	s_delay_alu instid0(VALU_DEP_2) | instid1(SALU_CYCLE_1)
	v_cndmask_b32_e64 v30, 0, v32, s5
	s_delay_alu instid0(VALU_DEP_2) | instskip(NEXT) | instid1(VALU_DEP_1)
	v_cndmask_b32_e64 v31, 0, v33, s6
	v_fma_f64 v[28:29], -v[10:11], v[30:31], v[28:29]
	v_add_co_u32 v30, s5, 0x1000, v8
	s_delay_alu instid0(VALU_DEP_1)
	v_add_co_ci_u32_e64 v31, s5, 0, v9, s5
	global_store_b64 v[30:31], v[28:29], off offset:2304
	s_or_b32 exec_lo, exec_lo, s7
	s_and_saveexec_b32 s6, s4
	s_cbranch_execz .LBB225_92
.LBB225_125:
	s_mov_b32 s4, 0x652b82fe
	s_mov_b32 s5, 0x3ff71547
	;; [unrolled: 1-line block ×3, first 2 shown]
	s_waitcnt vmcnt(0)
	v_mul_f64 v[28:29], v[26:27], s[4:5]
	s_mov_b32 s4, 0xfefa39ef
	s_mov_b32 s5, 0xbfe62e42
	;; [unrolled: 1-line block ×3, first 2 shown]
	s_delay_alu instid0(VALU_DEP_1) | instskip(NEXT) | instid1(VALU_DEP_1)
	v_rndne_f64_e32 v[28:29], v[28:29]
	v_fma_f64 v[30:31], v[28:29], s[4:5], v[26:27]
	s_mov_b32 s4, 0x3b39803f
	s_mov_b32 s5, 0xbc7abc9e
	v_cvt_i32_f64_e32 v34, v[28:29]
	s_delay_alu instid0(VALU_DEP_2)
	v_fma_f64 v[30:31], v[28:29], s[4:5], v[30:31]
	s_mov_b32 s4, 0xfca7ab0c
	s_mov_b32 s5, 0x3e928af3
	s_delay_alu instid0(VALU_DEP_1) | instid1(SALU_CYCLE_1)
	v_fma_f64 v[32:33], v[30:31], s[8:9], s[4:5]
	s_mov_b32 s4, 0x623fde64
	s_mov_b32 s5, 0x3ec71dee
	s_delay_alu instid0(VALU_DEP_1) | instid1(SALU_CYCLE_1)
	;; [unrolled: 4-line block ×9, first 2 shown]
	v_fma_f64 v[32:33], v[30:31], v[32:33], s[4:5]
	v_cmp_nlt_f64_e64 s4, 0x40900000, v[26:27]
	v_cmp_ngt_f64_e64 s5, 0xc090cc00, v[26:27]
	s_delay_alu instid0(VALU_DEP_3) | instskip(NEXT) | instid1(VALU_DEP_1)
	v_fma_f64 v[32:33], v[30:31], v[32:33], 1.0
	v_fma_f64 v[28:29], v[30:31], v[32:33], 1.0
	s_delay_alu instid0(VALU_DEP_1) | instskip(NEXT) | instid1(VALU_DEP_1)
	v_ldexp_f64 v[28:29], v[28:29], v34
	v_cndmask_b32_e64 v29, 0x7ff00000, v29, s4
	s_and_b32 s4, s5, s4
	s_delay_alu instid0(VALU_DEP_2) | instid1(SALU_CYCLE_1)
	v_cndmask_b32_e64 v26, 0, v28, s4
	s_delay_alu instid0(VALU_DEP_2) | instskip(NEXT) | instid1(VALU_DEP_1)
	v_cndmask_b32_e64 v27, 0, v29, s5
	v_fma_f64 v[24:25], -v[10:11], v[26:27], v[24:25]
	v_add_co_u32 v26, s4, 0x1000, v8
	s_delay_alu instid0(VALU_DEP_1)
	v_add_co_ci_u32_e64 v27, s4, 0, v9, s4
	global_store_b64 v[26:27], v[24:25], off offset:2560
	s_or_b32 exec_lo, exec_lo, s6
	s_and_saveexec_b32 s5, s3
	s_cbranch_execz .LBB225_93
.LBB225_126:
	s_mov_b32 s6, 0x652b82fe
	s_mov_b32 s7, 0x3ff71547
	;; [unrolled: 1-line block ×3, first 2 shown]
	s_waitcnt vmcnt(0)
	v_mul_f64 v[24:25], v[22:23], s[6:7]
	s_mov_b32 s6, 0xfefa39ef
	s_mov_b32 s7, 0xbfe62e42
	;; [unrolled: 1-line block ×3, first 2 shown]
	v_cmp_nlt_f64_e64 s3, 0x40900000, v[22:23]
	v_cmp_ngt_f64_e64 s4, 0xc090cc00, v[22:23]
	s_delay_alu instid0(VALU_DEP_3) | instskip(NEXT) | instid1(VALU_DEP_1)
	v_rndne_f64_e32 v[24:25], v[24:25]
	v_fma_f64 v[26:27], v[24:25], s[6:7], v[22:23]
	s_mov_b32 s6, 0x3b39803f
	s_mov_b32 s7, 0xbc7abc9e
	v_cvt_i32_f64_e32 v30, v[24:25]
	s_delay_alu instid0(VALU_DEP_2)
	v_fma_f64 v[26:27], v[24:25], s[6:7], v[26:27]
	s_mov_b32 s6, 0xfca7ab0c
	s_mov_b32 s7, 0x3e928af3
	s_delay_alu instid0(VALU_DEP_1) | instid1(SALU_CYCLE_1)
	v_fma_f64 v[28:29], v[26:27], s[8:9], s[6:7]
	s_mov_b32 s6, 0x623fde64
	s_mov_b32 s7, 0x3ec71dee
	s_delay_alu instid0(VALU_DEP_1) | instid1(SALU_CYCLE_1)
	;; [unrolled: 4-line block ×9, first 2 shown]
	v_fma_f64 v[28:29], v[26:27], v[28:29], s[6:7]
	s_delay_alu instid0(VALU_DEP_1) | instskip(NEXT) | instid1(VALU_DEP_1)
	v_fma_f64 v[28:29], v[26:27], v[28:29], 1.0
	v_fma_f64 v[24:25], v[26:27], v[28:29], 1.0
	s_delay_alu instid0(VALU_DEP_1) | instskip(NEXT) | instid1(VALU_DEP_1)
	v_ldexp_f64 v[24:25], v[24:25], v30
	v_cndmask_b32_e64 v25, 0x7ff00000, v25, s3
	s_and_b32 s3, s4, s3
	s_delay_alu instid0(VALU_DEP_2) | instid1(SALU_CYCLE_1)
	v_cndmask_b32_e64 v22, 0, v24, s3
	s_delay_alu instid0(VALU_DEP_2) | instskip(NEXT) | instid1(VALU_DEP_1)
	v_cndmask_b32_e64 v23, 0, v25, s4
	v_fma_f64 v[20:21], -v[10:11], v[22:23], v[20:21]
	v_add_co_u32 v22, s3, 0x1000, v8
	s_delay_alu instid0(VALU_DEP_1)
	v_add_co_ci_u32_e64 v23, s3, 0, v9, s3
	global_store_b64 v[22:23], v[20:21], off offset:2816
	s_or_b32 exec_lo, exec_lo, s5
	s_and_saveexec_b32 s4, s2
	s_cbranch_execz .LBB225_94
.LBB225_127:
	s_mov_b32 s2, 0x652b82fe
	s_mov_b32 s3, 0x3ff71547
	;; [unrolled: 1-line block ×3, first 2 shown]
	s_waitcnt vmcnt(0)
	v_mul_f64 v[20:21], v[18:19], s[2:3]
	s_mov_b32 s2, 0xfefa39ef
	s_mov_b32 s3, 0xbfe62e42
	;; [unrolled: 1-line block ×3, first 2 shown]
	s_delay_alu instid0(VALU_DEP_1) | instskip(NEXT) | instid1(VALU_DEP_1)
	v_rndne_f64_e32 v[20:21], v[20:21]
	v_fma_f64 v[22:23], v[20:21], s[2:3], v[18:19]
	s_mov_b32 s2, 0x3b39803f
	s_mov_b32 s3, 0xbc7abc9e
	v_cvt_i32_f64_e32 v26, v[20:21]
	s_delay_alu instid0(VALU_DEP_2)
	v_fma_f64 v[22:23], v[20:21], s[2:3], v[22:23]
	s_mov_b32 s2, 0xfca7ab0c
	s_mov_b32 s3, 0x3e928af3
	s_delay_alu instid0(VALU_DEP_1) | instid1(SALU_CYCLE_1)
	v_fma_f64 v[24:25], v[22:23], s[6:7], s[2:3]
	s_mov_b32 s2, 0x623fde64
	s_mov_b32 s3, 0x3ec71dee
	s_delay_alu instid0(VALU_DEP_1) | instid1(SALU_CYCLE_1)
	;; [unrolled: 4-line block ×9, first 2 shown]
	v_fma_f64 v[24:25], v[22:23], v[24:25], s[2:3]
	v_cmp_nlt_f64_e64 s2, 0x40900000, v[18:19]
	v_cmp_ngt_f64_e64 s3, 0xc090cc00, v[18:19]
	s_delay_alu instid0(VALU_DEP_3) | instskip(NEXT) | instid1(VALU_DEP_1)
	v_fma_f64 v[24:25], v[22:23], v[24:25], 1.0
	v_fma_f64 v[20:21], v[22:23], v[24:25], 1.0
	s_delay_alu instid0(VALU_DEP_1) | instskip(NEXT) | instid1(VALU_DEP_1)
	v_ldexp_f64 v[20:21], v[20:21], v26
	v_cndmask_b32_e64 v21, 0x7ff00000, v21, s2
	s_and_b32 s2, s3, s2
	s_delay_alu instid0(VALU_DEP_2) | instid1(SALU_CYCLE_1)
	v_cndmask_b32_e64 v18, 0, v20, s2
	s_delay_alu instid0(VALU_DEP_2) | instskip(NEXT) | instid1(VALU_DEP_1)
	v_cndmask_b32_e64 v19, 0, v21, s3
	v_fma_f64 v[16:17], -v[10:11], v[18:19], v[16:17]
	v_add_co_u32 v18, s2, 0x1000, v8
	s_delay_alu instid0(VALU_DEP_1)
	v_add_co_ci_u32_e64 v19, s2, 0, v9, s2
	global_store_b64 v[18:19], v[16:17], off offset:3072
	s_or_b32 exec_lo, exec_lo, s4
	s_and_saveexec_b32 s3, s1
	s_cbranch_execz .LBB225_95
.LBB225_128:
	s_mov_b32 s4, 0x652b82fe
	s_mov_b32 s5, 0x3ff71547
	;; [unrolled: 1-line block ×3, first 2 shown]
	s_waitcnt vmcnt(0)
	v_mul_f64 v[16:17], v[14:15], s[4:5]
	s_mov_b32 s4, 0xfefa39ef
	s_mov_b32 s5, 0xbfe62e42
	;; [unrolled: 1-line block ×3, first 2 shown]
	v_cmp_nlt_f64_e64 s1, 0x40900000, v[14:15]
	v_cmp_ngt_f64_e64 s2, 0xc090cc00, v[14:15]
	s_delay_alu instid0(VALU_DEP_3) | instskip(NEXT) | instid1(VALU_DEP_1)
	v_rndne_f64_e32 v[16:17], v[16:17]
	v_fma_f64 v[18:19], v[16:17], s[4:5], v[14:15]
	s_mov_b32 s4, 0x3b39803f
	s_mov_b32 s5, 0xbc7abc9e
	v_cvt_i32_f64_e32 v22, v[16:17]
	s_delay_alu instid0(VALU_DEP_2)
	v_fma_f64 v[18:19], v[16:17], s[4:5], v[18:19]
	s_mov_b32 s4, 0xfca7ab0c
	s_mov_b32 s5, 0x3e928af3
	s_delay_alu instid0(VALU_DEP_1) | instid1(SALU_CYCLE_1)
	v_fma_f64 v[20:21], v[18:19], s[6:7], s[4:5]
	s_mov_b32 s4, 0x623fde64
	s_mov_b32 s5, 0x3ec71dee
	s_delay_alu instid0(VALU_DEP_1) | instid1(SALU_CYCLE_1)
	;; [unrolled: 4-line block ×9, first 2 shown]
	v_fma_f64 v[20:21], v[18:19], v[20:21], s[4:5]
	s_delay_alu instid0(VALU_DEP_1) | instskip(NEXT) | instid1(VALU_DEP_1)
	v_fma_f64 v[20:21], v[18:19], v[20:21], 1.0
	v_fma_f64 v[16:17], v[18:19], v[20:21], 1.0
	s_delay_alu instid0(VALU_DEP_1) | instskip(NEXT) | instid1(VALU_DEP_1)
	v_ldexp_f64 v[16:17], v[16:17], v22
	v_cndmask_b32_e64 v17, 0x7ff00000, v17, s1
	s_and_b32 s1, s2, s1
	s_delay_alu instid0(VALU_DEP_2) | instid1(SALU_CYCLE_1)
	v_cndmask_b32_e64 v14, 0, v16, s1
	s_delay_alu instid0(VALU_DEP_2) | instskip(NEXT) | instid1(VALU_DEP_1)
	v_cndmask_b32_e64 v15, 0, v17, s2
	v_fma_f64 v[12:13], -v[10:11], v[14:15], v[12:13]
	v_add_co_u32 v14, s1, 0x1000, v8
	s_delay_alu instid0(VALU_DEP_1)
	v_add_co_ci_u32_e64 v15, s1, 0, v9, s1
	global_store_b64 v[14:15], v[12:13], off offset:3328
	s_or_b32 exec_lo, exec_lo, s3
	s_and_saveexec_b32 s2, s0
	s_cbranch_execz .LBB225_96
.LBB225_129:
	s_mov_b32 s0, 0x652b82fe
	s_mov_b32 s1, 0x3ff71547
	;; [unrolled: 1-line block ×3, first 2 shown]
	s_waitcnt vmcnt(0)
	v_mul_f64 v[12:13], v[6:7], s[0:1]
	s_mov_b32 s0, 0xfefa39ef
	s_mov_b32 s1, 0xbfe62e42
	;; [unrolled: 1-line block ×3, first 2 shown]
	s_delay_alu instid0(VALU_DEP_1) | instskip(NEXT) | instid1(VALU_DEP_1)
	v_rndne_f64_e32 v[12:13], v[12:13]
	v_fma_f64 v[14:15], v[12:13], s[0:1], v[6:7]
	s_mov_b32 s0, 0x3b39803f
	s_mov_b32 s1, 0xbc7abc9e
	v_cvt_i32_f64_e32 v18, v[12:13]
	s_delay_alu instid0(VALU_DEP_2)
	v_fma_f64 v[14:15], v[12:13], s[0:1], v[14:15]
	s_mov_b32 s0, 0xfca7ab0c
	s_mov_b32 s1, 0x3e928af3
	s_delay_alu instid0(VALU_DEP_1) | instid1(SALU_CYCLE_1)
	v_fma_f64 v[16:17], v[14:15], s[4:5], s[0:1]
	s_mov_b32 s0, 0x623fde64
	s_mov_b32 s1, 0x3ec71dee
	s_delay_alu instid0(VALU_DEP_1) | instid1(SALU_CYCLE_1)
	v_fma_f64 v[16:17], v[14:15], v[16:17], s[0:1]
	s_mov_b32 s0, 0x7c89e6b0
	s_mov_b32 s1, 0x3efa0199
	s_delay_alu instid0(VALU_DEP_1) | instid1(SALU_CYCLE_1)
	v_fma_f64 v[16:17], v[14:15], v[16:17], s[0:1]
	s_mov_b32 s0, 0x14761f6e
	s_mov_b32 s1, 0x3f2a01a0
	s_delay_alu instid0(VALU_DEP_1) | instid1(SALU_CYCLE_1)
	v_fma_f64 v[16:17], v[14:15], v[16:17], s[0:1]
	s_mov_b32 s0, 0x1852b7b0
	s_mov_b32 s1, 0x3f56c16c
	s_delay_alu instid0(VALU_DEP_1) | instid1(SALU_CYCLE_1)
	v_fma_f64 v[16:17], v[14:15], v[16:17], s[0:1]
	s_mov_b32 s0, 0x11122322
	s_mov_b32 s1, 0x3f811111
	s_delay_alu instid0(VALU_DEP_1) | instid1(SALU_CYCLE_1)
	v_fma_f64 v[16:17], v[14:15], v[16:17], s[0:1]
	s_mov_b32 s0, 0x555502a1
	s_mov_b32 s1, 0x3fa55555
	s_delay_alu instid0(VALU_DEP_1) | instid1(SALU_CYCLE_1)
	v_fma_f64 v[16:17], v[14:15], v[16:17], s[0:1]
	s_mov_b32 s0, 0x55555511
	s_mov_b32 s1, 0x3fc55555
	s_delay_alu instid0(VALU_DEP_1) | instid1(SALU_CYCLE_1)
	v_fma_f64 v[16:17], v[14:15], v[16:17], s[0:1]
	s_mov_b32 s0, 11
	s_mov_b32 s1, 0x3fe00000
	s_delay_alu instid0(VALU_DEP_1) | instid1(SALU_CYCLE_1)
	v_fma_f64 v[16:17], v[14:15], v[16:17], s[0:1]
	v_cmp_nlt_f64_e64 s0, 0x40900000, v[6:7]
	v_cmp_ngt_f64_e64 s1, 0xc090cc00, v[6:7]
	s_delay_alu instid0(VALU_DEP_3) | instskip(NEXT) | instid1(VALU_DEP_1)
	v_fma_f64 v[16:17], v[14:15], v[16:17], 1.0
	v_fma_f64 v[12:13], v[14:15], v[16:17], 1.0
	s_delay_alu instid0(VALU_DEP_1) | instskip(NEXT) | instid1(VALU_DEP_1)
	v_ldexp_f64 v[12:13], v[12:13], v18
	v_cndmask_b32_e64 v13, 0x7ff00000, v13, s0
	s_and_b32 s0, s1, s0
	s_delay_alu instid0(VALU_DEP_2) | instid1(SALU_CYCLE_1)
	v_cndmask_b32_e64 v6, 0, v12, s0
	s_delay_alu instid0(VALU_DEP_2) | instskip(NEXT) | instid1(VALU_DEP_1)
	v_cndmask_b32_e64 v7, 0, v13, s1
	v_fma_f64 v[4:5], -v[10:11], v[6:7], v[4:5]
	v_add_co_u32 v6, s0, 0x1000, v8
	s_delay_alu instid0(VALU_DEP_1) | instskip(SKIP_2) | instid1(SALU_CYCLE_1)
	v_add_co_ci_u32_e64 v7, s0, 0, v9, s0
	global_store_b64 v[6:7], v[4:5], off offset:3584
	s_or_b32 exec_lo, exec_lo, s2
	s_and_b32 exec_lo, exec_lo, vcc_lo
	s_cbranch_execnz .LBB225_97
	s_branch .LBB225_98
	.section	.rodata,"a",@progbits
	.p2align	6, 0x0
	.amdhsa_kernel _ZN12_GLOBAL__N_121softmax_warp_backwardIdddLi10ELb1ELb0ELi32EEEvPT0_PKT_S5_iiiPKb
		.amdhsa_group_segment_fixed_size 0
		.amdhsa_private_segment_fixed_size 0
		.amdhsa_kernarg_size 304
		.amdhsa_user_sgpr_count 15
		.amdhsa_user_sgpr_dispatch_ptr 0
		.amdhsa_user_sgpr_queue_ptr 0
		.amdhsa_user_sgpr_kernarg_segment_ptr 1
		.amdhsa_user_sgpr_dispatch_id 0
		.amdhsa_user_sgpr_private_segment_size 0
		.amdhsa_wavefront_size32 1
		.amdhsa_uses_dynamic_stack 0
		.amdhsa_enable_private_segment 0
		.amdhsa_system_sgpr_workgroup_id_x 1
		.amdhsa_system_sgpr_workgroup_id_y 0
		.amdhsa_system_sgpr_workgroup_id_z 0
		.amdhsa_system_sgpr_workgroup_info 0
		.amdhsa_system_vgpr_workitem_id 1
		.amdhsa_next_free_vgpr 139
		.amdhsa_next_free_sgpr 44
		.amdhsa_reserve_vcc 1
		.amdhsa_float_round_mode_32 0
		.amdhsa_float_round_mode_16_64 0
		.amdhsa_float_denorm_mode_32 3
		.amdhsa_float_denorm_mode_16_64 3
		.amdhsa_dx10_clamp 1
		.amdhsa_ieee_mode 1
		.amdhsa_fp16_overflow 0
		.amdhsa_workgroup_processor_mode 1
		.amdhsa_memory_ordered 1
		.amdhsa_forward_progress 0
		.amdhsa_shared_vgpr_count 0
		.amdhsa_exception_fp_ieee_invalid_op 0
		.amdhsa_exception_fp_denorm_src 0
		.amdhsa_exception_fp_ieee_div_zero 0
		.amdhsa_exception_fp_ieee_overflow 0
		.amdhsa_exception_fp_ieee_underflow 0
		.amdhsa_exception_fp_ieee_inexact 0
		.amdhsa_exception_int_div_zero 0
	.end_amdhsa_kernel
	.section	.text._ZN12_GLOBAL__N_121softmax_warp_backwardIdddLi10ELb1ELb0ELi32EEEvPT0_PKT_S5_iiiPKb,"axG",@progbits,_ZN12_GLOBAL__N_121softmax_warp_backwardIdddLi10ELb1ELb0ELi32EEEvPT0_PKT_S5_iiiPKb,comdat
.Lfunc_end225:
	.size	_ZN12_GLOBAL__N_121softmax_warp_backwardIdddLi10ELb1ELb0ELi32EEEvPT0_PKT_S5_iiiPKb, .Lfunc_end225-_ZN12_GLOBAL__N_121softmax_warp_backwardIdddLi10ELb1ELb0ELi32EEEvPT0_PKT_S5_iiiPKb
                                        ; -- End function
	.section	.AMDGPU.csdata,"",@progbits
; Kernel info:
; codeLenInByte = 19720
; NumSgprs: 46
; NumVgprs: 139
; ScratchSize: 0
; MemoryBound: 0
; FloatMode: 240
; IeeeMode: 1
; LDSByteSize: 0 bytes/workgroup (compile time only)
; SGPRBlocks: 5
; VGPRBlocks: 17
; NumSGPRsForWavesPerEU: 46
; NumVGPRsForWavesPerEU: 139
; Occupancy: 10
; WaveLimiterHint : 0
; COMPUTE_PGM_RSRC2:SCRATCH_EN: 0
; COMPUTE_PGM_RSRC2:USER_SGPR: 15
; COMPUTE_PGM_RSRC2:TRAP_HANDLER: 0
; COMPUTE_PGM_RSRC2:TGID_X_EN: 1
; COMPUTE_PGM_RSRC2:TGID_Y_EN: 0
; COMPUTE_PGM_RSRC2:TGID_Z_EN: 0
; COMPUTE_PGM_RSRC2:TIDIG_COMP_CNT: 1
	.section	.text._ZN2at6native12_GLOBAL__N_124cunn_SoftMaxBackwardSmemILi2EdddNS1_26LogSoftMaxBackwardEpilogueEEEvPT0_PKT2_S8_l,"axG",@progbits,_ZN2at6native12_GLOBAL__N_124cunn_SoftMaxBackwardSmemILi2EdddNS1_26LogSoftMaxBackwardEpilogueEEEvPT0_PKT2_S8_l,comdat
	.globl	_ZN2at6native12_GLOBAL__N_124cunn_SoftMaxBackwardSmemILi2EdddNS1_26LogSoftMaxBackwardEpilogueEEEvPT0_PKT2_S8_l ; -- Begin function _ZN2at6native12_GLOBAL__N_124cunn_SoftMaxBackwardSmemILi2EdddNS1_26LogSoftMaxBackwardEpilogueEEEvPT0_PKT2_S8_l
	.p2align	8
	.type	_ZN2at6native12_GLOBAL__N_124cunn_SoftMaxBackwardSmemILi2EdddNS1_26LogSoftMaxBackwardEpilogueEEEvPT0_PKT2_S8_l,@function
_ZN2at6native12_GLOBAL__N_124cunn_SoftMaxBackwardSmemILi2EdddNS1_26LogSoftMaxBackwardEpilogueEEEvPT0_PKT2_S8_l: ; @_ZN2at6native12_GLOBAL__N_124cunn_SoftMaxBackwardSmemILi2EdddNS1_26LogSoftMaxBackwardEpilogueEEEvPT0_PKT2_S8_l
; %bb.0:
	s_load_b256 s[4:11], s[0:1], 0x0
	v_dual_mov_b32 v2, 0 :: v_dual_lshlrev_b32 v1, 1, v0
	v_lshl_add_u32 v7, v0, 4, 0
	s_waitcnt lgkmcnt(0)
	s_delay_alu instid0(VALU_DEP_2)
	v_cmp_gt_i64_e32 vcc_lo, s[10:11], v[1:2]
	v_mov_b32_e32 v1, 0
	v_mov_b32_e32 v2, 0
	s_mul_i32 s2, s15, s11
	s_mul_hi_u32 s3, s15, s10
	s_mul_i32 s12, s15, s10
	s_add_i32 s13, s3, s2
	s_and_saveexec_b32 s3, vcc_lo
	s_cbranch_execz .LBB226_4
; %bb.1:
	s_load_b32 s2, s[0:1], 0x2c
	s_lshl_b64 s[14:15], s[12:13], 3
	v_mov_b32_e32 v1, 0
	s_add_u32 s8, s8, s14
	s_addc_u32 s9, s9, s15
	v_lshl_add_u32 v8, v0, 4, 0
	v_dual_mov_b32 v2, 0 :: v_dual_mov_b32 v5, v0
	s_mov_b32 s15, 0
	s_waitcnt lgkmcnt(0)
	s_and_b32 s14, s2, 0xffff
	s_delay_alu instid0(SALU_CYCLE_1)
	v_add_lshl_u32 v3, v0, s14, 1
	s_lshl_b32 s16, s14, 1
	s_lshl_b32 s17, s14, 4
	.p2align	6
.LBB226_2:                              ; =>This Inner Loop Header: Depth=1
	v_ashrrev_i32_e32 v6, 31, v5
	s_delay_alu instid0(VALU_DEP_2) | instskip(NEXT) | instid1(VALU_DEP_2)
	v_ashrrev_i32_e32 v4, 31, v3
	v_lshlrev_b64 v[9:10], 4, v[5:6]
	v_add_nc_u32_e32 v5, s14, v5
	s_delay_alu instid0(VALU_DEP_2) | instskip(NEXT) | instid1(VALU_DEP_1)
	v_add_co_u32 v9, s2, s8, v9
	v_add_co_ci_u32_e64 v10, s2, s9, v10, s2
	v_cmp_le_i64_e64 s2, s[10:11], v[3:4]
	v_add_nc_u32_e32 v3, s16, v3
	global_load_b128 v[9:12], v[9:10], off
	s_or_b32 s15, s2, s15
	s_waitcnt vmcnt(0)
	v_add_f64 v[1:2], v[1:2], v[9:10]
	ds_store_b128 v8, v[9:12]
	v_add_nc_u32_e32 v8, s17, v8
	v_add_f64 v[1:2], v[1:2], v[11:12]
	s_and_not1_b32 exec_lo, exec_lo, s15
	s_cbranch_execnz .LBB226_2
; %bb.3:
	s_or_b32 exec_lo, exec_lo, s15
.LBB226_4:
	s_delay_alu instid0(SALU_CYCLE_1)
	s_or_b32 exec_lo, exec_lo, s3
	v_mbcnt_lo_u32_b32 v10, -1, 0
	v_and_b32_e32 v11, 31, v0
	s_lshl_b32 s3, s10, 3
	s_mov_b32 s8, exec_lo
	s_add_i32 s3, s3, 0
	v_cmp_gt_u32_e64 s2, 16, v10
	s_waitcnt lgkmcnt(0)
	s_barrier
	buffer_gl0_inv
	v_cndmask_b32_e64 v3, 0, 1, s2
	v_cmp_gt_u32_e64 s2, 24, v10
	s_delay_alu instid0(VALU_DEP_2) | instskip(NEXT) | instid1(VALU_DEP_1)
	v_lshlrev_b32_e32 v3, 4, v3
	v_add_lshl_u32 v5, v3, v10, 2
	ds_bpermute_b32 v3, v5, v1
	ds_bpermute_b32 v4, v5, v2
	s_waitcnt lgkmcnt(0)
	v_add_f64 v[1:2], v[1:2], v[3:4]
	v_cndmask_b32_e64 v3, 0, 1, s2
	v_cmp_gt_u32_e64 s2, 28, v10
	s_delay_alu instid0(VALU_DEP_2) | instskip(NEXT) | instid1(VALU_DEP_1)
	v_lshlrev_b32_e32 v3, 3, v3
	v_add_lshl_u32 v6, v3, v10, 2
	ds_bpermute_b32 v3, v6, v1
	ds_bpermute_b32 v4, v6, v2
	s_waitcnt lgkmcnt(0)
	v_add_f64 v[1:2], v[1:2], v[3:4]
	;; [unrolled: 9-line block ×3, first 2 shown]
	v_cndmask_b32_e64 v3, 0, 1, s2
	v_cmp_ne_u32_e64 s2, 31, v10
	s_delay_alu instid0(VALU_DEP_2) | instskip(NEXT) | instid1(VALU_DEP_1)
	v_lshlrev_b32_e32 v3, 1, v3
	v_add_lshl_u32 v9, v3, v10, 2
	ds_bpermute_b32 v3, v9, v1
	ds_bpermute_b32 v4, v9, v2
	s_waitcnt lgkmcnt(0)
	v_add_f64 v[1:2], v[1:2], v[3:4]
	v_add_co_ci_u32_e64 v3, s2, 0, v10, s2
	s_delay_alu instid0(VALU_DEP_1)
	v_lshlrev_b32_e32 v10, 2, v3
	ds_bpermute_b32 v3, v10, v1
	ds_bpermute_b32 v4, v10, v2
	v_cmpx_eq_u32_e32 0, v11
	s_cbranch_execz .LBB226_6
; %bb.5:
	s_waitcnt lgkmcnt(0)
	v_add_f64 v[1:2], v[1:2], v[3:4]
	v_lshrrev_b32_e32 v3, 2, v0
	s_delay_alu instid0(VALU_DEP_1)
	v_add_nc_u32_e32 v3, s3, v3
	ds_store_b64 v3, v[1:2]
.LBB226_6:
	s_or_b32 exec_lo, exec_lo, s8
	s_waitcnt lgkmcnt(0)
	s_barrier
	buffer_gl0_inv
	s_load_b32 s1, s[0:1], 0x2c
	v_mov_b32_e32 v1, 0
	v_mov_b32_e32 v2, 0
	s_mov_b32 s2, exec_lo
	s_waitcnt lgkmcnt(0)
	s_bfe_u32 s0, s1, 0xb0005
	s_delay_alu instid0(SALU_CYCLE_1)
	v_cmpx_gt_u32_e64 s0, v0
	s_cbranch_execz .LBB226_8
; %bb.7:
	v_lshl_add_u32 v1, v11, 3, s3
	ds_load_b64 v[1:2], v1
.LBB226_8:
	s_or_b32 exec_lo, exec_lo, s2
	s_delay_alu instid0(SALU_CYCLE_1)
	s_mov_b32 s2, exec_lo
	v_cmpx_gt_u32_e32 32, v0
	s_cbranch_execz .LBB226_10
; %bb.9:
	s_waitcnt lgkmcnt(0)
	ds_bpermute_b32 v3, v5, v1
	ds_bpermute_b32 v4, v5, v2
	s_waitcnt lgkmcnt(0)
	v_add_f64 v[1:2], v[1:2], v[3:4]
	ds_bpermute_b32 v3, v6, v1
	ds_bpermute_b32 v4, v6, v2
	s_waitcnt lgkmcnt(0)
	v_add_f64 v[1:2], v[1:2], v[3:4]
	;; [unrolled: 4-line block ×5, first 2 shown]
.LBB226_10:
	s_or_b32 exec_lo, exec_lo, s2
	s_delay_alu instid0(SALU_CYCLE_1)
	s_mov_b32 s2, exec_lo
	v_cmpx_eq_u32_e32 0, v0
	s_cbranch_execz .LBB226_12
; %bb.11:
	v_mov_b32_e32 v3, s3
	s_waitcnt lgkmcnt(0)
	ds_store_b64 v3, v[1:2]
.LBB226_12:
	s_or_b32 exec_lo, exec_lo, s2
	s_waitcnt lgkmcnt(0)
	s_barrier
	buffer_gl0_inv
	s_and_saveexec_b32 s0, vcc_lo
	s_cbranch_execz .LBB226_15
; %bb.13:
	v_mov_b32_e32 v1, s3
	s_lshl_b64 s[8:9], s[12:13], 3
	s_and_b32 s3, s1, 0xffff
	s_add_u32 s33, s4, s8
	s_addc_u32 s34, s5, s9
	ds_load_b64 v[2:3], v1
	v_add_lshl_u32 v4, v0, s3, 1
	s_add_u32 s35, s6, s8
	s_addc_u32 s36, s7, s9
	s_mov_b32 s4, 0x652b82fe
	s_mov_b32 s6, 0xfefa39ef
	;; [unrolled: 1-line block ×26, first 2 shown]
	s_lshl_b32 s37, s3, 1
	s_mov_b32 s38, 0
	s_lshl_b32 s39, s3, 4
.LBB226_14:                             ; =>This Inner Loop Header: Depth=1
	v_ashrrev_i32_e32 v1, 31, v0
	s_delay_alu instid0(VALU_DEP_1) | instskip(SKIP_1) | instid1(VALU_DEP_2)
	v_lshlrev_b64 v[12:13], 4, v[0:1]
	v_add_nc_u32_e32 v0, s3, v0
	v_add_co_u32 v5, vcc_lo, s35, v12
	s_delay_alu instid0(VALU_DEP_3)
	v_add_co_ci_u32_e32 v6, vcc_lo, s36, v13, vcc_lo
	global_load_b128 v[8:11], v[5:6], off
	s_waitcnt vmcnt(0)
	v_mul_f64 v[5:6], v[8:9], s[4:5]
	v_mul_f64 v[14:15], v[10:11], s[4:5]
	v_cmp_nlt_f64_e32 vcc_lo, 0x40900000, v[10:11]
	v_cmp_nlt_f64_e64 s0, 0x40900000, v[8:9]
	v_cmp_ngt_f64_e64 s1, 0xc090cc00, v[8:9]
	v_cmp_ngt_f64_e64 s2, 0xc090cc00, v[10:11]
	v_rndne_f64_e32 v[5:6], v[5:6]
	v_rndne_f64_e32 v[14:15], v[14:15]
	s_delay_alu instid0(VALU_DEP_2) | instskip(NEXT) | instid1(VALU_DEP_2)
	v_fma_f64 v[16:17], v[5:6], s[6:7], v[8:9]
	v_fma_f64 v[18:19], v[14:15], s[6:7], v[10:11]
	v_cvt_i32_f64_e32 v1, v[5:6]
	v_cvt_i32_f64_e32 v24, v[14:15]
	ds_load_b128 v[8:11], v7
	v_add_nc_u32_e32 v7, s39, v7
	v_fma_f64 v[16:17], v[5:6], s[8:9], v[16:17]
	v_fma_f64 v[18:19], v[14:15], s[8:9], v[18:19]
	s_delay_alu instid0(VALU_DEP_2) | instskip(NEXT) | instid1(VALU_DEP_2)
	v_fma_f64 v[20:21], v[16:17], s[14:15], s[12:13]
	v_fma_f64 v[22:23], v[18:19], s[14:15], s[12:13]
	s_delay_alu instid0(VALU_DEP_2) | instskip(NEXT) | instid1(VALU_DEP_2)
	;; [unrolled: 3-line block ×10, first 2 shown]
	v_fma_f64 v[20:21], v[16:17], v[20:21], 1.0
	v_fma_f64 v[22:23], v[18:19], v[22:23], 1.0
	s_delay_alu instid0(VALU_DEP_2) | instskip(NEXT) | instid1(VALU_DEP_2)
	v_fma_f64 v[5:6], v[16:17], v[20:21], 1.0
	v_fma_f64 v[14:15], v[18:19], v[22:23], 1.0
	s_delay_alu instid0(VALU_DEP_2) | instskip(NEXT) | instid1(VALU_DEP_2)
	v_ldexp_f64 v[5:6], v[5:6], v1
	v_ldexp_f64 v[14:15], v[14:15], v24
	s_delay_alu instid0(VALU_DEP_2) | instskip(NEXT) | instid1(VALU_DEP_2)
	v_cndmask_b32_e64 v1, 0x7ff00000, v6, s0
	v_cndmask_b32_e32 v15, 0x7ff00000, v15, vcc_lo
	s_and_b32 s0, s1, s0
	s_and_b32 vcc_lo, s2, vcc_lo
	s_delay_alu instid0(VALU_DEP_4) | instskip(SKIP_4) | instid1(VALU_DEP_3)
	v_cndmask_b32_e64 v5, 0, v5, s0
	v_cndmask_b32_e64 v6, 0, v1, s1
	;; [unrolled: 1-line block ×3, first 2 shown]
	v_cndmask_b32_e32 v14, 0, v14, vcc_lo
	s_waitcnt lgkmcnt(0)
	v_fma_f64 v[8:9], -v[2:3], v[5:6], v[8:9]
	v_ashrrev_i32_e32 v5, 31, v4
	s_delay_alu instid0(VALU_DEP_3) | instskip(NEXT) | instid1(VALU_DEP_2)
	v_fma_f64 v[10:11], -v[2:3], v[14:15], v[10:11]
	v_cmp_le_i64_e32 vcc_lo, s[10:11], v[4:5]
	v_add_co_u32 v5, s0, s33, v12
	s_delay_alu instid0(VALU_DEP_1)
	v_add_co_ci_u32_e64 v6, s0, s34, v13, s0
	v_add_nc_u32_e32 v4, s37, v4
	s_or_b32 s38, vcc_lo, s38
	global_store_b128 v[5:6], v[8:11], off
	s_and_not1_b32 exec_lo, exec_lo, s38
	s_cbranch_execnz .LBB226_14
.LBB226_15:
	s_nop 0
	s_sendmsg sendmsg(MSG_DEALLOC_VGPRS)
	s_endpgm
	.section	.rodata,"a",@progbits
	.p2align	6, 0x0
	.amdhsa_kernel _ZN2at6native12_GLOBAL__N_124cunn_SoftMaxBackwardSmemILi2EdddNS1_26LogSoftMaxBackwardEpilogueEEEvPT0_PKT2_S8_l
		.amdhsa_group_segment_fixed_size 0
		.amdhsa_private_segment_fixed_size 0
		.amdhsa_kernarg_size 288
		.amdhsa_user_sgpr_count 15
		.amdhsa_user_sgpr_dispatch_ptr 0
		.amdhsa_user_sgpr_queue_ptr 0
		.amdhsa_user_sgpr_kernarg_segment_ptr 1
		.amdhsa_user_sgpr_dispatch_id 0
		.amdhsa_user_sgpr_private_segment_size 0
		.amdhsa_wavefront_size32 1
		.amdhsa_uses_dynamic_stack 0
		.amdhsa_enable_private_segment 0
		.amdhsa_system_sgpr_workgroup_id_x 1
		.amdhsa_system_sgpr_workgroup_id_y 0
		.amdhsa_system_sgpr_workgroup_id_z 0
		.amdhsa_system_sgpr_workgroup_info 0
		.amdhsa_system_vgpr_workitem_id 0
		.amdhsa_next_free_vgpr 25
		.amdhsa_next_free_sgpr 40
		.amdhsa_reserve_vcc 1
		.amdhsa_float_round_mode_32 0
		.amdhsa_float_round_mode_16_64 0
		.amdhsa_float_denorm_mode_32 3
		.amdhsa_float_denorm_mode_16_64 3
		.amdhsa_dx10_clamp 1
		.amdhsa_ieee_mode 1
		.amdhsa_fp16_overflow 0
		.amdhsa_workgroup_processor_mode 1
		.amdhsa_memory_ordered 1
		.amdhsa_forward_progress 0
		.amdhsa_shared_vgpr_count 0
		.amdhsa_exception_fp_ieee_invalid_op 0
		.amdhsa_exception_fp_denorm_src 0
		.amdhsa_exception_fp_ieee_div_zero 0
		.amdhsa_exception_fp_ieee_overflow 0
		.amdhsa_exception_fp_ieee_underflow 0
		.amdhsa_exception_fp_ieee_inexact 0
		.amdhsa_exception_int_div_zero 0
	.end_amdhsa_kernel
	.section	.text._ZN2at6native12_GLOBAL__N_124cunn_SoftMaxBackwardSmemILi2EdddNS1_26LogSoftMaxBackwardEpilogueEEEvPT0_PKT2_S8_l,"axG",@progbits,_ZN2at6native12_GLOBAL__N_124cunn_SoftMaxBackwardSmemILi2EdddNS1_26LogSoftMaxBackwardEpilogueEEEvPT0_PKT2_S8_l,comdat
.Lfunc_end226:
	.size	_ZN2at6native12_GLOBAL__N_124cunn_SoftMaxBackwardSmemILi2EdddNS1_26LogSoftMaxBackwardEpilogueEEEvPT0_PKT2_S8_l, .Lfunc_end226-_ZN2at6native12_GLOBAL__N_124cunn_SoftMaxBackwardSmemILi2EdddNS1_26LogSoftMaxBackwardEpilogueEEEvPT0_PKT2_S8_l
                                        ; -- End function
	.section	.AMDGPU.csdata,"",@progbits
; Kernel info:
; codeLenInByte = 1764
; NumSgprs: 42
; NumVgprs: 25
; ScratchSize: 0
; MemoryBound: 0
; FloatMode: 240
; IeeeMode: 1
; LDSByteSize: 0 bytes/workgroup (compile time only)
; SGPRBlocks: 5
; VGPRBlocks: 3
; NumSGPRsForWavesPerEU: 42
; NumVGPRsForWavesPerEU: 25
; Occupancy: 16
; WaveLimiterHint : 0
; COMPUTE_PGM_RSRC2:SCRATCH_EN: 0
; COMPUTE_PGM_RSRC2:USER_SGPR: 15
; COMPUTE_PGM_RSRC2:TRAP_HANDLER: 0
; COMPUTE_PGM_RSRC2:TGID_X_EN: 1
; COMPUTE_PGM_RSRC2:TGID_Y_EN: 0
; COMPUTE_PGM_RSRC2:TGID_Z_EN: 0
; COMPUTE_PGM_RSRC2:TIDIG_COMP_CNT: 0
	.section	.text._ZN2at6native12_GLOBAL__N_120cunn_SoftMaxBackwardILi2EdddNS1_26LogSoftMaxBackwardEpilogueEEEvPT0_PKT2_S8_l,"axG",@progbits,_ZN2at6native12_GLOBAL__N_120cunn_SoftMaxBackwardILi2EdddNS1_26LogSoftMaxBackwardEpilogueEEEvPT0_PKT2_S8_l,comdat
	.globl	_ZN2at6native12_GLOBAL__N_120cunn_SoftMaxBackwardILi2EdddNS1_26LogSoftMaxBackwardEpilogueEEEvPT0_PKT2_S8_l ; -- Begin function _ZN2at6native12_GLOBAL__N_120cunn_SoftMaxBackwardILi2EdddNS1_26LogSoftMaxBackwardEpilogueEEEvPT0_PKT2_S8_l
	.p2align	8
	.type	_ZN2at6native12_GLOBAL__N_120cunn_SoftMaxBackwardILi2EdddNS1_26LogSoftMaxBackwardEpilogueEEEvPT0_PKT2_S8_l,@function
_ZN2at6native12_GLOBAL__N_120cunn_SoftMaxBackwardILi2EdddNS1_26LogSoftMaxBackwardEpilogueEEEvPT0_PKT2_S8_l: ; @_ZN2at6native12_GLOBAL__N_120cunn_SoftMaxBackwardILi2EdddNS1_26LogSoftMaxBackwardEpilogueEEEvPT0_PKT2_S8_l
; %bb.0:
	s_load_b256 s[4:11], s[0:1], 0x0
	s_waitcnt lgkmcnt(0)
	s_mul_i32 s3, s15, s11
	s_mul_hi_u32 s12, s15, s10
	s_mul_i32 s2, s15, s10
	s_add_i32 s3, s12, s3
	v_cmp_lt_i64_e64 s33, 0x7ffffffe, s[10:11]
	s_lshl_b64 s[22:23], s[2:3], 3
	s_delay_alu instid0(SALU_CYCLE_1)
	s_add_u32 s12, s8, s22
	s_addc_u32 s13, s9, s23
	s_bitcmp1_b32 s12, 3
	s_cselect_b32 s14, -1, 0
	s_and_b32 vcc_lo, exec_lo, s33
	s_cbranch_vccz .LBB227_5
; %bb.1:
	v_mov_b32_e32 v1, 0
	s_and_b32 vcc_lo, exec_lo, s14
	s_cbranch_vccz .LBB227_6
; %bb.2:
	v_mov_b32_e32 v2, 0
	v_mov_b32_e32 v3, 0
	s_mov_b32 s20, 0
	s_mov_b32 s2, exec_lo
	v_cmpx_ne_u32_e32 0, v0
	s_cbranch_execz .LBB227_4
; %bb.3:
	v_lshlrev_b32_e32 v2, 3, v0
	global_load_b64 v[2:3], v2, s[12:13] offset:-8
	s_waitcnt vmcnt(0)
	v_add_f64 v[2:3], v[2:3], 0
.LBB227_4:
	s_or_b32 exec_lo, exec_lo, s2
	s_load_b32 s16, s[0:1], 0x2c
	s_add_u32 s2, s0, 32
	s_addc_u32 s3, s1, 0
	s_waitcnt lgkmcnt(0)
	s_and_b32 s18, s16, 0xffff
	s_delay_alu instid0(SALU_CYCLE_1) | instskip(SKIP_4) | instid1(SALU_CYCLE_1)
	s_sub_u32 s16, s10, s18
	s_subb_u32 s17, s11, 0
	s_add_u32 s16, s16, 1
	s_addc_u32 s17, s17, 0
	s_lshl_b32 s18, s18, 3
	s_add_u32 s18, s12, s18
	s_addc_u32 s19, s13, 0
	s_add_u32 s18, s18, -8
	s_addc_u32 s19, s19, -1
	s_and_b32 vcc_lo, exec_lo, s20
	s_cbranch_vccnz .LBB227_7
	s_branch .LBB227_8
.LBB227_5:
                                        ; implicit-def: $vgpr2_vgpr3
	s_bfe_u32 s26, s12, 0x10003
	s_mov_b32 s27, 0
	s_cbranch_execnz .LBB227_18
	s_branch .LBB227_33
.LBB227_6:
                                        ; implicit-def: $sgpr18_sgpr19
                                        ; implicit-def: $sgpr16_sgpr17
                                        ; implicit-def: $vgpr2_vgpr3
                                        ; implicit-def: $sgpr2_sgpr3
	s_cbranch_execz .LBB227_8
.LBB227_7:
	v_mov_b32_e32 v2, 0
	v_mov_b32_e32 v3, 0
	s_add_u32 s2, s0, 32
	s_addc_u32 s3, s1, 0
	s_mov_b64 s[16:17], s[10:11]
	s_mov_b64 s[18:19], s[12:13]
.LBB227_8:
	s_load_b32 s20, s[2:3], 0x0
	v_mov_b32_e32 v4, 0
	s_mov_b32 s21, s17
	s_waitcnt lgkmcnt(0)
	s_cmp_lt_u32 s15, s20
	s_cselect_b32 s20, 12, 18
	s_delay_alu instid0(SALU_CYCLE_1)
	s_add_u32 s2, s2, s20
	s_addc_u32 s3, s3, 0
	s_mov_b32 s20, 0
	global_load_u16 v4, v4, s[2:3]
	s_waitcnt vmcnt(0)
	v_readfirstlane_b32 s2, v4
	v_and_b32_e32 v10, 0xffff, v4
	s_delay_alu instid0(VALU_DEP_2) | instskip(NEXT) | instid1(SALU_CYCLE_1)
	s_and_b32 s2, 0xffff, s2
	s_lshl_b32 s3, s2, 1
	s_cmp_lg_u64 s[20:21], 0
	s_cbranch_scc0 .LBB227_41
; %bb.9:
	v_cvt_f32_u32_e32 v4, s3
	s_sub_u32 s24, 0, s3
	s_subb_u32 s25, 0, 0
	s_delay_alu instid0(VALU_DEP_1) | instskip(NEXT) | instid1(VALU_DEP_1)
	v_fmamk_f32 v4, 0, 0x4f800000, v4
	v_rcp_f32_e32 v4, v4
	s_waitcnt_depctr 0xfff
	v_mul_f32_e32 v4, 0x5f7ffffc, v4
	s_delay_alu instid0(VALU_DEP_1) | instskip(NEXT) | instid1(VALU_DEP_1)
	v_mul_f32_e32 v5, 0x2f800000, v4
	v_trunc_f32_e32 v5, v5
	s_delay_alu instid0(VALU_DEP_1) | instskip(SKIP_1) | instid1(VALU_DEP_2)
	v_fmamk_f32 v4, v5, 0xcf800000, v4
	v_cvt_u32_f32_e32 v5, v5
	v_cvt_u32_f32_e32 v4, v4
	s_delay_alu instid0(VALU_DEP_2) | instskip(NEXT) | instid1(VALU_DEP_2)
	v_readfirstlane_b32 s2, v5
	v_readfirstlane_b32 s21, v4
	s_delay_alu instid0(VALU_DEP_2) | instskip(NEXT) | instid1(VALU_DEP_1)
	s_mul_i32 s26, s24, s2
	s_mul_hi_u32 s28, s24, s21
	s_mul_i32 s27, s25, s21
	s_add_i32 s26, s28, s26
	s_mul_i32 s29, s24, s21
	s_add_i32 s26, s26, s27
	s_mul_hi_u32 s28, s21, s29
	s_mul_hi_u32 s30, s2, s29
	s_mul_i32 s27, s2, s29
	s_mul_hi_u32 s29, s21, s26
	s_mul_i32 s21, s21, s26
	s_mul_hi_u32 s31, s2, s26
	s_add_u32 s21, s28, s21
	s_addc_u32 s28, 0, s29
	s_add_u32 s21, s21, s27
	s_mul_i32 s26, s2, s26
	s_addc_u32 s21, s28, s30
	s_addc_u32 s27, s31, 0
	s_add_u32 s21, s21, s26
	s_addc_u32 s26, 0, s27
	v_add_co_u32 v4, s21, v4, s21
	s_delay_alu instid0(VALU_DEP_1) | instskip(SKIP_1) | instid1(VALU_DEP_1)
	s_cmp_lg_u32 s21, 0
	s_addc_u32 s2, s2, s26
	v_readfirstlane_b32 s21, v4
	s_mul_i32 s26, s24, s2
	s_delay_alu instid0(VALU_DEP_1)
	s_mul_hi_u32 s27, s24, s21
	s_mul_i32 s25, s25, s21
	s_add_i32 s26, s27, s26
	s_mul_i32 s24, s24, s21
	s_add_i32 s26, s26, s25
	s_mul_hi_u32 s27, s2, s24
	s_mul_i32 s28, s2, s24
	s_mul_hi_u32 s24, s21, s24
	s_mul_hi_u32 s29, s21, s26
	s_mul_i32 s21, s21, s26
	s_mul_hi_u32 s25, s2, s26
	s_add_u32 s21, s24, s21
	s_addc_u32 s24, 0, s29
	s_add_u32 s21, s21, s28
	s_mul_i32 s26, s2, s26
	s_addc_u32 s21, s24, s27
	s_addc_u32 s24, s25, 0
	s_add_u32 s21, s21, s26
	s_addc_u32 s24, 0, s24
	v_add_co_u32 v4, s21, v4, s21
	s_delay_alu instid0(VALU_DEP_1) | instskip(SKIP_1) | instid1(VALU_DEP_1)
	s_cmp_lg_u32 s21, 0
	s_addc_u32 s2, s2, s24
	v_readfirstlane_b32 s21, v4
	s_mul_i32 s25, s16, s2
	s_mul_hi_u32 s24, s16, s2
	s_mul_hi_u32 s26, s17, s2
	s_mul_i32 s2, s17, s2
	s_mul_hi_u32 s27, s16, s21
	s_mul_hi_u32 s28, s17, s21
	s_mul_i32 s21, s17, s21
	s_add_u32 s25, s27, s25
	s_addc_u32 s24, 0, s24
	s_add_u32 s21, s25, s21
	s_addc_u32 s21, s24, s28
	s_addc_u32 s24, s26, 0
	s_add_u32 s2, s21, s2
	s_addc_u32 s21, 0, s24
	s_mul_hi_u32 s24, s3, s2
	s_mul_i32 s2, s3, s2
	s_mul_i32 s21, s3, s21
	v_sub_co_u32 v4, s2, s16, s2
	s_add_i32 s24, s24, s21
	s_cmp_lg_u32 s2, 0
	s_delay_alu instid0(VALU_DEP_1) | instskip(SKIP_2) | instid1(VALU_DEP_1)
	v_sub_co_u32 v5, s2, v4, s3
	s_subb_u32 s21, s17, s24
	s_cmp_lg_u32 s2, 0
	v_cmp_le_u32_e32 vcc_lo, s3, v5
	v_sub_co_u32 v6, s2, v5, s3
	s_subb_u32 s24, s21, 0
	s_cmp_lg_u32 s2, 0
	v_cndmask_b32_e64 v7, 0, -1, vcc_lo
	s_subb_u32 s2, s24, 0
	s_cmp_eq_u32 s24, 0
	v_mov_b32_e32 v9, s2
	s_cselect_b32 vcc_lo, -1, 0
	s_cmp_eq_u32 s21, 0
	v_cndmask_b32_e32 v7, -1, v7, vcc_lo
	v_cmp_le_u32_e32 vcc_lo, s3, v4
	s_cselect_b32 s2, -1, 0
	v_cndmask_b32_e64 v8, 0, -1, vcc_lo
	s_delay_alu instid0(VALU_DEP_3) | instskip(NEXT) | instid1(VALU_DEP_2)
	v_cmp_ne_u32_e32 vcc_lo, 0, v7
	v_cndmask_b32_e64 v7, -1, v8, s2
	v_cndmask_b32_e32 v8, s24, v9, vcc_lo
	v_cndmask_b32_e32 v6, v5, v6, vcc_lo
	s_delay_alu instid0(VALU_DEP_3) | instskip(NEXT) | instid1(VALU_DEP_2)
	v_cmp_ne_u32_e32 vcc_lo, 0, v7
	v_cndmask_b32_e32 v4, v4, v6, vcc_lo
	s_delay_alu instid0(VALU_DEP_4)
	v_cndmask_b32_e32 v5, s21, v8, vcc_lo
	s_and_not1_b32 vcc_lo, exec_lo, s20
	s_cbranch_vccnz .LBB227_11
.LBB227_10:
	v_cvt_f32_u32_e32 v4, s3
	s_sub_i32 s2, 0, s3
	s_delay_alu instid0(VALU_DEP_1) | instskip(SKIP_2) | instid1(VALU_DEP_1)
	v_rcp_iflag_f32_e32 v4, v4
	s_waitcnt_depctr 0xfff
	v_mul_f32_e32 v4, 0x4f7ffffe, v4
	v_cvt_u32_f32_e32 v4, v4
	s_delay_alu instid0(VALU_DEP_1) | instskip(NEXT) | instid1(VALU_DEP_1)
	v_mul_lo_u32 v5, s2, v4
	v_mul_hi_u32 v5, v4, v5
	s_delay_alu instid0(VALU_DEP_1) | instskip(NEXT) | instid1(VALU_DEP_1)
	v_add_nc_u32_e32 v4, v4, v5
	v_mul_hi_u32 v4, s16, v4
	s_delay_alu instid0(VALU_DEP_1) | instskip(NEXT) | instid1(VALU_DEP_1)
	v_mul_lo_u32 v4, v4, s3
	v_sub_nc_u32_e32 v4, s16, v4
	s_delay_alu instid0(VALU_DEP_1) | instskip(SKIP_1) | instid1(VALU_DEP_2)
	v_subrev_nc_u32_e32 v5, s3, v4
	v_cmp_le_u32_e32 vcc_lo, s3, v4
	v_cndmask_b32_e32 v4, v4, v5, vcc_lo
	s_delay_alu instid0(VALU_DEP_1) | instskip(SKIP_1) | instid1(VALU_DEP_2)
	v_subrev_nc_u32_e32 v5, s3, v4
	v_cmp_le_u32_e32 vcc_lo, s3, v4
	v_dual_cndmask_b32 v4, v4, v5 :: v_dual_mov_b32 v5, 0
.LBB227_11:
	v_dual_mov_b32 v9, v1 :: v_dual_lshlrev_b32 v6, 4, v0
	s_delay_alu instid0(VALU_DEP_2) | instskip(NEXT) | instid1(VALU_DEP_3)
	v_sub_co_u32 v4, vcc_lo, s16, v4
	v_sub_co_ci_u32_e32 v5, vcc_lo, s17, v5, vcc_lo
	s_delay_alu instid0(VALU_DEP_3) | instskip(NEXT) | instid1(VALU_DEP_1)
	v_add_co_u32 v6, s2, v6, s18
	v_add_co_ci_u32_e64 v7, null, 0, s19, s2
	v_dual_mov_b32 v8, v0 :: v_dual_lshlrev_b32 v11, 4, v10
	s_delay_alu instid0(VALU_DEP_3) | instskip(NEXT) | instid1(VALU_DEP_3)
	v_add_co_u32 v6, vcc_lo, v6, 8
	v_add_co_ci_u32_e32 v7, vcc_lo, 0, v7, vcc_lo
	s_mov_b32 s3, 0
	.p2align	6
.LBB227_12:                             ; =>This Inner Loop Header: Depth=1
	global_load_b128 v[12:15], v[6:7], off offset:-8
	v_add_co_u32 v8, vcc_lo, v8, v10
	v_add_co_ci_u32_e32 v9, vcc_lo, 0, v9, vcc_lo
	v_add_co_u32 v6, s2, v6, v11
	s_delay_alu instid0(VALU_DEP_1) | instskip(SKIP_3) | instid1(VALU_DEP_1)
	v_add_co_ci_u32_e64 v7, s2, 0, v7, s2
	s_waitcnt vmcnt(0)
	v_add_f64 v[1:2], v[2:3], v[12:13]
	v_lshlrev_b64 v[12:13], 1, v[8:9]
	v_cmp_ge_i64_e32 vcc_lo, v[12:13], v[4:5]
	s_or_b32 s3, vcc_lo, s3
	s_delay_alu instid0(VALU_DEP_3)
	v_add_f64 v[2:3], v[1:2], v[14:15]
	s_and_not1_b32 exec_lo, exec_lo, s3
	s_cbranch_execnz .LBB227_12
; %bb.13:
	s_or_b32 exec_lo, exec_lo, s3
	v_add_co_u32 v4, vcc_lo, v4, v0
	v_add_co_ci_u32_e32 v5, vcc_lo, 0, v5, vcc_lo
	s_mov_b32 s2, exec_lo
	s_delay_alu instid0(VALU_DEP_1)
	v_cmpx_gt_i64_e64 s[16:17], v[4:5]
	s_cbranch_execz .LBB227_17
; %bb.14:
	s_mov_b32 s3, 0
.LBB227_15:                             ; =>This Inner Loop Header: Depth=1
	v_lshlrev_b64 v[6:7], 3, v[4:5]
	s_delay_alu instid0(VALU_DEP_1) | instskip(NEXT) | instid1(VALU_DEP_2)
	v_add_co_u32 v6, vcc_lo, s18, v6
	v_add_co_ci_u32_e32 v7, vcc_lo, s19, v7, vcc_lo
	v_add_co_u32 v4, vcc_lo, v4, v10
	v_add_co_ci_u32_e32 v5, vcc_lo, 0, v5, vcc_lo
	global_load_b64 v[6:7], v[6:7], off
	v_cmp_le_i64_e32 vcc_lo, s[16:17], v[4:5]
	s_or_b32 s3, vcc_lo, s3
	s_waitcnt vmcnt(0)
	v_add_f64 v[2:3], v[2:3], v[6:7]
	s_and_not1_b32 exec_lo, exec_lo, s3
	s_cbranch_execnz .LBB227_15
; %bb.16:
	s_or_b32 exec_lo, exec_lo, s3
.LBB227_17:
	s_delay_alu instid0(SALU_CYCLE_1)
	s_or_b32 exec_lo, exec_lo, s2
	s_bfe_u32 s26, s12, 0x10003
	s_mov_b32 s27, 0
	s_branch .LBB227_33
.LBB227_18:
	s_and_b32 vcc_lo, exec_lo, s14
	s_cbranch_vccz .LBB227_22
; %bb.19:
	v_cmp_ne_u32_e32 vcc_lo, 0, v0
	v_cmp_ge_i32_e64 s2, s10, v0
	v_mov_b32_e32 v2, 0
	v_mov_b32_e32 v3, 0
	s_mov_b32 s18, 0
	s_delay_alu instid0(VALU_DEP_3) | instskip(NEXT) | instid1(SALU_CYCLE_1)
	s_and_b32 s3, vcc_lo, s2
	s_and_saveexec_b32 s2, s3
	s_cbranch_execz .LBB227_21
; %bb.20:
	v_lshlrev_b32_e32 v1, 3, v0
	global_load_b64 v[1:2], v1, s[12:13] offset:-8
	s_waitcnt vmcnt(0)
	v_add_f64 v[2:3], v[1:2], 0
.LBB227_21:
	s_or_b32 exec_lo, exec_lo, s2
	s_load_b32 s2, s[0:1], 0x2c
	s_add_i32 s3, s10, 1
	s_add_u32 s16, s0, 32
	s_addc_u32 s17, s1, 0
	s_waitcnt lgkmcnt(0)
	s_and_b32 s2, s2, 0xffff
	s_delay_alu instid0(SALU_CYCLE_1) | instskip(SKIP_1) | instid1(SALU_CYCLE_1)
	v_sub_nc_u32_e64 v1, s3, s2 clamp
	s_lshl_b32 s2, s2, 3
	s_add_u32 s2, s12, s2
	s_addc_u32 s3, s13, 0
	s_add_u32 s2, s2, -8
	v_readfirstlane_b32 s14, v1
	s_addc_u32 s3, s3, -1
	s_and_b32 vcc_lo, exec_lo, s18
	s_cbranch_vccnz .LBB227_23
	s_branch .LBB227_24
.LBB227_22:
                                        ; implicit-def: $sgpr2_sgpr3
                                        ; implicit-def: $sgpr14
                                        ; implicit-def: $vgpr2_vgpr3
                                        ; implicit-def: $sgpr16_sgpr17
	s_cbranch_execz .LBB227_24
.LBB227_23:
	v_mov_b32_e32 v2, 0
	v_mov_b32_e32 v3, 0
	s_add_u32 s16, s0, 32
	s_addc_u32 s17, s1, 0
	s_mov_b32 s14, s10
	s_mov_b64 s[2:3], s[12:13]
.LBB227_24:
	s_load_b32 s18, s[16:17], 0x0
	v_mov_b32_e32 v1, 0
	s_waitcnt lgkmcnt(0)
	s_cmp_lt_u32 s15, s18
	s_cselect_b32 s18, 12, 18
	s_delay_alu instid0(SALU_CYCLE_1) | instskip(SKIP_4) | instid1(VALU_DEP_1)
	s_add_u32 s16, s16, s18
	s_addc_u32 s17, s17, 0
	global_load_u16 v1, v1, s[16:17]
	s_waitcnt vmcnt(0)
	v_readfirstlane_b32 s16, v1
	s_lshl_b32 s16, s16, 1
	s_delay_alu instid0(SALU_CYCLE_1) | instskip(SKIP_1) | instid1(VALU_DEP_1)
	v_cvt_f32_u32_e32 v4, s16
	s_sub_i32 s18, 0, s16
	v_rcp_iflag_f32_e32 v4, v4
	s_waitcnt_depctr 0xfff
	v_mul_f32_e32 v4, 0x4f7ffffe, v4
	s_delay_alu instid0(VALU_DEP_1) | instskip(NEXT) | instid1(VALU_DEP_1)
	v_cvt_u32_f32_e32 v4, v4
	v_readfirstlane_b32 s17, v4
	v_lshlrev_b32_e32 v4, 1, v0
	s_delay_alu instid0(VALU_DEP_2) | instskip(NEXT) | instid1(SALU_CYCLE_1)
	s_mul_i32 s18, s18, s17
	s_mul_hi_u32 s18, s17, s18
	s_delay_alu instid0(SALU_CYCLE_1) | instskip(NEXT) | instid1(SALU_CYCLE_1)
	s_add_i32 s17, s17, s18
	s_mul_hi_u32 s17, s14, s17
	s_delay_alu instid0(SALU_CYCLE_1) | instskip(NEXT) | instid1(SALU_CYCLE_1)
	s_mul_i32 s17, s17, s16
	s_sub_i32 s17, s14, s17
	s_delay_alu instid0(SALU_CYCLE_1) | instskip(SKIP_2) | instid1(SALU_CYCLE_1)
	s_sub_i32 s18, s17, s16
	s_cmp_ge_u32 s17, s16
	s_cselect_b32 s17, s18, s17
	s_sub_i32 s18, s17, s16
	s_cmp_ge_u32 s17, s16
	s_cselect_b32 s16, s18, s17
	s_mov_b32 s18, 0
	s_sub_i32 s16, s14, s16
	s_mov_b32 s17, exec_lo
	v_cmpx_gt_i32_e64 s16, v4
	s_cbranch_execz .LBB227_28
; %bb.25:
	v_mov_b32_e32 v4, v0
	.p2align	6
.LBB227_26:                             ; =>This Inner Loop Header: Depth=1
	s_delay_alu instid0(VALU_DEP_1) | instskip(NEXT) | instid1(VALU_DEP_1)
	v_ashrrev_i32_e32 v5, 31, v4
	v_lshlrev_b64 v[5:6], 4, v[4:5]
	v_add_nc_u32_e32 v4, v4, v1
	s_delay_alu instid0(VALU_DEP_2) | instskip(NEXT) | instid1(VALU_DEP_3)
	v_add_co_u32 v5, vcc_lo, s2, v5
	v_add_co_ci_u32_e32 v6, vcc_lo, s3, v6, vcc_lo
	global_load_b128 v[5:8], v[5:6], off
	s_waitcnt vmcnt(0)
	v_add_f64 v[2:3], v[2:3], v[5:6]
	v_lshlrev_b32_e32 v5, 1, v4
	s_delay_alu instid0(VALU_DEP_1) | instskip(SKIP_1) | instid1(VALU_DEP_3)
	v_cmp_le_i32_e32 vcc_lo, s16, v5
	s_or_b32 s18, vcc_lo, s18
	v_add_f64 v[2:3], v[2:3], v[7:8]
	s_and_not1_b32 exec_lo, exec_lo, s18
	s_cbranch_execnz .LBB227_26
; %bb.27:
	s_or_b32 exec_lo, exec_lo, s18
.LBB227_28:
	s_delay_alu instid0(SALU_CYCLE_1) | instskip(SKIP_2) | instid1(VALU_DEP_1)
	s_or_b32 exec_lo, exec_lo, s17
	v_add_nc_u32_e32 v4, s16, v0
	s_mov_b32 s16, exec_lo
	v_cmpx_gt_i32_e64 s14, v4
	s_cbranch_execz .LBB227_32
; %bb.29:
	s_mov_b32 s17, 0
.LBB227_30:                             ; =>This Inner Loop Header: Depth=1
	v_ashrrev_i32_e32 v5, 31, v4
	s_delay_alu instid0(VALU_DEP_1) | instskip(SKIP_1) | instid1(VALU_DEP_2)
	v_lshlrev_b64 v[5:6], 3, v[4:5]
	v_add_nc_u32_e32 v4, v4, v1
	v_add_co_u32 v5, vcc_lo, s2, v5
	s_delay_alu instid0(VALU_DEP_3) | instskip(NEXT) | instid1(VALU_DEP_3)
	v_add_co_ci_u32_e32 v6, vcc_lo, s3, v6, vcc_lo
	v_cmp_le_i32_e32 vcc_lo, s14, v4
	global_load_b64 v[5:6], v[5:6], off
	s_or_b32 s17, vcc_lo, s17
	s_waitcnt vmcnt(0)
	v_add_f64 v[2:3], v[2:3], v[5:6]
	s_and_not1_b32 exec_lo, exec_lo, s17
	s_cbranch_execnz .LBB227_30
; %bb.31:
	s_or_b32 exec_lo, exec_lo, s17
.LBB227_32:
	s_delay_alu instid0(SALU_CYCLE_1)
	s_or_b32 exec_lo, exec_lo, s16
.LBB227_33:
	v_lshl_add_u32 v1, v0, 3, 0
	s_barrier
	buffer_gl0_inv
	s_add_u32 s20, s0, 32
	ds_store_b64 v1, v[2:3]
	s_waitcnt lgkmcnt(0)
	s_barrier
	buffer_gl0_inv
	s_load_b32 s2, s[0:1], 0x2c
	s_addc_u32 s21, s1, 0
	s_waitcnt lgkmcnt(0)
	s_bfe_u32 s1, s2, 0xb0005
	s_delay_alu instid0(SALU_CYCLE_1) | instskip(NEXT) | instid1(SALU_CYCLE_1)
	s_min_u32 s0, s1, 32
	v_cmp_gt_u32_e32 vcc_lo, s0, v0
	s_and_saveexec_b32 s0, vcc_lo
	s_cbranch_execz .LBB227_35
; %bb.34:
	v_mad_u32_u24 v12, 0xf8, v0, v1
	ds_load_2addr_b64 v[2:5], v12 offset1:1
	ds_load_2addr_b64 v[6:9], v12 offset0:2 offset1:3
	s_waitcnt lgkmcnt(1)
	v_add_f64 v[2:3], v[2:3], 0
	s_delay_alu instid0(VALU_DEP_1) | instskip(SKIP_1) | instid1(VALU_DEP_1)
	v_add_f64 v[2:3], v[2:3], v[4:5]
	s_waitcnt lgkmcnt(0)
	v_add_f64 v[2:3], v[2:3], v[6:7]
	s_delay_alu instid0(VALU_DEP_1) | instskip(SKIP_4) | instid1(VALU_DEP_1)
	v_add_f64 v[10:11], v[2:3], v[8:9]
	ds_load_2addr_b64 v[2:5], v12 offset0:4 offset1:5
	ds_load_2addr_b64 v[6:9], v12 offset0:6 offset1:7
	s_waitcnt lgkmcnt(1)
	v_add_f64 v[2:3], v[10:11], v[2:3]
	v_add_f64 v[2:3], v[2:3], v[4:5]
	s_waitcnt lgkmcnt(0)
	s_delay_alu instid0(VALU_DEP_1) | instskip(NEXT) | instid1(VALU_DEP_1)
	v_add_f64 v[2:3], v[2:3], v[6:7]
	v_add_f64 v[10:11], v[2:3], v[8:9]
	ds_load_2addr_b64 v[2:5], v12 offset0:8 offset1:9
	ds_load_2addr_b64 v[6:9], v12 offset0:10 offset1:11
	s_waitcnt lgkmcnt(1)
	v_add_f64 v[2:3], v[10:11], v[2:3]
	s_delay_alu instid0(VALU_DEP_1) | instskip(SKIP_1) | instid1(VALU_DEP_1)
	v_add_f64 v[2:3], v[2:3], v[4:5]
	s_waitcnt lgkmcnt(0)
	v_add_f64 v[2:3], v[2:3], v[6:7]
	s_delay_alu instid0(VALU_DEP_1) | instskip(SKIP_4) | instid1(VALU_DEP_1)
	v_add_f64 v[10:11], v[2:3], v[8:9]
	ds_load_2addr_b64 v[2:5], v12 offset0:12 offset1:13
	ds_load_2addr_b64 v[6:9], v12 offset0:14 offset1:15
	s_waitcnt lgkmcnt(1)
	v_add_f64 v[2:3], v[10:11], v[2:3]
	v_add_f64 v[2:3], v[2:3], v[4:5]
	s_waitcnt lgkmcnt(0)
	s_delay_alu instid0(VALU_DEP_1) | instskip(NEXT) | instid1(VALU_DEP_1)
	v_add_f64 v[2:3], v[2:3], v[6:7]
	v_add_f64 v[10:11], v[2:3], v[8:9]
	ds_load_2addr_b64 v[2:5], v12 offset0:16 offset1:17
	;; [unrolled: 19-line block ×3, first 2 shown]
	ds_load_2addr_b64 v[6:9], v12 offset0:26 offset1:27
	s_waitcnt lgkmcnt(1)
	v_add_f64 v[2:3], v[10:11], v[2:3]
	s_delay_alu instid0(VALU_DEP_1) | instskip(SKIP_1) | instid1(VALU_DEP_1)
	v_add_f64 v[2:3], v[2:3], v[4:5]
	s_waitcnt lgkmcnt(0)
	v_add_f64 v[2:3], v[2:3], v[6:7]
	s_delay_alu instid0(VALU_DEP_1) | instskip(SKIP_4) | instid1(VALU_DEP_1)
	v_add_f64 v[10:11], v[2:3], v[8:9]
	ds_load_2addr_b64 v[2:5], v12 offset0:28 offset1:29
	ds_load_2addr_b64 v[6:9], v12 offset0:30 offset1:31
	s_waitcnt lgkmcnt(1)
	v_add_f64 v[2:3], v[10:11], v[2:3]
	v_add_f64 v[2:3], v[2:3], v[4:5]
	s_waitcnt lgkmcnt(0)
	s_delay_alu instid0(VALU_DEP_1) | instskip(NEXT) | instid1(VALU_DEP_1)
	v_add_f64 v[2:3], v[2:3], v[6:7]
	v_add_f64 v[2:3], v[2:3], v[8:9]
	ds_store_b64 v1, v[2:3]
.LBB227_35:
	s_or_b32 exec_lo, exec_lo, s0
	v_cmp_ne_u32_e64 s0, 0, v0
	s_and_b32 s14, s2, 0xffff
	s_mov_b32 s2, exec_lo
	s_waitcnt lgkmcnt(0)
	s_barrier
	buffer_gl0_inv
	v_cmpx_eq_u32_e32 0, v0
	s_cbranch_execz .LBB227_46
; %bb.36:
	v_mov_b32_e32 v1, 0
	v_mov_b32_e32 v2, 0
	s_cmp_lt_u32 s14, 32
	s_cbranch_scc1 .LBB227_45
; %bb.37:
	v_mov_b32_e32 v1, 0
	v_mov_b32_e32 v2, 0
	s_add_i32 s3, s1, -1
	s_delay_alu instid0(SALU_CYCLE_1)
	s_cmp_lt_u32 s3, 7
	s_cbranch_scc1 .LBB227_42
; %bb.38:
	s_and_b32 s3, s1, 0x7f8
	s_mov_b32 s16, 0
	s_mov_b32 s17, 0
	.p2align	6
.LBB227_39:                             ; =>This Inner Loop Header: Depth=1
	s_delay_alu instid0(SALU_CYCLE_1)
	v_mov_b32_e32 v11, s17
	s_add_i32 s16, s16, 8
	s_add_i32 s17, s17, 64
	s_cmp_eq_u32 s3, s16
	ds_load_2addr_b64 v[3:6], v11 offset1:1
	ds_load_2addr_b64 v[7:10], v11 offset0:2 offset1:3
	s_waitcnt lgkmcnt(1)
	v_add_f64 v[1:2], v[1:2], v[3:4]
	s_delay_alu instid0(VALU_DEP_1) | instskip(SKIP_1) | instid1(VALU_DEP_1)
	v_add_f64 v[1:2], v[1:2], v[5:6]
	s_waitcnt lgkmcnt(0)
	v_add_f64 v[1:2], v[1:2], v[7:8]
	s_delay_alu instid0(VALU_DEP_1) | instskip(SKIP_4) | instid1(VALU_DEP_1)
	v_add_f64 v[9:10], v[1:2], v[9:10]
	ds_load_2addr_b64 v[1:4], v11 offset0:4 offset1:5
	ds_load_2addr_b64 v[5:8], v11 offset0:6 offset1:7
	s_waitcnt lgkmcnt(1)
	v_add_f64 v[1:2], v[9:10], v[1:2]
	v_add_f64 v[1:2], v[1:2], v[3:4]
	s_waitcnt lgkmcnt(0)
	s_delay_alu instid0(VALU_DEP_1) | instskip(NEXT) | instid1(VALU_DEP_1)
	v_add_f64 v[1:2], v[1:2], v[5:6]
	v_add_f64 v[1:2], v[1:2], v[7:8]
	s_cbranch_scc0 .LBB227_39
; %bb.40:
	s_and_b32 s1, s1, 7
	s_delay_alu instid0(SALU_CYCLE_1)
	s_cmp_eq_u32 s1, 0
	s_cbranch_scc0 .LBB227_43
	s_branch .LBB227_45
.LBB227_41:
                                        ; implicit-def: $vgpr4_vgpr5
	s_branch .LBB227_10
.LBB227_42:
	s_mov_b32 s3, 0
	s_and_b32 s1, s1, 7
	s_delay_alu instid0(SALU_CYCLE_1)
	s_cmp_eq_u32 s1, 0
	s_cbranch_scc1 .LBB227_45
.LBB227_43:
	s_lshl_b32 s3, s3, 3
	s_delay_alu instid0(SALU_CYCLE_1)
	s_add_i32 s3, s3, 0
.LBB227_44:                             ; =>This Inner Loop Header: Depth=1
	s_delay_alu instid0(SALU_CYCLE_1)
	v_mov_b32_e32 v3, s3
	s_add_i32 s1, s1, -1
	s_add_i32 s3, s3, 8
	s_cmp_lg_u32 s1, 0
	ds_load_b64 v[3:4], v3
	s_waitcnt lgkmcnt(0)
	v_add_f64 v[1:2], v[1:2], v[3:4]
	s_cbranch_scc1 .LBB227_44
.LBB227_45:
	v_mov_b32_e32 v3, 0
	ds_store_b64 v3, v[1:2]
.LBB227_46:
	s_or_b32 exec_lo, exec_lo, s2
	v_mov_b32_e32 v1, 0
	s_waitcnt lgkmcnt(0)
	s_barrier
	buffer_gl0_inv
	s_add_u32 s16, s4, s22
	ds_load_b64 v[2:3], v1
	s_addc_u32 s17, s5, s23
	s_add_u32 s18, s6, s22
	s_mov_b32 s25, 0
	s_addc_u32 s19, s7, s23
	s_bfe_u32 s24, s16, 0x10003
	s_bfe_u32 s2, s18, 0x10003
	s_mov_b32 s3, s25
	s_delay_alu instid0(SALU_CYCLE_1) | instskip(SKIP_3) | instid1(SALU_CYCLE_1)
	s_cmp_eq_u64 s[24:25], s[2:3]
	s_cselect_b32 s1, -1, 0
	s_cmp_eq_u64 s[24:25], s[26:27]
	s_cselect_b32 s2, -1, 0
	s_and_b32 s1, s1, s2
	s_delay_alu instid0(SALU_CYCLE_1)
	s_and_not1_b32 vcc_lo, exec_lo, s1
	s_mov_b32 s1, -1
	s_cbranch_vccz .LBB227_65
; %bb.47:
	s_and_b32 vcc_lo, exec_lo, s33
	s_cbranch_vccz .LBB227_56
; %bb.48:
	s_lshl_b32 s64, s14, 1
	s_mov_b32 s66, 0
	v_cvt_f32_u32_e32 v1, s64
	s_sub_i32 s2, 0, s64
	s_mov_b32 s65, exec_lo
	s_delay_alu instid0(VALU_DEP_1) | instskip(SKIP_2) | instid1(VALU_DEP_1)
	v_rcp_iflag_f32_e32 v1, v1
	s_waitcnt_depctr 0xfff
	v_mul_f32_e32 v1, 0x4f7ffffe, v1
	v_cvt_u32_f32_e32 v1, v1
	s_delay_alu instid0(VALU_DEP_1) | instskip(SKIP_1) | instid1(VALU_DEP_2)
	v_readfirstlane_b32 s1, v1
	v_mov_b32_e32 v1, 0
	s_mul_i32 s2, s2, s1
	s_delay_alu instid0(VALU_DEP_1) | instskip(SKIP_1) | instid1(SALU_CYCLE_1)
	v_dual_mov_b32 v5, v1 :: v_dual_mov_b32 v4, v0
	s_mul_hi_u32 s2, s1, s2
	s_add_i32 s1, s1, s2
	s_delay_alu instid0(SALU_CYCLE_1) | instskip(NEXT) | instid1(SALU_CYCLE_1)
	s_mul_hi_u32 s1, s10, s1
	s_mul_i32 s1, s1, s64
	s_delay_alu instid0(SALU_CYCLE_1) | instskip(NEXT) | instid1(SALU_CYCLE_1)
	s_sub_i32 s1, s10, s1
	s_sub_i32 s2, s1, s64
	s_cmp_ge_u32 s1, s64
	s_cselect_b32 s1, s2, s1
	s_delay_alu instid0(SALU_CYCLE_1) | instskip(SKIP_3) | instid1(SALU_CYCLE_1)
	s_sub_i32 s2, s1, s64
	s_cmp_ge_u32 s1, s64
	s_cselect_b32 s1, s2, s1
	s_bfe_i64 s[26:27], s[10:11], 0x200000
	s_sub_u32 s28, s26, s1
	s_subb_u32 s29, s27, 0
	s_delay_alu instid0(SALU_CYCLE_1)
	v_cmpx_gt_i64_e64 s[28:29], v[0:1]
	s_cbranch_execz .LBB227_52
; %bb.49:
	s_lshl_b32 s1, s14, 3
	s_lshl_b32 s67, s14, 4
	s_add_u32 s1, s22, s1
	s_addc_u32 s2, s23, 0
	s_add_u32 s68, s6, s1
	v_lshlrev_b64 v[6:7], 3, v[0:1]
	s_addc_u32 s69, s7, s2
	s_add_u32 s70, s8, s1
	v_dual_mov_b32 v5, v1 :: v_dual_mov_b32 v4, v0
	s_addc_u32 s71, s9, s2
	s_add_u32 s72, s4, s1
	s_mov_b32 s30, 0x652b82fe
	s_mov_b32 s34, 0xfefa39ef
	;; [unrolled: 1-line block ×13, first 2 shown]
	s_addc_u32 s73, s5, s2
	s_mov_b32 s31, 0x3ff71547
	s_mov_b32 s35, 0xbfe62e42
	s_mov_b32 s37, 0xbc7abc9e
	s_mov_b32 s39, 0x3e928af3
	s_mov_b32 s41, 0x3e5ade15
	s_mov_b32 s43, 0x3ec71dee
	s_mov_b32 s45, 0x3efa0199
	s_mov_b32 s47, 0x3f2a01a0
	s_mov_b32 s49, 0x3f56c16c
	s_mov_b32 s51, 0x3f811111
	s_mov_b32 s53, 0x3fa55555
	s_mov_b32 s55, 0x3fc55555
	s_mov_b32 s57, 0x3fe00000
	s_mov_b64 s[58:59], s[16:17]
	s_mov_b64 s[60:61], s[12:13]
	;; [unrolled: 1-line block ×3, first 2 shown]
.LBB227_50:                             ; =>This Inner Loop Header: Depth=1
	s_delay_alu instid0(SALU_CYCLE_1)
	v_add_co_u32 v8, vcc_lo, s62, v6
	v_add_co_ci_u32_e32 v9, vcc_lo, s63, v7, vcc_lo
	v_add_co_u32 v10, vcc_lo, s68, v6
	v_add_co_ci_u32_e32 v11, vcc_lo, s69, v7, vcc_lo
	v_add_co_u32 v24, vcc_lo, s60, v6
	global_load_b64 v[8:9], v[8:9], off
	global_load_b64 v[10:11], v[10:11], off
	v_add_co_ci_u32_e32 v25, vcc_lo, s61, v7, vcc_lo
	v_add_co_u32 v26, vcc_lo, s70, v6
	v_add_co_ci_u32_e32 v27, vcc_lo, s71, v7, vcc_lo
	global_load_b64 v[24:25], v[24:25], off
	global_load_b64 v[26:27], v[26:27], off
	s_waitcnt vmcnt(3)
	v_mul_f64 v[12:13], v[8:9], s[30:31]
	s_waitcnt vmcnt(2)
	v_mul_f64 v[14:15], v[10:11], s[30:31]
	v_cmp_nlt_f64_e32 vcc_lo, 0x40900000, v[10:11]
	v_cmp_nlt_f64_e64 s1, 0x40900000, v[8:9]
	v_cmp_ngt_f64_e64 s2, 0xc090cc00, v[8:9]
	v_cmp_ngt_f64_e64 s3, 0xc090cc00, v[10:11]
	v_rndne_f64_e32 v[12:13], v[12:13]
	v_rndne_f64_e32 v[14:15], v[14:15]
	s_delay_alu instid0(VALU_DEP_2) | instskip(NEXT) | instid1(VALU_DEP_2)
	v_fma_f64 v[16:17], v[12:13], s[34:35], v[8:9]
	v_fma_f64 v[18:19], v[14:15], s[34:35], v[10:11]
	v_cvt_i32_f64_e32 v1, v[12:13]
	v_cvt_i32_f64_e32 v28, v[14:15]
	s_delay_alu instid0(VALU_DEP_4) | instskip(NEXT) | instid1(VALU_DEP_4)
	v_fma_f64 v[16:17], v[12:13], s[36:37], v[16:17]
	v_fma_f64 v[18:19], v[14:15], s[36:37], v[18:19]
	s_delay_alu instid0(VALU_DEP_2) | instskip(NEXT) | instid1(VALU_DEP_2)
	v_fma_f64 v[20:21], v[16:17], s[40:41], s[38:39]
	v_fma_f64 v[22:23], v[18:19], s[40:41], s[38:39]
	s_delay_alu instid0(VALU_DEP_2) | instskip(NEXT) | instid1(VALU_DEP_2)
	;; [unrolled: 3-line block ×10, first 2 shown]
	v_fma_f64 v[20:21], v[16:17], v[20:21], 1.0
	v_fma_f64 v[22:23], v[18:19], v[22:23], 1.0
	s_delay_alu instid0(VALU_DEP_2) | instskip(NEXT) | instid1(VALU_DEP_2)
	v_fma_f64 v[12:13], v[16:17], v[20:21], 1.0
	v_fma_f64 v[14:15], v[18:19], v[22:23], 1.0
	s_delay_alu instid0(VALU_DEP_2) | instskip(NEXT) | instid1(VALU_DEP_2)
	v_ldexp_f64 v[12:13], v[12:13], v1
	v_ldexp_f64 v[14:15], v[14:15], v28
	s_delay_alu instid0(VALU_DEP_2) | instskip(NEXT) | instid1(VALU_DEP_2)
	v_cndmask_b32_e64 v1, 0x7ff00000, v13, s1
	v_cndmask_b32_e32 v8, 0x7ff00000, v15, vcc_lo
	s_and_b32 s1, s2, s1
	s_and_b32 vcc_lo, s3, vcc_lo
	s_add_u32 s62, s62, s67
	v_cndmask_b32_e64 v9, 0, v1, s2
	v_cndmask_b32_e64 v11, 0, v8, s3
	;; [unrolled: 1-line block ×3, first 2 shown]
	v_cndmask_b32_e32 v10, 0, v14, vcc_lo
	v_add_co_u32 v12, vcc_lo, s58, v6
	v_add_co_ci_u32_e32 v13, vcc_lo, s59, v7, vcc_lo
	s_waitcnt vmcnt(1) lgkmcnt(0)
	v_fma_f64 v[8:9], -v[2:3], v[8:9], v[24:25]
	s_waitcnt vmcnt(0)
	v_fma_f64 v[10:11], -v[2:3], v[10:11], v[26:27]
	v_add_co_u32 v4, vcc_lo, v4, s64
	v_add_co_ci_u32_e32 v5, vcc_lo, 0, v5, vcc_lo
	s_addc_u32 s63, s63, 0
	s_add_u32 s68, s68, s67
	v_add_co_u32 v14, vcc_lo, s72, v6
	s_addc_u32 s69, s69, 0
	s_add_u32 s60, s60, s67
	v_add_co_ci_u32_e32 v15, vcc_lo, s73, v7, vcc_lo
	s_addc_u32 s61, s61, 0
	v_cmp_le_i64_e32 vcc_lo, s[28:29], v[4:5]
	s_add_u32 s70, s70, s67
	s_addc_u32 s71, s71, 0
	s_add_u32 s58, s58, s67
	s_addc_u32 s59, s59, 0
	;; [unrolled: 2-line block ×3, first 2 shown]
	s_or_b32 s66, vcc_lo, s66
	global_store_b64 v[12:13], v[8:9], off
	global_store_b64 v[14:15], v[10:11], off
	s_and_not1_b32 exec_lo, exec_lo, s66
	s_cbranch_execnz .LBB227_50
; %bb.51:
	s_or_b32 exec_lo, exec_lo, s66
.LBB227_52:
	s_delay_alu instid0(SALU_CYCLE_1) | instskip(NEXT) | instid1(SALU_CYCLE_1)
	s_or_b32 exec_lo, exec_lo, s65
	s_mov_b32 s54, exec_lo
	v_cmpx_gt_i64_e64 s[26:27], v[4:5]
	s_cbranch_execz .LBB227_55
; %bb.53:
	v_lshlrev_b64 v[6:7], 3, v[4:5]
	s_mov_b32 s2, 0x652b82fe
	s_mov_b32 s28, 0xfefa39ef
	s_mov_b32 s30, 0x3b39803f
	s_mov_b32 s34, 0xfca7ab0c
	s_mov_b32 s36, 0x6a5dcb37
	v_add_co_u32 v1, vcc_lo, s22, v6
	v_add_co_ci_u32_e32 v6, vcc_lo, s23, v7, vcc_lo
	s_mov_b32 s38, 0x623fde64
	s_mov_b32 s40, 0x7c89e6b0
	;; [unrolled: 1-line block ×22, first 2 shown]
	s_lshl_b32 s23, s14, 3
.LBB227_54:                             ; =>This Inner Loop Header: Depth=1
	v_add_co_u32 v7, vcc_lo, s6, v1
	v_add_co_ci_u32_e32 v8, vcc_lo, s7, v6, vcc_lo
	v_add_co_u32 v15, vcc_lo, s8, v1
	v_add_co_ci_u32_e32 v16, vcc_lo, s9, v6, vcc_lo
	global_load_b64 v[7:8], v[7:8], off
	global_load_b64 v[15:16], v[15:16], off
	s_waitcnt vmcnt(1)
	v_mul_f64 v[9:10], v[7:8], s[2:3]
	v_cmp_nlt_f64_e32 vcc_lo, 0x40900000, v[7:8]
	v_cmp_ngt_f64_e64 s1, 0xc090cc00, v[7:8]
	s_delay_alu instid0(VALU_DEP_3) | instskip(NEXT) | instid1(VALU_DEP_1)
	v_rndne_f64_e32 v[9:10], v[9:10]
	v_fma_f64 v[11:12], v[9:10], s[28:29], v[7:8]
	v_cvt_i32_f64_e32 v17, v[9:10]
	s_delay_alu instid0(VALU_DEP_2) | instskip(NEXT) | instid1(VALU_DEP_1)
	v_fma_f64 v[11:12], v[9:10], s[30:31], v[11:12]
	v_fma_f64 v[13:14], v[11:12], s[36:37], s[34:35]
	s_delay_alu instid0(VALU_DEP_1) | instskip(NEXT) | instid1(VALU_DEP_1)
	v_fma_f64 v[13:14], v[11:12], v[13:14], s[38:39]
	v_fma_f64 v[13:14], v[11:12], v[13:14], s[40:41]
	s_delay_alu instid0(VALU_DEP_1) | instskip(NEXT) | instid1(VALU_DEP_1)
	;; [unrolled: 3-line block ×5, first 2 shown]
	v_fma_f64 v[13:14], v[11:12], v[13:14], 1.0
	v_fma_f64 v[9:10], v[11:12], v[13:14], 1.0
	s_delay_alu instid0(VALU_DEP_1) | instskip(NEXT) | instid1(VALU_DEP_1)
	v_ldexp_f64 v[9:10], v[9:10], v17
	v_cndmask_b32_e32 v10, 0x7ff00000, v10, vcc_lo
	s_and_b32 vcc_lo, s1, vcc_lo
	s_delay_alu instid0(VALU_DEP_2) | instskip(SKIP_1) | instid1(VALU_DEP_3)
	v_cndmask_b32_e32 v7, 0, v9, vcc_lo
	v_add_co_u32 v4, vcc_lo, v4, s14
	v_cndmask_b32_e64 v8, 0, v10, s1
	v_add_co_ci_u32_e32 v5, vcc_lo, 0, v5, vcc_lo
	v_add_co_u32 v9, vcc_lo, s4, v1
	s_waitcnt vmcnt(0) lgkmcnt(0)
	s_delay_alu instid0(VALU_DEP_3) | instskip(SKIP_3) | instid1(VALU_DEP_1)
	v_fma_f64 v[7:8], -v[2:3], v[7:8], v[15:16]
	v_add_co_ci_u32_e32 v10, vcc_lo, s5, v6, vcc_lo
	v_cmp_le_i64_e32 vcc_lo, s[26:27], v[4:5]
	v_add_co_u32 v1, s1, v1, s23
	v_add_co_ci_u32_e64 v6, s1, 0, v6, s1
	s_or_b32 s22, vcc_lo, s22
	global_store_b64 v[9:10], v[7:8], off
	s_and_not1_b32 exec_lo, exec_lo, s22
	s_cbranch_execnz .LBB227_54
.LBB227_55:
	s_or_b32 exec_lo, exec_lo, s54
	s_mov_b32 s1, 0
.LBB227_56:
	s_delay_alu instid0(SALU_CYCLE_1)
	s_and_b32 vcc_lo, exec_lo, s1
	s_cbranch_vccz .LBB227_92
; %bb.57:
	s_lshl_b32 s1, s14, 1
	s_mov_b32 s48, 0
	v_cvt_f32_u32_e32 v1, s1
	s_sub_i32 s3, 0, s1
	s_mov_b32 s46, exec_lo
	v_mov_b32_e32 v4, v0
	s_delay_alu instid0(VALU_DEP_2) | instskip(SKIP_2) | instid1(VALU_DEP_1)
	v_rcp_iflag_f32_e32 v1, v1
	s_waitcnt_depctr 0xfff
	v_mul_f32_e32 v1, 0x4f7ffffe, v1
	v_cvt_u32_f32_e32 v1, v1
	s_delay_alu instid0(VALU_DEP_1) | instskip(NEXT) | instid1(VALU_DEP_1)
	v_readfirstlane_b32 s2, v1
	s_mul_i32 s3, s3, s2
	s_delay_alu instid0(SALU_CYCLE_1) | instskip(NEXT) | instid1(SALU_CYCLE_1)
	s_mul_hi_u32 s3, s2, s3
	s_add_i32 s2, s2, s3
	s_delay_alu instid0(SALU_CYCLE_1) | instskip(NEXT) | instid1(SALU_CYCLE_1)
	s_mul_hi_u32 s2, s10, s2
	s_mul_i32 s2, s2, s1
	s_delay_alu instid0(SALU_CYCLE_1) | instskip(NEXT) | instid1(SALU_CYCLE_1)
	s_sub_i32 s2, s10, s2
	s_sub_i32 s3, s2, s1
	s_cmp_ge_u32 s2, s1
	s_cselect_b32 s2, s3, s2
	s_delay_alu instid0(SALU_CYCLE_1) | instskip(SKIP_2) | instid1(SALU_CYCLE_1)
	s_sub_i32 s3, s2, s1
	s_cmp_ge_u32 s2, s1
	s_cselect_b32 s1, s3, s2
	s_sub_i32 s47, s10, s1
	s_delay_alu instid0(SALU_CYCLE_1)
	v_cmpx_gt_i32_e64 s47, v0
	s_cbranch_execz .LBB227_61
; %bb.58:
	v_dual_mov_b32 v5, 0 :: v_dual_mov_b32 v4, v0
	s_mov_b32 s4, 0x652b82fe
	s_mov_b32 s6, 0xfefa39ef
	;; [unrolled: 1-line block ×26, first 2 shown]
.LBB227_59:                             ; =>This Inner Loop Header: Depth=1
	v_lshlrev_b64 v[6:7], 3, v[4:5]
	v_add_nc_u32_e32 v4, s14, v4
	s_delay_alu instid0(VALU_DEP_1) | instskip(NEXT) | instid1(VALU_DEP_3)
	v_lshlrev_b64 v[8:9], 3, v[4:5]
	v_add_co_u32 v10, vcc_lo, s18, v6
	s_delay_alu instid0(VALU_DEP_4) | instskip(SKIP_1) | instid1(VALU_DEP_4)
	v_add_co_ci_u32_e32 v11, vcc_lo, s19, v7, vcc_lo
	v_add_nc_u32_e32 v4, s14, v4
	v_add_co_u32 v12, vcc_lo, s18, v8
	v_add_co_ci_u32_e32 v13, vcc_lo, s19, v9, vcc_lo
	v_add_co_u32 v26, vcc_lo, s12, v6
	s_clause 0x1
	global_load_b64 v[10:11], v[10:11], off
	global_load_b64 v[12:13], v[12:13], off
	v_add_co_ci_u32_e32 v27, vcc_lo, s13, v7, vcc_lo
	v_add_co_u32 v28, vcc_lo, s12, v8
	v_add_co_ci_u32_e32 v29, vcc_lo, s13, v9, vcc_lo
	s_clause 0x1
	global_load_b64 v[26:27], v[26:27], off
	global_load_b64 v[28:29], v[28:29], off
	s_waitcnt vmcnt(3)
	v_mul_f64 v[14:15], v[10:11], s[4:5]
	s_waitcnt vmcnt(2)
	v_mul_f64 v[16:17], v[12:13], s[4:5]
	v_cmp_nlt_f64_e64 s1, 0x40900000, v[12:13]
	v_cmp_nlt_f64_e32 vcc_lo, 0x40900000, v[10:11]
	v_cmp_ngt_f64_e64 s2, 0xc090cc00, v[10:11]
	v_cmp_ngt_f64_e64 s3, 0xc090cc00, v[12:13]
	v_rndne_f64_e32 v[14:15], v[14:15]
	v_rndne_f64_e32 v[16:17], v[16:17]
	s_delay_alu instid0(VALU_DEP_2) | instskip(NEXT) | instid1(VALU_DEP_2)
	v_fma_f64 v[18:19], v[14:15], s[6:7], v[10:11]
	v_fma_f64 v[20:21], v[16:17], s[6:7], v[12:13]
	v_cvt_i32_f64_e32 v30, v[16:17]
	v_cvt_i32_f64_e32 v1, v[14:15]
	s_delay_alu instid0(VALU_DEP_4) | instskip(NEXT) | instid1(VALU_DEP_4)
	v_fma_f64 v[18:19], v[14:15], s[8:9], v[18:19]
	v_fma_f64 v[20:21], v[16:17], s[8:9], v[20:21]
	s_delay_alu instid0(VALU_DEP_2) | instskip(NEXT) | instid1(VALU_DEP_2)
	v_fma_f64 v[22:23], v[18:19], s[26:27], s[22:23]
	v_fma_f64 v[24:25], v[20:21], s[26:27], s[22:23]
	s_delay_alu instid0(VALU_DEP_2) | instskip(NEXT) | instid1(VALU_DEP_2)
	;; [unrolled: 3-line block ×10, first 2 shown]
	v_fma_f64 v[22:23], v[18:19], v[22:23], 1.0
	v_fma_f64 v[24:25], v[20:21], v[24:25], 1.0
	s_delay_alu instid0(VALU_DEP_2) | instskip(NEXT) | instid1(VALU_DEP_2)
	v_fma_f64 v[14:15], v[18:19], v[22:23], 1.0
	v_fma_f64 v[16:17], v[20:21], v[24:25], 1.0
	s_delay_alu instid0(VALU_DEP_2) | instskip(NEXT) | instid1(VALU_DEP_2)
	v_ldexp_f64 v[14:15], v[14:15], v1
	v_ldexp_f64 v[16:17], v[16:17], v30
	s_delay_alu instid0(VALU_DEP_2) | instskip(NEXT) | instid1(VALU_DEP_2)
	v_cndmask_b32_e32 v1, 0x7ff00000, v15, vcc_lo
	v_cndmask_b32_e64 v10, 0x7ff00000, v17, s1
	s_and_b32 vcc_lo, s2, vcc_lo
	s_delay_alu instid0(VALU_DEP_2) | instskip(NEXT) | instid1(VALU_DEP_2)
	v_cndmask_b32_e64 v11, 0, v1, s2
	v_cndmask_b32_e64 v13, 0, v10, s3
	v_cndmask_b32_e32 v10, 0, v14, vcc_lo
	s_and_b32 vcc_lo, s3, s1
	v_add_co_u32 v8, s1, s16, v8
	v_cndmask_b32_e32 v12, 0, v16, vcc_lo
	s_waitcnt vmcnt(1) lgkmcnt(0)
	v_fma_f64 v[10:11], -v[2:3], v[10:11], v[26:27]
	v_add_co_u32 v6, vcc_lo, s16, v6
	v_add_co_ci_u32_e32 v7, vcc_lo, s17, v7, vcc_lo
	s_waitcnt vmcnt(0)
	v_fma_f64 v[12:13], -v[2:3], v[12:13], v[28:29]
	v_cmp_le_i32_e32 vcc_lo, s47, v4
	v_add_co_ci_u32_e64 v9, s1, s17, v9, s1
	s_clause 0x1
	global_store_b64 v[6:7], v[10:11], off
	global_store_b64 v[8:9], v[12:13], off
	s_or_b32 s48, vcc_lo, s48
	s_delay_alu instid0(SALU_CYCLE_1)
	s_and_not1_b32 exec_lo, exec_lo, s48
	s_cbranch_execnz .LBB227_59
; %bb.60:
	s_or_b32 exec_lo, exec_lo, s48
.LBB227_61:
	s_delay_alu instid0(SALU_CYCLE_1) | instskip(NEXT) | instid1(SALU_CYCLE_1)
	s_or_b32 exec_lo, exec_lo, s46
	s_mov_b32 s44, exec_lo
	v_cmpx_gt_i32_e64 s10, v4
	s_cbranch_execz .LBB227_64
; %bb.62:
	s_mov_b32 s2, 0x652b82fe
	s_mov_b32 s4, 0xfefa39ef
	;; [unrolled: 1-line block ×27, first 2 shown]
.LBB227_63:                             ; =>This Inner Loop Header: Depth=1
	v_ashrrev_i32_e32 v5, 31, v4
	s_delay_alu instid0(VALU_DEP_1) | instskip(SKIP_1) | instid1(VALU_DEP_2)
	v_lshlrev_b64 v[5:6], 3, v[4:5]
	v_add_nc_u32_e32 v4, s14, v4
	v_add_co_u32 v7, vcc_lo, s18, v5
	s_delay_alu instid0(VALU_DEP_3)
	v_add_co_ci_u32_e32 v8, vcc_lo, s19, v6, vcc_lo
	v_add_co_u32 v15, vcc_lo, s12, v5
	v_add_co_ci_u32_e32 v16, vcc_lo, s13, v6, vcc_lo
	global_load_b64 v[7:8], v[7:8], off
	global_load_b64 v[15:16], v[15:16], off
	s_waitcnt vmcnt(1)
	v_mul_f64 v[9:10], v[7:8], s[2:3]
	v_cmp_nlt_f64_e32 vcc_lo, 0x40900000, v[7:8]
	v_cmp_ngt_f64_e64 s1, 0xc090cc00, v[7:8]
	s_delay_alu instid0(VALU_DEP_3) | instskip(NEXT) | instid1(VALU_DEP_1)
	v_rndne_f64_e32 v[9:10], v[9:10]
	v_fma_f64 v[11:12], v[9:10], s[4:5], v[7:8]
	v_cvt_i32_f64_e32 v1, v[9:10]
	s_delay_alu instid0(VALU_DEP_2) | instskip(NEXT) | instid1(VALU_DEP_1)
	v_fma_f64 v[11:12], v[9:10], s[6:7], v[11:12]
	v_fma_f64 v[13:14], v[11:12], s[22:23], s[8:9]
	s_delay_alu instid0(VALU_DEP_1) | instskip(NEXT) | instid1(VALU_DEP_1)
	v_fma_f64 v[13:14], v[11:12], v[13:14], s[26:27]
	v_fma_f64 v[13:14], v[11:12], v[13:14], s[28:29]
	s_delay_alu instid0(VALU_DEP_1) | instskip(NEXT) | instid1(VALU_DEP_1)
	;; [unrolled: 3-line block ×5, first 2 shown]
	v_fma_f64 v[13:14], v[11:12], v[13:14], 1.0
	v_fma_f64 v[9:10], v[11:12], v[13:14], 1.0
	s_delay_alu instid0(VALU_DEP_1) | instskip(NEXT) | instid1(VALU_DEP_1)
	v_ldexp_f64 v[9:10], v[9:10], v1
	v_cndmask_b32_e32 v1, 0x7ff00000, v10, vcc_lo
	s_and_b32 vcc_lo, s1, vcc_lo
	s_delay_alu instid0(VALU_DEP_2) | instskip(SKIP_1) | instid1(VALU_DEP_3)
	v_cndmask_b32_e32 v7, 0, v9, vcc_lo
	v_cmp_le_i32_e32 vcc_lo, s10, v4
	v_cndmask_b32_e64 v8, 0, v1, s1
	v_add_co_u32 v5, s1, s16, v5
	s_delay_alu instid0(VALU_DEP_1) | instskip(SKIP_1) | instid1(VALU_DEP_3)
	v_add_co_ci_u32_e64 v6, s1, s17, v6, s1
	s_waitcnt vmcnt(0) lgkmcnt(0)
	v_fma_f64 v[7:8], -v[2:3], v[7:8], v[15:16]
	s_or_b32 s45, vcc_lo, s45
	global_store_b64 v[5:6], v[7:8], off
	s_and_not1_b32 exec_lo, exec_lo, s45
	s_cbranch_execnz .LBB227_63
.LBB227_64:
	s_or_b32 exec_lo, exec_lo, s44
	s_mov_b32 s1, 0
.LBB227_65:
	s_delay_alu instid0(SALU_CYCLE_1)
	s_and_not1_b32 vcc_lo, exec_lo, s1
	s_cbranch_vccnz .LBB227_93
.LBB227_66:
	s_cmp_lg_u64 s[24:25], 0
	s_mov_b32 s2, -1
	s_cselect_b32 s52, -1, 0
	s_and_b32 vcc_lo, exec_lo, s33
	v_cndmask_b32_e64 v1, 0, 1, s52
	s_delay_alu instid0(VALU_DEP_1)
	v_cmp_ne_u32_e64 s1, 1, v1
	s_cbranch_vccz .LBB227_81
; %bb.67:
	v_mov_b32_e32 v1, 0
	s_delay_alu instid0(VALU_DEP_2)
	s_and_b32 vcc_lo, exec_lo, s1
	s_mov_b64 s[4:5], s[10:11]
	s_mov_b64 s[6:7], s[16:17]
	;; [unrolled: 1-line block ×4, first 2 shown]
	s_cbranch_vccnz .LBB227_71
; %bb.68:
	s_and_saveexec_b32 s2, s0
	s_cbranch_execz .LBB227_70
; %bb.69:
	v_lshlrev_b64 v[4:5], 3, v[0:1]
	s_mov_b32 s4, 0x652b82fe
	s_mov_b32 s5, 0x3ff71547
	;; [unrolled: 1-line block ×4, first 2 shown]
	s_delay_alu instid0(VALU_DEP_1)
	v_add_co_u32 v6, vcc_lo, s18, v4
	v_add_co_ci_u32_e32 v7, vcc_lo, s19, v5, vcc_lo
	v_add_co_u32 v14, vcc_lo, s12, v4
	v_add_co_ci_u32_e32 v15, vcc_lo, s13, v5, vcc_lo
	global_load_b64 v[6:7], v[6:7], off offset:-8
	global_load_b64 v[14:15], v[14:15], off offset:-8
	s_waitcnt vmcnt(1)
	v_mul_f64 v[8:9], v[6:7], s[4:5]
	s_mov_b32 s4, 0xfefa39ef
	s_mov_b32 s5, 0xbfe62e42
	v_cmp_nlt_f64_e32 vcc_lo, 0x40900000, v[6:7]
	v_cmp_ngt_f64_e64 s1, 0xc090cc00, v[6:7]
	s_delay_alu instid0(VALU_DEP_3) | instskip(NEXT) | instid1(VALU_DEP_1)
	v_rndne_f64_e32 v[8:9], v[8:9]
	v_fma_f64 v[10:11], v[8:9], s[4:5], v[6:7]
	s_mov_b32 s4, 0x3b39803f
	s_mov_b32 s5, 0xbc7abc9e
	v_cvt_i32_f64_e32 v16, v[8:9]
	s_delay_alu instid0(VALU_DEP_2)
	v_fma_f64 v[10:11], v[8:9], s[4:5], v[10:11]
	s_mov_b32 s4, 0xfca7ab0c
	s_mov_b32 s5, 0x3e928af3
	s_delay_alu instid0(VALU_DEP_1) | instid1(SALU_CYCLE_1)
	v_fma_f64 v[12:13], v[10:11], s[6:7], s[4:5]
	s_mov_b32 s4, 0x623fde64
	s_mov_b32 s5, 0x3ec71dee
	s_delay_alu instid0(VALU_DEP_1) | instid1(SALU_CYCLE_1)
	;; [unrolled: 4-line block ×9, first 2 shown]
	v_fma_f64 v[12:13], v[10:11], v[12:13], s[4:5]
	s_delay_alu instid0(VALU_DEP_1) | instskip(NEXT) | instid1(VALU_DEP_1)
	v_fma_f64 v[12:13], v[10:11], v[12:13], 1.0
	v_fma_f64 v[8:9], v[10:11], v[12:13], 1.0
	s_delay_alu instid0(VALU_DEP_1) | instskip(NEXT) | instid1(VALU_DEP_1)
	v_ldexp_f64 v[8:9], v[8:9], v16
	v_cndmask_b32_e32 v9, 0x7ff00000, v9, vcc_lo
	s_and_b32 vcc_lo, s1, vcc_lo
	s_delay_alu instid0(VALU_DEP_2) | instskip(SKIP_1) | instid1(VALU_DEP_3)
	v_cndmask_b32_e32 v6, 0, v8, vcc_lo
	v_add_co_u32 v4, vcc_lo, s16, v4
	v_cndmask_b32_e64 v7, 0, v9, s1
	v_add_co_ci_u32_e32 v5, vcc_lo, s17, v5, vcc_lo
	s_waitcnt vmcnt(0) lgkmcnt(0)
	s_delay_alu instid0(VALU_DEP_2)
	v_fma_f64 v[6:7], -v[2:3], v[6:7], v[14:15]
	global_store_b64 v[4:5], v[6:7], off offset:-8
.LBB227_70:
	s_or_b32 exec_lo, exec_lo, s2
	s_sub_u32 s1, s10, s14
	s_subb_u32 s2, s11, 0
	s_add_u32 s4, s1, 1
	s_addc_u32 s5, s2, 0
	s_lshl_b32 s1, s14, 3
	s_delay_alu instid0(SALU_CYCLE_1)
	s_add_u32 s2, s16, s1
	s_addc_u32 s3, s17, 0
	s_add_u32 s6, s2, -8
	s_addc_u32 s7, s3, -1
	s_add_u32 s2, s18, s1
	s_addc_u32 s3, s19, 0
	s_add_u32 s8, s2, -8
	s_addc_u32 s9, s3, -1
	;; [unrolled: 4-line block ×3, first 2 shown]
.LBB227_71:
	s_load_b32 s1, s[20:21], 0x0
	v_mov_b32_e32 v4, 0
	s_waitcnt lgkmcnt(0)
	s_cmp_lt_u32 s15, s1
	s_cselect_b32 s1, 12, 18
	s_delay_alu instid0(SALU_CYCLE_1)
	s_add_u32 s2, s20, s1
	s_addc_u32 s3, s21, 0
	global_load_u16 v6, v4, s[2:3]
	s_mov_b32 s2, 0
	s_mov_b32 s3, s5
	s_waitcnt vmcnt(0)
	v_readfirstlane_b32 s1, v6
	s_delay_alu instid0(VALU_DEP_1) | instskip(NEXT) | instid1(SALU_CYCLE_1)
	s_and_b32 s1, 0xffff, s1
	s_lshl_b32 s11, s1, 1
	s_cmp_lg_u64 s[2:3], 0
	s_cbranch_scc0 .LBB227_94
; %bb.72:
	v_cvt_f32_u32_e32 v4, s11
	s_sub_u32 s24, 0, s11
	s_subb_u32 s25, 0, 0
	s_delay_alu instid0(VALU_DEP_1) | instskip(NEXT) | instid1(VALU_DEP_1)
	v_fmamk_f32 v4, 0, 0x4f800000, v4
	v_rcp_f32_e32 v4, v4
	s_waitcnt_depctr 0xfff
	v_mul_f32_e32 v4, 0x5f7ffffc, v4
	s_delay_alu instid0(VALU_DEP_1) | instskip(NEXT) | instid1(VALU_DEP_1)
	v_mul_f32_e32 v5, 0x2f800000, v4
	v_trunc_f32_e32 v5, v5
	s_delay_alu instid0(VALU_DEP_1) | instskip(SKIP_1) | instid1(VALU_DEP_2)
	v_fmamk_f32 v4, v5, 0xcf800000, v4
	v_cvt_u32_f32_e32 v5, v5
	v_cvt_u32_f32_e32 v4, v4
	s_delay_alu instid0(VALU_DEP_2) | instskip(NEXT) | instid1(VALU_DEP_2)
	v_readfirstlane_b32 s1, v5
	v_readfirstlane_b32 s3, v4
	s_delay_alu instid0(VALU_DEP_2) | instskip(NEXT) | instid1(VALU_DEP_1)
	s_mul_i32 s26, s24, s1
	s_mul_hi_u32 s28, s24, s3
	s_mul_i32 s27, s25, s3
	s_add_i32 s26, s28, s26
	s_mul_i32 s29, s24, s3
	s_add_i32 s26, s26, s27
	s_mul_hi_u32 s28, s3, s29
	s_mul_hi_u32 s30, s1, s29
	s_mul_i32 s27, s1, s29
	s_mul_hi_u32 s29, s3, s26
	s_mul_i32 s3, s3, s26
	s_mul_hi_u32 s31, s1, s26
	s_add_u32 s3, s28, s3
	s_addc_u32 s28, 0, s29
	s_add_u32 s3, s3, s27
	s_mul_i32 s26, s1, s26
	s_addc_u32 s3, s28, s30
	s_addc_u32 s27, s31, 0
	s_add_u32 s3, s3, s26
	s_addc_u32 s26, 0, s27
	v_add_co_u32 v4, s3, v4, s3
	s_delay_alu instid0(VALU_DEP_1) | instskip(SKIP_1) | instid1(VALU_DEP_1)
	s_cmp_lg_u32 s3, 0
	s_addc_u32 s1, s1, s26
	v_readfirstlane_b32 s3, v4
	s_mul_i32 s26, s24, s1
	s_delay_alu instid0(VALU_DEP_1)
	s_mul_hi_u32 s27, s24, s3
	s_mul_i32 s25, s25, s3
	s_add_i32 s26, s27, s26
	s_mul_i32 s24, s24, s3
	s_add_i32 s26, s26, s25
	s_mul_hi_u32 s27, s1, s24
	s_mul_i32 s28, s1, s24
	s_mul_hi_u32 s24, s3, s24
	s_mul_hi_u32 s29, s3, s26
	s_mul_i32 s3, s3, s26
	s_mul_hi_u32 s25, s1, s26
	s_add_u32 s3, s24, s3
	s_addc_u32 s24, 0, s29
	s_add_u32 s3, s3, s28
	s_mul_i32 s26, s1, s26
	s_addc_u32 s3, s24, s27
	s_addc_u32 s24, s25, 0
	s_add_u32 s3, s3, s26
	s_addc_u32 s24, 0, s24
	v_add_co_u32 v4, s3, v4, s3
	s_delay_alu instid0(VALU_DEP_1) | instskip(SKIP_1) | instid1(VALU_DEP_1)
	s_cmp_lg_u32 s3, 0
	s_addc_u32 s1, s1, s24
	v_readfirstlane_b32 s3, v4
	s_mul_i32 s25, s4, s1
	s_mul_hi_u32 s24, s4, s1
	s_mul_hi_u32 s26, s5, s1
	s_mul_i32 s1, s5, s1
	s_mul_hi_u32 s27, s4, s3
	s_mul_hi_u32 s28, s5, s3
	s_mul_i32 s3, s5, s3
	s_add_u32 s25, s27, s25
	s_addc_u32 s24, 0, s24
	s_add_u32 s3, s25, s3
	s_addc_u32 s3, s24, s28
	s_addc_u32 s24, s26, 0
	s_add_u32 s1, s3, s1
	s_addc_u32 s3, 0, s24
	s_mul_hi_u32 s24, s11, s1
	s_mul_i32 s1, s11, s1
	s_mul_i32 s3, s11, s3
	v_sub_co_u32 v4, s1, s4, s1
	s_add_i32 s24, s24, s3
	s_cmp_lg_u32 s1, 0
	s_delay_alu instid0(VALU_DEP_1) | instskip(SKIP_2) | instid1(VALU_DEP_1)
	v_sub_co_u32 v5, s1, v4, s11
	s_subb_u32 s3, s5, s24
	s_cmp_lg_u32 s1, 0
	v_cmp_le_u32_e32 vcc_lo, s11, v5
	v_sub_co_u32 v7, s1, v5, s11
	s_subb_u32 s24, s3, 0
	s_cmp_lg_u32 s1, 0
	v_cndmask_b32_e64 v8, 0, -1, vcc_lo
	s_subb_u32 s1, s24, 0
	s_cmp_eq_u32 s24, 0
	v_mov_b32_e32 v10, s1
	s_cselect_b32 vcc_lo, -1, 0
	s_cmp_eq_u32 s3, 0
	v_cndmask_b32_e32 v8, -1, v8, vcc_lo
	v_cmp_le_u32_e32 vcc_lo, s11, v4
	s_cselect_b32 s1, -1, 0
	v_cndmask_b32_e64 v9, 0, -1, vcc_lo
	s_delay_alu instid0(VALU_DEP_3) | instskip(NEXT) | instid1(VALU_DEP_2)
	v_cmp_ne_u32_e32 vcc_lo, 0, v8
	v_cndmask_b32_e64 v8, -1, v9, s1
	v_cndmask_b32_e32 v9, s24, v10, vcc_lo
	v_cndmask_b32_e32 v7, v5, v7, vcc_lo
	s_delay_alu instid0(VALU_DEP_3) | instskip(NEXT) | instid1(VALU_DEP_3)
	v_cmp_ne_u32_e32 vcc_lo, 0, v8
	v_cndmask_b32_e32 v5, s3, v9, vcc_lo
	s_delay_alu instid0(VALU_DEP_3)
	v_cndmask_b32_e32 v4, v4, v7, vcc_lo
	v_and_b32_e32 v10, 0xffff, v6
	s_and_not1_b32 vcc_lo, exec_lo, s2
	s_cbranch_vccnz .LBB227_74
.LBB227_73:
	v_cvt_f32_u32_e32 v4, s11
	s_sub_i32 s1, 0, s11
	s_delay_alu instid0(VALU_DEP_1) | instskip(SKIP_2) | instid1(VALU_DEP_1)
	v_rcp_iflag_f32_e32 v4, v4
	s_waitcnt_depctr 0xfff
	v_mul_f32_e32 v4, 0x4f7ffffe, v4
	v_cvt_u32_f32_e32 v4, v4
	s_delay_alu instid0(VALU_DEP_1) | instskip(NEXT) | instid1(VALU_DEP_1)
	v_mul_lo_u32 v5, s1, v4
	v_mul_hi_u32 v5, v4, v5
	s_delay_alu instid0(VALU_DEP_1) | instskip(NEXT) | instid1(VALU_DEP_1)
	v_add_nc_u32_e32 v4, v4, v5
	v_mul_hi_u32 v4, s4, v4
	s_delay_alu instid0(VALU_DEP_1) | instskip(NEXT) | instid1(VALU_DEP_1)
	v_mul_lo_u32 v4, v4, s11
	v_sub_nc_u32_e32 v4, s4, v4
	s_delay_alu instid0(VALU_DEP_1) | instskip(SKIP_1) | instid1(VALU_DEP_2)
	v_subrev_nc_u32_e32 v5, s11, v4
	v_cmp_le_u32_e32 vcc_lo, s11, v4
	v_cndmask_b32_e32 v4, v4, v5, vcc_lo
	s_delay_alu instid0(VALU_DEP_1) | instskip(SKIP_1) | instid1(VALU_DEP_2)
	v_subrev_nc_u32_e32 v5, s11, v4
	v_cmp_le_u32_e32 vcc_lo, s11, v4
	v_dual_cndmask_b32 v4, v4, v5 :: v_dual_mov_b32 v5, 0
.LBB227_74:
	s_delay_alu instid0(VALU_DEP_1) | instskip(SKIP_1) | instid1(VALU_DEP_3)
	v_sub_co_u32 v4, vcc_lo, s4, v4
	v_lshlrev_b64 v[6:7], 1, v[0:1]
	v_sub_co_ci_u32_e32 v5, vcc_lo, s5, v5, vcc_lo
	s_mov_b32 s11, exec_lo
	s_delay_alu instid0(VALU_DEP_1)
	v_cmpx_lt_u64_e64 v[6:7], v[4:5]
	s_cbranch_execz .LBB227_77
; %bb.75:
	v_lshlrev_b64 v[6:7], 4, v[0:1]
	v_mov_b32_e32 v9, v1
	v_dual_mov_b32 v8, v0 :: v_dual_lshlrev_b32 v11, 4, v10
	s_mov_b32 s24, 0x652b82fe
	s_mov_b32 s26, 0xfefa39ef
	s_delay_alu instid0(VALU_DEP_3)
	v_or_b32_e32 v6, 8, v6
	s_mov_b32 s28, 0x3b39803f
	s_mov_b32 s30, 0xfca7ab0c
	;; [unrolled: 1-line block ×25, first 2 shown]
.LBB227_76:                             ; =>This Inner Loop Header: Depth=1
	v_add_co_u32 v12, vcc_lo, s8, v6
	v_add_co_ci_u32_e32 v13, vcc_lo, s9, v7, vcc_lo
	global_load_b128 v[12:15], v[12:13], off offset:-8
	s_waitcnt vmcnt(0)
	v_mul_f64 v[16:17], v[12:13], s[24:25]
	v_mul_f64 v[18:19], v[14:15], s[24:25]
	v_cmp_nlt_f64_e64 s1, 0x40900000, v[12:13]
	v_cmp_ngt_f64_e64 s2, 0xc090cc00, v[12:13]
	v_cmp_ngt_f64_e64 s3, 0xc090cc00, v[14:15]
	v_rndne_f64_e32 v[20:21], v[16:17]
	v_rndne_f64_e32 v[22:23], v[18:19]
	s_delay_alu instid0(VALU_DEP_2) | instskip(NEXT) | instid1(VALU_DEP_2)
	v_fma_f64 v[16:17], v[20:21], s[26:27], v[12:13]
	v_fma_f64 v[18:19], v[22:23], s[26:27], v[14:15]
	v_cvt_i32_f64_e32 v1, v[20:21]
	v_cvt_i32_f64_e32 v32, v[22:23]
	s_delay_alu instid0(VALU_DEP_4) | instskip(NEXT) | instid1(VALU_DEP_4)
	v_fma_f64 v[24:25], v[20:21], s[28:29], v[16:17]
	v_fma_f64 v[26:27], v[22:23], s[28:29], v[18:19]
	s_delay_alu instid0(VALU_DEP_2) | instskip(NEXT) | instid1(VALU_DEP_2)
	v_fma_f64 v[16:17], v[24:25], s[34:35], s[30:31]
	v_fma_f64 v[18:19], v[26:27], s[34:35], s[30:31]
	s_delay_alu instid0(VALU_DEP_2) | instskip(NEXT) | instid1(VALU_DEP_2)
	;; [unrolled: 3-line block ×4, first 2 shown]
	v_fma_f64 v[16:17], v[24:25], v[16:17], s[40:41]
	v_fma_f64 v[18:19], v[26:27], v[18:19], s[40:41]
	s_delay_alu instid0(VALU_DEP_2) | instskip(SKIP_2) | instid1(VALU_DEP_4)
	v_fma_f64 v[28:29], v[24:25], v[16:17], s[42:43]
	v_add_co_u32 v16, vcc_lo, s22, v6
	v_add_co_ci_u32_e32 v17, vcc_lo, s23, v7, vcc_lo
	v_fma_f64 v[30:31], v[26:27], v[18:19], s[42:43]
	v_cmp_nlt_f64_e32 vcc_lo, 0x40900000, v[14:15]
	global_load_b128 v[16:19], v[16:17], off offset:-8
	v_fma_f64 v[28:29], v[24:25], v[28:29], s[44:45]
	v_fma_f64 v[30:31], v[26:27], v[30:31], s[44:45]
	s_delay_alu instid0(VALU_DEP_2) | instskip(NEXT) | instid1(VALU_DEP_2)
	v_fma_f64 v[28:29], v[24:25], v[28:29], s[46:47]
	v_fma_f64 v[30:31], v[26:27], v[30:31], s[46:47]
	s_delay_alu instid0(VALU_DEP_2) | instskip(NEXT) | instid1(VALU_DEP_2)
	;; [unrolled: 3-line block ×4, first 2 shown]
	v_fma_f64 v[28:29], v[24:25], v[28:29], 1.0
	v_fma_f64 v[30:31], v[26:27], v[30:31], 1.0
	s_delay_alu instid0(VALU_DEP_2) | instskip(NEXT) | instid1(VALU_DEP_2)
	v_fma_f64 v[20:21], v[24:25], v[28:29], 1.0
	v_fma_f64 v[22:23], v[26:27], v[30:31], 1.0
	s_delay_alu instid0(VALU_DEP_2) | instskip(NEXT) | instid1(VALU_DEP_2)
	v_ldexp_f64 v[20:21], v[20:21], v1
	v_ldexp_f64 v[22:23], v[22:23], v32
	s_delay_alu instid0(VALU_DEP_2) | instskip(SKIP_1) | instid1(VALU_DEP_2)
	v_cndmask_b32_e64 v1, 0x7ff00000, v21, s1
	s_and_b32 s1, s2, s1
	v_cndmask_b32_e32 v12, 0x7ff00000, v23, vcc_lo
	s_and_b32 vcc_lo, s3, vcc_lo
	s_delay_alu instid0(VALU_DEP_2) | instskip(NEXT) | instid1(VALU_DEP_4)
	v_cndmask_b32_e64 v13, 0, v1, s2
	v_cndmask_b32_e32 v14, 0, v22, vcc_lo
	v_add_co_u32 v8, vcc_lo, v8, v10
	v_cndmask_b32_e64 v15, 0, v12, s3
	v_cndmask_b32_e64 v12, 0, v20, s1
	v_add_co_ci_u32_e32 v9, vcc_lo, 0, v9, vcc_lo
	s_waitcnt vmcnt(0)
	s_delay_alu instid0(VALU_DEP_2) | instskip(SKIP_1) | instid1(VALU_DEP_3)
	v_fma_f64 v[12:13], -v[2:3], v[12:13], v[16:17]
	v_fma_f64 v[14:15], -v[2:3], v[14:15], v[18:19]
	v_lshlrev_b64 v[16:17], 1, v[8:9]
	v_add_co_u32 v18, vcc_lo, s6, v6
	v_add_co_ci_u32_e32 v19, vcc_lo, s7, v7, vcc_lo
	v_add_co_u32 v6, s1, v6, v11
	s_delay_alu instid0(VALU_DEP_4)
	v_cmp_ge_i64_e32 vcc_lo, v[16:17], v[4:5]
	v_add_co_ci_u32_e64 v7, s1, 0, v7, s1
	s_or_b32 s33, vcc_lo, s33
	global_store_b128 v[18:19], v[12:15], off offset:-8
	s_and_not1_b32 exec_lo, exec_lo, s33
	s_cbranch_execnz .LBB227_76
.LBB227_77:
	s_or_b32 exec_lo, exec_lo, s11
	v_add_co_u32 v4, vcc_lo, v4, v0
	v_add_co_ci_u32_e32 v5, vcc_lo, 0, v5, vcc_lo
	s_mov_b32 s11, exec_lo
	s_delay_alu instid0(VALU_DEP_1)
	v_cmpx_gt_i64_e64 s[4:5], v[4:5]
	s_cbranch_execz .LBB227_80
; %bb.78:
	s_mov_b32 s2, 0x652b82fe
	s_mov_b32 s24, 0xfefa39ef
	;; [unrolled: 1-line block ×27, first 2 shown]
.LBB227_79:                             ; =>This Inner Loop Header: Depth=1
	v_lshlrev_b64 v[6:7], 3, v[4:5]
	s_delay_alu instid0(VALU_DEP_1) | instskip(NEXT) | instid1(VALU_DEP_2)
	v_add_co_u32 v8, vcc_lo, s8, v6
	v_add_co_ci_u32_e32 v9, vcc_lo, s9, v7, vcc_lo
	v_add_co_u32 v17, vcc_lo, s22, v6
	v_add_co_ci_u32_e32 v18, vcc_lo, s23, v7, vcc_lo
	global_load_b64 v[8:9], v[8:9], off
	global_load_b64 v[17:18], v[17:18], off
	s_waitcnt vmcnt(1)
	v_mul_f64 v[11:12], v[8:9], s[2:3]
	v_cmp_nlt_f64_e32 vcc_lo, 0x40900000, v[8:9]
	v_cmp_ngt_f64_e64 s1, 0xc090cc00, v[8:9]
	s_delay_alu instid0(VALU_DEP_3) | instskip(NEXT) | instid1(VALU_DEP_1)
	v_rndne_f64_e32 v[11:12], v[11:12]
	v_fma_f64 v[13:14], v[11:12], s[24:25], v[8:9]
	v_cvt_i32_f64_e32 v1, v[11:12]
	s_delay_alu instid0(VALU_DEP_2) | instskip(NEXT) | instid1(VALU_DEP_1)
	v_fma_f64 v[13:14], v[11:12], s[26:27], v[13:14]
	v_fma_f64 v[15:16], v[13:14], s[30:31], s[28:29]
	s_delay_alu instid0(VALU_DEP_1) | instskip(NEXT) | instid1(VALU_DEP_1)
	v_fma_f64 v[15:16], v[13:14], v[15:16], s[34:35]
	v_fma_f64 v[15:16], v[13:14], v[15:16], s[36:37]
	s_delay_alu instid0(VALU_DEP_1) | instskip(NEXT) | instid1(VALU_DEP_1)
	v_fma_f64 v[15:16], v[13:14], v[15:16], s[38:39]
	v_fma_f64 v[15:16], v[13:14], v[15:16], s[40:41]
	s_delay_alu instid0(VALU_DEP_1) | instskip(NEXT) | instid1(VALU_DEP_1)
	v_fma_f64 v[15:16], v[13:14], v[15:16], s[42:43]
	v_fma_f64 v[15:16], v[13:14], v[15:16], s[44:45]
	s_delay_alu instid0(VALU_DEP_1) | instskip(NEXT) | instid1(VALU_DEP_1)
	v_fma_f64 v[15:16], v[13:14], v[15:16], s[46:47]
	v_fma_f64 v[15:16], v[13:14], v[15:16], s[48:49]
	s_delay_alu instid0(VALU_DEP_1) | instskip(NEXT) | instid1(VALU_DEP_1)
	v_fma_f64 v[15:16], v[13:14], v[15:16], 1.0
	v_fma_f64 v[11:12], v[13:14], v[15:16], 1.0
	s_delay_alu instid0(VALU_DEP_1) | instskip(NEXT) | instid1(VALU_DEP_1)
	v_ldexp_f64 v[11:12], v[11:12], v1
	v_cndmask_b32_e32 v1, 0x7ff00000, v12, vcc_lo
	s_and_b32 vcc_lo, s1, vcc_lo
	s_delay_alu instid0(VALU_DEP_2) | instskip(SKIP_1) | instid1(VALU_DEP_3)
	v_cndmask_b32_e32 v8, 0, v11, vcc_lo
	v_add_co_u32 v4, vcc_lo, v4, v10
	v_cndmask_b32_e64 v9, 0, v1, s1
	v_add_co_ci_u32_e32 v5, vcc_lo, 0, v5, vcc_lo
	v_add_co_u32 v6, s1, s6, v6
	s_waitcnt vmcnt(0)
	s_delay_alu instid0(VALU_DEP_3) | instskip(NEXT) | instid1(VALU_DEP_3)
	v_fma_f64 v[8:9], -v[2:3], v[8:9], v[17:18]
	v_cmp_le_i64_e32 vcc_lo, s[4:5], v[4:5]
	v_add_co_ci_u32_e64 v7, s1, s7, v7, s1
	s_or_b32 s33, vcc_lo, s33
	global_store_b64 v[6:7], v[8:9], off
	s_and_not1_b32 exec_lo, exec_lo, s33
	s_cbranch_execnz .LBB227_79
.LBB227_80:
	s_or_b32 exec_lo, exec_lo, s11
	s_mov_b32 s2, 0
.LBB227_81:
	s_delay_alu instid0(SALU_CYCLE_1)
	s_and_b32 vcc_lo, exec_lo, s2
	s_cbranch_vccz .LBB227_93
; %bb.82:
	s_and_not1_b32 vcc_lo, exec_lo, s52
	s_cbranch_vccnz .LBB227_86
; %bb.83:
	s_and_saveexec_b32 s1, s0
	s_cbranch_execz .LBB227_85
; %bb.84:
	v_mov_b32_e32 v1, 0
	s_mov_b32 s2, 0x652b82fe
	s_mov_b32 s3, 0x3ff71547
	;; [unrolled: 1-line block ×4, first 2 shown]
	v_lshlrev_b64 v[4:5], 3, v[0:1]
	s_delay_alu instid0(VALU_DEP_1) | instskip(NEXT) | instid1(VALU_DEP_2)
	v_add_co_u32 v6, vcc_lo, s18, v4
	v_add_co_ci_u32_e32 v7, vcc_lo, s19, v5, vcc_lo
	v_add_co_u32 v14, vcc_lo, s12, v4
	v_add_co_ci_u32_e32 v15, vcc_lo, s13, v5, vcc_lo
	global_load_b64 v[6:7], v[6:7], off offset:-8
	global_load_b64 v[14:15], v[14:15], off offset:-8
	s_waitcnt vmcnt(1)
	v_mul_f64 v[8:9], v[6:7], s[2:3]
	s_mov_b32 s2, 0xfefa39ef
	s_mov_b32 s3, 0xbfe62e42
	v_cmp_nlt_f64_e32 vcc_lo, 0x40900000, v[6:7]
	v_cmp_ngt_f64_e64 s0, 0xc090cc00, v[6:7]
	s_delay_alu instid0(VALU_DEP_3) | instskip(NEXT) | instid1(VALU_DEP_1)
	v_rndne_f64_e32 v[8:9], v[8:9]
	v_fma_f64 v[10:11], v[8:9], s[2:3], v[6:7]
	s_mov_b32 s2, 0x3b39803f
	s_mov_b32 s3, 0xbc7abc9e
	v_cvt_i32_f64_e32 v1, v[8:9]
	s_delay_alu instid0(VALU_DEP_2)
	v_fma_f64 v[10:11], v[8:9], s[2:3], v[10:11]
	s_mov_b32 s2, 0xfca7ab0c
	s_mov_b32 s3, 0x3e928af3
	s_delay_alu instid0(VALU_DEP_1) | instid1(SALU_CYCLE_1)
	v_fma_f64 v[12:13], v[10:11], s[4:5], s[2:3]
	s_mov_b32 s2, 0x623fde64
	s_mov_b32 s3, 0x3ec71dee
	s_delay_alu instid0(VALU_DEP_1) | instid1(SALU_CYCLE_1)
	;; [unrolled: 4-line block ×9, first 2 shown]
	v_fma_f64 v[12:13], v[10:11], v[12:13], s[2:3]
	s_delay_alu instid0(VALU_DEP_1) | instskip(NEXT) | instid1(VALU_DEP_1)
	v_fma_f64 v[12:13], v[10:11], v[12:13], 1.0
	v_fma_f64 v[8:9], v[10:11], v[12:13], 1.0
	s_delay_alu instid0(VALU_DEP_1) | instskip(NEXT) | instid1(VALU_DEP_1)
	v_ldexp_f64 v[8:9], v[8:9], v1
	v_cndmask_b32_e32 v1, 0x7ff00000, v9, vcc_lo
	s_and_b32 vcc_lo, s0, vcc_lo
	s_delay_alu instid0(VALU_DEP_2) | instskip(SKIP_1) | instid1(VALU_DEP_3)
	v_cndmask_b32_e32 v6, 0, v8, vcc_lo
	v_add_co_u32 v4, vcc_lo, s16, v4
	v_cndmask_b32_e64 v7, 0, v1, s0
	v_add_co_ci_u32_e32 v5, vcc_lo, s17, v5, vcc_lo
	s_waitcnt vmcnt(0) lgkmcnt(0)
	s_delay_alu instid0(VALU_DEP_2)
	v_fma_f64 v[6:7], -v[2:3], v[6:7], v[14:15]
	global_store_b64 v[4:5], v[6:7], off offset:-8
.LBB227_85:
	s_or_b32 exec_lo, exec_lo, s1
	s_add_i32 s0, s10, 1
	s_lshl_b32 s1, s14, 3
	v_sub_nc_u32_e64 v1, s0, s14 clamp
	s_add_u32 s0, s16, s1
	s_addc_u32 s2, s17, 0
	s_add_u32 s16, s0, -8
	s_addc_u32 s17, s2, -1
	s_add_u32 s0, s18, s1
	s_addc_u32 s2, s19, 0
	s_add_u32 s18, s0, -8
	s_addc_u32 s19, s2, -1
	v_readfirstlane_b32 s10, v1
	s_add_u32 s0, s12, s1
	s_addc_u32 s1, s13, 0
	s_add_u32 s12, s0, -8
	s_addc_u32 s13, s1, -1
.LBB227_86:
	s_load_b32 s0, s[20:21], 0x0
	v_mov_b32_e32 v1, 0
	s_mov_b32 s33, 0
	s_mov_b32 s11, exec_lo
	s_waitcnt lgkmcnt(0)
	s_cmp_lt_u32 s15, s0
	s_cselect_b32 s0, 12, 18
	s_delay_alu instid0(SALU_CYCLE_1) | instskip(SKIP_4) | instid1(VALU_DEP_1)
	s_add_u32 s0, s20, s0
	s_addc_u32 s1, s21, 0
	global_load_u16 v6, v1, s[0:1]
	s_waitcnt vmcnt(0)
	v_readfirstlane_b32 s0, v6
	s_lshl_b32 s0, s0, 1
	s_delay_alu instid0(SALU_CYCLE_1) | instskip(SKIP_1) | instid1(VALU_DEP_1)
	v_cvt_f32_u32_e32 v1, s0
	s_sub_i32 s2, 0, s0
	v_rcp_iflag_f32_e32 v1, v1
	s_waitcnt_depctr 0xfff
	v_mul_f32_e32 v1, 0x4f7ffffe, v1
	s_delay_alu instid0(VALU_DEP_1) | instskip(NEXT) | instid1(VALU_DEP_1)
	v_cvt_u32_f32_e32 v1, v1
	v_readfirstlane_b32 s1, v1
	v_lshlrev_b32_e32 v1, 1, v0
	s_delay_alu instid0(VALU_DEP_2) | instskip(NEXT) | instid1(SALU_CYCLE_1)
	s_mul_i32 s2, s2, s1
	s_mul_hi_u32 s2, s1, s2
	s_delay_alu instid0(SALU_CYCLE_1) | instskip(NEXT) | instid1(SALU_CYCLE_1)
	s_add_i32 s1, s1, s2
	s_mul_hi_u32 s1, s10, s1
	s_delay_alu instid0(SALU_CYCLE_1) | instskip(NEXT) | instid1(SALU_CYCLE_1)
	s_mul_i32 s1, s1, s0
	s_sub_i32 s1, s10, s1
	s_delay_alu instid0(SALU_CYCLE_1) | instskip(SKIP_2) | instid1(SALU_CYCLE_1)
	s_sub_i32 s2, s1, s0
	s_cmp_ge_u32 s1, s0
	s_cselect_b32 s1, s2, s1
	s_sub_i32 s2, s1, s0
	s_cmp_ge_u32 s1, s0
	s_cselect_b32 s0, s2, s1
	s_delay_alu instid0(SALU_CYCLE_1) | instskip(NEXT) | instid1(SALU_CYCLE_1)
	s_sub_i32 s3, s10, s0
	v_cmpx_gt_i32_e64 s3, v1
	s_cbranch_execz .LBB227_89
; %bb.87:
	v_mov_b32_e32 v4, v0
	s_mov_b32 s4, 0x652b82fe
	s_mov_b32 s6, 0xfefa39ef
	;; [unrolled: 1-line block ×26, first 2 shown]
.LBB227_88:                             ; =>This Inner Loop Header: Depth=1
	v_ashrrev_i32_e32 v5, 31, v4
	s_delay_alu instid0(VALU_DEP_1) | instskip(SKIP_1) | instid1(VALU_DEP_2)
	v_lshlrev_b64 v[15:16], 4, v[4:5]
	v_add_nc_u32_e32 v4, v4, v6
	v_add_co_u32 v7, vcc_lo, s18, v15
	s_delay_alu instid0(VALU_DEP_3)
	v_add_co_ci_u32_e32 v8, vcc_lo, s19, v16, vcc_lo
	global_load_b128 v[7:10], v[7:8], off
	s_waitcnt vmcnt(0)
	v_mul_f64 v[11:12], v[7:8], s[4:5]
	v_mul_f64 v[13:14], v[9:10], s[4:5]
	v_cmp_nlt_f64_e64 s1, 0x40900000, v[9:10]
	v_cmp_ngt_f64_e64 s0, 0xc090cc00, v[7:8]
	v_cmp_ngt_f64_e64 s2, 0xc090cc00, v[9:10]
	v_rndne_f64_e32 v[17:18], v[11:12]
	v_rndne_f64_e32 v[19:20], v[13:14]
	s_delay_alu instid0(VALU_DEP_2) | instskip(NEXT) | instid1(VALU_DEP_2)
	v_fma_f64 v[11:12], v[17:18], s[6:7], v[7:8]
	v_fma_f64 v[13:14], v[19:20], s[6:7], v[9:10]
	v_cvt_i32_f64_e32 v1, v[17:18]
	v_cvt_i32_f64_e32 v5, v[19:20]
	s_delay_alu instid0(VALU_DEP_4) | instskip(NEXT) | instid1(VALU_DEP_4)
	v_fma_f64 v[21:22], v[17:18], s[8:9], v[11:12]
	v_fma_f64 v[23:24], v[19:20], s[8:9], v[13:14]
	s_delay_alu instid0(VALU_DEP_2) | instskip(NEXT) | instid1(VALU_DEP_2)
	v_fma_f64 v[11:12], v[21:22], s[20:21], s[14:15]
	v_fma_f64 v[13:14], v[23:24], s[20:21], s[14:15]
	s_delay_alu instid0(VALU_DEP_2) | instskip(NEXT) | instid1(VALU_DEP_2)
	;; [unrolled: 3-line block ×4, first 2 shown]
	v_fma_f64 v[11:12], v[21:22], v[11:12], s[26:27]
	v_fma_f64 v[13:14], v[23:24], v[13:14], s[26:27]
	s_delay_alu instid0(VALU_DEP_2) | instskip(SKIP_2) | instid1(VALU_DEP_4)
	v_fma_f64 v[25:26], v[21:22], v[11:12], s[28:29]
	v_add_co_u32 v11, vcc_lo, s12, v15
	v_add_co_ci_u32_e32 v12, vcc_lo, s13, v16, vcc_lo
	v_fma_f64 v[27:28], v[23:24], v[13:14], s[28:29]
	v_cmp_nlt_f64_e32 vcc_lo, 0x40900000, v[7:8]
	global_load_b128 v[11:14], v[11:12], off
	v_fma_f64 v[25:26], v[21:22], v[25:26], s[30:31]
	v_fma_f64 v[27:28], v[23:24], v[27:28], s[30:31]
	s_delay_alu instid0(VALU_DEP_2) | instskip(NEXT) | instid1(VALU_DEP_2)
	v_fma_f64 v[25:26], v[21:22], v[25:26], s[34:35]
	v_fma_f64 v[27:28], v[23:24], v[27:28], s[34:35]
	s_delay_alu instid0(VALU_DEP_2) | instskip(NEXT) | instid1(VALU_DEP_2)
	;; [unrolled: 3-line block ×4, first 2 shown]
	v_fma_f64 v[25:26], v[21:22], v[25:26], 1.0
	v_fma_f64 v[27:28], v[23:24], v[27:28], 1.0
	s_delay_alu instid0(VALU_DEP_2) | instskip(NEXT) | instid1(VALU_DEP_2)
	v_fma_f64 v[17:18], v[21:22], v[25:26], 1.0
	v_fma_f64 v[19:20], v[23:24], v[27:28], 1.0
	s_delay_alu instid0(VALU_DEP_2) | instskip(NEXT) | instid1(VALU_DEP_2)
	v_ldexp_f64 v[17:18], v[17:18], v1
	v_ldexp_f64 v[19:20], v[19:20], v5
	s_delay_alu instid0(VALU_DEP_2) | instskip(SKIP_1) | instid1(VALU_DEP_3)
	v_cndmask_b32_e32 v1, 0x7ff00000, v18, vcc_lo
	s_and_b32 vcc_lo, s0, vcc_lo
	v_cndmask_b32_e32 v7, 0, v17, vcc_lo
	s_and_b32 vcc_lo, s2, s1
	s_delay_alu instid0(VALU_DEP_3) | instskip(SKIP_3) | instid1(VALU_DEP_4)
	v_cndmask_b32_e64 v5, 0x7ff00000, v20, s1
	v_cndmask_b32_e64 v8, 0, v1, s0
	v_cndmask_b32_e32 v9, 0, v19, vcc_lo
	v_lshlrev_b32_e32 v1, 1, v4
	v_cndmask_b32_e64 v10, 0, v5, s2
	s_delay_alu instid0(VALU_DEP_2)
	v_cmp_le_i32_e32 vcc_lo, s3, v1
	s_or_b32 s33, vcc_lo, s33
	s_waitcnt vmcnt(0)
	v_fma_f64 v[7:8], -v[2:3], v[7:8], v[11:12]
	v_fma_f64 v[9:10], -v[2:3], v[9:10], v[13:14]
	v_add_co_u32 v11, s0, s16, v15
	s_delay_alu instid0(VALU_DEP_1)
	v_add_co_ci_u32_e64 v12, s0, s17, v16, s0
	global_store_b128 v[11:12], v[7:10], off
	s_and_not1_b32 exec_lo, exec_lo, s33
	s_cbranch_execnz .LBB227_88
.LBB227_89:
	s_or_b32 exec_lo, exec_lo, s11
	v_add_nc_u32_e32 v0, s3, v0
	s_mov_b32 s0, exec_lo
	s_delay_alu instid0(VALU_DEP_1)
	v_cmpx_gt_i32_e64 s10, v0
	s_cbranch_execz .LBB227_93
; %bb.90:
	s_mov_b32 s2, 0x652b82fe
	s_mov_b32 s4, 0xfefa39ef
	;; [unrolled: 1-line block ×27, first 2 shown]
.LBB227_91:                             ; =>This Inner Loop Header: Depth=1
	v_ashrrev_i32_e32 v1, 31, v0
	s_delay_alu instid0(VALU_DEP_1) | instskip(SKIP_1) | instid1(VALU_DEP_2)
	v_lshlrev_b64 v[4:5], 3, v[0:1]
	v_add_nc_u32_e32 v0, v0, v6
	v_add_co_u32 v7, vcc_lo, s18, v4
	s_delay_alu instid0(VALU_DEP_3)
	v_add_co_ci_u32_e32 v8, vcc_lo, s19, v5, vcc_lo
	v_add_co_u32 v15, vcc_lo, s12, v4
	v_add_co_ci_u32_e32 v16, vcc_lo, s13, v5, vcc_lo
	global_load_b64 v[7:8], v[7:8], off
	global_load_b64 v[15:16], v[15:16], off
	s_waitcnt vmcnt(1)
	v_mul_f64 v[9:10], v[7:8], s[2:3]
	v_cmp_nlt_f64_e32 vcc_lo, 0x40900000, v[7:8]
	v_cmp_ngt_f64_e64 s0, 0xc090cc00, v[7:8]
	s_delay_alu instid0(VALU_DEP_3) | instskip(NEXT) | instid1(VALU_DEP_1)
	v_rndne_f64_e32 v[9:10], v[9:10]
	v_fma_f64 v[11:12], v[9:10], s[4:5], v[7:8]
	v_cvt_i32_f64_e32 v1, v[9:10]
	s_delay_alu instid0(VALU_DEP_2) | instskip(NEXT) | instid1(VALU_DEP_1)
	v_fma_f64 v[11:12], v[9:10], s[6:7], v[11:12]
	v_fma_f64 v[13:14], v[11:12], s[14:15], s[8:9]
	s_delay_alu instid0(VALU_DEP_1) | instskip(NEXT) | instid1(VALU_DEP_1)
	v_fma_f64 v[13:14], v[11:12], v[13:14], s[20:21]
	v_fma_f64 v[13:14], v[11:12], v[13:14], s[22:23]
	s_delay_alu instid0(VALU_DEP_1) | instskip(NEXT) | instid1(VALU_DEP_1)
	;; [unrolled: 3-line block ×5, first 2 shown]
	v_fma_f64 v[13:14], v[11:12], v[13:14], 1.0
	v_fma_f64 v[9:10], v[11:12], v[13:14], 1.0
	s_delay_alu instid0(VALU_DEP_1) | instskip(NEXT) | instid1(VALU_DEP_1)
	v_ldexp_f64 v[9:10], v[9:10], v1
	v_cndmask_b32_e32 v1, 0x7ff00000, v10, vcc_lo
	s_and_b32 vcc_lo, s0, vcc_lo
	s_delay_alu instid0(VALU_DEP_2) | instskip(SKIP_1) | instid1(VALU_DEP_3)
	v_cndmask_b32_e32 v7, 0, v9, vcc_lo
	v_cmp_le_i32_e32 vcc_lo, s10, v0
	v_cndmask_b32_e64 v8, 0, v1, s0
	v_add_co_u32 v4, s0, s16, v4
	s_delay_alu instid0(VALU_DEP_1) | instskip(SKIP_1) | instid1(VALU_DEP_3)
	v_add_co_ci_u32_e64 v5, s0, s17, v5, s0
	s_waitcnt vmcnt(0)
	v_fma_f64 v[7:8], -v[2:3], v[7:8], v[15:16]
	s_or_b32 s1, vcc_lo, s1
	global_store_b64 v[4:5], v[7:8], off
	s_and_not1_b32 exec_lo, exec_lo, s1
	s_cbranch_execnz .LBB227_91
	s_branch .LBB227_93
.LBB227_92:
	s_cbranch_execz .LBB227_66
.LBB227_93:
	s_nop 0
	s_sendmsg sendmsg(MSG_DEALLOC_VGPRS)
	s_endpgm
.LBB227_94:
                                        ; implicit-def: $vgpr4_vgpr5
	v_and_b32_e32 v10, 0xffff, v6
	s_branch .LBB227_73
	.section	.rodata,"a",@progbits
	.p2align	6, 0x0
	.amdhsa_kernel _ZN2at6native12_GLOBAL__N_120cunn_SoftMaxBackwardILi2EdddNS1_26LogSoftMaxBackwardEpilogueEEEvPT0_PKT2_S8_l
		.amdhsa_group_segment_fixed_size 0
		.amdhsa_private_segment_fixed_size 0
		.amdhsa_kernarg_size 288
		.amdhsa_user_sgpr_count 15
		.amdhsa_user_sgpr_dispatch_ptr 0
		.amdhsa_user_sgpr_queue_ptr 0
		.amdhsa_user_sgpr_kernarg_segment_ptr 1
		.amdhsa_user_sgpr_dispatch_id 0
		.amdhsa_user_sgpr_private_segment_size 0
		.amdhsa_wavefront_size32 1
		.amdhsa_uses_dynamic_stack 0
		.amdhsa_enable_private_segment 0
		.amdhsa_system_sgpr_workgroup_id_x 1
		.amdhsa_system_sgpr_workgroup_id_y 0
		.amdhsa_system_sgpr_workgroup_id_z 0
		.amdhsa_system_sgpr_workgroup_info 0
		.amdhsa_system_vgpr_workitem_id 0
		.amdhsa_next_free_vgpr 33
		.amdhsa_next_free_sgpr 74
		.amdhsa_reserve_vcc 1
		.amdhsa_float_round_mode_32 0
		.amdhsa_float_round_mode_16_64 0
		.amdhsa_float_denorm_mode_32 3
		.amdhsa_float_denorm_mode_16_64 3
		.amdhsa_dx10_clamp 1
		.amdhsa_ieee_mode 1
		.amdhsa_fp16_overflow 0
		.amdhsa_workgroup_processor_mode 1
		.amdhsa_memory_ordered 1
		.amdhsa_forward_progress 0
		.amdhsa_shared_vgpr_count 0
		.amdhsa_exception_fp_ieee_invalid_op 0
		.amdhsa_exception_fp_denorm_src 0
		.amdhsa_exception_fp_ieee_div_zero 0
		.amdhsa_exception_fp_ieee_overflow 0
		.amdhsa_exception_fp_ieee_underflow 0
		.amdhsa_exception_fp_ieee_inexact 0
		.amdhsa_exception_int_div_zero 0
	.end_amdhsa_kernel
	.section	.text._ZN2at6native12_GLOBAL__N_120cunn_SoftMaxBackwardILi2EdddNS1_26LogSoftMaxBackwardEpilogueEEEvPT0_PKT2_S8_l,"axG",@progbits,_ZN2at6native12_GLOBAL__N_120cunn_SoftMaxBackwardILi2EdddNS1_26LogSoftMaxBackwardEpilogueEEEvPT0_PKT2_S8_l,comdat
.Lfunc_end227:
	.size	_ZN2at6native12_GLOBAL__N_120cunn_SoftMaxBackwardILi2EdddNS1_26LogSoftMaxBackwardEpilogueEEEvPT0_PKT2_S8_l, .Lfunc_end227-_ZN2at6native12_GLOBAL__N_120cunn_SoftMaxBackwardILi2EdddNS1_26LogSoftMaxBackwardEpilogueEEEvPT0_PKT2_S8_l
                                        ; -- End function
	.section	.AMDGPU.csdata,"",@progbits
; Kernel info:
; codeLenInByte = 11272
; NumSgprs: 76
; NumVgprs: 33
; ScratchSize: 0
; MemoryBound: 0
; FloatMode: 240
; IeeeMode: 1
; LDSByteSize: 0 bytes/workgroup (compile time only)
; SGPRBlocks: 9
; VGPRBlocks: 4
; NumSGPRsForWavesPerEU: 76
; NumVGPRsForWavesPerEU: 33
; Occupancy: 16
; WaveLimiterHint : 0
; COMPUTE_PGM_RSRC2:SCRATCH_EN: 0
; COMPUTE_PGM_RSRC2:USER_SGPR: 15
; COMPUTE_PGM_RSRC2:TRAP_HANDLER: 0
; COMPUTE_PGM_RSRC2:TGID_X_EN: 1
; COMPUTE_PGM_RSRC2:TGID_Y_EN: 0
; COMPUTE_PGM_RSRC2:TGID_Z_EN: 0
; COMPUTE_PGM_RSRC2:TIDIG_COMP_CNT: 0
	.section	.text._ZN12_GLOBAL__N_121softmax_warp_backwardIfffLi0ELb1ELb0ELi64EEEvPT0_PKT_S5_iiiPKb,"axG",@progbits,_ZN12_GLOBAL__N_121softmax_warp_backwardIfffLi0ELb1ELb0ELi64EEEvPT0_PKT_S5_iiiPKb,comdat
	.globl	_ZN12_GLOBAL__N_121softmax_warp_backwardIfffLi0ELb1ELb0ELi64EEEvPT0_PKT_S5_iiiPKb ; -- Begin function _ZN12_GLOBAL__N_121softmax_warp_backwardIfffLi0ELb1ELb0ELi64EEEvPT0_PKT_S5_iiiPKb
	.p2align	8
	.type	_ZN12_GLOBAL__N_121softmax_warp_backwardIfffLi0ELb1ELb0ELi64EEEvPT0_PKT_S5_iiiPKb,@function
_ZN12_GLOBAL__N_121softmax_warp_backwardIfffLi0ELb1ELb0ELi64EEEvPT0_PKT_S5_iiiPKb: ; @_ZN12_GLOBAL__N_121softmax_warp_backwardIfffLi0ELb1ELb0ELi64EEEvPT0_PKT_S5_iiiPKb
; %bb.0:
	s_clause 0x1
	s_load_b32 s2, s[0:1], 0x3c
	s_load_b128 s[4:7], s[0:1], 0x18
	v_bfe_u32 v0, v0, 10, 10
	s_load_b128 s[8:11], s[0:1], 0x0
	v_dual_mov_b32 v6, 0 :: v_dual_mov_b32 v9, 0
	v_mov_b32_e32 v8, 0
	s_waitcnt lgkmcnt(0)
	s_lshr_b32 s2, s2, 16
	s_cmp_gt_i32 s6, 0
	s_mul_i32 s15, s15, s2
	s_load_b64 s[2:3], s[0:1], 0x10
	v_add_lshl_u32 v2, s15, v0, 1
	s_cselect_b32 s1, -1, 0
	s_delay_alu instid0(VALU_DEP_1) | instskip(SKIP_1) | instid1(VALU_DEP_1)
	v_mul_lo_u32 v0, v2, s5
	v_sub_nc_u32_e32 v7, s4, v2
	v_cmp_lt_i32_e32 vcc_lo, 0, v7
	s_delay_alu instid0(VALU_DEP_3) | instskip(NEXT) | instid1(VALU_DEP_1)
	v_ashrrev_i32_e32 v1, 31, v0
	v_lshlrev_b64 v[0:1], 2, v[0:1]
	s_delay_alu instid0(VALU_DEP_1) | instskip(NEXT) | instid1(VALU_DEP_1)
	v_add_co_u32 v4, s0, s10, v0
	v_add_co_ci_u32_e64 v5, s0, s11, v1, s0
	s_waitcnt lgkmcnt(0)
	v_add_co_u32 v2, s0, s2, v0
	s_delay_alu instid0(VALU_DEP_1) | instskip(SKIP_1) | instid1(SALU_CYCLE_1)
	v_add_co_ci_u32_e64 v3, s0, s3, v1, s0
	s_and_b32 s2, s1, vcc_lo
	s_and_saveexec_b32 s0, s2
	s_cbranch_execz .LBB228_2
; %bb.1:
	global_load_b32 v8, v[4:5], off
	global_load_b32 v9, v[2:3], off
.LBB228_2:
	s_or_b32 exec_lo, exec_lo, s0
	v_cmp_lt_i32_e64 s0, 1, v7
	v_mov_b32_e32 v10, 0
	s_mov_b32 s7, 0
	s_delay_alu instid0(VALU_DEP_2) | instskip(NEXT) | instid1(SALU_CYCLE_1)
	s_and_b32 s0, s1, s0
	s_and_saveexec_b32 s2, s0
	s_cbranch_execz .LBB228_4
; %bb.3:
	s_lshl_b64 s[4:5], s[6:7], 2
	s_delay_alu instid0(SALU_CYCLE_1) | instskip(NEXT) | instid1(VALU_DEP_1)
	v_add_co_u32 v4, s0, v4, s4
	v_add_co_ci_u32_e64 v5, s0, s5, v5, s0
	v_add_co_u32 v2, s0, v2, s4
	s_delay_alu instid0(VALU_DEP_1)
	v_add_co_ci_u32_e64 v3, s0, s5, v3, s0
	global_load_b32 v6, v[4:5], off
	global_load_b32 v10, v[2:3], off
.LBB228_4:
	s_or_b32 exec_lo, exec_lo, s2
	s_and_saveexec_b32 s0, vcc_lo
	s_cbranch_execz .LBB228_10
; %bb.5:
	v_add_co_u32 v0, vcc_lo, s8, v0
	v_cndmask_b32_e64 v2, 0, 1, s1
	v_add_co_ci_u32_e32 v1, vcc_lo, s9, v1, vcc_lo
	s_and_not1_b32 vcc_lo, exec_lo, s1
	s_cbranch_vccnz .LBB228_7
; %bb.6:
	s_waitcnt vmcnt(0)
	v_mul_f32_e32 v3, 0x3fb8aa3b, v9
	v_cmp_ngt_f32_e32 vcc_lo, 0xc2ce8ed0, v9
	s_delay_alu instid0(VALU_DEP_2) | instskip(SKIP_1) | instid1(VALU_DEP_2)
	v_rndne_f32_e32 v4, v3
	v_fma_f32 v5, 0x3fb8aa3b, v9, -v3
	v_sub_f32_e32 v3, v3, v4
	s_delay_alu instid0(VALU_DEP_2) | instskip(SKIP_1) | instid1(VALU_DEP_2)
	v_fmamk_f32 v5, v9, 0x32a5705f, v5
	v_cvt_i32_f32_e32 v4, v4
	v_add_f32_e32 v3, v3, v5
	s_delay_alu instid0(VALU_DEP_1) | instskip(SKIP_2) | instid1(VALU_DEP_1)
	v_exp_f32_e32 v3, v3
	s_waitcnt_depctr 0xfff
	v_ldexp_f32 v3, v3, v4
	v_dual_add_f32 v4, 0, v8 :: v_dual_cndmask_b32 v3, 0, v3
	v_cmp_nlt_f32_e32 vcc_lo, 0x42b17218, v9
	s_delay_alu instid0(VALU_DEP_2) | instskip(NEXT) | instid1(VALU_DEP_1)
	v_cndmask_b32_e32 v3, 0x7f800000, v3, vcc_lo
	v_fma_f32 v3, -v4, v3, v8
	global_store_b32 v[0:1], v3, off
.LBB228_7:
	v_cmp_ne_u32_e32 vcc_lo, 1, v7
	s_and_b32 exec_lo, exec_lo, vcc_lo
	s_cbranch_execz .LBB228_10
; %bb.8:
	v_cmp_ne_u32_e32 vcc_lo, 1, v2
	s_cbranch_vccnz .LBB228_10
; %bb.9:
	s_waitcnt vmcnt(0)
	v_mul_f32_e32 v2, 0x3fb8aa3b, v10
	v_cmp_ngt_f32_e32 vcc_lo, 0xc2ce8ed0, v10
	s_lshl_b64 s[0:1], s[6:7], 2
	s_delay_alu instid0(VALU_DEP_2) | instskip(SKIP_1) | instid1(VALU_DEP_2)
	v_rndne_f32_e32 v3, v2
	v_fma_f32 v4, 0x3fb8aa3b, v10, -v2
	v_sub_f32_e32 v2, v2, v3
	s_delay_alu instid0(VALU_DEP_2) | instskip(SKIP_1) | instid1(VALU_DEP_2)
	v_fmamk_f32 v4, v10, 0x32a5705f, v4
	v_cvt_i32_f32_e32 v3, v3
	v_add_f32_e32 v2, v2, v4
	s_delay_alu instid0(VALU_DEP_1) | instskip(SKIP_3) | instid1(VALU_DEP_2)
	v_exp_f32_e32 v2, v2
	s_waitcnt_depctr 0xfff
	v_ldexp_f32 v2, v2, v3
	v_add_f32_e32 v3, 0, v6
	v_cndmask_b32_e32 v2, 0, v2, vcc_lo
	v_cmp_nlt_f32_e32 vcc_lo, 0x42b17218, v10
	s_delay_alu instid0(VALU_DEP_2) | instskip(SKIP_2) | instid1(VALU_DEP_3)
	v_cndmask_b32_e32 v2, 0x7f800000, v2, vcc_lo
	v_add_co_u32 v0, vcc_lo, v0, s0
	v_add_co_ci_u32_e32 v1, vcc_lo, s1, v1, vcc_lo
	v_fma_f32 v2, -v3, v2, v6
	global_store_b32 v[0:1], v2, off
.LBB228_10:
	s_nop 0
	s_sendmsg sendmsg(MSG_DEALLOC_VGPRS)
	s_endpgm
	.section	.rodata,"a",@progbits
	.p2align	6, 0x0
	.amdhsa_kernel _ZN12_GLOBAL__N_121softmax_warp_backwardIfffLi0ELb1ELb0ELi64EEEvPT0_PKT_S5_iiiPKb
		.amdhsa_group_segment_fixed_size 0
		.amdhsa_private_segment_fixed_size 0
		.amdhsa_kernarg_size 304
		.amdhsa_user_sgpr_count 15
		.amdhsa_user_sgpr_dispatch_ptr 0
		.amdhsa_user_sgpr_queue_ptr 0
		.amdhsa_user_sgpr_kernarg_segment_ptr 1
		.amdhsa_user_sgpr_dispatch_id 0
		.amdhsa_user_sgpr_private_segment_size 0
		.amdhsa_wavefront_size32 1
		.amdhsa_uses_dynamic_stack 0
		.amdhsa_enable_private_segment 0
		.amdhsa_system_sgpr_workgroup_id_x 1
		.amdhsa_system_sgpr_workgroup_id_y 0
		.amdhsa_system_sgpr_workgroup_id_z 0
		.amdhsa_system_sgpr_workgroup_info 0
		.amdhsa_system_vgpr_workitem_id 1
		.amdhsa_next_free_vgpr 11
		.amdhsa_next_free_sgpr 16
		.amdhsa_reserve_vcc 1
		.amdhsa_float_round_mode_32 0
		.amdhsa_float_round_mode_16_64 0
		.amdhsa_float_denorm_mode_32 3
		.amdhsa_float_denorm_mode_16_64 3
		.amdhsa_dx10_clamp 1
		.amdhsa_ieee_mode 1
		.amdhsa_fp16_overflow 0
		.amdhsa_workgroup_processor_mode 1
		.amdhsa_memory_ordered 1
		.amdhsa_forward_progress 0
		.amdhsa_shared_vgpr_count 0
		.amdhsa_exception_fp_ieee_invalid_op 0
		.amdhsa_exception_fp_denorm_src 0
		.amdhsa_exception_fp_ieee_div_zero 0
		.amdhsa_exception_fp_ieee_overflow 0
		.amdhsa_exception_fp_ieee_underflow 0
		.amdhsa_exception_fp_ieee_inexact 0
		.amdhsa_exception_int_div_zero 0
	.end_amdhsa_kernel
	.section	.text._ZN12_GLOBAL__N_121softmax_warp_backwardIfffLi0ELb1ELb0ELi64EEEvPT0_PKT_S5_iiiPKb,"axG",@progbits,_ZN12_GLOBAL__N_121softmax_warp_backwardIfffLi0ELb1ELb0ELi64EEEvPT0_PKT_S5_iiiPKb,comdat
.Lfunc_end228:
	.size	_ZN12_GLOBAL__N_121softmax_warp_backwardIfffLi0ELb1ELb0ELi64EEEvPT0_PKT_S5_iiiPKb, .Lfunc_end228-_ZN12_GLOBAL__N_121softmax_warp_backwardIfffLi0ELb1ELb0ELi64EEEvPT0_PKT_S5_iiiPKb
                                        ; -- End function
	.section	.AMDGPU.csdata,"",@progbits
; Kernel info:
; codeLenInByte = 632
; NumSgprs: 18
; NumVgprs: 11
; ScratchSize: 0
; MemoryBound: 0
; FloatMode: 240
; IeeeMode: 1
; LDSByteSize: 0 bytes/workgroup (compile time only)
; SGPRBlocks: 2
; VGPRBlocks: 1
; NumSGPRsForWavesPerEU: 18
; NumVGPRsForWavesPerEU: 11
; Occupancy: 16
; WaveLimiterHint : 0
; COMPUTE_PGM_RSRC2:SCRATCH_EN: 0
; COMPUTE_PGM_RSRC2:USER_SGPR: 15
; COMPUTE_PGM_RSRC2:TRAP_HANDLER: 0
; COMPUTE_PGM_RSRC2:TGID_X_EN: 1
; COMPUTE_PGM_RSRC2:TGID_Y_EN: 0
; COMPUTE_PGM_RSRC2:TGID_Z_EN: 0
; COMPUTE_PGM_RSRC2:TIDIG_COMP_CNT: 1
	.section	.text._ZN12_GLOBAL__N_121softmax_warp_backwardIfffLi0ELb1ELb0ELi32EEEvPT0_PKT_S5_iiiPKb,"axG",@progbits,_ZN12_GLOBAL__N_121softmax_warp_backwardIfffLi0ELb1ELb0ELi32EEEvPT0_PKT_S5_iiiPKb,comdat
	.globl	_ZN12_GLOBAL__N_121softmax_warp_backwardIfffLi0ELb1ELb0ELi32EEEvPT0_PKT_S5_iiiPKb ; -- Begin function _ZN12_GLOBAL__N_121softmax_warp_backwardIfffLi0ELb1ELb0ELi32EEEvPT0_PKT_S5_iiiPKb
	.p2align	8
	.type	_ZN12_GLOBAL__N_121softmax_warp_backwardIfffLi0ELb1ELb0ELi32EEEvPT0_PKT_S5_iiiPKb,@function
_ZN12_GLOBAL__N_121softmax_warp_backwardIfffLi0ELb1ELb0ELi32EEEvPT0_PKT_S5_iiiPKb: ; @_ZN12_GLOBAL__N_121softmax_warp_backwardIfffLi0ELb1ELb0ELi32EEEvPT0_PKT_S5_iiiPKb
; %bb.0:
	s_clause 0x1
	s_load_b32 s2, s[0:1], 0x3c
	s_load_b128 s[4:7], s[0:1], 0x18
	v_bfe_u32 v0, v0, 10, 10
	s_load_b128 s[8:11], s[0:1], 0x0
	v_dual_mov_b32 v6, 0 :: v_dual_mov_b32 v9, 0
	v_mov_b32_e32 v8, 0
	s_waitcnt lgkmcnt(0)
	s_lshr_b32 s2, s2, 16
	s_cmp_gt_i32 s6, 0
	s_mul_i32 s15, s15, s2
	s_load_b64 s[2:3], s[0:1], 0x10
	v_add_lshl_u32 v2, s15, v0, 1
	s_cselect_b32 s1, -1, 0
	s_delay_alu instid0(VALU_DEP_1) | instskip(SKIP_1) | instid1(VALU_DEP_1)
	v_mul_lo_u32 v0, v2, s5
	v_sub_nc_u32_e32 v7, s4, v2
	v_cmp_lt_i32_e32 vcc_lo, 0, v7
	s_delay_alu instid0(VALU_DEP_3) | instskip(NEXT) | instid1(VALU_DEP_1)
	v_ashrrev_i32_e32 v1, 31, v0
	v_lshlrev_b64 v[0:1], 2, v[0:1]
	s_delay_alu instid0(VALU_DEP_1) | instskip(NEXT) | instid1(VALU_DEP_1)
	v_add_co_u32 v4, s0, s10, v0
	v_add_co_ci_u32_e64 v5, s0, s11, v1, s0
	s_waitcnt lgkmcnt(0)
	v_add_co_u32 v2, s0, s2, v0
	s_delay_alu instid0(VALU_DEP_1) | instskip(SKIP_1) | instid1(SALU_CYCLE_1)
	v_add_co_ci_u32_e64 v3, s0, s3, v1, s0
	s_and_b32 s2, s1, vcc_lo
	s_and_saveexec_b32 s0, s2
	s_cbranch_execz .LBB229_2
; %bb.1:
	global_load_b32 v8, v[4:5], off
	global_load_b32 v9, v[2:3], off
.LBB229_2:
	s_or_b32 exec_lo, exec_lo, s0
	v_cmp_lt_i32_e64 s0, 1, v7
	v_mov_b32_e32 v10, 0
	s_mov_b32 s7, 0
	s_delay_alu instid0(VALU_DEP_2) | instskip(NEXT) | instid1(SALU_CYCLE_1)
	s_and_b32 s0, s1, s0
	s_and_saveexec_b32 s2, s0
	s_cbranch_execz .LBB229_4
; %bb.3:
	s_lshl_b64 s[4:5], s[6:7], 2
	s_delay_alu instid0(SALU_CYCLE_1) | instskip(NEXT) | instid1(VALU_DEP_1)
	v_add_co_u32 v4, s0, v4, s4
	v_add_co_ci_u32_e64 v5, s0, s5, v5, s0
	v_add_co_u32 v2, s0, v2, s4
	s_delay_alu instid0(VALU_DEP_1)
	v_add_co_ci_u32_e64 v3, s0, s5, v3, s0
	global_load_b32 v6, v[4:5], off
	global_load_b32 v10, v[2:3], off
.LBB229_4:
	s_or_b32 exec_lo, exec_lo, s2
	s_and_saveexec_b32 s0, vcc_lo
	s_cbranch_execz .LBB229_10
; %bb.5:
	v_add_co_u32 v0, vcc_lo, s8, v0
	v_cndmask_b32_e64 v2, 0, 1, s1
	v_add_co_ci_u32_e32 v1, vcc_lo, s9, v1, vcc_lo
	s_and_not1_b32 vcc_lo, exec_lo, s1
	s_cbranch_vccnz .LBB229_7
; %bb.6:
	s_waitcnt vmcnt(0)
	v_mul_f32_e32 v3, 0x3fb8aa3b, v9
	v_cmp_ngt_f32_e32 vcc_lo, 0xc2ce8ed0, v9
	s_delay_alu instid0(VALU_DEP_2) | instskip(SKIP_1) | instid1(VALU_DEP_2)
	v_rndne_f32_e32 v4, v3
	v_fma_f32 v5, 0x3fb8aa3b, v9, -v3
	v_sub_f32_e32 v3, v3, v4
	s_delay_alu instid0(VALU_DEP_2) | instskip(SKIP_1) | instid1(VALU_DEP_2)
	v_fmamk_f32 v5, v9, 0x32a5705f, v5
	v_cvt_i32_f32_e32 v4, v4
	v_add_f32_e32 v3, v3, v5
	s_delay_alu instid0(VALU_DEP_1) | instskip(SKIP_2) | instid1(VALU_DEP_1)
	v_exp_f32_e32 v3, v3
	s_waitcnt_depctr 0xfff
	v_ldexp_f32 v3, v3, v4
	v_dual_add_f32 v4, 0, v8 :: v_dual_cndmask_b32 v3, 0, v3
	v_cmp_nlt_f32_e32 vcc_lo, 0x42b17218, v9
	s_delay_alu instid0(VALU_DEP_2) | instskip(NEXT) | instid1(VALU_DEP_1)
	v_cndmask_b32_e32 v3, 0x7f800000, v3, vcc_lo
	v_fma_f32 v3, -v4, v3, v8
	global_store_b32 v[0:1], v3, off
.LBB229_7:
	v_cmp_ne_u32_e32 vcc_lo, 1, v7
	s_and_b32 exec_lo, exec_lo, vcc_lo
	s_cbranch_execz .LBB229_10
; %bb.8:
	v_cmp_ne_u32_e32 vcc_lo, 1, v2
	s_cbranch_vccnz .LBB229_10
; %bb.9:
	s_waitcnt vmcnt(0)
	v_mul_f32_e32 v2, 0x3fb8aa3b, v10
	v_cmp_ngt_f32_e32 vcc_lo, 0xc2ce8ed0, v10
	s_lshl_b64 s[0:1], s[6:7], 2
	s_delay_alu instid0(VALU_DEP_2) | instskip(SKIP_1) | instid1(VALU_DEP_2)
	v_rndne_f32_e32 v3, v2
	v_fma_f32 v4, 0x3fb8aa3b, v10, -v2
	v_sub_f32_e32 v2, v2, v3
	s_delay_alu instid0(VALU_DEP_2) | instskip(SKIP_1) | instid1(VALU_DEP_2)
	v_fmamk_f32 v4, v10, 0x32a5705f, v4
	v_cvt_i32_f32_e32 v3, v3
	v_add_f32_e32 v2, v2, v4
	s_delay_alu instid0(VALU_DEP_1) | instskip(SKIP_3) | instid1(VALU_DEP_2)
	v_exp_f32_e32 v2, v2
	s_waitcnt_depctr 0xfff
	v_ldexp_f32 v2, v2, v3
	v_add_f32_e32 v3, 0, v6
	v_cndmask_b32_e32 v2, 0, v2, vcc_lo
	v_cmp_nlt_f32_e32 vcc_lo, 0x42b17218, v10
	s_delay_alu instid0(VALU_DEP_2) | instskip(SKIP_2) | instid1(VALU_DEP_3)
	v_cndmask_b32_e32 v2, 0x7f800000, v2, vcc_lo
	v_add_co_u32 v0, vcc_lo, v0, s0
	v_add_co_ci_u32_e32 v1, vcc_lo, s1, v1, vcc_lo
	v_fma_f32 v2, -v3, v2, v6
	global_store_b32 v[0:1], v2, off
.LBB229_10:
	s_nop 0
	s_sendmsg sendmsg(MSG_DEALLOC_VGPRS)
	s_endpgm
	.section	.rodata,"a",@progbits
	.p2align	6, 0x0
	.amdhsa_kernel _ZN12_GLOBAL__N_121softmax_warp_backwardIfffLi0ELb1ELb0ELi32EEEvPT0_PKT_S5_iiiPKb
		.amdhsa_group_segment_fixed_size 0
		.amdhsa_private_segment_fixed_size 0
		.amdhsa_kernarg_size 304
		.amdhsa_user_sgpr_count 15
		.amdhsa_user_sgpr_dispatch_ptr 0
		.amdhsa_user_sgpr_queue_ptr 0
		.amdhsa_user_sgpr_kernarg_segment_ptr 1
		.amdhsa_user_sgpr_dispatch_id 0
		.amdhsa_user_sgpr_private_segment_size 0
		.amdhsa_wavefront_size32 1
		.amdhsa_uses_dynamic_stack 0
		.amdhsa_enable_private_segment 0
		.amdhsa_system_sgpr_workgroup_id_x 1
		.amdhsa_system_sgpr_workgroup_id_y 0
		.amdhsa_system_sgpr_workgroup_id_z 0
		.amdhsa_system_sgpr_workgroup_info 0
		.amdhsa_system_vgpr_workitem_id 1
		.amdhsa_next_free_vgpr 11
		.amdhsa_next_free_sgpr 16
		.amdhsa_reserve_vcc 1
		.amdhsa_float_round_mode_32 0
		.amdhsa_float_round_mode_16_64 0
		.amdhsa_float_denorm_mode_32 3
		.amdhsa_float_denorm_mode_16_64 3
		.amdhsa_dx10_clamp 1
		.amdhsa_ieee_mode 1
		.amdhsa_fp16_overflow 0
		.amdhsa_workgroup_processor_mode 1
		.amdhsa_memory_ordered 1
		.amdhsa_forward_progress 0
		.amdhsa_shared_vgpr_count 0
		.amdhsa_exception_fp_ieee_invalid_op 0
		.amdhsa_exception_fp_denorm_src 0
		.amdhsa_exception_fp_ieee_div_zero 0
		.amdhsa_exception_fp_ieee_overflow 0
		.amdhsa_exception_fp_ieee_underflow 0
		.amdhsa_exception_fp_ieee_inexact 0
		.amdhsa_exception_int_div_zero 0
	.end_amdhsa_kernel
	.section	.text._ZN12_GLOBAL__N_121softmax_warp_backwardIfffLi0ELb1ELb0ELi32EEEvPT0_PKT_S5_iiiPKb,"axG",@progbits,_ZN12_GLOBAL__N_121softmax_warp_backwardIfffLi0ELb1ELb0ELi32EEEvPT0_PKT_S5_iiiPKb,comdat
.Lfunc_end229:
	.size	_ZN12_GLOBAL__N_121softmax_warp_backwardIfffLi0ELb1ELb0ELi32EEEvPT0_PKT_S5_iiiPKb, .Lfunc_end229-_ZN12_GLOBAL__N_121softmax_warp_backwardIfffLi0ELb1ELb0ELi32EEEvPT0_PKT_S5_iiiPKb
                                        ; -- End function
	.section	.AMDGPU.csdata,"",@progbits
; Kernel info:
; codeLenInByte = 632
; NumSgprs: 18
; NumVgprs: 11
; ScratchSize: 0
; MemoryBound: 0
; FloatMode: 240
; IeeeMode: 1
; LDSByteSize: 0 bytes/workgroup (compile time only)
; SGPRBlocks: 2
; VGPRBlocks: 1
; NumSGPRsForWavesPerEU: 18
; NumVGPRsForWavesPerEU: 11
; Occupancy: 16
; WaveLimiterHint : 0
; COMPUTE_PGM_RSRC2:SCRATCH_EN: 0
; COMPUTE_PGM_RSRC2:USER_SGPR: 15
; COMPUTE_PGM_RSRC2:TRAP_HANDLER: 0
; COMPUTE_PGM_RSRC2:TGID_X_EN: 1
; COMPUTE_PGM_RSRC2:TGID_Y_EN: 0
; COMPUTE_PGM_RSRC2:TGID_Z_EN: 0
; COMPUTE_PGM_RSRC2:TIDIG_COMP_CNT: 1
	.section	.text._ZN12_GLOBAL__N_121softmax_warp_backwardIfffLi1ELb1ELb0ELi64EEEvPT0_PKT_S5_iiiPKb,"axG",@progbits,_ZN12_GLOBAL__N_121softmax_warp_backwardIfffLi1ELb1ELb0ELi64EEEvPT0_PKT_S5_iiiPKb,comdat
	.globl	_ZN12_GLOBAL__N_121softmax_warp_backwardIfffLi1ELb1ELb0ELi64EEEvPT0_PKT_S5_iiiPKb ; -- Begin function _ZN12_GLOBAL__N_121softmax_warp_backwardIfffLi1ELb1ELb0ELi64EEEvPT0_PKT_S5_iiiPKb
	.p2align	8
	.type	_ZN12_GLOBAL__N_121softmax_warp_backwardIfffLi1ELb1ELb0ELi64EEEvPT0_PKT_S5_iiiPKb,@function
_ZN12_GLOBAL__N_121softmax_warp_backwardIfffLi1ELb1ELb0ELi64EEEvPT0_PKT_S5_iiiPKb: ; @_ZN12_GLOBAL__N_121softmax_warp_backwardIfffLi1ELb1ELb0ELi64EEEvPT0_PKT_S5_iiiPKb
; %bb.0:
	s_clause 0x1
	s_load_b32 s2, s[0:1], 0x3c
	s_load_b128 s[4:7], s[0:1], 0x18
	v_bfe_u32 v1, v0, 10, 10
	v_dual_mov_b32 v6, 0 :: v_dual_and_b32 v3, 1, v0
	v_mov_b32_e32 v8, 0
	v_mov_b32_e32 v10, 0
	s_waitcnt lgkmcnt(0)
	s_lshr_b32 s2, s2, 16
	v_cmp_gt_i32_e32 vcc_lo, s6, v3
	s_mul_i32 s15, s15, s2
	s_clause 0x1
	s_load_b128 s[8:11], s[0:1], 0x0
	s_load_b64 s[2:3], s[0:1], 0x10
	v_add_lshl_u32 v2, s15, v1, 1
	s_delay_alu instid0(VALU_DEP_1) | instskip(SKIP_1) | instid1(VALU_DEP_1)
	v_mul_lo_u32 v1, v2, s5
	v_sub_nc_u32_e32 v7, s4, v2
	v_cmp_lt_i32_e64 s0, 0, v7
	s_delay_alu instid0(VALU_DEP_3) | instskip(NEXT) | instid1(VALU_DEP_1)
	v_or_b32_e32 v0, v1, v3
	v_ashrrev_i32_e32 v1, 31, v0
	s_delay_alu instid0(VALU_DEP_1) | instskip(SKIP_1) | instid1(VALU_DEP_1)
	v_lshlrev_b64 v[0:1], 2, v[0:1]
	s_waitcnt lgkmcnt(0)
	v_add_co_u32 v4, s1, s10, v0
	s_delay_alu instid0(VALU_DEP_1) | instskip(SKIP_1) | instid1(VALU_DEP_1)
	v_add_co_ci_u32_e64 v5, s1, s11, v1, s1
	v_add_co_u32 v2, s1, s2, v0
	v_add_co_ci_u32_e64 v3, s1, s3, v1, s1
	s_and_b32 s2, vcc_lo, s0
	s_delay_alu instid0(SALU_CYCLE_1)
	s_and_saveexec_b32 s1, s2
	s_cbranch_execz .LBB230_2
; %bb.1:
	global_load_b32 v8, v[4:5], off
	global_load_b32 v10, v[2:3], off
.LBB230_2:
	s_or_b32 exec_lo, exec_lo, s1
	v_cmp_lt_i32_e64 s1, 1, v7
	v_mov_b32_e32 v9, 0
	s_mov_b32 s7, 0
	s_delay_alu instid0(VALU_DEP_2) | instskip(NEXT) | instid1(SALU_CYCLE_1)
	s_and_b32 s1, vcc_lo, s1
	s_and_saveexec_b32 s2, s1
	s_cbranch_execz .LBB230_4
; %bb.3:
	s_lshl_b64 s[4:5], s[6:7], 2
	s_delay_alu instid0(SALU_CYCLE_1) | instskip(NEXT) | instid1(VALU_DEP_1)
	v_add_co_u32 v4, s1, v4, s4
	v_add_co_ci_u32_e64 v5, s1, s5, v5, s1
	v_add_co_u32 v2, s1, v2, s4
	s_delay_alu instid0(VALU_DEP_1)
	v_add_co_ci_u32_e64 v3, s1, s5, v3, s1
	global_load_b32 v6, v[4:5], off
	global_load_b32 v9, v[2:3], off
.LBB230_4:
	s_or_b32 exec_lo, exec_lo, s2
	v_mbcnt_lo_u32_b32 v2, -1, 0
	s_delay_alu instid0(VALU_DEP_1) | instskip(SKIP_1) | instid1(VALU_DEP_2)
	v_and_b32_e32 v3, 30, v2
	v_xor_b32_e32 v4, 1, v2
	v_add_nc_u32_e32 v3, 2, v3
	s_delay_alu instid0(VALU_DEP_1) | instskip(NEXT) | instid1(VALU_DEP_1)
	v_cmp_lt_i32_e64 s1, v4, v3
	v_cndmask_b32_e64 v2, v2, v4, s1
	s_waitcnt vmcnt(1)
	s_delay_alu instid0(VALU_DEP_1)
	v_dual_add_f32 v4, 0, v8 :: v_dual_lshlrev_b32 v3, 2, v2
	v_add_f32_e32 v2, 0, v6
	ds_bpermute_b32 v5, v3, v4
	ds_bpermute_b32 v3, v3, v2
	s_and_saveexec_b32 s1, s0
	s_cbranch_execz .LBB230_10
; %bb.5:
	v_add_co_u32 v0, s0, s8, v0
	s_delay_alu instid0(VALU_DEP_1)
	v_add_co_ci_u32_e64 v1, s0, s9, v1, s0
	s_and_saveexec_b32 s1, vcc_lo
	s_cbranch_execz .LBB230_7
; %bb.6:
	s_waitcnt vmcnt(0) lgkmcnt(1)
	v_dual_mul_f32 v11, 0x3fb8aa3b, v10 :: v_dual_add_f32 v4, v4, v5
	v_cmp_ngt_f32_e64 s0, 0xc2ce8ed0, v10
	s_delay_alu instid0(VALU_DEP_2) | instskip(SKIP_1) | instid1(VALU_DEP_2)
	v_rndne_f32_e32 v12, v11
	v_fma_f32 v13, 0x3fb8aa3b, v10, -v11
	v_sub_f32_e32 v11, v11, v12
	s_delay_alu instid0(VALU_DEP_2) | instskip(SKIP_1) | instid1(VALU_DEP_2)
	v_fmamk_f32 v13, v10, 0x32a5705f, v13
	v_cvt_i32_f32_e32 v12, v12
	v_add_f32_e32 v11, v11, v13
	s_delay_alu instid0(VALU_DEP_1) | instskip(SKIP_2) | instid1(VALU_DEP_1)
	v_exp_f32_e32 v11, v11
	s_waitcnt_depctr 0xfff
	v_ldexp_f32 v11, v11, v12
	v_cndmask_b32_e64 v11, 0, v11, s0
	v_cmp_nlt_f32_e64 s0, 0x42b17218, v10
	s_delay_alu instid0(VALU_DEP_1) | instskip(NEXT) | instid1(VALU_DEP_1)
	v_cndmask_b32_e64 v5, 0x7f800000, v11, s0
	v_fma_f32 v4, -v4, v5, v8
	global_store_b32 v[0:1], v4, off
.LBB230_7:
	s_or_b32 exec_lo, exec_lo, s1
	v_cmp_ne_u32_e64 s0, 1, v7
	s_delay_alu instid0(VALU_DEP_1)
	s_and_b32 exec_lo, exec_lo, s0
	s_cbranch_execz .LBB230_10
; %bb.8:
	s_and_b32 exec_lo, exec_lo, vcc_lo
	s_cbranch_execz .LBB230_10
; %bb.9:
	s_waitcnt vmcnt(0)
	v_mul_f32_e32 v4, 0x3fb8aa3b, v9
	v_cmp_ngt_f32_e32 vcc_lo, 0xc2ce8ed0, v9
	s_lshl_b64 s[0:1], s[6:7], 2
	s_waitcnt lgkmcnt(1)
	s_delay_alu instid0(VALU_DEP_2) | instskip(SKIP_1) | instid1(VALU_DEP_1)
	v_rndne_f32_e32 v5, v4
	v_fma_f32 v7, 0x3fb8aa3b, v9, -v4
	v_dual_sub_f32 v4, v4, v5 :: v_dual_fmamk_f32 v7, v9, 0x32a5705f, v7
	v_cvt_i32_f32_e32 v5, v5
	s_delay_alu instid0(VALU_DEP_2) | instskip(NEXT) | instid1(VALU_DEP_1)
	v_add_f32_e32 v4, v4, v7
	v_exp_f32_e32 v4, v4
	s_waitcnt_depctr 0xfff
	v_ldexp_f32 v4, v4, v5
	s_delay_alu instid0(VALU_DEP_1) | instskip(SKIP_2) | instid1(VALU_DEP_2)
	v_cndmask_b32_e32 v4, 0, v4, vcc_lo
	v_cmp_nlt_f32_e32 vcc_lo, 0x42b17218, v9
	s_waitcnt lgkmcnt(0)
	v_dual_add_f32 v2, v2, v3 :: v_dual_cndmask_b32 v3, 0x7f800000, v4
	v_add_co_u32 v0, vcc_lo, v0, s0
	v_add_co_ci_u32_e32 v1, vcc_lo, s1, v1, vcc_lo
	s_delay_alu instid0(VALU_DEP_3)
	v_fma_f32 v2, -v2, v3, v6
	global_store_b32 v[0:1], v2, off
.LBB230_10:
	s_nop 0
	s_sendmsg sendmsg(MSG_DEALLOC_VGPRS)
	s_endpgm
	.section	.rodata,"a",@progbits
	.p2align	6, 0x0
	.amdhsa_kernel _ZN12_GLOBAL__N_121softmax_warp_backwardIfffLi1ELb1ELb0ELi64EEEvPT0_PKT_S5_iiiPKb
		.amdhsa_group_segment_fixed_size 0
		.amdhsa_private_segment_fixed_size 0
		.amdhsa_kernarg_size 304
		.amdhsa_user_sgpr_count 15
		.amdhsa_user_sgpr_dispatch_ptr 0
		.amdhsa_user_sgpr_queue_ptr 0
		.amdhsa_user_sgpr_kernarg_segment_ptr 1
		.amdhsa_user_sgpr_dispatch_id 0
		.amdhsa_user_sgpr_private_segment_size 0
		.amdhsa_wavefront_size32 1
		.amdhsa_uses_dynamic_stack 0
		.amdhsa_enable_private_segment 0
		.amdhsa_system_sgpr_workgroup_id_x 1
		.amdhsa_system_sgpr_workgroup_id_y 0
		.amdhsa_system_sgpr_workgroup_id_z 0
		.amdhsa_system_sgpr_workgroup_info 0
		.amdhsa_system_vgpr_workitem_id 1
		.amdhsa_next_free_vgpr 14
		.amdhsa_next_free_sgpr 16
		.amdhsa_reserve_vcc 1
		.amdhsa_float_round_mode_32 0
		.amdhsa_float_round_mode_16_64 0
		.amdhsa_float_denorm_mode_32 3
		.amdhsa_float_denorm_mode_16_64 3
		.amdhsa_dx10_clamp 1
		.amdhsa_ieee_mode 1
		.amdhsa_fp16_overflow 0
		.amdhsa_workgroup_processor_mode 1
		.amdhsa_memory_ordered 1
		.amdhsa_forward_progress 0
		.amdhsa_shared_vgpr_count 0
		.amdhsa_exception_fp_ieee_invalid_op 0
		.amdhsa_exception_fp_denorm_src 0
		.amdhsa_exception_fp_ieee_div_zero 0
		.amdhsa_exception_fp_ieee_overflow 0
		.amdhsa_exception_fp_ieee_underflow 0
		.amdhsa_exception_fp_ieee_inexact 0
		.amdhsa_exception_int_div_zero 0
	.end_amdhsa_kernel
	.section	.text._ZN12_GLOBAL__N_121softmax_warp_backwardIfffLi1ELb1ELb0ELi64EEEvPT0_PKT_S5_iiiPKb,"axG",@progbits,_ZN12_GLOBAL__N_121softmax_warp_backwardIfffLi1ELb1ELb0ELi64EEEvPT0_PKT_S5_iiiPKb,comdat
.Lfunc_end230:
	.size	_ZN12_GLOBAL__N_121softmax_warp_backwardIfffLi1ELb1ELb0ELi64EEEvPT0_PKT_S5_iiiPKb, .Lfunc_end230-_ZN12_GLOBAL__N_121softmax_warp_backwardIfffLi1ELb1ELb0ELi64EEEvPT0_PKT_S5_iiiPKb
                                        ; -- End function
	.section	.AMDGPU.csdata,"",@progbits
; Kernel info:
; codeLenInByte = 764
; NumSgprs: 18
; NumVgprs: 14
; ScratchSize: 0
; MemoryBound: 0
; FloatMode: 240
; IeeeMode: 1
; LDSByteSize: 0 bytes/workgroup (compile time only)
; SGPRBlocks: 2
; VGPRBlocks: 1
; NumSGPRsForWavesPerEU: 18
; NumVGPRsForWavesPerEU: 14
; Occupancy: 16
; WaveLimiterHint : 0
; COMPUTE_PGM_RSRC2:SCRATCH_EN: 0
; COMPUTE_PGM_RSRC2:USER_SGPR: 15
; COMPUTE_PGM_RSRC2:TRAP_HANDLER: 0
; COMPUTE_PGM_RSRC2:TGID_X_EN: 1
; COMPUTE_PGM_RSRC2:TGID_Y_EN: 0
; COMPUTE_PGM_RSRC2:TGID_Z_EN: 0
; COMPUTE_PGM_RSRC2:TIDIG_COMP_CNT: 1
	.section	.text._ZN12_GLOBAL__N_121softmax_warp_backwardIfffLi1ELb1ELb0ELi32EEEvPT0_PKT_S5_iiiPKb,"axG",@progbits,_ZN12_GLOBAL__N_121softmax_warp_backwardIfffLi1ELb1ELb0ELi32EEEvPT0_PKT_S5_iiiPKb,comdat
	.globl	_ZN12_GLOBAL__N_121softmax_warp_backwardIfffLi1ELb1ELb0ELi32EEEvPT0_PKT_S5_iiiPKb ; -- Begin function _ZN12_GLOBAL__N_121softmax_warp_backwardIfffLi1ELb1ELb0ELi32EEEvPT0_PKT_S5_iiiPKb
	.p2align	8
	.type	_ZN12_GLOBAL__N_121softmax_warp_backwardIfffLi1ELb1ELb0ELi32EEEvPT0_PKT_S5_iiiPKb,@function
_ZN12_GLOBAL__N_121softmax_warp_backwardIfffLi1ELb1ELb0ELi32EEEvPT0_PKT_S5_iiiPKb: ; @_ZN12_GLOBAL__N_121softmax_warp_backwardIfffLi1ELb1ELb0ELi32EEEvPT0_PKT_S5_iiiPKb
; %bb.0:
	s_clause 0x1
	s_load_b32 s2, s[0:1], 0x3c
	s_load_b128 s[4:7], s[0:1], 0x18
	v_bfe_u32 v1, v0, 10, 10
	v_dual_mov_b32 v6, 0 :: v_dual_and_b32 v3, 1, v0
	v_mov_b32_e32 v8, 0
	v_mov_b32_e32 v10, 0
	s_waitcnt lgkmcnt(0)
	s_lshr_b32 s2, s2, 16
	v_cmp_gt_i32_e32 vcc_lo, s6, v3
	s_mul_i32 s15, s15, s2
	s_clause 0x1
	s_load_b128 s[8:11], s[0:1], 0x0
	s_load_b64 s[2:3], s[0:1], 0x10
	v_add_lshl_u32 v2, s15, v1, 1
	s_delay_alu instid0(VALU_DEP_1) | instskip(SKIP_1) | instid1(VALU_DEP_1)
	v_mul_lo_u32 v1, v2, s5
	v_sub_nc_u32_e32 v7, s4, v2
	v_cmp_lt_i32_e64 s0, 0, v7
	s_delay_alu instid0(VALU_DEP_3) | instskip(NEXT) | instid1(VALU_DEP_1)
	v_or_b32_e32 v0, v1, v3
	v_ashrrev_i32_e32 v1, 31, v0
	s_delay_alu instid0(VALU_DEP_1) | instskip(SKIP_1) | instid1(VALU_DEP_1)
	v_lshlrev_b64 v[0:1], 2, v[0:1]
	s_waitcnt lgkmcnt(0)
	v_add_co_u32 v4, s1, s10, v0
	s_delay_alu instid0(VALU_DEP_1) | instskip(SKIP_1) | instid1(VALU_DEP_1)
	v_add_co_ci_u32_e64 v5, s1, s11, v1, s1
	v_add_co_u32 v2, s1, s2, v0
	v_add_co_ci_u32_e64 v3, s1, s3, v1, s1
	s_and_b32 s2, vcc_lo, s0
	s_delay_alu instid0(SALU_CYCLE_1)
	s_and_saveexec_b32 s1, s2
	s_cbranch_execz .LBB231_2
; %bb.1:
	global_load_b32 v8, v[4:5], off
	global_load_b32 v10, v[2:3], off
.LBB231_2:
	s_or_b32 exec_lo, exec_lo, s1
	v_cmp_lt_i32_e64 s1, 1, v7
	v_mov_b32_e32 v9, 0
	s_mov_b32 s7, 0
	s_delay_alu instid0(VALU_DEP_2) | instskip(NEXT) | instid1(SALU_CYCLE_1)
	s_and_b32 s1, vcc_lo, s1
	s_and_saveexec_b32 s2, s1
	s_cbranch_execz .LBB231_4
; %bb.3:
	s_lshl_b64 s[4:5], s[6:7], 2
	s_delay_alu instid0(SALU_CYCLE_1) | instskip(NEXT) | instid1(VALU_DEP_1)
	v_add_co_u32 v4, s1, v4, s4
	v_add_co_ci_u32_e64 v5, s1, s5, v5, s1
	v_add_co_u32 v2, s1, v2, s4
	s_delay_alu instid0(VALU_DEP_1)
	v_add_co_ci_u32_e64 v3, s1, s5, v3, s1
	global_load_b32 v6, v[4:5], off
	global_load_b32 v9, v[2:3], off
.LBB231_4:
	s_or_b32 exec_lo, exec_lo, s2
	v_mbcnt_lo_u32_b32 v2, -1, 0
	s_delay_alu instid0(VALU_DEP_1) | instskip(SKIP_1) | instid1(VALU_DEP_2)
	v_and_b32_e32 v3, 30, v2
	v_xor_b32_e32 v4, 1, v2
	v_add_nc_u32_e32 v3, 2, v3
	s_delay_alu instid0(VALU_DEP_1) | instskip(NEXT) | instid1(VALU_DEP_1)
	v_cmp_lt_i32_e64 s1, v4, v3
	v_cndmask_b32_e64 v2, v2, v4, s1
	s_waitcnt vmcnt(1)
	s_delay_alu instid0(VALU_DEP_1)
	v_dual_add_f32 v4, 0, v8 :: v_dual_lshlrev_b32 v3, 2, v2
	v_add_f32_e32 v2, 0, v6
	ds_bpermute_b32 v5, v3, v4
	ds_bpermute_b32 v3, v3, v2
	s_and_saveexec_b32 s1, s0
	s_cbranch_execz .LBB231_10
; %bb.5:
	v_add_co_u32 v0, s0, s8, v0
	s_delay_alu instid0(VALU_DEP_1)
	v_add_co_ci_u32_e64 v1, s0, s9, v1, s0
	s_and_saveexec_b32 s1, vcc_lo
	s_cbranch_execz .LBB231_7
; %bb.6:
	s_waitcnt vmcnt(0) lgkmcnt(1)
	v_dual_mul_f32 v11, 0x3fb8aa3b, v10 :: v_dual_add_f32 v4, v4, v5
	v_cmp_ngt_f32_e64 s0, 0xc2ce8ed0, v10
	s_delay_alu instid0(VALU_DEP_2) | instskip(SKIP_1) | instid1(VALU_DEP_2)
	v_rndne_f32_e32 v12, v11
	v_fma_f32 v13, 0x3fb8aa3b, v10, -v11
	v_sub_f32_e32 v11, v11, v12
	s_delay_alu instid0(VALU_DEP_2) | instskip(SKIP_1) | instid1(VALU_DEP_2)
	v_fmamk_f32 v13, v10, 0x32a5705f, v13
	v_cvt_i32_f32_e32 v12, v12
	v_add_f32_e32 v11, v11, v13
	s_delay_alu instid0(VALU_DEP_1) | instskip(SKIP_2) | instid1(VALU_DEP_1)
	v_exp_f32_e32 v11, v11
	s_waitcnt_depctr 0xfff
	v_ldexp_f32 v11, v11, v12
	v_cndmask_b32_e64 v11, 0, v11, s0
	v_cmp_nlt_f32_e64 s0, 0x42b17218, v10
	s_delay_alu instid0(VALU_DEP_1) | instskip(NEXT) | instid1(VALU_DEP_1)
	v_cndmask_b32_e64 v5, 0x7f800000, v11, s0
	v_fma_f32 v4, -v4, v5, v8
	global_store_b32 v[0:1], v4, off
.LBB231_7:
	s_or_b32 exec_lo, exec_lo, s1
	v_cmp_ne_u32_e64 s0, 1, v7
	s_delay_alu instid0(VALU_DEP_1)
	s_and_b32 exec_lo, exec_lo, s0
	s_cbranch_execz .LBB231_10
; %bb.8:
	s_and_b32 exec_lo, exec_lo, vcc_lo
	s_cbranch_execz .LBB231_10
; %bb.9:
	s_waitcnt vmcnt(0)
	v_mul_f32_e32 v4, 0x3fb8aa3b, v9
	v_cmp_ngt_f32_e32 vcc_lo, 0xc2ce8ed0, v9
	s_lshl_b64 s[0:1], s[6:7], 2
	s_waitcnt lgkmcnt(1)
	s_delay_alu instid0(VALU_DEP_2) | instskip(SKIP_1) | instid1(VALU_DEP_1)
	v_rndne_f32_e32 v5, v4
	v_fma_f32 v7, 0x3fb8aa3b, v9, -v4
	v_dual_sub_f32 v4, v4, v5 :: v_dual_fmamk_f32 v7, v9, 0x32a5705f, v7
	v_cvt_i32_f32_e32 v5, v5
	s_delay_alu instid0(VALU_DEP_2) | instskip(NEXT) | instid1(VALU_DEP_1)
	v_add_f32_e32 v4, v4, v7
	v_exp_f32_e32 v4, v4
	s_waitcnt_depctr 0xfff
	v_ldexp_f32 v4, v4, v5
	s_delay_alu instid0(VALU_DEP_1) | instskip(SKIP_2) | instid1(VALU_DEP_2)
	v_cndmask_b32_e32 v4, 0, v4, vcc_lo
	v_cmp_nlt_f32_e32 vcc_lo, 0x42b17218, v9
	s_waitcnt lgkmcnt(0)
	v_dual_add_f32 v2, v2, v3 :: v_dual_cndmask_b32 v3, 0x7f800000, v4
	v_add_co_u32 v0, vcc_lo, v0, s0
	v_add_co_ci_u32_e32 v1, vcc_lo, s1, v1, vcc_lo
	s_delay_alu instid0(VALU_DEP_3)
	v_fma_f32 v2, -v2, v3, v6
	global_store_b32 v[0:1], v2, off
.LBB231_10:
	s_nop 0
	s_sendmsg sendmsg(MSG_DEALLOC_VGPRS)
	s_endpgm
	.section	.rodata,"a",@progbits
	.p2align	6, 0x0
	.amdhsa_kernel _ZN12_GLOBAL__N_121softmax_warp_backwardIfffLi1ELb1ELb0ELi32EEEvPT0_PKT_S5_iiiPKb
		.amdhsa_group_segment_fixed_size 0
		.amdhsa_private_segment_fixed_size 0
		.amdhsa_kernarg_size 304
		.amdhsa_user_sgpr_count 15
		.amdhsa_user_sgpr_dispatch_ptr 0
		.amdhsa_user_sgpr_queue_ptr 0
		.amdhsa_user_sgpr_kernarg_segment_ptr 1
		.amdhsa_user_sgpr_dispatch_id 0
		.amdhsa_user_sgpr_private_segment_size 0
		.amdhsa_wavefront_size32 1
		.amdhsa_uses_dynamic_stack 0
		.amdhsa_enable_private_segment 0
		.amdhsa_system_sgpr_workgroup_id_x 1
		.amdhsa_system_sgpr_workgroup_id_y 0
		.amdhsa_system_sgpr_workgroup_id_z 0
		.amdhsa_system_sgpr_workgroup_info 0
		.amdhsa_system_vgpr_workitem_id 1
		.amdhsa_next_free_vgpr 14
		.amdhsa_next_free_sgpr 16
		.amdhsa_reserve_vcc 1
		.amdhsa_float_round_mode_32 0
		.amdhsa_float_round_mode_16_64 0
		.amdhsa_float_denorm_mode_32 3
		.amdhsa_float_denorm_mode_16_64 3
		.amdhsa_dx10_clamp 1
		.amdhsa_ieee_mode 1
		.amdhsa_fp16_overflow 0
		.amdhsa_workgroup_processor_mode 1
		.amdhsa_memory_ordered 1
		.amdhsa_forward_progress 0
		.amdhsa_shared_vgpr_count 0
		.amdhsa_exception_fp_ieee_invalid_op 0
		.amdhsa_exception_fp_denorm_src 0
		.amdhsa_exception_fp_ieee_div_zero 0
		.amdhsa_exception_fp_ieee_overflow 0
		.amdhsa_exception_fp_ieee_underflow 0
		.amdhsa_exception_fp_ieee_inexact 0
		.amdhsa_exception_int_div_zero 0
	.end_amdhsa_kernel
	.section	.text._ZN12_GLOBAL__N_121softmax_warp_backwardIfffLi1ELb1ELb0ELi32EEEvPT0_PKT_S5_iiiPKb,"axG",@progbits,_ZN12_GLOBAL__N_121softmax_warp_backwardIfffLi1ELb1ELb0ELi32EEEvPT0_PKT_S5_iiiPKb,comdat
.Lfunc_end231:
	.size	_ZN12_GLOBAL__N_121softmax_warp_backwardIfffLi1ELb1ELb0ELi32EEEvPT0_PKT_S5_iiiPKb, .Lfunc_end231-_ZN12_GLOBAL__N_121softmax_warp_backwardIfffLi1ELb1ELb0ELi32EEEvPT0_PKT_S5_iiiPKb
                                        ; -- End function
	.section	.AMDGPU.csdata,"",@progbits
; Kernel info:
; codeLenInByte = 764
; NumSgprs: 18
; NumVgprs: 14
; ScratchSize: 0
; MemoryBound: 0
; FloatMode: 240
; IeeeMode: 1
; LDSByteSize: 0 bytes/workgroup (compile time only)
; SGPRBlocks: 2
; VGPRBlocks: 1
; NumSGPRsForWavesPerEU: 18
; NumVGPRsForWavesPerEU: 14
; Occupancy: 16
; WaveLimiterHint : 0
; COMPUTE_PGM_RSRC2:SCRATCH_EN: 0
; COMPUTE_PGM_RSRC2:USER_SGPR: 15
; COMPUTE_PGM_RSRC2:TRAP_HANDLER: 0
; COMPUTE_PGM_RSRC2:TGID_X_EN: 1
; COMPUTE_PGM_RSRC2:TGID_Y_EN: 0
; COMPUTE_PGM_RSRC2:TGID_Z_EN: 0
; COMPUTE_PGM_RSRC2:TIDIG_COMP_CNT: 1
	.section	.text._ZN12_GLOBAL__N_121softmax_warp_backwardIfffLi2ELb1ELb0ELi64EEEvPT0_PKT_S5_iiiPKb,"axG",@progbits,_ZN12_GLOBAL__N_121softmax_warp_backwardIfffLi2ELb1ELb0ELi64EEEvPT0_PKT_S5_iiiPKb,comdat
	.globl	_ZN12_GLOBAL__N_121softmax_warp_backwardIfffLi2ELb1ELb0ELi64EEEvPT0_PKT_S5_iiiPKb ; -- Begin function _ZN12_GLOBAL__N_121softmax_warp_backwardIfffLi2ELb1ELb0ELi64EEEvPT0_PKT_S5_iiiPKb
	.p2align	8
	.type	_ZN12_GLOBAL__N_121softmax_warp_backwardIfffLi2ELb1ELb0ELi64EEEvPT0_PKT_S5_iiiPKb,@function
_ZN12_GLOBAL__N_121softmax_warp_backwardIfffLi2ELb1ELb0ELi64EEEvPT0_PKT_S5_iiiPKb: ; @_ZN12_GLOBAL__N_121softmax_warp_backwardIfffLi2ELb1ELb0ELi64EEEvPT0_PKT_S5_iiiPKb
; %bb.0:
	s_clause 0x1
	s_load_b32 s2, s[0:1], 0x3c
	s_load_b128 s[4:7], s[0:1], 0x18
	v_bfe_u32 v1, v0, 10, 10
	v_and_b32_e32 v2, 3, v0
	s_load_b128 s[8:11], s[0:1], 0x0
	v_mov_b32_e32 v6, 0
	v_mov_b32_e32 v8, 0
	;; [unrolled: 1-line block ×3, first 2 shown]
	s_waitcnt lgkmcnt(0)
	s_lshr_b32 s2, s2, 16
	v_cmp_gt_i32_e32 vcc_lo, s6, v2
	s_mul_i32 s15, s15, s2
	s_load_b64 s[2:3], s[0:1], 0x10
	v_add_lshl_u32 v3, s15, v1, 1
	s_delay_alu instid0(VALU_DEP_1) | instskip(SKIP_1) | instid1(VALU_DEP_1)
	v_mad_u64_u32 v[0:1], null, v3, s5, v[2:3]
	v_sub_nc_u32_e32 v7, s4, v3
	v_cmp_lt_i32_e64 s0, 0, v7
	s_delay_alu instid0(VALU_DEP_3) | instskip(NEXT) | instid1(VALU_DEP_1)
	v_ashrrev_i32_e32 v1, 31, v0
	v_lshlrev_b64 v[0:1], 2, v[0:1]
	s_delay_alu instid0(VALU_DEP_1) | instskip(NEXT) | instid1(VALU_DEP_1)
	v_add_co_u32 v4, s1, s10, v0
	v_add_co_ci_u32_e64 v5, s1, s11, v1, s1
	s_waitcnt lgkmcnt(0)
	v_add_co_u32 v2, s1, s2, v0
	s_delay_alu instid0(VALU_DEP_1) | instskip(SKIP_1) | instid1(SALU_CYCLE_1)
	v_add_co_ci_u32_e64 v3, s1, s3, v1, s1
	s_and_b32 s2, vcc_lo, s0
	s_and_saveexec_b32 s1, s2
	s_cbranch_execz .LBB232_2
; %bb.1:
	global_load_b32 v8, v[4:5], off
	global_load_b32 v10, v[2:3], off
.LBB232_2:
	s_or_b32 exec_lo, exec_lo, s1
	v_cmp_lt_i32_e64 s1, 1, v7
	v_mov_b32_e32 v9, 0
	s_mov_b32 s7, 0
	s_delay_alu instid0(VALU_DEP_2) | instskip(NEXT) | instid1(SALU_CYCLE_1)
	s_and_b32 s1, vcc_lo, s1
	s_and_saveexec_b32 s2, s1
	s_cbranch_execz .LBB232_4
; %bb.3:
	s_lshl_b64 s[4:5], s[6:7], 2
	s_delay_alu instid0(SALU_CYCLE_1) | instskip(NEXT) | instid1(VALU_DEP_1)
	v_add_co_u32 v4, s1, v4, s4
	v_add_co_ci_u32_e64 v5, s1, s5, v5, s1
	v_add_co_u32 v2, s1, v2, s4
	s_delay_alu instid0(VALU_DEP_1)
	v_add_co_ci_u32_e64 v3, s1, s5, v3, s1
	global_load_b32 v6, v[4:5], off
	global_load_b32 v9, v[2:3], off
.LBB232_4:
	s_or_b32 exec_lo, exec_lo, s2
	v_mbcnt_lo_u32_b32 v2, -1, 0
	s_waitcnt vmcnt(1)
	v_add_f32_e32 v5, 0, v8
	v_add_f32_e32 v11, 0, v6
	s_delay_alu instid0(VALU_DEP_3) | instskip(SKIP_1) | instid1(VALU_DEP_2)
	v_and_b32_e32 v3, 28, v2
	v_xor_b32_e32 v4, 2, v2
	v_add_nc_u32_e32 v3, 4, v3
	s_delay_alu instid0(VALU_DEP_1) | instskip(NEXT) | instid1(VALU_DEP_1)
	v_cmp_lt_i32_e64 s1, v4, v3
	v_cndmask_b32_e64 v4, v2, v4, s1
	s_delay_alu instid0(VALU_DEP_1) | instskip(SKIP_3) | instid1(VALU_DEP_1)
	v_lshlrev_b32_e32 v4, 2, v4
	ds_bpermute_b32 v12, v4, v5
	ds_bpermute_b32 v13, v4, v11
	v_xor_b32_e32 v4, 1, v2
	v_cmp_lt_i32_e64 s1, v4, v3
	s_delay_alu instid0(VALU_DEP_1) | instskip(SKIP_1) | instid1(VALU_DEP_1)
	v_cndmask_b32_e64 v2, v2, v4, s1
	s_waitcnt lgkmcnt(1)
	v_dual_add_f32 v4, v5, v12 :: v_dual_lshlrev_b32 v3, 2, v2
	s_waitcnt lgkmcnt(0)
	v_add_f32_e32 v2, v11, v13
	ds_bpermute_b32 v5, v3, v4
	ds_bpermute_b32 v3, v3, v2
	s_and_saveexec_b32 s1, s0
	s_cbranch_execz .LBB232_10
; %bb.5:
	v_add_co_u32 v0, s0, s8, v0
	s_delay_alu instid0(VALU_DEP_1)
	v_add_co_ci_u32_e64 v1, s0, s9, v1, s0
	s_and_saveexec_b32 s1, vcc_lo
	s_cbranch_execz .LBB232_7
; %bb.6:
	s_waitcnt vmcnt(0) lgkmcnt(1)
	v_dual_mul_f32 v11, 0x3fb8aa3b, v10 :: v_dual_add_f32 v4, v4, v5
	v_cmp_ngt_f32_e64 s0, 0xc2ce8ed0, v10
	s_delay_alu instid0(VALU_DEP_2) | instskip(SKIP_1) | instid1(VALU_DEP_2)
	v_rndne_f32_e32 v12, v11
	v_fma_f32 v13, 0x3fb8aa3b, v10, -v11
	v_sub_f32_e32 v11, v11, v12
	s_delay_alu instid0(VALU_DEP_2) | instskip(SKIP_1) | instid1(VALU_DEP_2)
	v_fmamk_f32 v13, v10, 0x32a5705f, v13
	v_cvt_i32_f32_e32 v12, v12
	v_add_f32_e32 v11, v11, v13
	s_delay_alu instid0(VALU_DEP_1) | instskip(SKIP_2) | instid1(VALU_DEP_1)
	v_exp_f32_e32 v11, v11
	s_waitcnt_depctr 0xfff
	v_ldexp_f32 v11, v11, v12
	v_cndmask_b32_e64 v11, 0, v11, s0
	v_cmp_nlt_f32_e64 s0, 0x42b17218, v10
	s_delay_alu instid0(VALU_DEP_1) | instskip(NEXT) | instid1(VALU_DEP_1)
	v_cndmask_b32_e64 v5, 0x7f800000, v11, s0
	v_fma_f32 v4, -v4, v5, v8
	global_store_b32 v[0:1], v4, off
.LBB232_7:
	s_or_b32 exec_lo, exec_lo, s1
	v_cmp_ne_u32_e64 s0, 1, v7
	s_delay_alu instid0(VALU_DEP_1)
	s_and_b32 exec_lo, exec_lo, s0
	s_cbranch_execz .LBB232_10
; %bb.8:
	s_and_b32 exec_lo, exec_lo, vcc_lo
	s_cbranch_execz .LBB232_10
; %bb.9:
	s_waitcnt vmcnt(0)
	v_mul_f32_e32 v4, 0x3fb8aa3b, v9
	v_cmp_ngt_f32_e32 vcc_lo, 0xc2ce8ed0, v9
	s_lshl_b64 s[0:1], s[6:7], 2
	s_waitcnt lgkmcnt(1)
	s_delay_alu instid0(VALU_DEP_2) | instskip(SKIP_1) | instid1(VALU_DEP_1)
	v_rndne_f32_e32 v5, v4
	v_fma_f32 v7, 0x3fb8aa3b, v9, -v4
	v_dual_sub_f32 v4, v4, v5 :: v_dual_fmamk_f32 v7, v9, 0x32a5705f, v7
	v_cvt_i32_f32_e32 v5, v5
	s_delay_alu instid0(VALU_DEP_2) | instskip(NEXT) | instid1(VALU_DEP_1)
	v_add_f32_e32 v4, v4, v7
	v_exp_f32_e32 v4, v4
	s_waitcnt_depctr 0xfff
	v_ldexp_f32 v4, v4, v5
	s_delay_alu instid0(VALU_DEP_1) | instskip(SKIP_2) | instid1(VALU_DEP_2)
	v_cndmask_b32_e32 v4, 0, v4, vcc_lo
	v_cmp_nlt_f32_e32 vcc_lo, 0x42b17218, v9
	s_waitcnt lgkmcnt(0)
	v_dual_add_f32 v2, v2, v3 :: v_dual_cndmask_b32 v3, 0x7f800000, v4
	v_add_co_u32 v0, vcc_lo, v0, s0
	v_add_co_ci_u32_e32 v1, vcc_lo, s1, v1, vcc_lo
	s_delay_alu instid0(VALU_DEP_3)
	v_fma_f32 v2, -v2, v3, v6
	global_store_b32 v[0:1], v2, off
.LBB232_10:
	s_nop 0
	s_sendmsg sendmsg(MSG_DEALLOC_VGPRS)
	s_endpgm
	.section	.rodata,"a",@progbits
	.p2align	6, 0x0
	.amdhsa_kernel _ZN12_GLOBAL__N_121softmax_warp_backwardIfffLi2ELb1ELb0ELi64EEEvPT0_PKT_S5_iiiPKb
		.amdhsa_group_segment_fixed_size 0
		.amdhsa_private_segment_fixed_size 0
		.amdhsa_kernarg_size 304
		.amdhsa_user_sgpr_count 15
		.amdhsa_user_sgpr_dispatch_ptr 0
		.amdhsa_user_sgpr_queue_ptr 0
		.amdhsa_user_sgpr_kernarg_segment_ptr 1
		.amdhsa_user_sgpr_dispatch_id 0
		.amdhsa_user_sgpr_private_segment_size 0
		.amdhsa_wavefront_size32 1
		.amdhsa_uses_dynamic_stack 0
		.amdhsa_enable_private_segment 0
		.amdhsa_system_sgpr_workgroup_id_x 1
		.amdhsa_system_sgpr_workgroup_id_y 0
		.amdhsa_system_sgpr_workgroup_id_z 0
		.amdhsa_system_sgpr_workgroup_info 0
		.amdhsa_system_vgpr_workitem_id 1
		.amdhsa_next_free_vgpr 14
		.amdhsa_next_free_sgpr 16
		.amdhsa_reserve_vcc 1
		.amdhsa_float_round_mode_32 0
		.amdhsa_float_round_mode_16_64 0
		.amdhsa_float_denorm_mode_32 3
		.amdhsa_float_denorm_mode_16_64 3
		.amdhsa_dx10_clamp 1
		.amdhsa_ieee_mode 1
		.amdhsa_fp16_overflow 0
		.amdhsa_workgroup_processor_mode 1
		.amdhsa_memory_ordered 1
		.amdhsa_forward_progress 0
		.amdhsa_shared_vgpr_count 0
		.amdhsa_exception_fp_ieee_invalid_op 0
		.amdhsa_exception_fp_denorm_src 0
		.amdhsa_exception_fp_ieee_div_zero 0
		.amdhsa_exception_fp_ieee_overflow 0
		.amdhsa_exception_fp_ieee_underflow 0
		.amdhsa_exception_fp_ieee_inexact 0
		.amdhsa_exception_int_div_zero 0
	.end_amdhsa_kernel
	.section	.text._ZN12_GLOBAL__N_121softmax_warp_backwardIfffLi2ELb1ELb0ELi64EEEvPT0_PKT_S5_iiiPKb,"axG",@progbits,_ZN12_GLOBAL__N_121softmax_warp_backwardIfffLi2ELb1ELb0ELi64EEEvPT0_PKT_S5_iiiPKb,comdat
.Lfunc_end232:
	.size	_ZN12_GLOBAL__N_121softmax_warp_backwardIfffLi2ELb1ELb0ELi64EEEvPT0_PKT_S5_iiiPKb, .Lfunc_end232-_ZN12_GLOBAL__N_121softmax_warp_backwardIfffLi2ELb1ELb0ELi64EEEvPT0_PKT_S5_iiiPKb
                                        ; -- End function
	.section	.AMDGPU.csdata,"",@progbits
; Kernel info:
; codeLenInByte = 812
; NumSgprs: 18
; NumVgprs: 14
; ScratchSize: 0
; MemoryBound: 0
; FloatMode: 240
; IeeeMode: 1
; LDSByteSize: 0 bytes/workgroup (compile time only)
; SGPRBlocks: 2
; VGPRBlocks: 1
; NumSGPRsForWavesPerEU: 18
; NumVGPRsForWavesPerEU: 14
; Occupancy: 16
; WaveLimiterHint : 0
; COMPUTE_PGM_RSRC2:SCRATCH_EN: 0
; COMPUTE_PGM_RSRC2:USER_SGPR: 15
; COMPUTE_PGM_RSRC2:TRAP_HANDLER: 0
; COMPUTE_PGM_RSRC2:TGID_X_EN: 1
; COMPUTE_PGM_RSRC2:TGID_Y_EN: 0
; COMPUTE_PGM_RSRC2:TGID_Z_EN: 0
; COMPUTE_PGM_RSRC2:TIDIG_COMP_CNT: 1
	.section	.text._ZN12_GLOBAL__N_121softmax_warp_backwardIfffLi2ELb1ELb0ELi32EEEvPT0_PKT_S5_iiiPKb,"axG",@progbits,_ZN12_GLOBAL__N_121softmax_warp_backwardIfffLi2ELb1ELb0ELi32EEEvPT0_PKT_S5_iiiPKb,comdat
	.globl	_ZN12_GLOBAL__N_121softmax_warp_backwardIfffLi2ELb1ELb0ELi32EEEvPT0_PKT_S5_iiiPKb ; -- Begin function _ZN12_GLOBAL__N_121softmax_warp_backwardIfffLi2ELb1ELb0ELi32EEEvPT0_PKT_S5_iiiPKb
	.p2align	8
	.type	_ZN12_GLOBAL__N_121softmax_warp_backwardIfffLi2ELb1ELb0ELi32EEEvPT0_PKT_S5_iiiPKb,@function
_ZN12_GLOBAL__N_121softmax_warp_backwardIfffLi2ELb1ELb0ELi32EEEvPT0_PKT_S5_iiiPKb: ; @_ZN12_GLOBAL__N_121softmax_warp_backwardIfffLi2ELb1ELb0ELi32EEEvPT0_PKT_S5_iiiPKb
; %bb.0:
	s_clause 0x1
	s_load_b32 s2, s[0:1], 0x3c
	s_load_b128 s[4:7], s[0:1], 0x18
	v_bfe_u32 v1, v0, 10, 10
	v_and_b32_e32 v2, 3, v0
	s_load_b128 s[8:11], s[0:1], 0x0
	v_mov_b32_e32 v6, 0
	v_mov_b32_e32 v8, 0
	;; [unrolled: 1-line block ×3, first 2 shown]
	s_waitcnt lgkmcnt(0)
	s_lshr_b32 s2, s2, 16
	v_cmp_gt_i32_e32 vcc_lo, s6, v2
	s_mul_i32 s15, s15, s2
	s_load_b64 s[2:3], s[0:1], 0x10
	v_add_lshl_u32 v3, s15, v1, 1
	s_delay_alu instid0(VALU_DEP_1) | instskip(SKIP_1) | instid1(VALU_DEP_1)
	v_mad_u64_u32 v[0:1], null, v3, s5, v[2:3]
	v_sub_nc_u32_e32 v7, s4, v3
	v_cmp_lt_i32_e64 s0, 0, v7
	s_delay_alu instid0(VALU_DEP_3) | instskip(NEXT) | instid1(VALU_DEP_1)
	v_ashrrev_i32_e32 v1, 31, v0
	v_lshlrev_b64 v[0:1], 2, v[0:1]
	s_delay_alu instid0(VALU_DEP_1) | instskip(NEXT) | instid1(VALU_DEP_1)
	v_add_co_u32 v4, s1, s10, v0
	v_add_co_ci_u32_e64 v5, s1, s11, v1, s1
	s_waitcnt lgkmcnt(0)
	v_add_co_u32 v2, s1, s2, v0
	s_delay_alu instid0(VALU_DEP_1) | instskip(SKIP_1) | instid1(SALU_CYCLE_1)
	v_add_co_ci_u32_e64 v3, s1, s3, v1, s1
	s_and_b32 s2, vcc_lo, s0
	s_and_saveexec_b32 s1, s2
	s_cbranch_execz .LBB233_2
; %bb.1:
	global_load_b32 v8, v[4:5], off
	global_load_b32 v10, v[2:3], off
.LBB233_2:
	s_or_b32 exec_lo, exec_lo, s1
	v_cmp_lt_i32_e64 s1, 1, v7
	v_mov_b32_e32 v9, 0
	s_mov_b32 s7, 0
	s_delay_alu instid0(VALU_DEP_2) | instskip(NEXT) | instid1(SALU_CYCLE_1)
	s_and_b32 s1, vcc_lo, s1
	s_and_saveexec_b32 s2, s1
	s_cbranch_execz .LBB233_4
; %bb.3:
	s_lshl_b64 s[4:5], s[6:7], 2
	s_delay_alu instid0(SALU_CYCLE_1) | instskip(NEXT) | instid1(VALU_DEP_1)
	v_add_co_u32 v4, s1, v4, s4
	v_add_co_ci_u32_e64 v5, s1, s5, v5, s1
	v_add_co_u32 v2, s1, v2, s4
	s_delay_alu instid0(VALU_DEP_1)
	v_add_co_ci_u32_e64 v3, s1, s5, v3, s1
	global_load_b32 v6, v[4:5], off
	global_load_b32 v9, v[2:3], off
.LBB233_4:
	s_or_b32 exec_lo, exec_lo, s2
	v_mbcnt_lo_u32_b32 v2, -1, 0
	s_waitcnt vmcnt(1)
	v_add_f32_e32 v5, 0, v8
	v_add_f32_e32 v11, 0, v6
	s_delay_alu instid0(VALU_DEP_3) | instskip(SKIP_1) | instid1(VALU_DEP_2)
	v_and_b32_e32 v3, 28, v2
	v_xor_b32_e32 v4, 2, v2
	v_add_nc_u32_e32 v3, 4, v3
	s_delay_alu instid0(VALU_DEP_1) | instskip(NEXT) | instid1(VALU_DEP_1)
	v_cmp_lt_i32_e64 s1, v4, v3
	v_cndmask_b32_e64 v4, v2, v4, s1
	s_delay_alu instid0(VALU_DEP_1) | instskip(SKIP_3) | instid1(VALU_DEP_1)
	v_lshlrev_b32_e32 v4, 2, v4
	ds_bpermute_b32 v12, v4, v5
	ds_bpermute_b32 v13, v4, v11
	v_xor_b32_e32 v4, 1, v2
	v_cmp_lt_i32_e64 s1, v4, v3
	s_delay_alu instid0(VALU_DEP_1) | instskip(SKIP_1) | instid1(VALU_DEP_1)
	v_cndmask_b32_e64 v2, v2, v4, s1
	s_waitcnt lgkmcnt(1)
	v_dual_add_f32 v4, v5, v12 :: v_dual_lshlrev_b32 v3, 2, v2
	s_waitcnt lgkmcnt(0)
	v_add_f32_e32 v2, v11, v13
	ds_bpermute_b32 v5, v3, v4
	ds_bpermute_b32 v3, v3, v2
	s_and_saveexec_b32 s1, s0
	s_cbranch_execz .LBB233_10
; %bb.5:
	v_add_co_u32 v0, s0, s8, v0
	s_delay_alu instid0(VALU_DEP_1)
	v_add_co_ci_u32_e64 v1, s0, s9, v1, s0
	s_and_saveexec_b32 s1, vcc_lo
	s_cbranch_execz .LBB233_7
; %bb.6:
	s_waitcnt vmcnt(0) lgkmcnt(1)
	v_dual_mul_f32 v11, 0x3fb8aa3b, v10 :: v_dual_add_f32 v4, v4, v5
	v_cmp_ngt_f32_e64 s0, 0xc2ce8ed0, v10
	s_delay_alu instid0(VALU_DEP_2) | instskip(SKIP_1) | instid1(VALU_DEP_2)
	v_rndne_f32_e32 v12, v11
	v_fma_f32 v13, 0x3fb8aa3b, v10, -v11
	v_sub_f32_e32 v11, v11, v12
	s_delay_alu instid0(VALU_DEP_2) | instskip(SKIP_1) | instid1(VALU_DEP_2)
	v_fmamk_f32 v13, v10, 0x32a5705f, v13
	v_cvt_i32_f32_e32 v12, v12
	v_add_f32_e32 v11, v11, v13
	s_delay_alu instid0(VALU_DEP_1) | instskip(SKIP_2) | instid1(VALU_DEP_1)
	v_exp_f32_e32 v11, v11
	s_waitcnt_depctr 0xfff
	v_ldexp_f32 v11, v11, v12
	v_cndmask_b32_e64 v11, 0, v11, s0
	v_cmp_nlt_f32_e64 s0, 0x42b17218, v10
	s_delay_alu instid0(VALU_DEP_1) | instskip(NEXT) | instid1(VALU_DEP_1)
	v_cndmask_b32_e64 v5, 0x7f800000, v11, s0
	v_fma_f32 v4, -v4, v5, v8
	global_store_b32 v[0:1], v4, off
.LBB233_7:
	s_or_b32 exec_lo, exec_lo, s1
	v_cmp_ne_u32_e64 s0, 1, v7
	s_delay_alu instid0(VALU_DEP_1)
	s_and_b32 exec_lo, exec_lo, s0
	s_cbranch_execz .LBB233_10
; %bb.8:
	s_and_b32 exec_lo, exec_lo, vcc_lo
	s_cbranch_execz .LBB233_10
; %bb.9:
	s_waitcnt vmcnt(0)
	v_mul_f32_e32 v4, 0x3fb8aa3b, v9
	v_cmp_ngt_f32_e32 vcc_lo, 0xc2ce8ed0, v9
	s_lshl_b64 s[0:1], s[6:7], 2
	s_waitcnt lgkmcnt(1)
	s_delay_alu instid0(VALU_DEP_2) | instskip(SKIP_1) | instid1(VALU_DEP_1)
	v_rndne_f32_e32 v5, v4
	v_fma_f32 v7, 0x3fb8aa3b, v9, -v4
	v_dual_sub_f32 v4, v4, v5 :: v_dual_fmamk_f32 v7, v9, 0x32a5705f, v7
	v_cvt_i32_f32_e32 v5, v5
	s_delay_alu instid0(VALU_DEP_2) | instskip(NEXT) | instid1(VALU_DEP_1)
	v_add_f32_e32 v4, v4, v7
	v_exp_f32_e32 v4, v4
	s_waitcnt_depctr 0xfff
	v_ldexp_f32 v4, v4, v5
	s_delay_alu instid0(VALU_DEP_1) | instskip(SKIP_2) | instid1(VALU_DEP_2)
	v_cndmask_b32_e32 v4, 0, v4, vcc_lo
	v_cmp_nlt_f32_e32 vcc_lo, 0x42b17218, v9
	s_waitcnt lgkmcnt(0)
	v_dual_add_f32 v2, v2, v3 :: v_dual_cndmask_b32 v3, 0x7f800000, v4
	v_add_co_u32 v0, vcc_lo, v0, s0
	v_add_co_ci_u32_e32 v1, vcc_lo, s1, v1, vcc_lo
	s_delay_alu instid0(VALU_DEP_3)
	v_fma_f32 v2, -v2, v3, v6
	global_store_b32 v[0:1], v2, off
.LBB233_10:
	s_nop 0
	s_sendmsg sendmsg(MSG_DEALLOC_VGPRS)
	s_endpgm
	.section	.rodata,"a",@progbits
	.p2align	6, 0x0
	.amdhsa_kernel _ZN12_GLOBAL__N_121softmax_warp_backwardIfffLi2ELb1ELb0ELi32EEEvPT0_PKT_S5_iiiPKb
		.amdhsa_group_segment_fixed_size 0
		.amdhsa_private_segment_fixed_size 0
		.amdhsa_kernarg_size 304
		.amdhsa_user_sgpr_count 15
		.amdhsa_user_sgpr_dispatch_ptr 0
		.amdhsa_user_sgpr_queue_ptr 0
		.amdhsa_user_sgpr_kernarg_segment_ptr 1
		.amdhsa_user_sgpr_dispatch_id 0
		.amdhsa_user_sgpr_private_segment_size 0
		.amdhsa_wavefront_size32 1
		.amdhsa_uses_dynamic_stack 0
		.amdhsa_enable_private_segment 0
		.amdhsa_system_sgpr_workgroup_id_x 1
		.amdhsa_system_sgpr_workgroup_id_y 0
		.amdhsa_system_sgpr_workgroup_id_z 0
		.amdhsa_system_sgpr_workgroup_info 0
		.amdhsa_system_vgpr_workitem_id 1
		.amdhsa_next_free_vgpr 14
		.amdhsa_next_free_sgpr 16
		.amdhsa_reserve_vcc 1
		.amdhsa_float_round_mode_32 0
		.amdhsa_float_round_mode_16_64 0
		.amdhsa_float_denorm_mode_32 3
		.amdhsa_float_denorm_mode_16_64 3
		.amdhsa_dx10_clamp 1
		.amdhsa_ieee_mode 1
		.amdhsa_fp16_overflow 0
		.amdhsa_workgroup_processor_mode 1
		.amdhsa_memory_ordered 1
		.amdhsa_forward_progress 0
		.amdhsa_shared_vgpr_count 0
		.amdhsa_exception_fp_ieee_invalid_op 0
		.amdhsa_exception_fp_denorm_src 0
		.amdhsa_exception_fp_ieee_div_zero 0
		.amdhsa_exception_fp_ieee_overflow 0
		.amdhsa_exception_fp_ieee_underflow 0
		.amdhsa_exception_fp_ieee_inexact 0
		.amdhsa_exception_int_div_zero 0
	.end_amdhsa_kernel
	.section	.text._ZN12_GLOBAL__N_121softmax_warp_backwardIfffLi2ELb1ELb0ELi32EEEvPT0_PKT_S5_iiiPKb,"axG",@progbits,_ZN12_GLOBAL__N_121softmax_warp_backwardIfffLi2ELb1ELb0ELi32EEEvPT0_PKT_S5_iiiPKb,comdat
.Lfunc_end233:
	.size	_ZN12_GLOBAL__N_121softmax_warp_backwardIfffLi2ELb1ELb0ELi32EEEvPT0_PKT_S5_iiiPKb, .Lfunc_end233-_ZN12_GLOBAL__N_121softmax_warp_backwardIfffLi2ELb1ELb0ELi32EEEvPT0_PKT_S5_iiiPKb
                                        ; -- End function
	.section	.AMDGPU.csdata,"",@progbits
; Kernel info:
; codeLenInByte = 812
; NumSgprs: 18
; NumVgprs: 14
; ScratchSize: 0
; MemoryBound: 0
; FloatMode: 240
; IeeeMode: 1
; LDSByteSize: 0 bytes/workgroup (compile time only)
; SGPRBlocks: 2
; VGPRBlocks: 1
; NumSGPRsForWavesPerEU: 18
; NumVGPRsForWavesPerEU: 14
; Occupancy: 16
; WaveLimiterHint : 0
; COMPUTE_PGM_RSRC2:SCRATCH_EN: 0
; COMPUTE_PGM_RSRC2:USER_SGPR: 15
; COMPUTE_PGM_RSRC2:TRAP_HANDLER: 0
; COMPUTE_PGM_RSRC2:TGID_X_EN: 1
; COMPUTE_PGM_RSRC2:TGID_Y_EN: 0
; COMPUTE_PGM_RSRC2:TGID_Z_EN: 0
; COMPUTE_PGM_RSRC2:TIDIG_COMP_CNT: 1
	.section	.text._ZN12_GLOBAL__N_121softmax_warp_backwardIfffLi3ELb1ELb0ELi64EEEvPT0_PKT_S5_iiiPKb,"axG",@progbits,_ZN12_GLOBAL__N_121softmax_warp_backwardIfffLi3ELb1ELb0ELi64EEEvPT0_PKT_S5_iiiPKb,comdat
	.globl	_ZN12_GLOBAL__N_121softmax_warp_backwardIfffLi3ELb1ELb0ELi64EEEvPT0_PKT_S5_iiiPKb ; -- Begin function _ZN12_GLOBAL__N_121softmax_warp_backwardIfffLi3ELb1ELb0ELi64EEEvPT0_PKT_S5_iiiPKb
	.p2align	8
	.type	_ZN12_GLOBAL__N_121softmax_warp_backwardIfffLi3ELb1ELb0ELi64EEEvPT0_PKT_S5_iiiPKb,@function
_ZN12_GLOBAL__N_121softmax_warp_backwardIfffLi3ELb1ELb0ELi64EEEvPT0_PKT_S5_iiiPKb: ; @_ZN12_GLOBAL__N_121softmax_warp_backwardIfffLi3ELb1ELb0ELi64EEEvPT0_PKT_S5_iiiPKb
; %bb.0:
	s_clause 0x1
	s_load_b32 s2, s[0:1], 0x3c
	s_load_b128 s[4:7], s[0:1], 0x18
	v_bfe_u32 v1, v0, 10, 10
	v_and_b32_e32 v2, 7, v0
	s_load_b128 s[8:11], s[0:1], 0x0
	v_mov_b32_e32 v6, 0
	v_mov_b32_e32 v8, 0
	;; [unrolled: 1-line block ×3, first 2 shown]
	s_waitcnt lgkmcnt(0)
	s_lshr_b32 s2, s2, 16
	v_cmp_gt_i32_e32 vcc_lo, s6, v2
	s_mul_i32 s15, s15, s2
	s_load_b64 s[2:3], s[0:1], 0x10
	v_add_lshl_u32 v3, s15, v1, 1
	s_delay_alu instid0(VALU_DEP_1) | instskip(SKIP_1) | instid1(VALU_DEP_1)
	v_mad_u64_u32 v[0:1], null, v3, s5, v[2:3]
	v_sub_nc_u32_e32 v7, s4, v3
	v_cmp_lt_i32_e64 s0, 0, v7
	s_delay_alu instid0(VALU_DEP_3) | instskip(NEXT) | instid1(VALU_DEP_1)
	v_ashrrev_i32_e32 v1, 31, v0
	v_lshlrev_b64 v[0:1], 2, v[0:1]
	s_delay_alu instid0(VALU_DEP_1) | instskip(NEXT) | instid1(VALU_DEP_1)
	v_add_co_u32 v4, s1, s10, v0
	v_add_co_ci_u32_e64 v5, s1, s11, v1, s1
	s_waitcnt lgkmcnt(0)
	v_add_co_u32 v2, s1, s2, v0
	s_delay_alu instid0(VALU_DEP_1) | instskip(SKIP_1) | instid1(SALU_CYCLE_1)
	v_add_co_ci_u32_e64 v3, s1, s3, v1, s1
	s_and_b32 s2, vcc_lo, s0
	s_and_saveexec_b32 s1, s2
	s_cbranch_execz .LBB234_2
; %bb.1:
	global_load_b32 v8, v[4:5], off
	global_load_b32 v10, v[2:3], off
.LBB234_2:
	s_or_b32 exec_lo, exec_lo, s1
	v_cmp_lt_i32_e64 s1, 1, v7
	v_mov_b32_e32 v9, 0
	s_mov_b32 s7, 0
	s_delay_alu instid0(VALU_DEP_2) | instskip(NEXT) | instid1(SALU_CYCLE_1)
	s_and_b32 s1, vcc_lo, s1
	s_and_saveexec_b32 s2, s1
	s_cbranch_execz .LBB234_4
; %bb.3:
	s_lshl_b64 s[4:5], s[6:7], 2
	s_delay_alu instid0(SALU_CYCLE_1) | instskip(NEXT) | instid1(VALU_DEP_1)
	v_add_co_u32 v4, s1, v4, s4
	v_add_co_ci_u32_e64 v5, s1, s5, v5, s1
	v_add_co_u32 v2, s1, v2, s4
	s_delay_alu instid0(VALU_DEP_1)
	v_add_co_ci_u32_e64 v3, s1, s5, v3, s1
	global_load_b32 v6, v[4:5], off
	global_load_b32 v9, v[2:3], off
.LBB234_4:
	s_or_b32 exec_lo, exec_lo, s2
	v_mbcnt_lo_u32_b32 v2, -1, 0
	s_waitcnt vmcnt(1)
	v_add_f32_e32 v5, 0, v8
	v_add_f32_e32 v11, 0, v6
	s_delay_alu instid0(VALU_DEP_3) | instskip(SKIP_2) | instid1(VALU_DEP_3)
	v_and_b32_e32 v3, 24, v2
	v_xor_b32_e32 v4, 4, v2
	v_xor_b32_e32 v13, 2, v2
	v_add_nc_u32_e32 v3, 8, v3
	s_delay_alu instid0(VALU_DEP_1) | instskip(NEXT) | instid1(VALU_DEP_1)
	v_cmp_lt_i32_e64 s1, v4, v3
	v_cndmask_b32_e64 v4, v2, v4, s1
	s_delay_alu instid0(VALU_DEP_4) | instskip(NEXT) | instid1(VALU_DEP_2)
	v_cmp_lt_i32_e64 s1, v13, v3
	v_lshlrev_b32_e32 v4, 2, v4
	s_delay_alu instid0(VALU_DEP_2)
	v_cndmask_b32_e64 v13, v2, v13, s1
	ds_bpermute_b32 v12, v4, v5
	ds_bpermute_b32 v4, v4, v11
	v_lshlrev_b32_e32 v13, 2, v13
	s_waitcnt lgkmcnt(1)
	v_add_f32_e32 v5, v5, v12
	s_waitcnt lgkmcnt(0)
	v_add_f32_e32 v11, v11, v4
	ds_bpermute_b32 v4, v13, v5
	ds_bpermute_b32 v12, v13, v11
	v_xor_b32_e32 v13, 1, v2
	s_delay_alu instid0(VALU_DEP_1) | instskip(NEXT) | instid1(VALU_DEP_1)
	v_cmp_lt_i32_e64 s1, v13, v3
	v_cndmask_b32_e64 v2, v2, v13, s1
	s_waitcnt lgkmcnt(1)
	s_delay_alu instid0(VALU_DEP_1)
	v_dual_add_f32 v4, v5, v4 :: v_dual_lshlrev_b32 v3, 2, v2
	s_waitcnt lgkmcnt(0)
	v_add_f32_e32 v2, v11, v12
	ds_bpermute_b32 v5, v3, v4
	ds_bpermute_b32 v3, v3, v2
	s_and_saveexec_b32 s1, s0
	s_cbranch_execz .LBB234_10
; %bb.5:
	v_add_co_u32 v0, s0, s8, v0
	s_delay_alu instid0(VALU_DEP_1)
	v_add_co_ci_u32_e64 v1, s0, s9, v1, s0
	s_and_saveexec_b32 s1, vcc_lo
	s_cbranch_execz .LBB234_7
; %bb.6:
	s_waitcnt vmcnt(0) lgkmcnt(1)
	v_dual_mul_f32 v11, 0x3fb8aa3b, v10 :: v_dual_add_f32 v4, v4, v5
	v_cmp_ngt_f32_e64 s0, 0xc2ce8ed0, v10
	s_delay_alu instid0(VALU_DEP_2) | instskip(SKIP_1) | instid1(VALU_DEP_2)
	v_rndne_f32_e32 v12, v11
	v_fma_f32 v13, 0x3fb8aa3b, v10, -v11
	v_sub_f32_e32 v11, v11, v12
	s_delay_alu instid0(VALU_DEP_2) | instskip(SKIP_1) | instid1(VALU_DEP_2)
	v_fmamk_f32 v13, v10, 0x32a5705f, v13
	v_cvt_i32_f32_e32 v12, v12
	v_add_f32_e32 v11, v11, v13
	s_delay_alu instid0(VALU_DEP_1) | instskip(SKIP_2) | instid1(VALU_DEP_1)
	v_exp_f32_e32 v11, v11
	s_waitcnt_depctr 0xfff
	v_ldexp_f32 v11, v11, v12
	v_cndmask_b32_e64 v11, 0, v11, s0
	v_cmp_nlt_f32_e64 s0, 0x42b17218, v10
	s_delay_alu instid0(VALU_DEP_1) | instskip(NEXT) | instid1(VALU_DEP_1)
	v_cndmask_b32_e64 v5, 0x7f800000, v11, s0
	v_fma_f32 v4, -v4, v5, v8
	global_store_b32 v[0:1], v4, off
.LBB234_7:
	s_or_b32 exec_lo, exec_lo, s1
	v_cmp_ne_u32_e64 s0, 1, v7
	s_delay_alu instid0(VALU_DEP_1)
	s_and_b32 exec_lo, exec_lo, s0
	s_cbranch_execz .LBB234_10
; %bb.8:
	s_and_b32 exec_lo, exec_lo, vcc_lo
	s_cbranch_execz .LBB234_10
; %bb.9:
	s_waitcnt vmcnt(0)
	v_mul_f32_e32 v4, 0x3fb8aa3b, v9
	v_cmp_ngt_f32_e32 vcc_lo, 0xc2ce8ed0, v9
	s_lshl_b64 s[0:1], s[6:7], 2
	s_waitcnt lgkmcnt(1)
	s_delay_alu instid0(VALU_DEP_2) | instskip(SKIP_1) | instid1(VALU_DEP_1)
	v_rndne_f32_e32 v5, v4
	v_fma_f32 v7, 0x3fb8aa3b, v9, -v4
	v_dual_sub_f32 v4, v4, v5 :: v_dual_fmamk_f32 v7, v9, 0x32a5705f, v7
	v_cvt_i32_f32_e32 v5, v5
	s_delay_alu instid0(VALU_DEP_2) | instskip(NEXT) | instid1(VALU_DEP_1)
	v_add_f32_e32 v4, v4, v7
	v_exp_f32_e32 v4, v4
	s_waitcnt_depctr 0xfff
	v_ldexp_f32 v4, v4, v5
	s_delay_alu instid0(VALU_DEP_1) | instskip(SKIP_2) | instid1(VALU_DEP_2)
	v_cndmask_b32_e32 v4, 0, v4, vcc_lo
	v_cmp_nlt_f32_e32 vcc_lo, 0x42b17218, v9
	s_waitcnt lgkmcnt(0)
	v_dual_add_f32 v2, v2, v3 :: v_dual_cndmask_b32 v3, 0x7f800000, v4
	v_add_co_u32 v0, vcc_lo, v0, s0
	v_add_co_ci_u32_e32 v1, vcc_lo, s1, v1, vcc_lo
	s_delay_alu instid0(VALU_DEP_3)
	v_fma_f32 v2, -v2, v3, v6
	global_store_b32 v[0:1], v2, off
.LBB234_10:
	s_nop 0
	s_sendmsg sendmsg(MSG_DEALLOC_VGPRS)
	s_endpgm
	.section	.rodata,"a",@progbits
	.p2align	6, 0x0
	.amdhsa_kernel _ZN12_GLOBAL__N_121softmax_warp_backwardIfffLi3ELb1ELb0ELi64EEEvPT0_PKT_S5_iiiPKb
		.amdhsa_group_segment_fixed_size 0
		.amdhsa_private_segment_fixed_size 0
		.amdhsa_kernarg_size 304
		.amdhsa_user_sgpr_count 15
		.amdhsa_user_sgpr_dispatch_ptr 0
		.amdhsa_user_sgpr_queue_ptr 0
		.amdhsa_user_sgpr_kernarg_segment_ptr 1
		.amdhsa_user_sgpr_dispatch_id 0
		.amdhsa_user_sgpr_private_segment_size 0
		.amdhsa_wavefront_size32 1
		.amdhsa_uses_dynamic_stack 0
		.amdhsa_enable_private_segment 0
		.amdhsa_system_sgpr_workgroup_id_x 1
		.amdhsa_system_sgpr_workgroup_id_y 0
		.amdhsa_system_sgpr_workgroup_id_z 0
		.amdhsa_system_sgpr_workgroup_info 0
		.amdhsa_system_vgpr_workitem_id 1
		.amdhsa_next_free_vgpr 14
		.amdhsa_next_free_sgpr 16
		.amdhsa_reserve_vcc 1
		.amdhsa_float_round_mode_32 0
		.amdhsa_float_round_mode_16_64 0
		.amdhsa_float_denorm_mode_32 3
		.amdhsa_float_denorm_mode_16_64 3
		.amdhsa_dx10_clamp 1
		.amdhsa_ieee_mode 1
		.amdhsa_fp16_overflow 0
		.amdhsa_workgroup_processor_mode 1
		.amdhsa_memory_ordered 1
		.amdhsa_forward_progress 0
		.amdhsa_shared_vgpr_count 0
		.amdhsa_exception_fp_ieee_invalid_op 0
		.amdhsa_exception_fp_denorm_src 0
		.amdhsa_exception_fp_ieee_div_zero 0
		.amdhsa_exception_fp_ieee_overflow 0
		.amdhsa_exception_fp_ieee_underflow 0
		.amdhsa_exception_fp_ieee_inexact 0
		.amdhsa_exception_int_div_zero 0
	.end_amdhsa_kernel
	.section	.text._ZN12_GLOBAL__N_121softmax_warp_backwardIfffLi3ELb1ELb0ELi64EEEvPT0_PKT_S5_iiiPKb,"axG",@progbits,_ZN12_GLOBAL__N_121softmax_warp_backwardIfffLi3ELb1ELb0ELi64EEEvPT0_PKT_S5_iiiPKb,comdat
.Lfunc_end234:
	.size	_ZN12_GLOBAL__N_121softmax_warp_backwardIfffLi3ELb1ELb0ELi64EEEvPT0_PKT_S5_iiiPKb, .Lfunc_end234-_ZN12_GLOBAL__N_121softmax_warp_backwardIfffLi3ELb1ELb0ELi64EEEvPT0_PKT_S5_iiiPKb
                                        ; -- End function
	.section	.AMDGPU.csdata,"",@progbits
; Kernel info:
; codeLenInByte = 876
; NumSgprs: 18
; NumVgprs: 14
; ScratchSize: 0
; MemoryBound: 0
; FloatMode: 240
; IeeeMode: 1
; LDSByteSize: 0 bytes/workgroup (compile time only)
; SGPRBlocks: 2
; VGPRBlocks: 1
; NumSGPRsForWavesPerEU: 18
; NumVGPRsForWavesPerEU: 14
; Occupancy: 16
; WaveLimiterHint : 0
; COMPUTE_PGM_RSRC2:SCRATCH_EN: 0
; COMPUTE_PGM_RSRC2:USER_SGPR: 15
; COMPUTE_PGM_RSRC2:TRAP_HANDLER: 0
; COMPUTE_PGM_RSRC2:TGID_X_EN: 1
; COMPUTE_PGM_RSRC2:TGID_Y_EN: 0
; COMPUTE_PGM_RSRC2:TGID_Z_EN: 0
; COMPUTE_PGM_RSRC2:TIDIG_COMP_CNT: 1
	.section	.text._ZN12_GLOBAL__N_121softmax_warp_backwardIfffLi3ELb1ELb0ELi32EEEvPT0_PKT_S5_iiiPKb,"axG",@progbits,_ZN12_GLOBAL__N_121softmax_warp_backwardIfffLi3ELb1ELb0ELi32EEEvPT0_PKT_S5_iiiPKb,comdat
	.globl	_ZN12_GLOBAL__N_121softmax_warp_backwardIfffLi3ELb1ELb0ELi32EEEvPT0_PKT_S5_iiiPKb ; -- Begin function _ZN12_GLOBAL__N_121softmax_warp_backwardIfffLi3ELb1ELb0ELi32EEEvPT0_PKT_S5_iiiPKb
	.p2align	8
	.type	_ZN12_GLOBAL__N_121softmax_warp_backwardIfffLi3ELb1ELb0ELi32EEEvPT0_PKT_S5_iiiPKb,@function
_ZN12_GLOBAL__N_121softmax_warp_backwardIfffLi3ELb1ELb0ELi32EEEvPT0_PKT_S5_iiiPKb: ; @_ZN12_GLOBAL__N_121softmax_warp_backwardIfffLi3ELb1ELb0ELi32EEEvPT0_PKT_S5_iiiPKb
; %bb.0:
	s_clause 0x1
	s_load_b32 s2, s[0:1], 0x3c
	s_load_b128 s[4:7], s[0:1], 0x18
	v_bfe_u32 v1, v0, 10, 10
	v_and_b32_e32 v2, 7, v0
	s_load_b128 s[8:11], s[0:1], 0x0
	v_mov_b32_e32 v6, 0
	v_mov_b32_e32 v8, 0
	;; [unrolled: 1-line block ×3, first 2 shown]
	s_waitcnt lgkmcnt(0)
	s_lshr_b32 s2, s2, 16
	v_cmp_gt_i32_e32 vcc_lo, s6, v2
	s_mul_i32 s15, s15, s2
	s_load_b64 s[2:3], s[0:1], 0x10
	v_add_lshl_u32 v3, s15, v1, 1
	s_delay_alu instid0(VALU_DEP_1) | instskip(SKIP_1) | instid1(VALU_DEP_1)
	v_mad_u64_u32 v[0:1], null, v3, s5, v[2:3]
	v_sub_nc_u32_e32 v7, s4, v3
	v_cmp_lt_i32_e64 s0, 0, v7
	s_delay_alu instid0(VALU_DEP_3) | instskip(NEXT) | instid1(VALU_DEP_1)
	v_ashrrev_i32_e32 v1, 31, v0
	v_lshlrev_b64 v[0:1], 2, v[0:1]
	s_delay_alu instid0(VALU_DEP_1) | instskip(NEXT) | instid1(VALU_DEP_1)
	v_add_co_u32 v4, s1, s10, v0
	v_add_co_ci_u32_e64 v5, s1, s11, v1, s1
	s_waitcnt lgkmcnt(0)
	v_add_co_u32 v2, s1, s2, v0
	s_delay_alu instid0(VALU_DEP_1) | instskip(SKIP_1) | instid1(SALU_CYCLE_1)
	v_add_co_ci_u32_e64 v3, s1, s3, v1, s1
	s_and_b32 s2, vcc_lo, s0
	s_and_saveexec_b32 s1, s2
	s_cbranch_execz .LBB235_2
; %bb.1:
	global_load_b32 v8, v[4:5], off
	global_load_b32 v10, v[2:3], off
.LBB235_2:
	s_or_b32 exec_lo, exec_lo, s1
	v_cmp_lt_i32_e64 s1, 1, v7
	v_mov_b32_e32 v9, 0
	s_mov_b32 s7, 0
	s_delay_alu instid0(VALU_DEP_2) | instskip(NEXT) | instid1(SALU_CYCLE_1)
	s_and_b32 s1, vcc_lo, s1
	s_and_saveexec_b32 s2, s1
	s_cbranch_execz .LBB235_4
; %bb.3:
	s_lshl_b64 s[4:5], s[6:7], 2
	s_delay_alu instid0(SALU_CYCLE_1) | instskip(NEXT) | instid1(VALU_DEP_1)
	v_add_co_u32 v4, s1, v4, s4
	v_add_co_ci_u32_e64 v5, s1, s5, v5, s1
	v_add_co_u32 v2, s1, v2, s4
	s_delay_alu instid0(VALU_DEP_1)
	v_add_co_ci_u32_e64 v3, s1, s5, v3, s1
	global_load_b32 v6, v[4:5], off
	global_load_b32 v9, v[2:3], off
.LBB235_4:
	s_or_b32 exec_lo, exec_lo, s2
	v_mbcnt_lo_u32_b32 v2, -1, 0
	s_waitcnt vmcnt(1)
	v_add_f32_e32 v5, 0, v8
	v_add_f32_e32 v11, 0, v6
	s_delay_alu instid0(VALU_DEP_3) | instskip(SKIP_2) | instid1(VALU_DEP_3)
	v_and_b32_e32 v3, 24, v2
	v_xor_b32_e32 v4, 4, v2
	v_xor_b32_e32 v13, 2, v2
	v_add_nc_u32_e32 v3, 8, v3
	s_delay_alu instid0(VALU_DEP_1) | instskip(NEXT) | instid1(VALU_DEP_1)
	v_cmp_lt_i32_e64 s1, v4, v3
	v_cndmask_b32_e64 v4, v2, v4, s1
	s_delay_alu instid0(VALU_DEP_4) | instskip(NEXT) | instid1(VALU_DEP_2)
	v_cmp_lt_i32_e64 s1, v13, v3
	v_lshlrev_b32_e32 v4, 2, v4
	s_delay_alu instid0(VALU_DEP_2)
	v_cndmask_b32_e64 v13, v2, v13, s1
	ds_bpermute_b32 v12, v4, v5
	ds_bpermute_b32 v4, v4, v11
	v_lshlrev_b32_e32 v13, 2, v13
	s_waitcnt lgkmcnt(1)
	v_add_f32_e32 v5, v5, v12
	s_waitcnt lgkmcnt(0)
	v_add_f32_e32 v11, v11, v4
	ds_bpermute_b32 v4, v13, v5
	ds_bpermute_b32 v12, v13, v11
	v_xor_b32_e32 v13, 1, v2
	s_delay_alu instid0(VALU_DEP_1) | instskip(NEXT) | instid1(VALU_DEP_1)
	v_cmp_lt_i32_e64 s1, v13, v3
	v_cndmask_b32_e64 v2, v2, v13, s1
	s_waitcnt lgkmcnt(1)
	s_delay_alu instid0(VALU_DEP_1)
	v_dual_add_f32 v4, v5, v4 :: v_dual_lshlrev_b32 v3, 2, v2
	s_waitcnt lgkmcnt(0)
	v_add_f32_e32 v2, v11, v12
	ds_bpermute_b32 v5, v3, v4
	ds_bpermute_b32 v3, v3, v2
	s_and_saveexec_b32 s1, s0
	s_cbranch_execz .LBB235_10
; %bb.5:
	v_add_co_u32 v0, s0, s8, v0
	s_delay_alu instid0(VALU_DEP_1)
	v_add_co_ci_u32_e64 v1, s0, s9, v1, s0
	s_and_saveexec_b32 s1, vcc_lo
	s_cbranch_execz .LBB235_7
; %bb.6:
	s_waitcnt vmcnt(0) lgkmcnt(1)
	v_dual_mul_f32 v11, 0x3fb8aa3b, v10 :: v_dual_add_f32 v4, v4, v5
	v_cmp_ngt_f32_e64 s0, 0xc2ce8ed0, v10
	s_delay_alu instid0(VALU_DEP_2) | instskip(SKIP_1) | instid1(VALU_DEP_2)
	v_rndne_f32_e32 v12, v11
	v_fma_f32 v13, 0x3fb8aa3b, v10, -v11
	v_sub_f32_e32 v11, v11, v12
	s_delay_alu instid0(VALU_DEP_2) | instskip(SKIP_1) | instid1(VALU_DEP_2)
	v_fmamk_f32 v13, v10, 0x32a5705f, v13
	v_cvt_i32_f32_e32 v12, v12
	v_add_f32_e32 v11, v11, v13
	s_delay_alu instid0(VALU_DEP_1) | instskip(SKIP_2) | instid1(VALU_DEP_1)
	v_exp_f32_e32 v11, v11
	s_waitcnt_depctr 0xfff
	v_ldexp_f32 v11, v11, v12
	v_cndmask_b32_e64 v11, 0, v11, s0
	v_cmp_nlt_f32_e64 s0, 0x42b17218, v10
	s_delay_alu instid0(VALU_DEP_1) | instskip(NEXT) | instid1(VALU_DEP_1)
	v_cndmask_b32_e64 v5, 0x7f800000, v11, s0
	v_fma_f32 v4, -v4, v5, v8
	global_store_b32 v[0:1], v4, off
.LBB235_7:
	s_or_b32 exec_lo, exec_lo, s1
	v_cmp_ne_u32_e64 s0, 1, v7
	s_delay_alu instid0(VALU_DEP_1)
	s_and_b32 exec_lo, exec_lo, s0
	s_cbranch_execz .LBB235_10
; %bb.8:
	s_and_b32 exec_lo, exec_lo, vcc_lo
	s_cbranch_execz .LBB235_10
; %bb.9:
	s_waitcnt vmcnt(0)
	v_mul_f32_e32 v4, 0x3fb8aa3b, v9
	v_cmp_ngt_f32_e32 vcc_lo, 0xc2ce8ed0, v9
	s_lshl_b64 s[0:1], s[6:7], 2
	s_waitcnt lgkmcnt(1)
	s_delay_alu instid0(VALU_DEP_2) | instskip(SKIP_1) | instid1(VALU_DEP_1)
	v_rndne_f32_e32 v5, v4
	v_fma_f32 v7, 0x3fb8aa3b, v9, -v4
	v_dual_sub_f32 v4, v4, v5 :: v_dual_fmamk_f32 v7, v9, 0x32a5705f, v7
	v_cvt_i32_f32_e32 v5, v5
	s_delay_alu instid0(VALU_DEP_2) | instskip(NEXT) | instid1(VALU_DEP_1)
	v_add_f32_e32 v4, v4, v7
	v_exp_f32_e32 v4, v4
	s_waitcnt_depctr 0xfff
	v_ldexp_f32 v4, v4, v5
	s_delay_alu instid0(VALU_DEP_1) | instskip(SKIP_2) | instid1(VALU_DEP_2)
	v_cndmask_b32_e32 v4, 0, v4, vcc_lo
	v_cmp_nlt_f32_e32 vcc_lo, 0x42b17218, v9
	s_waitcnt lgkmcnt(0)
	v_dual_add_f32 v2, v2, v3 :: v_dual_cndmask_b32 v3, 0x7f800000, v4
	v_add_co_u32 v0, vcc_lo, v0, s0
	v_add_co_ci_u32_e32 v1, vcc_lo, s1, v1, vcc_lo
	s_delay_alu instid0(VALU_DEP_3)
	v_fma_f32 v2, -v2, v3, v6
	global_store_b32 v[0:1], v2, off
.LBB235_10:
	s_nop 0
	s_sendmsg sendmsg(MSG_DEALLOC_VGPRS)
	s_endpgm
	.section	.rodata,"a",@progbits
	.p2align	6, 0x0
	.amdhsa_kernel _ZN12_GLOBAL__N_121softmax_warp_backwardIfffLi3ELb1ELb0ELi32EEEvPT0_PKT_S5_iiiPKb
		.amdhsa_group_segment_fixed_size 0
		.amdhsa_private_segment_fixed_size 0
		.amdhsa_kernarg_size 304
		.amdhsa_user_sgpr_count 15
		.amdhsa_user_sgpr_dispatch_ptr 0
		.amdhsa_user_sgpr_queue_ptr 0
		.amdhsa_user_sgpr_kernarg_segment_ptr 1
		.amdhsa_user_sgpr_dispatch_id 0
		.amdhsa_user_sgpr_private_segment_size 0
		.amdhsa_wavefront_size32 1
		.amdhsa_uses_dynamic_stack 0
		.amdhsa_enable_private_segment 0
		.amdhsa_system_sgpr_workgroup_id_x 1
		.amdhsa_system_sgpr_workgroup_id_y 0
		.amdhsa_system_sgpr_workgroup_id_z 0
		.amdhsa_system_sgpr_workgroup_info 0
		.amdhsa_system_vgpr_workitem_id 1
		.amdhsa_next_free_vgpr 14
		.amdhsa_next_free_sgpr 16
		.amdhsa_reserve_vcc 1
		.amdhsa_float_round_mode_32 0
		.amdhsa_float_round_mode_16_64 0
		.amdhsa_float_denorm_mode_32 3
		.amdhsa_float_denorm_mode_16_64 3
		.amdhsa_dx10_clamp 1
		.amdhsa_ieee_mode 1
		.amdhsa_fp16_overflow 0
		.amdhsa_workgroup_processor_mode 1
		.amdhsa_memory_ordered 1
		.amdhsa_forward_progress 0
		.amdhsa_shared_vgpr_count 0
		.amdhsa_exception_fp_ieee_invalid_op 0
		.amdhsa_exception_fp_denorm_src 0
		.amdhsa_exception_fp_ieee_div_zero 0
		.amdhsa_exception_fp_ieee_overflow 0
		.amdhsa_exception_fp_ieee_underflow 0
		.amdhsa_exception_fp_ieee_inexact 0
		.amdhsa_exception_int_div_zero 0
	.end_amdhsa_kernel
	.section	.text._ZN12_GLOBAL__N_121softmax_warp_backwardIfffLi3ELb1ELb0ELi32EEEvPT0_PKT_S5_iiiPKb,"axG",@progbits,_ZN12_GLOBAL__N_121softmax_warp_backwardIfffLi3ELb1ELb0ELi32EEEvPT0_PKT_S5_iiiPKb,comdat
.Lfunc_end235:
	.size	_ZN12_GLOBAL__N_121softmax_warp_backwardIfffLi3ELb1ELb0ELi32EEEvPT0_PKT_S5_iiiPKb, .Lfunc_end235-_ZN12_GLOBAL__N_121softmax_warp_backwardIfffLi3ELb1ELb0ELi32EEEvPT0_PKT_S5_iiiPKb
                                        ; -- End function
	.section	.AMDGPU.csdata,"",@progbits
; Kernel info:
; codeLenInByte = 876
; NumSgprs: 18
; NumVgprs: 14
; ScratchSize: 0
; MemoryBound: 0
; FloatMode: 240
; IeeeMode: 1
; LDSByteSize: 0 bytes/workgroup (compile time only)
; SGPRBlocks: 2
; VGPRBlocks: 1
; NumSGPRsForWavesPerEU: 18
; NumVGPRsForWavesPerEU: 14
; Occupancy: 16
; WaveLimiterHint : 0
; COMPUTE_PGM_RSRC2:SCRATCH_EN: 0
; COMPUTE_PGM_RSRC2:USER_SGPR: 15
; COMPUTE_PGM_RSRC2:TRAP_HANDLER: 0
; COMPUTE_PGM_RSRC2:TGID_X_EN: 1
; COMPUTE_PGM_RSRC2:TGID_Y_EN: 0
; COMPUTE_PGM_RSRC2:TGID_Z_EN: 0
; COMPUTE_PGM_RSRC2:TIDIG_COMP_CNT: 1
	.section	.text._ZN12_GLOBAL__N_121softmax_warp_backwardIfffLi4ELb1ELb0ELi64EEEvPT0_PKT_S5_iiiPKb,"axG",@progbits,_ZN12_GLOBAL__N_121softmax_warp_backwardIfffLi4ELb1ELb0ELi64EEEvPT0_PKT_S5_iiiPKb,comdat
	.globl	_ZN12_GLOBAL__N_121softmax_warp_backwardIfffLi4ELb1ELb0ELi64EEEvPT0_PKT_S5_iiiPKb ; -- Begin function _ZN12_GLOBAL__N_121softmax_warp_backwardIfffLi4ELb1ELb0ELi64EEEvPT0_PKT_S5_iiiPKb
	.p2align	8
	.type	_ZN12_GLOBAL__N_121softmax_warp_backwardIfffLi4ELb1ELb0ELi64EEEvPT0_PKT_S5_iiiPKb,@function
_ZN12_GLOBAL__N_121softmax_warp_backwardIfffLi4ELb1ELb0ELi64EEEvPT0_PKT_S5_iiiPKb: ; @_ZN12_GLOBAL__N_121softmax_warp_backwardIfffLi4ELb1ELb0ELi64EEEvPT0_PKT_S5_iiiPKb
; %bb.0:
	s_clause 0x1
	s_load_b32 s2, s[0:1], 0x3c
	s_load_b128 s[4:7], s[0:1], 0x18
	v_bfe_u32 v1, v0, 10, 10
	v_and_b32_e32 v2, 15, v0
	s_load_b128 s[8:11], s[0:1], 0x0
	v_mov_b32_e32 v6, 0
	v_mov_b32_e32 v8, 0
	v_mov_b32_e32 v10, 0
	s_waitcnt lgkmcnt(0)
	s_lshr_b32 s2, s2, 16
	v_cmp_gt_i32_e32 vcc_lo, s6, v2
	s_mul_i32 s15, s15, s2
	s_load_b64 s[2:3], s[0:1], 0x10
	v_add_lshl_u32 v3, s15, v1, 1
	s_delay_alu instid0(VALU_DEP_1) | instskip(SKIP_1) | instid1(VALU_DEP_1)
	v_mad_u64_u32 v[0:1], null, v3, s5, v[2:3]
	v_sub_nc_u32_e32 v7, s4, v3
	v_cmp_lt_i32_e64 s0, 0, v7
	s_delay_alu instid0(VALU_DEP_3) | instskip(NEXT) | instid1(VALU_DEP_1)
	v_ashrrev_i32_e32 v1, 31, v0
	v_lshlrev_b64 v[0:1], 2, v[0:1]
	s_delay_alu instid0(VALU_DEP_1) | instskip(NEXT) | instid1(VALU_DEP_1)
	v_add_co_u32 v4, s1, s10, v0
	v_add_co_ci_u32_e64 v5, s1, s11, v1, s1
	s_waitcnt lgkmcnt(0)
	v_add_co_u32 v2, s1, s2, v0
	s_delay_alu instid0(VALU_DEP_1) | instskip(SKIP_1) | instid1(SALU_CYCLE_1)
	v_add_co_ci_u32_e64 v3, s1, s3, v1, s1
	s_and_b32 s2, vcc_lo, s0
	s_and_saveexec_b32 s1, s2
	s_cbranch_execz .LBB236_2
; %bb.1:
	global_load_b32 v8, v[4:5], off
	global_load_b32 v10, v[2:3], off
.LBB236_2:
	s_or_b32 exec_lo, exec_lo, s1
	v_cmp_lt_i32_e64 s1, 1, v7
	v_mov_b32_e32 v9, 0
	s_mov_b32 s7, 0
	s_delay_alu instid0(VALU_DEP_2) | instskip(NEXT) | instid1(SALU_CYCLE_1)
	s_and_b32 s1, vcc_lo, s1
	s_and_saveexec_b32 s2, s1
	s_cbranch_execz .LBB236_4
; %bb.3:
	s_lshl_b64 s[4:5], s[6:7], 2
	s_delay_alu instid0(SALU_CYCLE_1) | instskip(NEXT) | instid1(VALU_DEP_1)
	v_add_co_u32 v4, s1, v4, s4
	v_add_co_ci_u32_e64 v5, s1, s5, v5, s1
	v_add_co_u32 v2, s1, v2, s4
	s_delay_alu instid0(VALU_DEP_1)
	v_add_co_ci_u32_e64 v3, s1, s5, v3, s1
	global_load_b32 v6, v[4:5], off
	global_load_b32 v9, v[2:3], off
.LBB236_4:
	s_or_b32 exec_lo, exec_lo, s2
	v_mbcnt_lo_u32_b32 v2, -1, 0
	s_waitcnt vmcnt(1)
	v_add_f32_e32 v11, 0, v6
	v_add_f32_e32 v5, 0, v8
	s_delay_alu instid0(VALU_DEP_3) | instskip(SKIP_2) | instid1(VALU_DEP_3)
	v_and_b32_e32 v3, 16, v2
	v_xor_b32_e32 v4, 8, v2
	v_xor_b32_e32 v13, 4, v2
	v_add_nc_u32_e32 v3, 16, v3
	s_delay_alu instid0(VALU_DEP_1) | instskip(NEXT) | instid1(VALU_DEP_1)
	v_cmp_lt_i32_e64 s1, v4, v3
	v_cndmask_b32_e64 v4, v2, v4, s1
	s_delay_alu instid0(VALU_DEP_4) | instskip(NEXT) | instid1(VALU_DEP_2)
	v_cmp_lt_i32_e64 s1, v13, v3
	v_lshlrev_b32_e32 v4, 2, v4
	s_delay_alu instid0(VALU_DEP_2)
	v_cndmask_b32_e64 v13, v2, v13, s1
	ds_bpermute_b32 v12, v4, v5
	ds_bpermute_b32 v4, v4, v11
	v_lshlrev_b32_e32 v13, 2, v13
	s_waitcnt lgkmcnt(1)
	v_add_f32_e32 v5, v5, v12
	s_waitcnt lgkmcnt(0)
	v_add_f32_e32 v4, v11, v4
	ds_bpermute_b32 v11, v13, v5
	ds_bpermute_b32 v12, v13, v4
	v_xor_b32_e32 v13, 2, v2
	s_delay_alu instid0(VALU_DEP_1) | instskip(NEXT) | instid1(VALU_DEP_1)
	v_cmp_lt_i32_e64 s1, v13, v3
	v_cndmask_b32_e64 v13, v2, v13, s1
	s_delay_alu instid0(VALU_DEP_1)
	v_lshlrev_b32_e32 v13, 2, v13
	s_waitcnt lgkmcnt(1)
	v_add_f32_e32 v5, v5, v11
	s_waitcnt lgkmcnt(0)
	v_add_f32_e32 v11, v4, v12
	ds_bpermute_b32 v4, v13, v5
	ds_bpermute_b32 v12, v13, v11
	v_xor_b32_e32 v13, 1, v2
	s_waitcnt lgkmcnt(1)
	v_add_f32_e32 v4, v5, v4
	s_delay_alu instid0(VALU_DEP_2) | instskip(NEXT) | instid1(VALU_DEP_1)
	v_cmp_lt_i32_e64 s1, v13, v3
	v_cndmask_b32_e64 v2, v2, v13, s1
	s_waitcnt lgkmcnt(0)
	s_delay_alu instid0(VALU_DEP_1)
	v_dual_add_f32 v2, v11, v12 :: v_dual_lshlrev_b32 v3, 2, v2
	ds_bpermute_b32 v5, v3, v4
	ds_bpermute_b32 v3, v3, v2
	s_and_saveexec_b32 s1, s0
	s_cbranch_execz .LBB236_10
; %bb.5:
	v_add_co_u32 v0, s0, s8, v0
	s_delay_alu instid0(VALU_DEP_1)
	v_add_co_ci_u32_e64 v1, s0, s9, v1, s0
	s_and_saveexec_b32 s1, vcc_lo
	s_cbranch_execz .LBB236_7
; %bb.6:
	s_waitcnt vmcnt(0) lgkmcnt(1)
	v_dual_mul_f32 v11, 0x3fb8aa3b, v10 :: v_dual_add_f32 v4, v4, v5
	v_cmp_ngt_f32_e64 s0, 0xc2ce8ed0, v10
	s_delay_alu instid0(VALU_DEP_2) | instskip(SKIP_1) | instid1(VALU_DEP_2)
	v_rndne_f32_e32 v12, v11
	v_fma_f32 v13, 0x3fb8aa3b, v10, -v11
	v_sub_f32_e32 v11, v11, v12
	s_delay_alu instid0(VALU_DEP_2) | instskip(SKIP_1) | instid1(VALU_DEP_2)
	v_fmamk_f32 v13, v10, 0x32a5705f, v13
	v_cvt_i32_f32_e32 v12, v12
	v_add_f32_e32 v11, v11, v13
	s_delay_alu instid0(VALU_DEP_1) | instskip(SKIP_2) | instid1(VALU_DEP_1)
	v_exp_f32_e32 v11, v11
	s_waitcnt_depctr 0xfff
	v_ldexp_f32 v11, v11, v12
	v_cndmask_b32_e64 v11, 0, v11, s0
	v_cmp_nlt_f32_e64 s0, 0x42b17218, v10
	s_delay_alu instid0(VALU_DEP_1) | instskip(NEXT) | instid1(VALU_DEP_1)
	v_cndmask_b32_e64 v5, 0x7f800000, v11, s0
	v_fma_f32 v4, -v4, v5, v8
	global_store_b32 v[0:1], v4, off
.LBB236_7:
	s_or_b32 exec_lo, exec_lo, s1
	v_cmp_ne_u32_e64 s0, 1, v7
	s_delay_alu instid0(VALU_DEP_1)
	s_and_b32 exec_lo, exec_lo, s0
	s_cbranch_execz .LBB236_10
; %bb.8:
	s_and_b32 exec_lo, exec_lo, vcc_lo
	s_cbranch_execz .LBB236_10
; %bb.9:
	s_waitcnt vmcnt(0)
	v_mul_f32_e32 v4, 0x3fb8aa3b, v9
	v_cmp_ngt_f32_e32 vcc_lo, 0xc2ce8ed0, v9
	s_lshl_b64 s[0:1], s[6:7], 2
	s_waitcnt lgkmcnt(1)
	s_delay_alu instid0(VALU_DEP_2) | instskip(SKIP_1) | instid1(VALU_DEP_1)
	v_rndne_f32_e32 v5, v4
	v_fma_f32 v7, 0x3fb8aa3b, v9, -v4
	v_dual_sub_f32 v4, v4, v5 :: v_dual_fmamk_f32 v7, v9, 0x32a5705f, v7
	v_cvt_i32_f32_e32 v5, v5
	s_delay_alu instid0(VALU_DEP_2) | instskip(NEXT) | instid1(VALU_DEP_1)
	v_add_f32_e32 v4, v4, v7
	v_exp_f32_e32 v4, v4
	s_waitcnt_depctr 0xfff
	v_ldexp_f32 v4, v4, v5
	s_delay_alu instid0(VALU_DEP_1) | instskip(SKIP_2) | instid1(VALU_DEP_2)
	v_cndmask_b32_e32 v4, 0, v4, vcc_lo
	v_cmp_nlt_f32_e32 vcc_lo, 0x42b17218, v9
	s_waitcnt lgkmcnt(0)
	v_dual_add_f32 v2, v2, v3 :: v_dual_cndmask_b32 v3, 0x7f800000, v4
	v_add_co_u32 v0, vcc_lo, v0, s0
	v_add_co_ci_u32_e32 v1, vcc_lo, s1, v1, vcc_lo
	s_delay_alu instid0(VALU_DEP_3)
	v_fma_f32 v2, -v2, v3, v6
	global_store_b32 v[0:1], v2, off
.LBB236_10:
	s_nop 0
	s_sendmsg sendmsg(MSG_DEALLOC_VGPRS)
	s_endpgm
	.section	.rodata,"a",@progbits
	.p2align	6, 0x0
	.amdhsa_kernel _ZN12_GLOBAL__N_121softmax_warp_backwardIfffLi4ELb1ELb0ELi64EEEvPT0_PKT_S5_iiiPKb
		.amdhsa_group_segment_fixed_size 0
		.amdhsa_private_segment_fixed_size 0
		.amdhsa_kernarg_size 304
		.amdhsa_user_sgpr_count 15
		.amdhsa_user_sgpr_dispatch_ptr 0
		.amdhsa_user_sgpr_queue_ptr 0
		.amdhsa_user_sgpr_kernarg_segment_ptr 1
		.amdhsa_user_sgpr_dispatch_id 0
		.amdhsa_user_sgpr_private_segment_size 0
		.amdhsa_wavefront_size32 1
		.amdhsa_uses_dynamic_stack 0
		.amdhsa_enable_private_segment 0
		.amdhsa_system_sgpr_workgroup_id_x 1
		.amdhsa_system_sgpr_workgroup_id_y 0
		.amdhsa_system_sgpr_workgroup_id_z 0
		.amdhsa_system_sgpr_workgroup_info 0
		.amdhsa_system_vgpr_workitem_id 1
		.amdhsa_next_free_vgpr 14
		.amdhsa_next_free_sgpr 16
		.amdhsa_reserve_vcc 1
		.amdhsa_float_round_mode_32 0
		.amdhsa_float_round_mode_16_64 0
		.amdhsa_float_denorm_mode_32 3
		.amdhsa_float_denorm_mode_16_64 3
		.amdhsa_dx10_clamp 1
		.amdhsa_ieee_mode 1
		.amdhsa_fp16_overflow 0
		.amdhsa_workgroup_processor_mode 1
		.amdhsa_memory_ordered 1
		.amdhsa_forward_progress 0
		.amdhsa_shared_vgpr_count 0
		.amdhsa_exception_fp_ieee_invalid_op 0
		.amdhsa_exception_fp_denorm_src 0
		.amdhsa_exception_fp_ieee_div_zero 0
		.amdhsa_exception_fp_ieee_overflow 0
		.amdhsa_exception_fp_ieee_underflow 0
		.amdhsa_exception_fp_ieee_inexact 0
		.amdhsa_exception_int_div_zero 0
	.end_amdhsa_kernel
	.section	.text._ZN12_GLOBAL__N_121softmax_warp_backwardIfffLi4ELb1ELb0ELi64EEEvPT0_PKT_S5_iiiPKb,"axG",@progbits,_ZN12_GLOBAL__N_121softmax_warp_backwardIfffLi4ELb1ELb0ELi64EEEvPT0_PKT_S5_iiiPKb,comdat
.Lfunc_end236:
	.size	_ZN12_GLOBAL__N_121softmax_warp_backwardIfffLi4ELb1ELb0ELi64EEEvPT0_PKT_S5_iiiPKb, .Lfunc_end236-_ZN12_GLOBAL__N_121softmax_warp_backwardIfffLi4ELb1ELb0ELi64EEEvPT0_PKT_S5_iiiPKb
                                        ; -- End function
	.section	.AMDGPU.csdata,"",@progbits
; Kernel info:
; codeLenInByte = 940
; NumSgprs: 18
; NumVgprs: 14
; ScratchSize: 0
; MemoryBound: 0
; FloatMode: 240
; IeeeMode: 1
; LDSByteSize: 0 bytes/workgroup (compile time only)
; SGPRBlocks: 2
; VGPRBlocks: 1
; NumSGPRsForWavesPerEU: 18
; NumVGPRsForWavesPerEU: 14
; Occupancy: 16
; WaveLimiterHint : 0
; COMPUTE_PGM_RSRC2:SCRATCH_EN: 0
; COMPUTE_PGM_RSRC2:USER_SGPR: 15
; COMPUTE_PGM_RSRC2:TRAP_HANDLER: 0
; COMPUTE_PGM_RSRC2:TGID_X_EN: 1
; COMPUTE_PGM_RSRC2:TGID_Y_EN: 0
; COMPUTE_PGM_RSRC2:TGID_Z_EN: 0
; COMPUTE_PGM_RSRC2:TIDIG_COMP_CNT: 1
	.section	.text._ZN12_GLOBAL__N_121softmax_warp_backwardIfffLi4ELb1ELb0ELi32EEEvPT0_PKT_S5_iiiPKb,"axG",@progbits,_ZN12_GLOBAL__N_121softmax_warp_backwardIfffLi4ELb1ELb0ELi32EEEvPT0_PKT_S5_iiiPKb,comdat
	.globl	_ZN12_GLOBAL__N_121softmax_warp_backwardIfffLi4ELb1ELb0ELi32EEEvPT0_PKT_S5_iiiPKb ; -- Begin function _ZN12_GLOBAL__N_121softmax_warp_backwardIfffLi4ELb1ELb0ELi32EEEvPT0_PKT_S5_iiiPKb
	.p2align	8
	.type	_ZN12_GLOBAL__N_121softmax_warp_backwardIfffLi4ELb1ELb0ELi32EEEvPT0_PKT_S5_iiiPKb,@function
_ZN12_GLOBAL__N_121softmax_warp_backwardIfffLi4ELb1ELb0ELi32EEEvPT0_PKT_S5_iiiPKb: ; @_ZN12_GLOBAL__N_121softmax_warp_backwardIfffLi4ELb1ELb0ELi32EEEvPT0_PKT_S5_iiiPKb
; %bb.0:
	s_clause 0x1
	s_load_b32 s2, s[0:1], 0x3c
	s_load_b128 s[4:7], s[0:1], 0x18
	v_bfe_u32 v1, v0, 10, 10
	v_and_b32_e32 v2, 15, v0
	s_load_b128 s[8:11], s[0:1], 0x0
	v_mov_b32_e32 v6, 0
	v_mov_b32_e32 v8, 0
	;; [unrolled: 1-line block ×3, first 2 shown]
	s_waitcnt lgkmcnt(0)
	s_lshr_b32 s2, s2, 16
	v_cmp_gt_i32_e32 vcc_lo, s6, v2
	s_mul_i32 s15, s15, s2
	s_load_b64 s[2:3], s[0:1], 0x10
	v_add_lshl_u32 v3, s15, v1, 1
	s_delay_alu instid0(VALU_DEP_1) | instskip(SKIP_1) | instid1(VALU_DEP_1)
	v_mad_u64_u32 v[0:1], null, v3, s5, v[2:3]
	v_sub_nc_u32_e32 v7, s4, v3
	v_cmp_lt_i32_e64 s0, 0, v7
	s_delay_alu instid0(VALU_DEP_3) | instskip(NEXT) | instid1(VALU_DEP_1)
	v_ashrrev_i32_e32 v1, 31, v0
	v_lshlrev_b64 v[0:1], 2, v[0:1]
	s_delay_alu instid0(VALU_DEP_1) | instskip(NEXT) | instid1(VALU_DEP_1)
	v_add_co_u32 v4, s1, s10, v0
	v_add_co_ci_u32_e64 v5, s1, s11, v1, s1
	s_waitcnt lgkmcnt(0)
	v_add_co_u32 v2, s1, s2, v0
	s_delay_alu instid0(VALU_DEP_1) | instskip(SKIP_1) | instid1(SALU_CYCLE_1)
	v_add_co_ci_u32_e64 v3, s1, s3, v1, s1
	s_and_b32 s2, vcc_lo, s0
	s_and_saveexec_b32 s1, s2
	s_cbranch_execz .LBB237_2
; %bb.1:
	global_load_b32 v8, v[4:5], off
	global_load_b32 v10, v[2:3], off
.LBB237_2:
	s_or_b32 exec_lo, exec_lo, s1
	v_cmp_lt_i32_e64 s1, 1, v7
	v_mov_b32_e32 v9, 0
	s_mov_b32 s7, 0
	s_delay_alu instid0(VALU_DEP_2) | instskip(NEXT) | instid1(SALU_CYCLE_1)
	s_and_b32 s1, vcc_lo, s1
	s_and_saveexec_b32 s2, s1
	s_cbranch_execz .LBB237_4
; %bb.3:
	s_lshl_b64 s[4:5], s[6:7], 2
	s_delay_alu instid0(SALU_CYCLE_1) | instskip(NEXT) | instid1(VALU_DEP_1)
	v_add_co_u32 v4, s1, v4, s4
	v_add_co_ci_u32_e64 v5, s1, s5, v5, s1
	v_add_co_u32 v2, s1, v2, s4
	s_delay_alu instid0(VALU_DEP_1)
	v_add_co_ci_u32_e64 v3, s1, s5, v3, s1
	global_load_b32 v6, v[4:5], off
	global_load_b32 v9, v[2:3], off
.LBB237_4:
	s_or_b32 exec_lo, exec_lo, s2
	v_mbcnt_lo_u32_b32 v2, -1, 0
	s_waitcnt vmcnt(1)
	v_add_f32_e32 v11, 0, v6
	v_add_f32_e32 v5, 0, v8
	s_delay_alu instid0(VALU_DEP_3) | instskip(SKIP_2) | instid1(VALU_DEP_3)
	v_and_b32_e32 v3, 16, v2
	v_xor_b32_e32 v4, 8, v2
	v_xor_b32_e32 v13, 4, v2
	v_add_nc_u32_e32 v3, 16, v3
	s_delay_alu instid0(VALU_DEP_1) | instskip(NEXT) | instid1(VALU_DEP_1)
	v_cmp_lt_i32_e64 s1, v4, v3
	v_cndmask_b32_e64 v4, v2, v4, s1
	s_delay_alu instid0(VALU_DEP_4) | instskip(NEXT) | instid1(VALU_DEP_2)
	v_cmp_lt_i32_e64 s1, v13, v3
	v_lshlrev_b32_e32 v4, 2, v4
	s_delay_alu instid0(VALU_DEP_2)
	v_cndmask_b32_e64 v13, v2, v13, s1
	ds_bpermute_b32 v12, v4, v5
	ds_bpermute_b32 v4, v4, v11
	v_lshlrev_b32_e32 v13, 2, v13
	s_waitcnt lgkmcnt(1)
	v_add_f32_e32 v5, v5, v12
	s_waitcnt lgkmcnt(0)
	v_add_f32_e32 v4, v11, v4
	ds_bpermute_b32 v11, v13, v5
	ds_bpermute_b32 v12, v13, v4
	v_xor_b32_e32 v13, 2, v2
	s_delay_alu instid0(VALU_DEP_1) | instskip(NEXT) | instid1(VALU_DEP_1)
	v_cmp_lt_i32_e64 s1, v13, v3
	v_cndmask_b32_e64 v13, v2, v13, s1
	s_delay_alu instid0(VALU_DEP_1)
	v_lshlrev_b32_e32 v13, 2, v13
	s_waitcnt lgkmcnt(1)
	v_add_f32_e32 v5, v5, v11
	s_waitcnt lgkmcnt(0)
	v_add_f32_e32 v11, v4, v12
	ds_bpermute_b32 v4, v13, v5
	ds_bpermute_b32 v12, v13, v11
	v_xor_b32_e32 v13, 1, v2
	s_waitcnt lgkmcnt(1)
	v_add_f32_e32 v4, v5, v4
	s_delay_alu instid0(VALU_DEP_2) | instskip(NEXT) | instid1(VALU_DEP_1)
	v_cmp_lt_i32_e64 s1, v13, v3
	v_cndmask_b32_e64 v2, v2, v13, s1
	s_waitcnt lgkmcnt(0)
	s_delay_alu instid0(VALU_DEP_1)
	v_dual_add_f32 v2, v11, v12 :: v_dual_lshlrev_b32 v3, 2, v2
	ds_bpermute_b32 v5, v3, v4
	ds_bpermute_b32 v3, v3, v2
	s_and_saveexec_b32 s1, s0
	s_cbranch_execz .LBB237_10
; %bb.5:
	v_add_co_u32 v0, s0, s8, v0
	s_delay_alu instid0(VALU_DEP_1)
	v_add_co_ci_u32_e64 v1, s0, s9, v1, s0
	s_and_saveexec_b32 s1, vcc_lo
	s_cbranch_execz .LBB237_7
; %bb.6:
	s_waitcnt vmcnt(0) lgkmcnt(1)
	v_dual_mul_f32 v11, 0x3fb8aa3b, v10 :: v_dual_add_f32 v4, v4, v5
	v_cmp_ngt_f32_e64 s0, 0xc2ce8ed0, v10
	s_delay_alu instid0(VALU_DEP_2) | instskip(SKIP_1) | instid1(VALU_DEP_2)
	v_rndne_f32_e32 v12, v11
	v_fma_f32 v13, 0x3fb8aa3b, v10, -v11
	v_sub_f32_e32 v11, v11, v12
	s_delay_alu instid0(VALU_DEP_2) | instskip(SKIP_1) | instid1(VALU_DEP_2)
	v_fmamk_f32 v13, v10, 0x32a5705f, v13
	v_cvt_i32_f32_e32 v12, v12
	v_add_f32_e32 v11, v11, v13
	s_delay_alu instid0(VALU_DEP_1) | instskip(SKIP_2) | instid1(VALU_DEP_1)
	v_exp_f32_e32 v11, v11
	s_waitcnt_depctr 0xfff
	v_ldexp_f32 v11, v11, v12
	v_cndmask_b32_e64 v11, 0, v11, s0
	v_cmp_nlt_f32_e64 s0, 0x42b17218, v10
	s_delay_alu instid0(VALU_DEP_1) | instskip(NEXT) | instid1(VALU_DEP_1)
	v_cndmask_b32_e64 v5, 0x7f800000, v11, s0
	v_fma_f32 v4, -v4, v5, v8
	global_store_b32 v[0:1], v4, off
.LBB237_7:
	s_or_b32 exec_lo, exec_lo, s1
	v_cmp_ne_u32_e64 s0, 1, v7
	s_delay_alu instid0(VALU_DEP_1)
	s_and_b32 exec_lo, exec_lo, s0
	s_cbranch_execz .LBB237_10
; %bb.8:
	s_and_b32 exec_lo, exec_lo, vcc_lo
	s_cbranch_execz .LBB237_10
; %bb.9:
	s_waitcnt vmcnt(0)
	v_mul_f32_e32 v4, 0x3fb8aa3b, v9
	v_cmp_ngt_f32_e32 vcc_lo, 0xc2ce8ed0, v9
	s_lshl_b64 s[0:1], s[6:7], 2
	s_waitcnt lgkmcnt(1)
	s_delay_alu instid0(VALU_DEP_2) | instskip(SKIP_1) | instid1(VALU_DEP_1)
	v_rndne_f32_e32 v5, v4
	v_fma_f32 v7, 0x3fb8aa3b, v9, -v4
	v_dual_sub_f32 v4, v4, v5 :: v_dual_fmamk_f32 v7, v9, 0x32a5705f, v7
	v_cvt_i32_f32_e32 v5, v5
	s_delay_alu instid0(VALU_DEP_2) | instskip(NEXT) | instid1(VALU_DEP_1)
	v_add_f32_e32 v4, v4, v7
	v_exp_f32_e32 v4, v4
	s_waitcnt_depctr 0xfff
	v_ldexp_f32 v4, v4, v5
	s_delay_alu instid0(VALU_DEP_1) | instskip(SKIP_2) | instid1(VALU_DEP_2)
	v_cndmask_b32_e32 v4, 0, v4, vcc_lo
	v_cmp_nlt_f32_e32 vcc_lo, 0x42b17218, v9
	s_waitcnt lgkmcnt(0)
	v_dual_add_f32 v2, v2, v3 :: v_dual_cndmask_b32 v3, 0x7f800000, v4
	v_add_co_u32 v0, vcc_lo, v0, s0
	v_add_co_ci_u32_e32 v1, vcc_lo, s1, v1, vcc_lo
	s_delay_alu instid0(VALU_DEP_3)
	v_fma_f32 v2, -v2, v3, v6
	global_store_b32 v[0:1], v2, off
.LBB237_10:
	s_nop 0
	s_sendmsg sendmsg(MSG_DEALLOC_VGPRS)
	s_endpgm
	.section	.rodata,"a",@progbits
	.p2align	6, 0x0
	.amdhsa_kernel _ZN12_GLOBAL__N_121softmax_warp_backwardIfffLi4ELb1ELb0ELi32EEEvPT0_PKT_S5_iiiPKb
		.amdhsa_group_segment_fixed_size 0
		.amdhsa_private_segment_fixed_size 0
		.amdhsa_kernarg_size 304
		.amdhsa_user_sgpr_count 15
		.amdhsa_user_sgpr_dispatch_ptr 0
		.amdhsa_user_sgpr_queue_ptr 0
		.amdhsa_user_sgpr_kernarg_segment_ptr 1
		.amdhsa_user_sgpr_dispatch_id 0
		.amdhsa_user_sgpr_private_segment_size 0
		.amdhsa_wavefront_size32 1
		.amdhsa_uses_dynamic_stack 0
		.amdhsa_enable_private_segment 0
		.amdhsa_system_sgpr_workgroup_id_x 1
		.amdhsa_system_sgpr_workgroup_id_y 0
		.amdhsa_system_sgpr_workgroup_id_z 0
		.amdhsa_system_sgpr_workgroup_info 0
		.amdhsa_system_vgpr_workitem_id 1
		.amdhsa_next_free_vgpr 14
		.amdhsa_next_free_sgpr 16
		.amdhsa_reserve_vcc 1
		.amdhsa_float_round_mode_32 0
		.amdhsa_float_round_mode_16_64 0
		.amdhsa_float_denorm_mode_32 3
		.amdhsa_float_denorm_mode_16_64 3
		.amdhsa_dx10_clamp 1
		.amdhsa_ieee_mode 1
		.amdhsa_fp16_overflow 0
		.amdhsa_workgroup_processor_mode 1
		.amdhsa_memory_ordered 1
		.amdhsa_forward_progress 0
		.amdhsa_shared_vgpr_count 0
		.amdhsa_exception_fp_ieee_invalid_op 0
		.amdhsa_exception_fp_denorm_src 0
		.amdhsa_exception_fp_ieee_div_zero 0
		.amdhsa_exception_fp_ieee_overflow 0
		.amdhsa_exception_fp_ieee_underflow 0
		.amdhsa_exception_fp_ieee_inexact 0
		.amdhsa_exception_int_div_zero 0
	.end_amdhsa_kernel
	.section	.text._ZN12_GLOBAL__N_121softmax_warp_backwardIfffLi4ELb1ELb0ELi32EEEvPT0_PKT_S5_iiiPKb,"axG",@progbits,_ZN12_GLOBAL__N_121softmax_warp_backwardIfffLi4ELb1ELb0ELi32EEEvPT0_PKT_S5_iiiPKb,comdat
.Lfunc_end237:
	.size	_ZN12_GLOBAL__N_121softmax_warp_backwardIfffLi4ELb1ELb0ELi32EEEvPT0_PKT_S5_iiiPKb, .Lfunc_end237-_ZN12_GLOBAL__N_121softmax_warp_backwardIfffLi4ELb1ELb0ELi32EEEvPT0_PKT_S5_iiiPKb
                                        ; -- End function
	.section	.AMDGPU.csdata,"",@progbits
; Kernel info:
; codeLenInByte = 940
; NumSgprs: 18
; NumVgprs: 14
; ScratchSize: 0
; MemoryBound: 0
; FloatMode: 240
; IeeeMode: 1
; LDSByteSize: 0 bytes/workgroup (compile time only)
; SGPRBlocks: 2
; VGPRBlocks: 1
; NumSGPRsForWavesPerEU: 18
; NumVGPRsForWavesPerEU: 14
; Occupancy: 16
; WaveLimiterHint : 0
; COMPUTE_PGM_RSRC2:SCRATCH_EN: 0
; COMPUTE_PGM_RSRC2:USER_SGPR: 15
; COMPUTE_PGM_RSRC2:TRAP_HANDLER: 0
; COMPUTE_PGM_RSRC2:TGID_X_EN: 1
; COMPUTE_PGM_RSRC2:TGID_Y_EN: 0
; COMPUTE_PGM_RSRC2:TGID_Z_EN: 0
; COMPUTE_PGM_RSRC2:TIDIG_COMP_CNT: 1
	.section	.text._ZN12_GLOBAL__N_121softmax_warp_backwardIfffLi5ELb1ELb0ELi64EEEvPT0_PKT_S5_iiiPKb,"axG",@progbits,_ZN12_GLOBAL__N_121softmax_warp_backwardIfffLi5ELb1ELb0ELi64EEEvPT0_PKT_S5_iiiPKb,comdat
	.globl	_ZN12_GLOBAL__N_121softmax_warp_backwardIfffLi5ELb1ELb0ELi64EEEvPT0_PKT_S5_iiiPKb ; -- Begin function _ZN12_GLOBAL__N_121softmax_warp_backwardIfffLi5ELb1ELb0ELi64EEEvPT0_PKT_S5_iiiPKb
	.p2align	8
	.type	_ZN12_GLOBAL__N_121softmax_warp_backwardIfffLi5ELb1ELb0ELi64EEEvPT0_PKT_S5_iiiPKb,@function
_ZN12_GLOBAL__N_121softmax_warp_backwardIfffLi5ELb1ELb0ELi64EEEvPT0_PKT_S5_iiiPKb: ; @_ZN12_GLOBAL__N_121softmax_warp_backwardIfffLi5ELb1ELb0ELi64EEEvPT0_PKT_S5_iiiPKb
; %bb.0:
	s_clause 0x1
	s_load_b32 s2, s[0:1], 0x3c
	s_load_b128 s[4:7], s[0:1], 0x18
	v_bfe_u32 v1, v0, 10, 10
	v_and_b32_e32 v2, 31, v0
	s_load_b128 s[8:11], s[0:1], 0x0
	v_mov_b32_e32 v6, 0
	v_mov_b32_e32 v8, 0
	v_mov_b32_e32 v10, 0
	s_waitcnt lgkmcnt(0)
	s_lshr_b32 s2, s2, 16
	v_cmp_gt_i32_e32 vcc_lo, s6, v2
	s_mul_i32 s15, s15, s2
	s_load_b64 s[2:3], s[0:1], 0x10
	v_add_lshl_u32 v3, s15, v1, 1
	s_delay_alu instid0(VALU_DEP_1) | instskip(SKIP_1) | instid1(VALU_DEP_1)
	v_mad_u64_u32 v[0:1], null, v3, s5, v[2:3]
	v_sub_nc_u32_e32 v7, s4, v3
	v_cmp_lt_i32_e64 s0, 0, v7
	s_delay_alu instid0(VALU_DEP_3) | instskip(NEXT) | instid1(VALU_DEP_1)
	v_ashrrev_i32_e32 v1, 31, v0
	v_lshlrev_b64 v[0:1], 2, v[0:1]
	s_delay_alu instid0(VALU_DEP_1) | instskip(NEXT) | instid1(VALU_DEP_1)
	v_add_co_u32 v4, s1, s10, v0
	v_add_co_ci_u32_e64 v5, s1, s11, v1, s1
	s_waitcnt lgkmcnt(0)
	v_add_co_u32 v2, s1, s2, v0
	s_delay_alu instid0(VALU_DEP_1) | instskip(SKIP_1) | instid1(SALU_CYCLE_1)
	v_add_co_ci_u32_e64 v3, s1, s3, v1, s1
	s_and_b32 s2, vcc_lo, s0
	s_and_saveexec_b32 s1, s2
	s_cbranch_execz .LBB238_2
; %bb.1:
	global_load_b32 v8, v[4:5], off
	global_load_b32 v10, v[2:3], off
.LBB238_2:
	s_or_b32 exec_lo, exec_lo, s1
	v_cmp_lt_i32_e64 s1, 1, v7
	v_mov_b32_e32 v9, 0
	s_mov_b32 s7, 0
	s_delay_alu instid0(VALU_DEP_2) | instskip(NEXT) | instid1(SALU_CYCLE_1)
	s_and_b32 s1, vcc_lo, s1
	s_and_saveexec_b32 s2, s1
	s_cbranch_execz .LBB238_4
; %bb.3:
	s_lshl_b64 s[4:5], s[6:7], 2
	s_delay_alu instid0(SALU_CYCLE_1) | instskip(NEXT) | instid1(VALU_DEP_1)
	v_add_co_u32 v4, s1, v4, s4
	v_add_co_ci_u32_e64 v5, s1, s5, v5, s1
	v_add_co_u32 v2, s1, v2, s4
	s_delay_alu instid0(VALU_DEP_1)
	v_add_co_ci_u32_e64 v3, s1, s5, v3, s1
	global_load_b32 v6, v[4:5], off
	global_load_b32 v9, v[2:3], off
.LBB238_4:
	s_or_b32 exec_lo, exec_lo, s2
	v_mbcnt_lo_u32_b32 v2, -1, 0
	s_delay_alu instid0(VALU_DEP_1) | instskip(SKIP_1) | instid1(VALU_DEP_2)
	v_xor_b32_e32 v3, 16, v2
	v_xor_b32_e32 v12, 8, v2
	v_cmp_gt_i32_e64 s1, 32, v3
	s_delay_alu instid0(VALU_DEP_1) | instskip(NEXT) | instid1(VALU_DEP_3)
	v_cndmask_b32_e64 v3, v2, v3, s1
	v_cmp_gt_i32_e64 s1, 32, v12
	s_waitcnt vmcnt(1)
	s_delay_alu instid0(VALU_DEP_2) | instskip(NEXT) | instid1(VALU_DEP_2)
	v_dual_add_f32 v4, 0, v8 :: v_dual_lshlrev_b32 v3, 2, v3
	v_cndmask_b32_e64 v12, v2, v12, s1
	v_add_f32_e32 v5, 0, v6
	ds_bpermute_b32 v11, v3, v4
	v_lshlrev_b32_e32 v12, 2, v12
	ds_bpermute_b32 v3, v3, v5
	s_waitcnt lgkmcnt(1)
	v_add_f32_e32 v4, v4, v11
	s_waitcnt lgkmcnt(0)
	v_add_f32_e32 v3, v5, v3
	ds_bpermute_b32 v5, v12, v4
	ds_bpermute_b32 v11, v12, v3
	v_xor_b32_e32 v12, 4, v2
	s_delay_alu instid0(VALU_DEP_1) | instskip(NEXT) | instid1(VALU_DEP_1)
	v_cmp_gt_i32_e64 s1, 32, v12
	v_cndmask_b32_e64 v12, v2, v12, s1
	s_delay_alu instid0(VALU_DEP_1)
	v_lshlrev_b32_e32 v12, 2, v12
	s_waitcnt lgkmcnt(0)
	v_dual_add_f32 v4, v4, v5 :: v_dual_add_f32 v3, v3, v11
	ds_bpermute_b32 v5, v12, v4
	ds_bpermute_b32 v11, v12, v3
	v_xor_b32_e32 v12, 2, v2
	s_delay_alu instid0(VALU_DEP_1) | instskip(NEXT) | instid1(VALU_DEP_1)
	v_cmp_gt_i32_e64 s1, 32, v12
	v_cndmask_b32_e64 v12, v2, v12, s1
	s_delay_alu instid0(VALU_DEP_1)
	v_lshlrev_b32_e32 v12, 2, v12
	s_waitcnt lgkmcnt(0)
	v_dual_add_f32 v4, v4, v5 :: v_dual_add_f32 v3, v3, v11
	ds_bpermute_b32 v5, v12, v4
	ds_bpermute_b32 v11, v12, v3
	v_xor_b32_e32 v12, 1, v2
	s_delay_alu instid0(VALU_DEP_1) | instskip(NEXT) | instid1(VALU_DEP_1)
	v_cmp_gt_i32_e64 s1, 32, v12
	v_cndmask_b32_e64 v2, v2, v12, s1
	s_delay_alu instid0(VALU_DEP_1)
	v_lshlrev_b32_e32 v12, 2, v2
	s_waitcnt lgkmcnt(1)
	v_add_f32_e32 v4, v4, v5
	s_waitcnt lgkmcnt(0)
	v_add_f32_e32 v2, v3, v11
	ds_bpermute_b32 v5, v12, v4
	ds_bpermute_b32 v3, v12, v2
	s_and_saveexec_b32 s1, s0
	s_cbranch_execz .LBB238_10
; %bb.5:
	v_add_co_u32 v0, s0, s8, v0
	s_delay_alu instid0(VALU_DEP_1)
	v_add_co_ci_u32_e64 v1, s0, s9, v1, s0
	s_and_saveexec_b32 s1, vcc_lo
	s_cbranch_execz .LBB238_7
; %bb.6:
	s_waitcnt vmcnt(0) lgkmcnt(1)
	v_dual_mul_f32 v11, 0x3fb8aa3b, v10 :: v_dual_add_f32 v4, v4, v5
	v_cmp_ngt_f32_e64 s0, 0xc2ce8ed0, v10
	s_delay_alu instid0(VALU_DEP_2) | instskip(SKIP_1) | instid1(VALU_DEP_2)
	v_rndne_f32_e32 v12, v11
	v_fma_f32 v13, 0x3fb8aa3b, v10, -v11
	v_sub_f32_e32 v11, v11, v12
	s_delay_alu instid0(VALU_DEP_2) | instskip(SKIP_1) | instid1(VALU_DEP_2)
	v_fmamk_f32 v13, v10, 0x32a5705f, v13
	v_cvt_i32_f32_e32 v12, v12
	v_add_f32_e32 v11, v11, v13
	s_delay_alu instid0(VALU_DEP_1) | instskip(SKIP_2) | instid1(VALU_DEP_1)
	v_exp_f32_e32 v11, v11
	s_waitcnt_depctr 0xfff
	v_ldexp_f32 v11, v11, v12
	v_cndmask_b32_e64 v11, 0, v11, s0
	v_cmp_nlt_f32_e64 s0, 0x42b17218, v10
	s_delay_alu instid0(VALU_DEP_1) | instskip(NEXT) | instid1(VALU_DEP_1)
	v_cndmask_b32_e64 v5, 0x7f800000, v11, s0
	v_fma_f32 v4, -v4, v5, v8
	global_store_b32 v[0:1], v4, off
.LBB238_7:
	s_or_b32 exec_lo, exec_lo, s1
	v_cmp_ne_u32_e64 s0, 1, v7
	s_delay_alu instid0(VALU_DEP_1)
	s_and_b32 exec_lo, exec_lo, s0
	s_cbranch_execz .LBB238_10
; %bb.8:
	s_and_b32 exec_lo, exec_lo, vcc_lo
	s_cbranch_execz .LBB238_10
; %bb.9:
	s_waitcnt vmcnt(0)
	v_mul_f32_e32 v4, 0x3fb8aa3b, v9
	v_cmp_ngt_f32_e32 vcc_lo, 0xc2ce8ed0, v9
	s_lshl_b64 s[0:1], s[6:7], 2
	s_waitcnt lgkmcnt(1)
	s_delay_alu instid0(VALU_DEP_2) | instskip(SKIP_1) | instid1(VALU_DEP_1)
	v_rndne_f32_e32 v5, v4
	v_fma_f32 v7, 0x3fb8aa3b, v9, -v4
	v_dual_sub_f32 v4, v4, v5 :: v_dual_fmamk_f32 v7, v9, 0x32a5705f, v7
	v_cvt_i32_f32_e32 v5, v5
	s_delay_alu instid0(VALU_DEP_2) | instskip(NEXT) | instid1(VALU_DEP_1)
	v_add_f32_e32 v4, v4, v7
	v_exp_f32_e32 v4, v4
	s_waitcnt_depctr 0xfff
	v_ldexp_f32 v4, v4, v5
	s_delay_alu instid0(VALU_DEP_1) | instskip(SKIP_2) | instid1(VALU_DEP_2)
	v_cndmask_b32_e32 v4, 0, v4, vcc_lo
	v_cmp_nlt_f32_e32 vcc_lo, 0x42b17218, v9
	s_waitcnt lgkmcnt(0)
	v_dual_add_f32 v2, v2, v3 :: v_dual_cndmask_b32 v3, 0x7f800000, v4
	v_add_co_u32 v0, vcc_lo, v0, s0
	v_add_co_ci_u32_e32 v1, vcc_lo, s1, v1, vcc_lo
	s_delay_alu instid0(VALU_DEP_3)
	v_fma_f32 v2, -v2, v3, v6
	global_store_b32 v[0:1], v2, off
.LBB238_10:
	s_nop 0
	s_sendmsg sendmsg(MSG_DEALLOC_VGPRS)
	s_endpgm
	.section	.rodata,"a",@progbits
	.p2align	6, 0x0
	.amdhsa_kernel _ZN12_GLOBAL__N_121softmax_warp_backwardIfffLi5ELb1ELb0ELi64EEEvPT0_PKT_S5_iiiPKb
		.amdhsa_group_segment_fixed_size 0
		.amdhsa_private_segment_fixed_size 0
		.amdhsa_kernarg_size 304
		.amdhsa_user_sgpr_count 15
		.amdhsa_user_sgpr_dispatch_ptr 0
		.amdhsa_user_sgpr_queue_ptr 0
		.amdhsa_user_sgpr_kernarg_segment_ptr 1
		.amdhsa_user_sgpr_dispatch_id 0
		.amdhsa_user_sgpr_private_segment_size 0
		.amdhsa_wavefront_size32 1
		.amdhsa_uses_dynamic_stack 0
		.amdhsa_enable_private_segment 0
		.amdhsa_system_sgpr_workgroup_id_x 1
		.amdhsa_system_sgpr_workgroup_id_y 0
		.amdhsa_system_sgpr_workgroup_id_z 0
		.amdhsa_system_sgpr_workgroup_info 0
		.amdhsa_system_vgpr_workitem_id 1
		.amdhsa_next_free_vgpr 14
		.amdhsa_next_free_sgpr 16
		.amdhsa_reserve_vcc 1
		.amdhsa_float_round_mode_32 0
		.amdhsa_float_round_mode_16_64 0
		.amdhsa_float_denorm_mode_32 3
		.amdhsa_float_denorm_mode_16_64 3
		.amdhsa_dx10_clamp 1
		.amdhsa_ieee_mode 1
		.amdhsa_fp16_overflow 0
		.amdhsa_workgroup_processor_mode 1
		.amdhsa_memory_ordered 1
		.amdhsa_forward_progress 0
		.amdhsa_shared_vgpr_count 0
		.amdhsa_exception_fp_ieee_invalid_op 0
		.amdhsa_exception_fp_denorm_src 0
		.amdhsa_exception_fp_ieee_div_zero 0
		.amdhsa_exception_fp_ieee_overflow 0
		.amdhsa_exception_fp_ieee_underflow 0
		.amdhsa_exception_fp_ieee_inexact 0
		.amdhsa_exception_int_div_zero 0
	.end_amdhsa_kernel
	.section	.text._ZN12_GLOBAL__N_121softmax_warp_backwardIfffLi5ELb1ELb0ELi64EEEvPT0_PKT_S5_iiiPKb,"axG",@progbits,_ZN12_GLOBAL__N_121softmax_warp_backwardIfffLi5ELb1ELb0ELi64EEEvPT0_PKT_S5_iiiPKb,comdat
.Lfunc_end238:
	.size	_ZN12_GLOBAL__N_121softmax_warp_backwardIfffLi5ELb1ELb0ELi64EEEvPT0_PKT_S5_iiiPKb, .Lfunc_end238-_ZN12_GLOBAL__N_121softmax_warp_backwardIfffLi5ELb1ELb0ELi64EEEvPT0_PKT_S5_iiiPKb
                                        ; -- End function
	.section	.AMDGPU.csdata,"",@progbits
; Kernel info:
; codeLenInByte = 984
; NumSgprs: 18
; NumVgprs: 14
; ScratchSize: 0
; MemoryBound: 0
; FloatMode: 240
; IeeeMode: 1
; LDSByteSize: 0 bytes/workgroup (compile time only)
; SGPRBlocks: 2
; VGPRBlocks: 1
; NumSGPRsForWavesPerEU: 18
; NumVGPRsForWavesPerEU: 14
; Occupancy: 16
; WaveLimiterHint : 0
; COMPUTE_PGM_RSRC2:SCRATCH_EN: 0
; COMPUTE_PGM_RSRC2:USER_SGPR: 15
; COMPUTE_PGM_RSRC2:TRAP_HANDLER: 0
; COMPUTE_PGM_RSRC2:TGID_X_EN: 1
; COMPUTE_PGM_RSRC2:TGID_Y_EN: 0
; COMPUTE_PGM_RSRC2:TGID_Z_EN: 0
; COMPUTE_PGM_RSRC2:TIDIG_COMP_CNT: 1
	.section	.text._ZN12_GLOBAL__N_121softmax_warp_backwardIfffLi5ELb1ELb0ELi32EEEvPT0_PKT_S5_iiiPKb,"axG",@progbits,_ZN12_GLOBAL__N_121softmax_warp_backwardIfffLi5ELb1ELb0ELi32EEEvPT0_PKT_S5_iiiPKb,comdat
	.globl	_ZN12_GLOBAL__N_121softmax_warp_backwardIfffLi5ELb1ELb0ELi32EEEvPT0_PKT_S5_iiiPKb ; -- Begin function _ZN12_GLOBAL__N_121softmax_warp_backwardIfffLi5ELb1ELb0ELi32EEEvPT0_PKT_S5_iiiPKb
	.p2align	8
	.type	_ZN12_GLOBAL__N_121softmax_warp_backwardIfffLi5ELb1ELb0ELi32EEEvPT0_PKT_S5_iiiPKb,@function
_ZN12_GLOBAL__N_121softmax_warp_backwardIfffLi5ELb1ELb0ELi32EEEvPT0_PKT_S5_iiiPKb: ; @_ZN12_GLOBAL__N_121softmax_warp_backwardIfffLi5ELb1ELb0ELi32EEEvPT0_PKT_S5_iiiPKb
; %bb.0:
	s_clause 0x1
	s_load_b32 s2, s[0:1], 0x3c
	s_load_b128 s[4:7], s[0:1], 0x18
	v_bfe_u32 v1, v0, 10, 10
	v_and_b32_e32 v2, 31, v0
	s_load_b128 s[8:11], s[0:1], 0x0
	v_mov_b32_e32 v6, 0
	v_mov_b32_e32 v8, 0
	;; [unrolled: 1-line block ×3, first 2 shown]
	s_waitcnt lgkmcnt(0)
	s_lshr_b32 s2, s2, 16
	v_cmp_gt_i32_e32 vcc_lo, s6, v2
	s_mul_i32 s15, s15, s2
	s_load_b64 s[2:3], s[0:1], 0x10
	v_add_lshl_u32 v3, s15, v1, 1
	s_delay_alu instid0(VALU_DEP_1) | instskip(SKIP_1) | instid1(VALU_DEP_1)
	v_mad_u64_u32 v[0:1], null, v3, s5, v[2:3]
	v_sub_nc_u32_e32 v7, s4, v3
	v_cmp_lt_i32_e64 s0, 0, v7
	s_delay_alu instid0(VALU_DEP_3) | instskip(NEXT) | instid1(VALU_DEP_1)
	v_ashrrev_i32_e32 v1, 31, v0
	v_lshlrev_b64 v[0:1], 2, v[0:1]
	s_delay_alu instid0(VALU_DEP_1) | instskip(NEXT) | instid1(VALU_DEP_1)
	v_add_co_u32 v4, s1, s10, v0
	v_add_co_ci_u32_e64 v5, s1, s11, v1, s1
	s_waitcnt lgkmcnt(0)
	v_add_co_u32 v2, s1, s2, v0
	s_delay_alu instid0(VALU_DEP_1) | instskip(SKIP_1) | instid1(SALU_CYCLE_1)
	v_add_co_ci_u32_e64 v3, s1, s3, v1, s1
	s_and_b32 s2, vcc_lo, s0
	s_and_saveexec_b32 s1, s2
	s_cbranch_execz .LBB239_2
; %bb.1:
	global_load_b32 v8, v[4:5], off
	global_load_b32 v10, v[2:3], off
.LBB239_2:
	s_or_b32 exec_lo, exec_lo, s1
	v_cmp_lt_i32_e64 s1, 1, v7
	v_mov_b32_e32 v9, 0
	s_mov_b32 s7, 0
	s_delay_alu instid0(VALU_DEP_2) | instskip(NEXT) | instid1(SALU_CYCLE_1)
	s_and_b32 s1, vcc_lo, s1
	s_and_saveexec_b32 s2, s1
	s_cbranch_execz .LBB239_4
; %bb.3:
	s_lshl_b64 s[4:5], s[6:7], 2
	s_delay_alu instid0(SALU_CYCLE_1) | instskip(NEXT) | instid1(VALU_DEP_1)
	v_add_co_u32 v4, s1, v4, s4
	v_add_co_ci_u32_e64 v5, s1, s5, v5, s1
	v_add_co_u32 v2, s1, v2, s4
	s_delay_alu instid0(VALU_DEP_1)
	v_add_co_ci_u32_e64 v3, s1, s5, v3, s1
	global_load_b32 v6, v[4:5], off
	global_load_b32 v9, v[2:3], off
.LBB239_4:
	s_or_b32 exec_lo, exec_lo, s2
	v_mbcnt_lo_u32_b32 v2, -1, 0
	s_delay_alu instid0(VALU_DEP_1) | instskip(SKIP_1) | instid1(VALU_DEP_2)
	v_xor_b32_e32 v3, 16, v2
	v_xor_b32_e32 v12, 8, v2
	v_cmp_gt_i32_e64 s1, 32, v3
	s_delay_alu instid0(VALU_DEP_1) | instskip(NEXT) | instid1(VALU_DEP_3)
	v_cndmask_b32_e64 v3, v2, v3, s1
	v_cmp_gt_i32_e64 s1, 32, v12
	s_waitcnt vmcnt(1)
	s_delay_alu instid0(VALU_DEP_2) | instskip(NEXT) | instid1(VALU_DEP_2)
	v_dual_add_f32 v4, 0, v8 :: v_dual_lshlrev_b32 v3, 2, v3
	v_cndmask_b32_e64 v12, v2, v12, s1
	v_add_f32_e32 v5, 0, v6
	ds_bpermute_b32 v11, v3, v4
	v_lshlrev_b32_e32 v12, 2, v12
	ds_bpermute_b32 v3, v3, v5
	s_waitcnt lgkmcnt(1)
	v_add_f32_e32 v4, v4, v11
	s_waitcnt lgkmcnt(0)
	v_add_f32_e32 v3, v5, v3
	ds_bpermute_b32 v5, v12, v4
	ds_bpermute_b32 v11, v12, v3
	v_xor_b32_e32 v12, 4, v2
	s_delay_alu instid0(VALU_DEP_1) | instskip(NEXT) | instid1(VALU_DEP_1)
	v_cmp_gt_i32_e64 s1, 32, v12
	v_cndmask_b32_e64 v12, v2, v12, s1
	s_delay_alu instid0(VALU_DEP_1)
	v_lshlrev_b32_e32 v12, 2, v12
	s_waitcnt lgkmcnt(0)
	v_dual_add_f32 v4, v4, v5 :: v_dual_add_f32 v3, v3, v11
	ds_bpermute_b32 v5, v12, v4
	ds_bpermute_b32 v11, v12, v3
	v_xor_b32_e32 v12, 2, v2
	s_delay_alu instid0(VALU_DEP_1) | instskip(NEXT) | instid1(VALU_DEP_1)
	v_cmp_gt_i32_e64 s1, 32, v12
	v_cndmask_b32_e64 v12, v2, v12, s1
	s_delay_alu instid0(VALU_DEP_1)
	v_lshlrev_b32_e32 v12, 2, v12
	s_waitcnt lgkmcnt(0)
	v_dual_add_f32 v4, v4, v5 :: v_dual_add_f32 v3, v3, v11
	ds_bpermute_b32 v5, v12, v4
	ds_bpermute_b32 v11, v12, v3
	v_xor_b32_e32 v12, 1, v2
	s_delay_alu instid0(VALU_DEP_1) | instskip(NEXT) | instid1(VALU_DEP_1)
	v_cmp_gt_i32_e64 s1, 32, v12
	v_cndmask_b32_e64 v2, v2, v12, s1
	s_delay_alu instid0(VALU_DEP_1)
	v_lshlrev_b32_e32 v12, 2, v2
	s_waitcnt lgkmcnt(1)
	v_add_f32_e32 v4, v4, v5
	s_waitcnt lgkmcnt(0)
	v_add_f32_e32 v2, v3, v11
	ds_bpermute_b32 v5, v12, v4
	ds_bpermute_b32 v3, v12, v2
	s_and_saveexec_b32 s1, s0
	s_cbranch_execz .LBB239_10
; %bb.5:
	v_add_co_u32 v0, s0, s8, v0
	s_delay_alu instid0(VALU_DEP_1)
	v_add_co_ci_u32_e64 v1, s0, s9, v1, s0
	s_and_saveexec_b32 s1, vcc_lo
	s_cbranch_execz .LBB239_7
; %bb.6:
	s_waitcnt vmcnt(0) lgkmcnt(1)
	v_dual_mul_f32 v11, 0x3fb8aa3b, v10 :: v_dual_add_f32 v4, v4, v5
	v_cmp_ngt_f32_e64 s0, 0xc2ce8ed0, v10
	s_delay_alu instid0(VALU_DEP_2) | instskip(SKIP_1) | instid1(VALU_DEP_2)
	v_rndne_f32_e32 v12, v11
	v_fma_f32 v13, 0x3fb8aa3b, v10, -v11
	v_sub_f32_e32 v11, v11, v12
	s_delay_alu instid0(VALU_DEP_2) | instskip(SKIP_1) | instid1(VALU_DEP_2)
	v_fmamk_f32 v13, v10, 0x32a5705f, v13
	v_cvt_i32_f32_e32 v12, v12
	v_add_f32_e32 v11, v11, v13
	s_delay_alu instid0(VALU_DEP_1) | instskip(SKIP_2) | instid1(VALU_DEP_1)
	v_exp_f32_e32 v11, v11
	s_waitcnt_depctr 0xfff
	v_ldexp_f32 v11, v11, v12
	v_cndmask_b32_e64 v11, 0, v11, s0
	v_cmp_nlt_f32_e64 s0, 0x42b17218, v10
	s_delay_alu instid0(VALU_DEP_1) | instskip(NEXT) | instid1(VALU_DEP_1)
	v_cndmask_b32_e64 v5, 0x7f800000, v11, s0
	v_fma_f32 v4, -v4, v5, v8
	global_store_b32 v[0:1], v4, off
.LBB239_7:
	s_or_b32 exec_lo, exec_lo, s1
	v_cmp_ne_u32_e64 s0, 1, v7
	s_delay_alu instid0(VALU_DEP_1)
	s_and_b32 exec_lo, exec_lo, s0
	s_cbranch_execz .LBB239_10
; %bb.8:
	s_and_b32 exec_lo, exec_lo, vcc_lo
	s_cbranch_execz .LBB239_10
; %bb.9:
	s_waitcnt vmcnt(0)
	v_mul_f32_e32 v4, 0x3fb8aa3b, v9
	v_cmp_ngt_f32_e32 vcc_lo, 0xc2ce8ed0, v9
	s_lshl_b64 s[0:1], s[6:7], 2
	s_waitcnt lgkmcnt(1)
	s_delay_alu instid0(VALU_DEP_2) | instskip(SKIP_1) | instid1(VALU_DEP_1)
	v_rndne_f32_e32 v5, v4
	v_fma_f32 v7, 0x3fb8aa3b, v9, -v4
	v_dual_sub_f32 v4, v4, v5 :: v_dual_fmamk_f32 v7, v9, 0x32a5705f, v7
	v_cvt_i32_f32_e32 v5, v5
	s_delay_alu instid0(VALU_DEP_2) | instskip(NEXT) | instid1(VALU_DEP_1)
	v_add_f32_e32 v4, v4, v7
	v_exp_f32_e32 v4, v4
	s_waitcnt_depctr 0xfff
	v_ldexp_f32 v4, v4, v5
	s_delay_alu instid0(VALU_DEP_1) | instskip(SKIP_2) | instid1(VALU_DEP_2)
	v_cndmask_b32_e32 v4, 0, v4, vcc_lo
	v_cmp_nlt_f32_e32 vcc_lo, 0x42b17218, v9
	s_waitcnt lgkmcnt(0)
	v_dual_add_f32 v2, v2, v3 :: v_dual_cndmask_b32 v3, 0x7f800000, v4
	v_add_co_u32 v0, vcc_lo, v0, s0
	v_add_co_ci_u32_e32 v1, vcc_lo, s1, v1, vcc_lo
	s_delay_alu instid0(VALU_DEP_3)
	v_fma_f32 v2, -v2, v3, v6
	global_store_b32 v[0:1], v2, off
.LBB239_10:
	s_nop 0
	s_sendmsg sendmsg(MSG_DEALLOC_VGPRS)
	s_endpgm
	.section	.rodata,"a",@progbits
	.p2align	6, 0x0
	.amdhsa_kernel _ZN12_GLOBAL__N_121softmax_warp_backwardIfffLi5ELb1ELb0ELi32EEEvPT0_PKT_S5_iiiPKb
		.amdhsa_group_segment_fixed_size 0
		.amdhsa_private_segment_fixed_size 0
		.amdhsa_kernarg_size 304
		.amdhsa_user_sgpr_count 15
		.amdhsa_user_sgpr_dispatch_ptr 0
		.amdhsa_user_sgpr_queue_ptr 0
		.amdhsa_user_sgpr_kernarg_segment_ptr 1
		.amdhsa_user_sgpr_dispatch_id 0
		.amdhsa_user_sgpr_private_segment_size 0
		.amdhsa_wavefront_size32 1
		.amdhsa_uses_dynamic_stack 0
		.amdhsa_enable_private_segment 0
		.amdhsa_system_sgpr_workgroup_id_x 1
		.amdhsa_system_sgpr_workgroup_id_y 0
		.amdhsa_system_sgpr_workgroup_id_z 0
		.amdhsa_system_sgpr_workgroup_info 0
		.amdhsa_system_vgpr_workitem_id 1
		.amdhsa_next_free_vgpr 14
		.amdhsa_next_free_sgpr 16
		.amdhsa_reserve_vcc 1
		.amdhsa_float_round_mode_32 0
		.amdhsa_float_round_mode_16_64 0
		.amdhsa_float_denorm_mode_32 3
		.amdhsa_float_denorm_mode_16_64 3
		.amdhsa_dx10_clamp 1
		.amdhsa_ieee_mode 1
		.amdhsa_fp16_overflow 0
		.amdhsa_workgroup_processor_mode 1
		.amdhsa_memory_ordered 1
		.amdhsa_forward_progress 0
		.amdhsa_shared_vgpr_count 0
		.amdhsa_exception_fp_ieee_invalid_op 0
		.amdhsa_exception_fp_denorm_src 0
		.amdhsa_exception_fp_ieee_div_zero 0
		.amdhsa_exception_fp_ieee_overflow 0
		.amdhsa_exception_fp_ieee_underflow 0
		.amdhsa_exception_fp_ieee_inexact 0
		.amdhsa_exception_int_div_zero 0
	.end_amdhsa_kernel
	.section	.text._ZN12_GLOBAL__N_121softmax_warp_backwardIfffLi5ELb1ELb0ELi32EEEvPT0_PKT_S5_iiiPKb,"axG",@progbits,_ZN12_GLOBAL__N_121softmax_warp_backwardIfffLi5ELb1ELb0ELi32EEEvPT0_PKT_S5_iiiPKb,comdat
.Lfunc_end239:
	.size	_ZN12_GLOBAL__N_121softmax_warp_backwardIfffLi5ELb1ELb0ELi32EEEvPT0_PKT_S5_iiiPKb, .Lfunc_end239-_ZN12_GLOBAL__N_121softmax_warp_backwardIfffLi5ELb1ELb0ELi32EEEvPT0_PKT_S5_iiiPKb
                                        ; -- End function
	.section	.AMDGPU.csdata,"",@progbits
; Kernel info:
; codeLenInByte = 984
; NumSgprs: 18
; NumVgprs: 14
; ScratchSize: 0
; MemoryBound: 0
; FloatMode: 240
; IeeeMode: 1
; LDSByteSize: 0 bytes/workgroup (compile time only)
; SGPRBlocks: 2
; VGPRBlocks: 1
; NumSGPRsForWavesPerEU: 18
; NumVGPRsForWavesPerEU: 14
; Occupancy: 16
; WaveLimiterHint : 0
; COMPUTE_PGM_RSRC2:SCRATCH_EN: 0
; COMPUTE_PGM_RSRC2:USER_SGPR: 15
; COMPUTE_PGM_RSRC2:TRAP_HANDLER: 0
; COMPUTE_PGM_RSRC2:TGID_X_EN: 1
; COMPUTE_PGM_RSRC2:TGID_Y_EN: 0
; COMPUTE_PGM_RSRC2:TGID_Z_EN: 0
; COMPUTE_PGM_RSRC2:TIDIG_COMP_CNT: 1
	.section	.text._ZN12_GLOBAL__N_121softmax_warp_backwardIfffLi6ELb1ELb0ELi64EEEvPT0_PKT_S5_iiiPKb,"axG",@progbits,_ZN12_GLOBAL__N_121softmax_warp_backwardIfffLi6ELb1ELb0ELi64EEEvPT0_PKT_S5_iiiPKb,comdat
	.globl	_ZN12_GLOBAL__N_121softmax_warp_backwardIfffLi6ELb1ELb0ELi64EEEvPT0_PKT_S5_iiiPKb ; -- Begin function _ZN12_GLOBAL__N_121softmax_warp_backwardIfffLi6ELb1ELb0ELi64EEEvPT0_PKT_S5_iiiPKb
	.p2align	8
	.type	_ZN12_GLOBAL__N_121softmax_warp_backwardIfffLi6ELb1ELb0ELi64EEEvPT0_PKT_S5_iiiPKb,@function
_ZN12_GLOBAL__N_121softmax_warp_backwardIfffLi6ELb1ELb0ELi64EEEvPT0_PKT_S5_iiiPKb: ; @_ZN12_GLOBAL__N_121softmax_warp_backwardIfffLi6ELb1ELb0ELi64EEEvPT0_PKT_S5_iiiPKb
; %bb.0:
	s_clause 0x1
	s_load_b32 s2, s[0:1], 0x3c
	s_load_b128 s[4:7], s[0:1], 0x18
	v_bfe_u32 v1, v0, 10, 10
	v_and_b32_e32 v2, 63, v0
	s_load_b128 s[8:11], s[0:1], 0x0
	v_mov_b32_e32 v6, 0
	v_mov_b32_e32 v8, 0
	;; [unrolled: 1-line block ×3, first 2 shown]
	s_waitcnt lgkmcnt(0)
	s_lshr_b32 s2, s2, 16
	v_cmp_gt_i32_e32 vcc_lo, s6, v2
	s_mul_i32 s15, s15, s2
	s_load_b64 s[2:3], s[0:1], 0x10
	v_add_lshl_u32 v3, s15, v1, 1
	s_delay_alu instid0(VALU_DEP_1) | instskip(SKIP_1) | instid1(VALU_DEP_1)
	v_mad_u64_u32 v[0:1], null, v3, s5, v[2:3]
	v_sub_nc_u32_e32 v7, s4, v3
	v_cmp_lt_i32_e64 s0, 0, v7
	s_delay_alu instid0(VALU_DEP_3) | instskip(NEXT) | instid1(VALU_DEP_1)
	v_ashrrev_i32_e32 v1, 31, v0
	v_lshlrev_b64 v[0:1], 2, v[0:1]
	s_delay_alu instid0(VALU_DEP_1) | instskip(NEXT) | instid1(VALU_DEP_1)
	v_add_co_u32 v4, s1, s10, v0
	v_add_co_ci_u32_e64 v5, s1, s11, v1, s1
	s_waitcnt lgkmcnt(0)
	v_add_co_u32 v2, s1, s2, v0
	s_delay_alu instid0(VALU_DEP_1) | instskip(SKIP_1) | instid1(SALU_CYCLE_1)
	v_add_co_ci_u32_e64 v3, s1, s3, v1, s1
	s_and_b32 s2, vcc_lo, s0
	s_and_saveexec_b32 s1, s2
	s_cbranch_execz .LBB240_2
; %bb.1:
	global_load_b32 v8, v[4:5], off
	global_load_b32 v10, v[2:3], off
.LBB240_2:
	s_or_b32 exec_lo, exec_lo, s1
	v_cmp_lt_i32_e64 s1, 1, v7
	v_mov_b32_e32 v9, 0
	s_mov_b32 s7, 0
	s_delay_alu instid0(VALU_DEP_2) | instskip(NEXT) | instid1(SALU_CYCLE_1)
	s_and_b32 s1, vcc_lo, s1
	s_and_saveexec_b32 s2, s1
	s_cbranch_execz .LBB240_4
; %bb.3:
	s_lshl_b64 s[4:5], s[6:7], 2
	s_delay_alu instid0(SALU_CYCLE_1) | instskip(NEXT) | instid1(VALU_DEP_1)
	v_add_co_u32 v4, s1, v4, s4
	v_add_co_ci_u32_e64 v5, s1, s5, v5, s1
	v_add_co_u32 v2, s1, v2, s4
	s_delay_alu instid0(VALU_DEP_1)
	v_add_co_ci_u32_e64 v3, s1, s5, v3, s1
	global_load_b32 v6, v[4:5], off
	global_load_b32 v9, v[2:3], off
.LBB240_4:
	s_or_b32 exec_lo, exec_lo, s2
	v_mbcnt_lo_u32_b32 v2, -1, 0
	s_delay_alu instid0(VALU_DEP_1) | instskip(SKIP_1) | instid1(VALU_DEP_2)
	v_or_b32_e32 v3, 32, v2
	v_xor_b32_e32 v12, 16, v2
	v_cmp_gt_i32_e64 s1, 64, v3
	s_delay_alu instid0(VALU_DEP_1) | instskip(NEXT) | instid1(VALU_DEP_3)
	v_cndmask_b32_e64 v3, v2, v3, s1
	v_cmp_gt_i32_e64 s1, 64, v12
	s_waitcnt vmcnt(1)
	s_delay_alu instid0(VALU_DEP_2) | instskip(NEXT) | instid1(VALU_DEP_2)
	v_dual_add_f32 v4, 0, v8 :: v_dual_lshlrev_b32 v3, 2, v3
	v_cndmask_b32_e64 v12, v2, v12, s1
	v_add_f32_e32 v5, 0, v6
	ds_bpermute_b32 v11, v3, v4
	v_lshlrev_b32_e32 v12, 2, v12
	ds_bpermute_b32 v3, v3, v5
	s_waitcnt lgkmcnt(1)
	v_add_f32_e32 v4, v4, v11
	s_waitcnt lgkmcnt(0)
	v_add_f32_e32 v3, v5, v3
	ds_bpermute_b32 v5, v12, v4
	ds_bpermute_b32 v11, v12, v3
	v_xor_b32_e32 v12, 8, v2
	s_delay_alu instid0(VALU_DEP_1) | instskip(NEXT) | instid1(VALU_DEP_1)
	v_cmp_gt_i32_e64 s1, 64, v12
	v_cndmask_b32_e64 v12, v2, v12, s1
	s_delay_alu instid0(VALU_DEP_1)
	v_lshlrev_b32_e32 v12, 2, v12
	s_waitcnt lgkmcnt(0)
	v_dual_add_f32 v4, v4, v5 :: v_dual_add_f32 v3, v3, v11
	ds_bpermute_b32 v5, v12, v4
	ds_bpermute_b32 v11, v12, v3
	v_xor_b32_e32 v12, 4, v2
	s_delay_alu instid0(VALU_DEP_1) | instskip(NEXT) | instid1(VALU_DEP_1)
	v_cmp_gt_i32_e64 s1, 64, v12
	v_cndmask_b32_e64 v12, v2, v12, s1
	s_waitcnt lgkmcnt(0)
	s_delay_alu instid0(VALU_DEP_1)
	v_dual_add_f32 v3, v3, v11 :: v_dual_lshlrev_b32 v12, 2, v12
	ds_bpermute_b32 v11, v12, v3
	s_waitcnt lgkmcnt(0)
	v_dual_add_f32 v4, v4, v5 :: v_dual_add_f32 v3, v3, v11
	ds_bpermute_b32 v5, v12, v4
	v_xor_b32_e32 v12, 2, v2
	s_delay_alu instid0(VALU_DEP_1) | instskip(NEXT) | instid1(VALU_DEP_1)
	v_cmp_gt_i32_e64 s1, 64, v12
	v_cndmask_b32_e64 v12, v2, v12, s1
	s_delay_alu instid0(VALU_DEP_1)
	v_lshlrev_b32_e32 v12, 2, v12
	s_waitcnt lgkmcnt(0)
	v_add_f32_e32 v4, v4, v5
	ds_bpermute_b32 v11, v12, v3
	ds_bpermute_b32 v5, v12, v4
	v_xor_b32_e32 v12, 1, v2
	s_delay_alu instid0(VALU_DEP_1) | instskip(NEXT) | instid1(VALU_DEP_1)
	v_cmp_gt_i32_e64 s1, 64, v12
	v_cndmask_b32_e64 v2, v2, v12, s1
	s_delay_alu instid0(VALU_DEP_1)
	v_lshlrev_b32_e32 v12, 2, v2
	s_waitcnt lgkmcnt(1)
	v_add_f32_e32 v2, v3, v11
	s_waitcnt lgkmcnt(0)
	v_add_f32_e32 v4, v4, v5
	ds_bpermute_b32 v3, v12, v2
	ds_bpermute_b32 v5, v12, v4
	s_and_saveexec_b32 s1, s0
	s_cbranch_execz .LBB240_10
; %bb.5:
	v_add_co_u32 v0, s0, s8, v0
	s_delay_alu instid0(VALU_DEP_1)
	v_add_co_ci_u32_e64 v1, s0, s9, v1, s0
	s_and_saveexec_b32 s1, vcc_lo
	s_cbranch_execz .LBB240_7
; %bb.6:
	s_waitcnt vmcnt(0) lgkmcnt(0)
	v_dual_mul_f32 v11, 0x3fb8aa3b, v10 :: v_dual_add_f32 v4, v4, v5
	v_cmp_ngt_f32_e64 s0, 0xc2ce8ed0, v10
	s_delay_alu instid0(VALU_DEP_2) | instskip(SKIP_1) | instid1(VALU_DEP_2)
	v_rndne_f32_e32 v12, v11
	v_fma_f32 v13, 0x3fb8aa3b, v10, -v11
	v_sub_f32_e32 v11, v11, v12
	s_delay_alu instid0(VALU_DEP_2) | instskip(SKIP_1) | instid1(VALU_DEP_2)
	v_fmamk_f32 v13, v10, 0x32a5705f, v13
	v_cvt_i32_f32_e32 v12, v12
	v_add_f32_e32 v11, v11, v13
	s_delay_alu instid0(VALU_DEP_1) | instskip(SKIP_2) | instid1(VALU_DEP_1)
	v_exp_f32_e32 v11, v11
	s_waitcnt_depctr 0xfff
	v_ldexp_f32 v11, v11, v12
	v_cndmask_b32_e64 v11, 0, v11, s0
	v_cmp_nlt_f32_e64 s0, 0x42b17218, v10
	s_delay_alu instid0(VALU_DEP_1) | instskip(NEXT) | instid1(VALU_DEP_1)
	v_cndmask_b32_e64 v5, 0x7f800000, v11, s0
	v_fma_f32 v4, -v4, v5, v8
	global_store_b32 v[0:1], v4, off
.LBB240_7:
	s_or_b32 exec_lo, exec_lo, s1
	v_cmp_ne_u32_e64 s0, 1, v7
	s_delay_alu instid0(VALU_DEP_1)
	s_and_b32 exec_lo, exec_lo, s0
	s_cbranch_execz .LBB240_10
; %bb.8:
	s_and_b32 exec_lo, exec_lo, vcc_lo
	s_cbranch_execz .LBB240_10
; %bb.9:
	s_waitcnt vmcnt(0)
	v_mul_f32_e32 v4, 0x3fb8aa3b, v9
	v_cmp_ngt_f32_e32 vcc_lo, 0xc2ce8ed0, v9
	s_lshl_b64 s[0:1], s[6:7], 2
	s_waitcnt lgkmcnt(0)
	s_delay_alu instid0(VALU_DEP_2) | instskip(SKIP_1) | instid1(VALU_DEP_1)
	v_rndne_f32_e32 v5, v4
	v_fma_f32 v7, 0x3fb8aa3b, v9, -v4
	v_dual_sub_f32 v4, v4, v5 :: v_dual_fmamk_f32 v7, v9, 0x32a5705f, v7
	v_cvt_i32_f32_e32 v5, v5
	s_delay_alu instid0(VALU_DEP_2) | instskip(NEXT) | instid1(VALU_DEP_1)
	v_add_f32_e32 v4, v4, v7
	v_exp_f32_e32 v4, v4
	s_waitcnt_depctr 0xfff
	v_ldexp_f32 v4, v4, v5
	s_delay_alu instid0(VALU_DEP_1) | instskip(SKIP_1) | instid1(VALU_DEP_2)
	v_cndmask_b32_e32 v4, 0, v4, vcc_lo
	v_cmp_nlt_f32_e32 vcc_lo, 0x42b17218, v9
	v_dual_add_f32 v2, v2, v3 :: v_dual_cndmask_b32 v3, 0x7f800000, v4
	v_add_co_u32 v0, vcc_lo, v0, s0
	v_add_co_ci_u32_e32 v1, vcc_lo, s1, v1, vcc_lo
	s_delay_alu instid0(VALU_DEP_3)
	v_fma_f32 v2, -v2, v3, v6
	global_store_b32 v[0:1], v2, off
.LBB240_10:
	s_nop 0
	s_sendmsg sendmsg(MSG_DEALLOC_VGPRS)
	s_endpgm
	.section	.rodata,"a",@progbits
	.p2align	6, 0x0
	.amdhsa_kernel _ZN12_GLOBAL__N_121softmax_warp_backwardIfffLi6ELb1ELb0ELi64EEEvPT0_PKT_S5_iiiPKb
		.amdhsa_group_segment_fixed_size 0
		.amdhsa_private_segment_fixed_size 0
		.amdhsa_kernarg_size 304
		.amdhsa_user_sgpr_count 15
		.amdhsa_user_sgpr_dispatch_ptr 0
		.amdhsa_user_sgpr_queue_ptr 0
		.amdhsa_user_sgpr_kernarg_segment_ptr 1
		.amdhsa_user_sgpr_dispatch_id 0
		.amdhsa_user_sgpr_private_segment_size 0
		.amdhsa_wavefront_size32 1
		.amdhsa_uses_dynamic_stack 0
		.amdhsa_enable_private_segment 0
		.amdhsa_system_sgpr_workgroup_id_x 1
		.amdhsa_system_sgpr_workgroup_id_y 0
		.amdhsa_system_sgpr_workgroup_id_z 0
		.amdhsa_system_sgpr_workgroup_info 0
		.amdhsa_system_vgpr_workitem_id 1
		.amdhsa_next_free_vgpr 14
		.amdhsa_next_free_sgpr 16
		.amdhsa_reserve_vcc 1
		.amdhsa_float_round_mode_32 0
		.amdhsa_float_round_mode_16_64 0
		.amdhsa_float_denorm_mode_32 3
		.amdhsa_float_denorm_mode_16_64 3
		.amdhsa_dx10_clamp 1
		.amdhsa_ieee_mode 1
		.amdhsa_fp16_overflow 0
		.amdhsa_workgroup_processor_mode 1
		.amdhsa_memory_ordered 1
		.amdhsa_forward_progress 0
		.amdhsa_shared_vgpr_count 0
		.amdhsa_exception_fp_ieee_invalid_op 0
		.amdhsa_exception_fp_denorm_src 0
		.amdhsa_exception_fp_ieee_div_zero 0
		.amdhsa_exception_fp_ieee_overflow 0
		.amdhsa_exception_fp_ieee_underflow 0
		.amdhsa_exception_fp_ieee_inexact 0
		.amdhsa_exception_int_div_zero 0
	.end_amdhsa_kernel
	.section	.text._ZN12_GLOBAL__N_121softmax_warp_backwardIfffLi6ELb1ELb0ELi64EEEvPT0_PKT_S5_iiiPKb,"axG",@progbits,_ZN12_GLOBAL__N_121softmax_warp_backwardIfffLi6ELb1ELb0ELi64EEEvPT0_PKT_S5_iiiPKb,comdat
.Lfunc_end240:
	.size	_ZN12_GLOBAL__N_121softmax_warp_backwardIfffLi6ELb1ELb0ELi64EEEvPT0_PKT_S5_iiiPKb, .Lfunc_end240-_ZN12_GLOBAL__N_121softmax_warp_backwardIfffLi6ELb1ELb0ELi64EEEvPT0_PKT_S5_iiiPKb
                                        ; -- End function
	.section	.AMDGPU.csdata,"",@progbits
; Kernel info:
; codeLenInByte = 1044
; NumSgprs: 18
; NumVgprs: 14
; ScratchSize: 0
; MemoryBound: 0
; FloatMode: 240
; IeeeMode: 1
; LDSByteSize: 0 bytes/workgroup (compile time only)
; SGPRBlocks: 2
; VGPRBlocks: 1
; NumSGPRsForWavesPerEU: 18
; NumVGPRsForWavesPerEU: 14
; Occupancy: 16
; WaveLimiterHint : 0
; COMPUTE_PGM_RSRC2:SCRATCH_EN: 0
; COMPUTE_PGM_RSRC2:USER_SGPR: 15
; COMPUTE_PGM_RSRC2:TRAP_HANDLER: 0
; COMPUTE_PGM_RSRC2:TGID_X_EN: 1
; COMPUTE_PGM_RSRC2:TGID_Y_EN: 0
; COMPUTE_PGM_RSRC2:TGID_Z_EN: 0
; COMPUTE_PGM_RSRC2:TIDIG_COMP_CNT: 1
	.section	.text._ZN12_GLOBAL__N_121softmax_warp_backwardIfffLi6ELb1ELb0ELi32EEEvPT0_PKT_S5_iiiPKb,"axG",@progbits,_ZN12_GLOBAL__N_121softmax_warp_backwardIfffLi6ELb1ELb0ELi32EEEvPT0_PKT_S5_iiiPKb,comdat
	.globl	_ZN12_GLOBAL__N_121softmax_warp_backwardIfffLi6ELb1ELb0ELi32EEEvPT0_PKT_S5_iiiPKb ; -- Begin function _ZN12_GLOBAL__N_121softmax_warp_backwardIfffLi6ELb1ELb0ELi32EEEvPT0_PKT_S5_iiiPKb
	.p2align	8
	.type	_ZN12_GLOBAL__N_121softmax_warp_backwardIfffLi6ELb1ELb0ELi32EEEvPT0_PKT_S5_iiiPKb,@function
_ZN12_GLOBAL__N_121softmax_warp_backwardIfffLi6ELb1ELb0ELi32EEEvPT0_PKT_S5_iiiPKb: ; @_ZN12_GLOBAL__N_121softmax_warp_backwardIfffLi6ELb1ELb0ELi32EEEvPT0_PKT_S5_iiiPKb
; %bb.0:
	s_clause 0x1
	s_load_b32 s2, s[0:1], 0x3c
	s_load_b128 s[4:7], s[0:1], 0x18
	v_bfe_u32 v1, v0, 10, 10
	v_and_b32_e32 v6, 31, v0
	s_load_b128 s[8:11], s[0:1], 0x0
	v_mov_b32_e32 v8, 0
	v_mov_b32_e32 v10, 0
	;; [unrolled: 1-line block ×3, first 2 shown]
	s_waitcnt lgkmcnt(0)
	s_lshr_b32 s2, s2, 16
	s_delay_alu instid0(SALU_CYCLE_1) | instskip(SKIP_3) | instid1(VALU_DEP_2)
	s_mul_i32 s15, s15, s2
	s_load_b64 s[2:3], s[0:1], 0x10
	v_add_lshl_u32 v2, s15, v1, 1
	v_cmp_gt_i32_e64 s0, s6, v6
	v_mad_u64_u32 v[0:1], null, v2, s5, v[6:7]
	v_sub_nc_u32_e32 v7, s4, v2
	s_delay_alu instid0(VALU_DEP_1) | instskip(NEXT) | instid1(VALU_DEP_3)
	v_cmp_lt_i32_e64 s1, 0, v7
	v_ashrrev_i32_e32 v1, 31, v0
	s_delay_alu instid0(VALU_DEP_1) | instskip(NEXT) | instid1(VALU_DEP_1)
	v_lshlrev_b64 v[0:1], 2, v[0:1]
	v_add_co_u32 v4, vcc_lo, s10, v0
	s_delay_alu instid0(VALU_DEP_2) | instskip(SKIP_4) | instid1(SALU_CYCLE_1)
	v_add_co_ci_u32_e32 v5, vcc_lo, s11, v1, vcc_lo
	s_waitcnt lgkmcnt(0)
	v_add_co_u32 v2, vcc_lo, s2, v0
	v_add_co_ci_u32_e32 v3, vcc_lo, s3, v1, vcc_lo
	s_and_b32 s3, s1, s0
	s_and_saveexec_b32 s2, s3
	s_cbranch_execz .LBB241_2
; %bb.1:
	global_load_b32 v10, v[4:5], off
	global_load_b32 v14, v[2:3], off
.LBB241_2:
	s_or_b32 exec_lo, exec_lo, s2
	v_or_b32_e32 v6, 32, v6
	v_mov_b32_e32 v12, 0
	s_delay_alu instid0(VALU_DEP_2) | instskip(SKIP_1) | instid1(SALU_CYCLE_1)
	v_cmp_gt_i32_e32 vcc_lo, s6, v6
	s_and_b32 s3, s1, vcc_lo
	s_and_saveexec_b32 s2, s3
	s_cbranch_execz .LBB241_4
; %bb.3:
	global_load_b32 v8, v[4:5], off offset:128
	global_load_b32 v12, v[2:3], off offset:128
.LBB241_4:
	s_or_b32 exec_lo, exec_lo, s2
	v_cmp_lt_i32_e64 s2, 1, v7
	v_dual_mov_b32 v6, 0 :: v_dual_mov_b32 v9, 0
	v_mov_b32_e32 v13, 0
	s_mov_b32 s7, 0
	s_delay_alu instid0(VALU_DEP_3) | instskip(NEXT) | instid1(SALU_CYCLE_1)
	s_and_b32 s3, s2, s0
	s_and_saveexec_b32 s4, s3
	s_cbranch_execz .LBB241_6
; %bb.5:
	s_lshl_b64 s[10:11], s[6:7], 2
	s_delay_alu instid0(SALU_CYCLE_1) | instskip(NEXT) | instid1(VALU_DEP_1)
	v_add_co_u32 v15, s3, v4, s10
	v_add_co_ci_u32_e64 v16, s3, s11, v5, s3
	v_add_co_u32 v17, s3, v2, s10
	s_delay_alu instid0(VALU_DEP_1)
	v_add_co_ci_u32_e64 v18, s3, s11, v3, s3
	global_load_b32 v9, v[15:16], off
	global_load_b32 v13, v[17:18], off
.LBB241_6:
	s_or_b32 exec_lo, exec_lo, s4
	v_mov_b32_e32 v11, 0
	s_and_b32 s2, s2, vcc_lo
	s_delay_alu instid0(SALU_CYCLE_1)
	s_and_saveexec_b32 s3, s2
	s_cbranch_execz .LBB241_8
; %bb.7:
	s_lshl_b64 s[4:5], s[6:7], 2
	s_delay_alu instid0(SALU_CYCLE_1) | instskip(NEXT) | instid1(VALU_DEP_1)
	v_add_co_u32 v4, s2, v4, s4
	v_add_co_ci_u32_e64 v5, s2, s5, v5, s2
	v_add_co_u32 v2, s2, v2, s4
	s_delay_alu instid0(VALU_DEP_1)
	v_add_co_ci_u32_e64 v3, s2, s5, v3, s2
	global_load_b32 v6, v[4:5], off offset:128
	global_load_b32 v11, v[2:3], off offset:128
.LBB241_8:
	s_or_b32 exec_lo, exec_lo, s3
	v_mbcnt_lo_u32_b32 v2, -1, 0
	s_waitcnt vmcnt(1)
	v_dual_add_f32 v4, 0, v10 :: v_dual_add_f32 v5, 0, v9
	s_delay_alu instid0(VALU_DEP_2) | instskip(SKIP_1) | instid1(VALU_DEP_2)
	v_xor_b32_e32 v3, 16, v2
	v_xor_b32_e32 v16, 8, v2
	v_cmp_gt_i32_e64 s2, 32, v3
	s_delay_alu instid0(VALU_DEP_1) | instskip(NEXT) | instid1(VALU_DEP_3)
	v_cndmask_b32_e64 v3, v2, v3, s2
	v_cmp_gt_i32_e64 s2, 32, v16
	s_delay_alu instid0(VALU_DEP_2) | instskip(NEXT) | instid1(VALU_DEP_2)
	v_dual_add_f32 v4, v4, v8 :: v_dual_lshlrev_b32 v3, 2, v3
	v_cndmask_b32_e64 v16, v2, v16, s2
	v_add_f32_e32 v5, v5, v6
	ds_bpermute_b32 v15, v3, v4
	v_lshlrev_b32_e32 v16, 2, v16
	ds_bpermute_b32 v3, v3, v5
	s_waitcnt lgkmcnt(1)
	v_add_f32_e32 v4, v4, v15
	s_waitcnt lgkmcnt(0)
	v_add_f32_e32 v3, v5, v3
	ds_bpermute_b32 v5, v16, v4
	ds_bpermute_b32 v15, v16, v3
	v_xor_b32_e32 v16, 4, v2
	s_delay_alu instid0(VALU_DEP_1) | instskip(NEXT) | instid1(VALU_DEP_1)
	v_cmp_gt_i32_e64 s2, 32, v16
	v_cndmask_b32_e64 v16, v2, v16, s2
	s_delay_alu instid0(VALU_DEP_1)
	v_lshlrev_b32_e32 v16, 2, v16
	s_waitcnt lgkmcnt(0)
	v_dual_add_f32 v4, v4, v5 :: v_dual_add_f32 v3, v3, v15
	ds_bpermute_b32 v5, v16, v4
	ds_bpermute_b32 v15, v16, v3
	v_xor_b32_e32 v16, 2, v2
	s_delay_alu instid0(VALU_DEP_1) | instskip(NEXT) | instid1(VALU_DEP_1)
	v_cmp_gt_i32_e64 s2, 32, v16
	v_cndmask_b32_e64 v16, v2, v16, s2
	s_delay_alu instid0(VALU_DEP_1)
	v_lshlrev_b32_e32 v16, 2, v16
	s_waitcnt lgkmcnt(0)
	v_dual_add_f32 v4, v4, v5 :: v_dual_add_f32 v3, v3, v15
	ds_bpermute_b32 v5, v16, v4
	ds_bpermute_b32 v15, v16, v3
	v_xor_b32_e32 v16, 1, v2
	s_delay_alu instid0(VALU_DEP_1) | instskip(NEXT) | instid1(VALU_DEP_1)
	v_cmp_gt_i32_e64 s2, 32, v16
	v_cndmask_b32_e64 v2, v2, v16, s2
	s_delay_alu instid0(VALU_DEP_1)
	v_lshlrev_b32_e32 v16, 2, v2
	s_waitcnt lgkmcnt(1)
	v_add_f32_e32 v4, v4, v5
	s_waitcnt lgkmcnt(0)
	v_add_f32_e32 v2, v3, v15
	ds_bpermute_b32 v5, v16, v4
	ds_bpermute_b32 v3, v16, v2
	s_and_saveexec_b32 s2, s1
	s_cbranch_execz .LBB241_12
; %bb.9:
	v_add_co_u32 v0, s1, s8, v0
	s_delay_alu instid0(VALU_DEP_1)
	v_add_co_ci_u32_e64 v1, s1, s9, v1, s1
	s_waitcnt lgkmcnt(1)
	v_add_f32_e32 v4, v4, v5
	s_and_saveexec_b32 s2, s0
	s_cbranch_execnz .LBB241_13
; %bb.10:
	s_or_b32 exec_lo, exec_lo, s2
	s_and_saveexec_b32 s2, vcc_lo
	s_cbranch_execnz .LBB241_14
.LBB241_11:
	s_or_b32 exec_lo, exec_lo, s2
	v_cmp_ne_u32_e64 s1, 1, v7
	s_delay_alu instid0(VALU_DEP_1)
	s_and_b32 exec_lo, exec_lo, s1
	s_cbranch_execnz .LBB241_15
.LBB241_12:
	s_nop 0
	s_sendmsg sendmsg(MSG_DEALLOC_VGPRS)
	s_endpgm
.LBB241_13:
	s_waitcnt vmcnt(0)
	v_mul_f32_e32 v5, 0x3fb8aa3b, v14
	v_cmp_ngt_f32_e64 s1, 0xc2ce8ed0, v14
	s_delay_alu instid0(VALU_DEP_2) | instskip(SKIP_1) | instid1(VALU_DEP_1)
	v_rndne_f32_e32 v15, v5
	v_fma_f32 v16, 0x3fb8aa3b, v14, -v5
	v_dual_sub_f32 v5, v5, v15 :: v_dual_fmamk_f32 v16, v14, 0x32a5705f, v16
	v_cvt_i32_f32_e32 v15, v15
	s_delay_alu instid0(VALU_DEP_2) | instskip(NEXT) | instid1(VALU_DEP_1)
	v_add_f32_e32 v5, v5, v16
	v_exp_f32_e32 v5, v5
	s_waitcnt_depctr 0xfff
	v_ldexp_f32 v5, v5, v15
	s_delay_alu instid0(VALU_DEP_1) | instskip(SKIP_1) | instid1(VALU_DEP_1)
	v_cndmask_b32_e64 v5, 0, v5, s1
	v_cmp_nlt_f32_e64 s1, 0x42b17218, v14
	v_cndmask_b32_e64 v5, 0x7f800000, v5, s1
	s_delay_alu instid0(VALU_DEP_1)
	v_fma_f32 v5, -v4, v5, v10
	global_store_b32 v[0:1], v5, off
	s_or_b32 exec_lo, exec_lo, s2
	s_and_saveexec_b32 s2, vcc_lo
	s_cbranch_execz .LBB241_11
.LBB241_14:
	s_waitcnt vmcnt(0)
	v_mul_f32_e32 v5, 0x3fb8aa3b, v12
	v_cmp_ngt_f32_e64 s1, 0xc2ce8ed0, v12
	s_delay_alu instid0(VALU_DEP_2) | instskip(SKIP_1) | instid1(VALU_DEP_1)
	v_rndne_f32_e32 v10, v5
	v_fma_f32 v14, 0x3fb8aa3b, v12, -v5
	v_dual_sub_f32 v5, v5, v10 :: v_dual_fmamk_f32 v14, v12, 0x32a5705f, v14
	v_cvt_i32_f32_e32 v10, v10
	s_delay_alu instid0(VALU_DEP_2) | instskip(NEXT) | instid1(VALU_DEP_1)
	v_add_f32_e32 v5, v5, v14
	v_exp_f32_e32 v5, v5
	s_waitcnt_depctr 0xfff
	v_ldexp_f32 v5, v5, v10
	s_delay_alu instid0(VALU_DEP_1) | instskip(SKIP_1) | instid1(VALU_DEP_1)
	v_cndmask_b32_e64 v5, 0, v5, s1
	v_cmp_nlt_f32_e64 s1, 0x42b17218, v12
	v_cndmask_b32_e64 v5, 0x7f800000, v5, s1
	s_delay_alu instid0(VALU_DEP_1) | instskip(SKIP_3) | instid1(VALU_DEP_1)
	v_fma_f32 v4, -v4, v5, v8
	global_store_b32 v[0:1], v4, off offset:128
	s_or_b32 exec_lo, exec_lo, s2
	v_cmp_ne_u32_e64 s1, 1, v7
	s_and_b32 exec_lo, exec_lo, s1
	s_cbranch_execz .LBB241_12
.LBB241_15:
	s_waitcnt lgkmcnt(0)
	v_add_f32_e32 v2, v2, v3
	s_and_saveexec_b32 s1, s0
	s_cbranch_execz .LBB241_17
; %bb.16:
	s_waitcnt vmcnt(0)
	v_mul_f32_e32 v3, 0x3fb8aa3b, v13
	v_cmp_ngt_f32_e64 s0, 0xc2ce8ed0, v13
	s_lshl_b64 s[2:3], s[6:7], 2
	s_delay_alu instid0(VALU_DEP_2) | instskip(SKIP_1) | instid1(VALU_DEP_2)
	v_rndne_f32_e32 v4, v3
	v_fma_f32 v5, 0x3fb8aa3b, v13, -v3
	v_sub_f32_e32 v3, v3, v4
	s_delay_alu instid0(VALU_DEP_2) | instskip(SKIP_1) | instid1(VALU_DEP_2)
	v_fmamk_f32 v5, v13, 0x32a5705f, v5
	v_cvt_i32_f32_e32 v4, v4
	v_add_f32_e32 v3, v3, v5
	s_delay_alu instid0(VALU_DEP_1) | instskip(SKIP_2) | instid1(VALU_DEP_1)
	v_exp_f32_e32 v3, v3
	s_waitcnt_depctr 0xfff
	v_ldexp_f32 v3, v3, v4
	v_cndmask_b32_e64 v3, 0, v3, s0
	v_cmp_nlt_f32_e64 s0, 0x42b17218, v13
	s_delay_alu instid0(VALU_DEP_1) | instskip(NEXT) | instid1(VALU_DEP_1)
	v_cndmask_b32_e64 v3, 0x7f800000, v3, s0
	v_fma_f32 v5, -v2, v3, v9
	v_add_co_u32 v3, s0, v0, s2
	s_delay_alu instid0(VALU_DEP_1)
	v_add_co_ci_u32_e64 v4, s0, s3, v1, s0
	global_store_b32 v[3:4], v5, off
.LBB241_17:
	s_or_b32 exec_lo, exec_lo, s1
	s_delay_alu instid0(SALU_CYCLE_1)
	s_and_b32 exec_lo, exec_lo, vcc_lo
	s_cbranch_execz .LBB241_12
; %bb.18:
	s_waitcnt vmcnt(0)
	v_mul_f32_e32 v3, 0x3fb8aa3b, v11
	v_cmp_ngt_f32_e32 vcc_lo, 0xc2ce8ed0, v11
	s_ashr_i32 s7, s6, 31
	s_delay_alu instid0(SALU_CYCLE_1) | instskip(NEXT) | instid1(VALU_DEP_2)
	s_lshl_b64 s[0:1], s[6:7], 2
	v_rndne_f32_e32 v4, v3
	v_fma_f32 v5, 0x3fb8aa3b, v11, -v3
	s_delay_alu instid0(VALU_DEP_2) | instskip(NEXT) | instid1(VALU_DEP_2)
	v_sub_f32_e32 v3, v3, v4
	v_fmamk_f32 v5, v11, 0x32a5705f, v5
	v_cvt_i32_f32_e32 v4, v4
	s_delay_alu instid0(VALU_DEP_2) | instskip(NEXT) | instid1(VALU_DEP_1)
	v_add_f32_e32 v3, v3, v5
	v_exp_f32_e32 v3, v3
	s_waitcnt_depctr 0xfff
	v_ldexp_f32 v3, v3, v4
	s_delay_alu instid0(VALU_DEP_1) | instskip(SKIP_1) | instid1(VALU_DEP_2)
	v_cndmask_b32_e32 v3, 0, v3, vcc_lo
	v_cmp_nlt_f32_e32 vcc_lo, 0x42b17218, v11
	v_cndmask_b32_e32 v3, 0x7f800000, v3, vcc_lo
	v_add_co_u32 v0, vcc_lo, v0, s0
	v_add_co_ci_u32_e32 v1, vcc_lo, s1, v1, vcc_lo
	s_delay_alu instid0(VALU_DEP_3)
	v_fma_f32 v2, -v2, v3, v6
	global_store_b32 v[0:1], v2, off offset:128
	s_nop 0
	s_sendmsg sendmsg(MSG_DEALLOC_VGPRS)
	s_endpgm
	.section	.rodata,"a",@progbits
	.p2align	6, 0x0
	.amdhsa_kernel _ZN12_GLOBAL__N_121softmax_warp_backwardIfffLi6ELb1ELb0ELi32EEEvPT0_PKT_S5_iiiPKb
		.amdhsa_group_segment_fixed_size 0
		.amdhsa_private_segment_fixed_size 0
		.amdhsa_kernarg_size 304
		.amdhsa_user_sgpr_count 15
		.amdhsa_user_sgpr_dispatch_ptr 0
		.amdhsa_user_sgpr_queue_ptr 0
		.amdhsa_user_sgpr_kernarg_segment_ptr 1
		.amdhsa_user_sgpr_dispatch_id 0
		.amdhsa_user_sgpr_private_segment_size 0
		.amdhsa_wavefront_size32 1
		.amdhsa_uses_dynamic_stack 0
		.amdhsa_enable_private_segment 0
		.amdhsa_system_sgpr_workgroup_id_x 1
		.amdhsa_system_sgpr_workgroup_id_y 0
		.amdhsa_system_sgpr_workgroup_id_z 0
		.amdhsa_system_sgpr_workgroup_info 0
		.amdhsa_system_vgpr_workitem_id 1
		.amdhsa_next_free_vgpr 19
		.amdhsa_next_free_sgpr 16
		.amdhsa_reserve_vcc 1
		.amdhsa_float_round_mode_32 0
		.amdhsa_float_round_mode_16_64 0
		.amdhsa_float_denorm_mode_32 3
		.amdhsa_float_denorm_mode_16_64 3
		.amdhsa_dx10_clamp 1
		.amdhsa_ieee_mode 1
		.amdhsa_fp16_overflow 0
		.amdhsa_workgroup_processor_mode 1
		.amdhsa_memory_ordered 1
		.amdhsa_forward_progress 0
		.amdhsa_shared_vgpr_count 0
		.amdhsa_exception_fp_ieee_invalid_op 0
		.amdhsa_exception_fp_denorm_src 0
		.amdhsa_exception_fp_ieee_div_zero 0
		.amdhsa_exception_fp_ieee_overflow 0
		.amdhsa_exception_fp_ieee_underflow 0
		.amdhsa_exception_fp_ieee_inexact 0
		.amdhsa_exception_int_div_zero 0
	.end_amdhsa_kernel
	.section	.text._ZN12_GLOBAL__N_121softmax_warp_backwardIfffLi6ELb1ELb0ELi32EEEvPT0_PKT_S5_iiiPKb,"axG",@progbits,_ZN12_GLOBAL__N_121softmax_warp_backwardIfffLi6ELb1ELb0ELi32EEEvPT0_PKT_S5_iiiPKb,comdat
.Lfunc_end241:
	.size	_ZN12_GLOBAL__N_121softmax_warp_backwardIfffLi6ELb1ELb0ELi32EEEvPT0_PKT_S5_iiiPKb, .Lfunc_end241-_ZN12_GLOBAL__N_121softmax_warp_backwardIfffLi6ELb1ELb0ELi32EEEvPT0_PKT_S5_iiiPKb
                                        ; -- End function
	.section	.AMDGPU.csdata,"",@progbits
; Kernel info:
; codeLenInByte = 1512
; NumSgprs: 18
; NumVgprs: 19
; ScratchSize: 0
; MemoryBound: 0
; FloatMode: 240
; IeeeMode: 1
; LDSByteSize: 0 bytes/workgroup (compile time only)
; SGPRBlocks: 2
; VGPRBlocks: 2
; NumSGPRsForWavesPerEU: 18
; NumVGPRsForWavesPerEU: 19
; Occupancy: 16
; WaveLimiterHint : 0
; COMPUTE_PGM_RSRC2:SCRATCH_EN: 0
; COMPUTE_PGM_RSRC2:USER_SGPR: 15
; COMPUTE_PGM_RSRC2:TRAP_HANDLER: 0
; COMPUTE_PGM_RSRC2:TGID_X_EN: 1
; COMPUTE_PGM_RSRC2:TGID_Y_EN: 0
; COMPUTE_PGM_RSRC2:TGID_Z_EN: 0
; COMPUTE_PGM_RSRC2:TIDIG_COMP_CNT: 1
	.section	.text._ZN12_GLOBAL__N_121softmax_warp_backwardIfffLi7ELb1ELb0ELi64EEEvPT0_PKT_S5_iiiPKb,"axG",@progbits,_ZN12_GLOBAL__N_121softmax_warp_backwardIfffLi7ELb1ELb0ELi64EEEvPT0_PKT_S5_iiiPKb,comdat
	.globl	_ZN12_GLOBAL__N_121softmax_warp_backwardIfffLi7ELb1ELb0ELi64EEEvPT0_PKT_S5_iiiPKb ; -- Begin function _ZN12_GLOBAL__N_121softmax_warp_backwardIfffLi7ELb1ELb0ELi64EEEvPT0_PKT_S5_iiiPKb
	.p2align	8
	.type	_ZN12_GLOBAL__N_121softmax_warp_backwardIfffLi7ELb1ELb0ELi64EEEvPT0_PKT_S5_iiiPKb,@function
_ZN12_GLOBAL__N_121softmax_warp_backwardIfffLi7ELb1ELb0ELi64EEEvPT0_PKT_S5_iiiPKb: ; @_ZN12_GLOBAL__N_121softmax_warp_backwardIfffLi7ELb1ELb0ELi64EEEvPT0_PKT_S5_iiiPKb
; %bb.0:
	s_clause 0x1
	s_load_b32 s2, s[0:1], 0x3c
	s_load_b128 s[4:7], s[0:1], 0x18
	v_bfe_u32 v1, v0, 10, 10
	v_and_b32_e32 v6, 63, v0
	s_load_b128 s[8:11], s[0:1], 0x0
	v_mov_b32_e32 v8, 0
	v_mov_b32_e32 v10, 0
	;; [unrolled: 1-line block ×3, first 2 shown]
	s_waitcnt lgkmcnt(0)
	s_lshr_b32 s2, s2, 16
	s_delay_alu instid0(SALU_CYCLE_1) | instskip(SKIP_3) | instid1(VALU_DEP_2)
	s_mul_i32 s15, s15, s2
	s_load_b64 s[2:3], s[0:1], 0x10
	v_add_lshl_u32 v2, s15, v1, 1
	v_cmp_gt_i32_e64 s0, s6, v6
	v_mad_u64_u32 v[0:1], null, v2, s5, v[6:7]
	v_sub_nc_u32_e32 v7, s4, v2
	s_delay_alu instid0(VALU_DEP_1) | instskip(NEXT) | instid1(VALU_DEP_3)
	v_cmp_lt_i32_e64 s1, 0, v7
	v_ashrrev_i32_e32 v1, 31, v0
	s_delay_alu instid0(VALU_DEP_1) | instskip(NEXT) | instid1(VALU_DEP_1)
	v_lshlrev_b64 v[0:1], 2, v[0:1]
	v_add_co_u32 v4, vcc_lo, s10, v0
	s_delay_alu instid0(VALU_DEP_2) | instskip(SKIP_4) | instid1(SALU_CYCLE_1)
	v_add_co_ci_u32_e32 v5, vcc_lo, s11, v1, vcc_lo
	s_waitcnt lgkmcnt(0)
	v_add_co_u32 v2, vcc_lo, s2, v0
	v_add_co_ci_u32_e32 v3, vcc_lo, s3, v1, vcc_lo
	s_and_b32 s3, s1, s0
	s_and_saveexec_b32 s2, s3
	s_cbranch_execz .LBB242_2
; %bb.1:
	global_load_b32 v10, v[4:5], off
	global_load_b32 v14, v[2:3], off
.LBB242_2:
	s_or_b32 exec_lo, exec_lo, s2
	v_or_b32_e32 v6, 64, v6
	v_mov_b32_e32 v12, 0
	s_delay_alu instid0(VALU_DEP_2) | instskip(SKIP_1) | instid1(SALU_CYCLE_1)
	v_cmp_gt_i32_e32 vcc_lo, s6, v6
	s_and_b32 s3, s1, vcc_lo
	s_and_saveexec_b32 s2, s3
	s_cbranch_execz .LBB242_4
; %bb.3:
	global_load_b32 v8, v[4:5], off offset:256
	global_load_b32 v12, v[2:3], off offset:256
.LBB242_4:
	s_or_b32 exec_lo, exec_lo, s2
	v_cmp_lt_i32_e64 s2, 1, v7
	v_dual_mov_b32 v6, 0 :: v_dual_mov_b32 v9, 0
	v_mov_b32_e32 v13, 0
	s_mov_b32 s7, 0
	s_delay_alu instid0(VALU_DEP_3) | instskip(NEXT) | instid1(SALU_CYCLE_1)
	s_and_b32 s3, s2, s0
	s_and_saveexec_b32 s4, s3
	s_cbranch_execz .LBB242_6
; %bb.5:
	s_lshl_b64 s[10:11], s[6:7], 2
	s_delay_alu instid0(SALU_CYCLE_1) | instskip(NEXT) | instid1(VALU_DEP_1)
	v_add_co_u32 v15, s3, v4, s10
	v_add_co_ci_u32_e64 v16, s3, s11, v5, s3
	v_add_co_u32 v17, s3, v2, s10
	s_delay_alu instid0(VALU_DEP_1)
	v_add_co_ci_u32_e64 v18, s3, s11, v3, s3
	global_load_b32 v9, v[15:16], off
	global_load_b32 v13, v[17:18], off
.LBB242_6:
	s_or_b32 exec_lo, exec_lo, s4
	v_mov_b32_e32 v11, 0
	s_and_b32 s2, s2, vcc_lo
	s_delay_alu instid0(SALU_CYCLE_1)
	s_and_saveexec_b32 s3, s2
	s_cbranch_execz .LBB242_8
; %bb.7:
	s_lshl_b64 s[4:5], s[6:7], 2
	s_delay_alu instid0(SALU_CYCLE_1) | instskip(NEXT) | instid1(VALU_DEP_1)
	v_add_co_u32 v4, s2, v4, s4
	v_add_co_ci_u32_e64 v5, s2, s5, v5, s2
	v_add_co_u32 v2, s2, v2, s4
	s_delay_alu instid0(VALU_DEP_1)
	v_add_co_ci_u32_e64 v3, s2, s5, v3, s2
	global_load_b32 v6, v[4:5], off offset:256
	global_load_b32 v11, v[2:3], off offset:256
.LBB242_8:
	s_or_b32 exec_lo, exec_lo, s3
	v_mbcnt_lo_u32_b32 v2, -1, 0
	s_waitcnt vmcnt(1)
	v_dual_add_f32 v4, 0, v10 :: v_dual_add_f32 v5, 0, v9
	s_delay_alu instid0(VALU_DEP_2) | instskip(SKIP_1) | instid1(VALU_DEP_2)
	v_or_b32_e32 v3, 32, v2
	v_xor_b32_e32 v16, 16, v2
	v_cmp_gt_i32_e64 s2, 64, v3
	s_delay_alu instid0(VALU_DEP_1) | instskip(NEXT) | instid1(VALU_DEP_3)
	v_cndmask_b32_e64 v3, v2, v3, s2
	v_cmp_gt_i32_e64 s2, 64, v16
	s_delay_alu instid0(VALU_DEP_2) | instskip(NEXT) | instid1(VALU_DEP_2)
	v_dual_add_f32 v4, v4, v8 :: v_dual_lshlrev_b32 v3, 2, v3
	v_cndmask_b32_e64 v16, v2, v16, s2
	v_add_f32_e32 v5, v5, v6
	ds_bpermute_b32 v15, v3, v4
	v_lshlrev_b32_e32 v16, 2, v16
	ds_bpermute_b32 v3, v3, v5
	s_waitcnt lgkmcnt(1)
	v_add_f32_e32 v4, v4, v15
	s_waitcnt lgkmcnt(0)
	v_add_f32_e32 v3, v5, v3
	ds_bpermute_b32 v5, v16, v4
	ds_bpermute_b32 v15, v16, v3
	v_xor_b32_e32 v16, 8, v2
	s_delay_alu instid0(VALU_DEP_1) | instskip(NEXT) | instid1(VALU_DEP_1)
	v_cmp_gt_i32_e64 s2, 64, v16
	v_cndmask_b32_e64 v16, v2, v16, s2
	s_delay_alu instid0(VALU_DEP_1)
	v_lshlrev_b32_e32 v16, 2, v16
	s_waitcnt lgkmcnt(0)
	v_dual_add_f32 v4, v4, v5 :: v_dual_add_f32 v3, v3, v15
	ds_bpermute_b32 v5, v16, v4
	ds_bpermute_b32 v15, v16, v3
	v_xor_b32_e32 v16, 4, v2
	s_delay_alu instid0(VALU_DEP_1) | instskip(NEXT) | instid1(VALU_DEP_1)
	v_cmp_gt_i32_e64 s2, 64, v16
	v_cndmask_b32_e64 v16, v2, v16, s2
	s_waitcnt lgkmcnt(0)
	s_delay_alu instid0(VALU_DEP_1)
	v_dual_add_f32 v3, v3, v15 :: v_dual_lshlrev_b32 v16, 2, v16
	ds_bpermute_b32 v15, v16, v3
	s_waitcnt lgkmcnt(0)
	v_dual_add_f32 v4, v4, v5 :: v_dual_add_f32 v3, v3, v15
	ds_bpermute_b32 v5, v16, v4
	v_xor_b32_e32 v16, 2, v2
	s_delay_alu instid0(VALU_DEP_1) | instskip(NEXT) | instid1(VALU_DEP_1)
	v_cmp_gt_i32_e64 s2, 64, v16
	v_cndmask_b32_e64 v16, v2, v16, s2
	s_delay_alu instid0(VALU_DEP_1)
	v_lshlrev_b32_e32 v16, 2, v16
	s_waitcnt lgkmcnt(0)
	v_add_f32_e32 v4, v4, v5
	ds_bpermute_b32 v15, v16, v3
	ds_bpermute_b32 v5, v16, v4
	v_xor_b32_e32 v16, 1, v2
	s_delay_alu instid0(VALU_DEP_1) | instskip(NEXT) | instid1(VALU_DEP_1)
	v_cmp_gt_i32_e64 s2, 64, v16
	v_cndmask_b32_e64 v2, v2, v16, s2
	s_delay_alu instid0(VALU_DEP_1)
	v_lshlrev_b32_e32 v16, 2, v2
	s_waitcnt lgkmcnt(1)
	v_add_f32_e32 v2, v3, v15
	s_waitcnt lgkmcnt(0)
	v_add_f32_e32 v4, v4, v5
	ds_bpermute_b32 v3, v16, v2
	ds_bpermute_b32 v5, v16, v4
	s_and_saveexec_b32 s2, s1
	s_cbranch_execz .LBB242_12
; %bb.9:
	v_add_co_u32 v0, s1, s8, v0
	s_delay_alu instid0(VALU_DEP_1)
	v_add_co_ci_u32_e64 v1, s1, s9, v1, s1
	s_waitcnt lgkmcnt(0)
	v_add_f32_e32 v4, v4, v5
	s_and_saveexec_b32 s2, s0
	s_cbranch_execnz .LBB242_13
; %bb.10:
	s_or_b32 exec_lo, exec_lo, s2
	s_and_saveexec_b32 s2, vcc_lo
	s_cbranch_execnz .LBB242_14
.LBB242_11:
	s_or_b32 exec_lo, exec_lo, s2
	v_cmp_ne_u32_e64 s1, 1, v7
	s_delay_alu instid0(VALU_DEP_1)
	s_and_b32 exec_lo, exec_lo, s1
	s_cbranch_execnz .LBB242_15
.LBB242_12:
	s_nop 0
	s_sendmsg sendmsg(MSG_DEALLOC_VGPRS)
	s_endpgm
.LBB242_13:
	s_waitcnt vmcnt(0)
	v_mul_f32_e32 v5, 0x3fb8aa3b, v14
	v_cmp_ngt_f32_e64 s1, 0xc2ce8ed0, v14
	s_delay_alu instid0(VALU_DEP_2) | instskip(SKIP_1) | instid1(VALU_DEP_1)
	v_rndne_f32_e32 v15, v5
	v_fma_f32 v16, 0x3fb8aa3b, v14, -v5
	v_dual_sub_f32 v5, v5, v15 :: v_dual_fmamk_f32 v16, v14, 0x32a5705f, v16
	v_cvt_i32_f32_e32 v15, v15
	s_delay_alu instid0(VALU_DEP_2) | instskip(NEXT) | instid1(VALU_DEP_1)
	v_add_f32_e32 v5, v5, v16
	v_exp_f32_e32 v5, v5
	s_waitcnt_depctr 0xfff
	v_ldexp_f32 v5, v5, v15
	s_delay_alu instid0(VALU_DEP_1) | instskip(SKIP_1) | instid1(VALU_DEP_1)
	v_cndmask_b32_e64 v5, 0, v5, s1
	v_cmp_nlt_f32_e64 s1, 0x42b17218, v14
	v_cndmask_b32_e64 v5, 0x7f800000, v5, s1
	s_delay_alu instid0(VALU_DEP_1)
	v_fma_f32 v5, -v4, v5, v10
	global_store_b32 v[0:1], v5, off
	s_or_b32 exec_lo, exec_lo, s2
	s_and_saveexec_b32 s2, vcc_lo
	s_cbranch_execz .LBB242_11
.LBB242_14:
	s_waitcnt vmcnt(0)
	v_mul_f32_e32 v5, 0x3fb8aa3b, v12
	v_cmp_ngt_f32_e64 s1, 0xc2ce8ed0, v12
	s_delay_alu instid0(VALU_DEP_2) | instskip(SKIP_1) | instid1(VALU_DEP_1)
	v_rndne_f32_e32 v10, v5
	v_fma_f32 v14, 0x3fb8aa3b, v12, -v5
	v_dual_sub_f32 v5, v5, v10 :: v_dual_fmamk_f32 v14, v12, 0x32a5705f, v14
	v_cvt_i32_f32_e32 v10, v10
	s_delay_alu instid0(VALU_DEP_2) | instskip(NEXT) | instid1(VALU_DEP_1)
	v_add_f32_e32 v5, v5, v14
	v_exp_f32_e32 v5, v5
	s_waitcnt_depctr 0xfff
	v_ldexp_f32 v5, v5, v10
	s_delay_alu instid0(VALU_DEP_1) | instskip(SKIP_1) | instid1(VALU_DEP_1)
	v_cndmask_b32_e64 v5, 0, v5, s1
	v_cmp_nlt_f32_e64 s1, 0x42b17218, v12
	v_cndmask_b32_e64 v5, 0x7f800000, v5, s1
	s_delay_alu instid0(VALU_DEP_1) | instskip(SKIP_3) | instid1(VALU_DEP_1)
	v_fma_f32 v4, -v4, v5, v8
	global_store_b32 v[0:1], v4, off offset:256
	s_or_b32 exec_lo, exec_lo, s2
	v_cmp_ne_u32_e64 s1, 1, v7
	s_and_b32 exec_lo, exec_lo, s1
	s_cbranch_execz .LBB242_12
.LBB242_15:
	v_add_f32_e32 v2, v2, v3
	s_and_saveexec_b32 s1, s0
	s_cbranch_execz .LBB242_17
; %bb.16:
	s_waitcnt vmcnt(0)
	v_mul_f32_e32 v3, 0x3fb8aa3b, v13
	v_cmp_ngt_f32_e64 s0, 0xc2ce8ed0, v13
	s_lshl_b64 s[2:3], s[6:7], 2
	s_delay_alu instid0(VALU_DEP_2) | instskip(SKIP_1) | instid1(VALU_DEP_2)
	v_rndne_f32_e32 v4, v3
	v_fma_f32 v5, 0x3fb8aa3b, v13, -v3
	v_sub_f32_e32 v3, v3, v4
	s_delay_alu instid0(VALU_DEP_2) | instskip(SKIP_1) | instid1(VALU_DEP_2)
	v_fmamk_f32 v5, v13, 0x32a5705f, v5
	v_cvt_i32_f32_e32 v4, v4
	v_add_f32_e32 v3, v3, v5
	s_delay_alu instid0(VALU_DEP_1) | instskip(SKIP_2) | instid1(VALU_DEP_1)
	v_exp_f32_e32 v3, v3
	s_waitcnt_depctr 0xfff
	v_ldexp_f32 v3, v3, v4
	v_cndmask_b32_e64 v3, 0, v3, s0
	v_cmp_nlt_f32_e64 s0, 0x42b17218, v13
	s_delay_alu instid0(VALU_DEP_1) | instskip(NEXT) | instid1(VALU_DEP_1)
	v_cndmask_b32_e64 v3, 0x7f800000, v3, s0
	v_fma_f32 v5, -v2, v3, v9
	v_add_co_u32 v3, s0, v0, s2
	s_delay_alu instid0(VALU_DEP_1)
	v_add_co_ci_u32_e64 v4, s0, s3, v1, s0
	global_store_b32 v[3:4], v5, off
.LBB242_17:
	s_or_b32 exec_lo, exec_lo, s1
	s_delay_alu instid0(SALU_CYCLE_1)
	s_and_b32 exec_lo, exec_lo, vcc_lo
	s_cbranch_execz .LBB242_12
; %bb.18:
	s_waitcnt vmcnt(0)
	v_mul_f32_e32 v3, 0x3fb8aa3b, v11
	v_cmp_ngt_f32_e32 vcc_lo, 0xc2ce8ed0, v11
	s_ashr_i32 s7, s6, 31
	s_delay_alu instid0(SALU_CYCLE_1) | instskip(NEXT) | instid1(VALU_DEP_2)
	s_lshl_b64 s[0:1], s[6:7], 2
	v_rndne_f32_e32 v4, v3
	v_fma_f32 v5, 0x3fb8aa3b, v11, -v3
	s_delay_alu instid0(VALU_DEP_2) | instskip(NEXT) | instid1(VALU_DEP_2)
	v_sub_f32_e32 v3, v3, v4
	v_fmamk_f32 v5, v11, 0x32a5705f, v5
	v_cvt_i32_f32_e32 v4, v4
	s_delay_alu instid0(VALU_DEP_2) | instskip(NEXT) | instid1(VALU_DEP_1)
	v_add_f32_e32 v3, v3, v5
	v_exp_f32_e32 v3, v3
	s_waitcnt_depctr 0xfff
	v_ldexp_f32 v3, v3, v4
	s_delay_alu instid0(VALU_DEP_1) | instskip(SKIP_1) | instid1(VALU_DEP_2)
	v_cndmask_b32_e32 v3, 0, v3, vcc_lo
	v_cmp_nlt_f32_e32 vcc_lo, 0x42b17218, v11
	v_cndmask_b32_e32 v3, 0x7f800000, v3, vcc_lo
	v_add_co_u32 v0, vcc_lo, v0, s0
	v_add_co_ci_u32_e32 v1, vcc_lo, s1, v1, vcc_lo
	s_delay_alu instid0(VALU_DEP_3)
	v_fma_f32 v2, -v2, v3, v6
	global_store_b32 v[0:1], v2, off offset:256
	s_nop 0
	s_sendmsg sendmsg(MSG_DEALLOC_VGPRS)
	s_endpgm
	.section	.rodata,"a",@progbits
	.p2align	6, 0x0
	.amdhsa_kernel _ZN12_GLOBAL__N_121softmax_warp_backwardIfffLi7ELb1ELb0ELi64EEEvPT0_PKT_S5_iiiPKb
		.amdhsa_group_segment_fixed_size 0
		.amdhsa_private_segment_fixed_size 0
		.amdhsa_kernarg_size 304
		.amdhsa_user_sgpr_count 15
		.amdhsa_user_sgpr_dispatch_ptr 0
		.amdhsa_user_sgpr_queue_ptr 0
		.amdhsa_user_sgpr_kernarg_segment_ptr 1
		.amdhsa_user_sgpr_dispatch_id 0
		.amdhsa_user_sgpr_private_segment_size 0
		.amdhsa_wavefront_size32 1
		.amdhsa_uses_dynamic_stack 0
		.amdhsa_enable_private_segment 0
		.amdhsa_system_sgpr_workgroup_id_x 1
		.amdhsa_system_sgpr_workgroup_id_y 0
		.amdhsa_system_sgpr_workgroup_id_z 0
		.amdhsa_system_sgpr_workgroup_info 0
		.amdhsa_system_vgpr_workitem_id 1
		.amdhsa_next_free_vgpr 19
		.amdhsa_next_free_sgpr 16
		.amdhsa_reserve_vcc 1
		.amdhsa_float_round_mode_32 0
		.amdhsa_float_round_mode_16_64 0
		.amdhsa_float_denorm_mode_32 3
		.amdhsa_float_denorm_mode_16_64 3
		.amdhsa_dx10_clamp 1
		.amdhsa_ieee_mode 1
		.amdhsa_fp16_overflow 0
		.amdhsa_workgroup_processor_mode 1
		.amdhsa_memory_ordered 1
		.amdhsa_forward_progress 0
		.amdhsa_shared_vgpr_count 0
		.amdhsa_exception_fp_ieee_invalid_op 0
		.amdhsa_exception_fp_denorm_src 0
		.amdhsa_exception_fp_ieee_div_zero 0
		.amdhsa_exception_fp_ieee_overflow 0
		.amdhsa_exception_fp_ieee_underflow 0
		.amdhsa_exception_fp_ieee_inexact 0
		.amdhsa_exception_int_div_zero 0
	.end_amdhsa_kernel
	.section	.text._ZN12_GLOBAL__N_121softmax_warp_backwardIfffLi7ELb1ELb0ELi64EEEvPT0_PKT_S5_iiiPKb,"axG",@progbits,_ZN12_GLOBAL__N_121softmax_warp_backwardIfffLi7ELb1ELb0ELi64EEEvPT0_PKT_S5_iiiPKb,comdat
.Lfunc_end242:
	.size	_ZN12_GLOBAL__N_121softmax_warp_backwardIfffLi7ELb1ELb0ELi64EEEvPT0_PKT_S5_iiiPKb, .Lfunc_end242-_ZN12_GLOBAL__N_121softmax_warp_backwardIfffLi7ELb1ELb0ELi64EEEvPT0_PKT_S5_iiiPKb
                                        ; -- End function
	.section	.AMDGPU.csdata,"",@progbits
; Kernel info:
; codeLenInByte = 1572
; NumSgprs: 18
; NumVgprs: 19
; ScratchSize: 0
; MemoryBound: 0
; FloatMode: 240
; IeeeMode: 1
; LDSByteSize: 0 bytes/workgroup (compile time only)
; SGPRBlocks: 2
; VGPRBlocks: 2
; NumSGPRsForWavesPerEU: 18
; NumVGPRsForWavesPerEU: 19
; Occupancy: 16
; WaveLimiterHint : 0
; COMPUTE_PGM_RSRC2:SCRATCH_EN: 0
; COMPUTE_PGM_RSRC2:USER_SGPR: 15
; COMPUTE_PGM_RSRC2:TRAP_HANDLER: 0
; COMPUTE_PGM_RSRC2:TGID_X_EN: 1
; COMPUTE_PGM_RSRC2:TGID_Y_EN: 0
; COMPUTE_PGM_RSRC2:TGID_Z_EN: 0
; COMPUTE_PGM_RSRC2:TIDIG_COMP_CNT: 1
	.section	.text._ZN12_GLOBAL__N_121softmax_warp_backwardIfffLi7ELb1ELb0ELi32EEEvPT0_PKT_S5_iiiPKb,"axG",@progbits,_ZN12_GLOBAL__N_121softmax_warp_backwardIfffLi7ELb1ELb0ELi32EEEvPT0_PKT_S5_iiiPKb,comdat
	.globl	_ZN12_GLOBAL__N_121softmax_warp_backwardIfffLi7ELb1ELb0ELi32EEEvPT0_PKT_S5_iiiPKb ; -- Begin function _ZN12_GLOBAL__N_121softmax_warp_backwardIfffLi7ELb1ELb0ELi32EEEvPT0_PKT_S5_iiiPKb
	.p2align	8
	.type	_ZN12_GLOBAL__N_121softmax_warp_backwardIfffLi7ELb1ELb0ELi32EEEvPT0_PKT_S5_iiiPKb,@function
_ZN12_GLOBAL__N_121softmax_warp_backwardIfffLi7ELb1ELb0ELi32EEEvPT0_PKT_S5_iiiPKb: ; @_ZN12_GLOBAL__N_121softmax_warp_backwardIfffLi7ELb1ELb0ELi32EEEvPT0_PKT_S5_iiiPKb
; %bb.0:
	s_clause 0x1
	s_load_b32 s2, s[0:1], 0x3c
	s_load_b128 s[4:7], s[0:1], 0x18
	v_bfe_u32 v1, v0, 10, 10
	v_dual_mov_b32 v17, 0 :: v_dual_and_b32 v6, 31, v0
	s_clause 0x1
	s_load_b128 s[8:11], s[0:1], 0x0
	s_load_b64 s[0:1], s[0:1], 0x10
	v_dual_mov_b32 v10, 0 :: v_dual_mov_b32 v21, 0
	s_waitcnt lgkmcnt(0)
	s_lshr_b32 s2, s2, 16
	s_delay_alu instid0(SALU_CYCLE_1) | instskip(SKIP_2) | instid1(VALU_DEP_1)
	s_mul_i32 s15, s15, s2
	v_cmp_gt_i32_e64 s2, s6, v6
	v_add_lshl_u32 v2, s15, v1, 1
	v_mad_u64_u32 v[0:1], null, v2, s5, v[6:7]
	v_sub_nc_u32_e32 v7, s4, v2
	s_delay_alu instid0(VALU_DEP_1) | instskip(NEXT) | instid1(VALU_DEP_3)
	v_cmp_lt_i32_e64 s3, 0, v7
	v_ashrrev_i32_e32 v1, 31, v0
	s_delay_alu instid0(VALU_DEP_1) | instskip(NEXT) | instid1(VALU_DEP_1)
	v_lshlrev_b64 v[0:1], 2, v[0:1]
	v_add_co_u32 v4, vcc_lo, s10, v0
	s_delay_alu instid0(VALU_DEP_2) | instskip(SKIP_3) | instid1(SALU_CYCLE_1)
	v_add_co_ci_u32_e32 v5, vcc_lo, s11, v1, vcc_lo
	v_add_co_u32 v2, vcc_lo, s0, v0
	v_add_co_ci_u32_e32 v3, vcc_lo, s1, v1, vcc_lo
	s_and_b32 s1, s3, s2
	s_and_saveexec_b32 s0, s1
	s_cbranch_execz .LBB243_2
; %bb.1:
	global_load_b32 v17, v[4:5], off
	global_load_b32 v21, v[2:3], off
.LBB243_2:
	s_or_b32 exec_lo, exec_lo, s0
	v_or_b32_e32 v8, 32, v6
	v_mov_b32_e32 v20, 0
	s_delay_alu instid0(VALU_DEP_2) | instskip(NEXT) | instid1(VALU_DEP_1)
	v_cmp_gt_i32_e64 s1, s6, v8
	s_and_b32 s4, s3, s1
	s_delay_alu instid0(SALU_CYCLE_1)
	s_and_saveexec_b32 s0, s4
	s_cbranch_execz .LBB243_4
; %bb.3:
	global_load_b32 v10, v[4:5], off offset:128
	global_load_b32 v20, v[2:3], off offset:128
.LBB243_4:
	s_or_b32 exec_lo, exec_lo, s0
	v_or_b32_e32 v8, 64, v6
	v_mov_b32_e32 v14, 0
	v_mov_b32_e32 v18, 0
	s_delay_alu instid0(VALU_DEP_3) | instskip(SKIP_1) | instid1(VALU_DEP_2)
	v_cmp_gt_i32_e64 s0, s6, v8
	v_mov_b32_e32 v8, 0
	s_and_b32 s5, s3, s0
	s_delay_alu instid0(SALU_CYCLE_1)
	s_and_saveexec_b32 s4, s5
	s_cbranch_execz .LBB243_6
; %bb.5:
	global_load_b32 v14, v[4:5], off offset:256
	global_load_b32 v18, v[2:3], off offset:256
.LBB243_6:
	s_or_b32 exec_lo, exec_lo, s4
	v_or_b32_e32 v6, 0x60, v6
	v_mov_b32_e32 v15, 0
	s_delay_alu instid0(VALU_DEP_2) | instskip(SKIP_1) | instid1(SALU_CYCLE_1)
	v_cmp_gt_i32_e32 vcc_lo, s6, v6
	s_and_b32 s5, s3, vcc_lo
	s_and_saveexec_b32 s4, s5
	s_cbranch_execz .LBB243_8
; %bb.7:
	global_load_b32 v8, v[4:5], off offset:384
	global_load_b32 v15, v[2:3], off offset:384
.LBB243_8:
	s_or_b32 exec_lo, exec_lo, s4
	v_cmp_lt_i32_e64 s4, 1, v7
	v_dual_mov_b32 v6, 0 :: v_dual_mov_b32 v11, 0
	v_mov_b32_e32 v12, 0
	s_mov_b32 s7, 0
	s_delay_alu instid0(VALU_DEP_3) | instskip(NEXT) | instid1(SALU_CYCLE_1)
	s_and_b32 s5, s4, s2
	s_and_saveexec_b32 s10, s5
	s_cbranch_execz .LBB243_10
; %bb.9:
	s_lshl_b64 s[12:13], s[6:7], 2
	s_delay_alu instid0(SALU_CYCLE_1) | instskip(NEXT) | instid1(VALU_DEP_1)
	v_add_co_u32 v11, s5, v4, s12
	v_add_co_ci_u32_e64 v12, s5, s13, v5, s5
	v_add_co_u32 v22, s5, v2, s12
	s_delay_alu instid0(VALU_DEP_1)
	v_add_co_ci_u32_e64 v23, s5, s13, v3, s5
	global_load_b32 v11, v[11:12], off
	global_load_b32 v12, v[22:23], off
.LBB243_10:
	s_or_b32 exec_lo, exec_lo, s10
	v_mov_b32_e32 v13, 0
	s_and_b32 s5, s4, s1
	s_delay_alu instid0(SALU_CYCLE_1)
	s_and_saveexec_b32 s10, s5
	s_cbranch_execz .LBB243_12
; %bb.11:
	s_lshl_b64 s[12:13], s[6:7], 2
	s_delay_alu instid0(SALU_CYCLE_1) | instskip(NEXT) | instid1(VALU_DEP_1)
	v_add_co_u32 v22, s5, v4, s12
	v_add_co_ci_u32_e64 v23, s5, s13, v5, s5
	v_add_co_u32 v24, s5, v2, s12
	s_delay_alu instid0(VALU_DEP_1)
	v_add_co_ci_u32_e64 v25, s5, s13, v3, s5
	global_load_b32 v6, v[22:23], off offset:128
	global_load_b32 v13, v[24:25], off offset:128
.LBB243_12:
	s_or_b32 exec_lo, exec_lo, s10
	v_dual_mov_b32 v9, 0 :: v_dual_mov_b32 v16, 0
	v_mov_b32_e32 v19, 0
	s_and_b32 s5, s4, s0
	s_delay_alu instid0(SALU_CYCLE_1)
	s_and_saveexec_b32 s10, s5
	s_cbranch_execz .LBB243_14
; %bb.13:
	s_lshl_b64 s[12:13], s[6:7], 2
	s_delay_alu instid0(SALU_CYCLE_1) | instskip(NEXT) | instid1(VALU_DEP_1)
	v_add_co_u32 v22, s5, v4, s12
	v_add_co_ci_u32_e64 v23, s5, s13, v5, s5
	v_add_co_u32 v24, s5, v2, s12
	s_delay_alu instid0(VALU_DEP_1)
	v_add_co_ci_u32_e64 v25, s5, s13, v3, s5
	global_load_b32 v16, v[22:23], off offset:256
	global_load_b32 v19, v[24:25], off offset:256
.LBB243_14:
	s_or_b32 exec_lo, exec_lo, s10
	v_mov_b32_e32 v22, 0
	s_and_b32 s4, s4, vcc_lo
	s_delay_alu instid0(SALU_CYCLE_1)
	s_and_saveexec_b32 s5, s4
	s_cbranch_execz .LBB243_16
; %bb.15:
	s_lshl_b64 s[10:11], s[6:7], 2
	s_delay_alu instid0(SALU_CYCLE_1) | instskip(NEXT) | instid1(VALU_DEP_1)
	v_add_co_u32 v4, s4, v4, s10
	v_add_co_ci_u32_e64 v5, s4, s11, v5, s4
	v_add_co_u32 v2, s4, v2, s10
	s_delay_alu instid0(VALU_DEP_1)
	v_add_co_ci_u32_e64 v3, s4, s11, v3, s4
	global_load_b32 v9, v[4:5], off offset:384
	global_load_b32 v22, v[2:3], off offset:384
.LBB243_16:
	s_or_b32 exec_lo, exec_lo, s5
	v_mbcnt_lo_u32_b32 v3, -1, 0
	s_waitcnt vmcnt(1)
	v_add_f32_e32 v2, 0, v17
	s_delay_alu instid0(VALU_DEP_2) | instskip(NEXT) | instid1(VALU_DEP_2)
	v_xor_b32_e32 v5, 16, v3
	v_add_f32_e32 v2, v2, v10
	v_xor_b32_e32 v24, 8, v3
	s_delay_alu instid0(VALU_DEP_3) | instskip(NEXT) | instid1(VALU_DEP_3)
	v_cmp_gt_i32_e64 s4, 32, v5
	v_add_f32_e32 v2, v2, v14
	s_delay_alu instid0(VALU_DEP_2) | instskip(SKIP_1) | instid1(VALU_DEP_3)
	v_cndmask_b32_e64 v5, v3, v5, s4
	v_add_f32_e32 v4, 0, v11
	v_add_f32_e32 v2, v2, v8
	v_cmp_gt_i32_e64 s4, 32, v24
	s_delay_alu instid0(VALU_DEP_3) | instskip(NEXT) | instid1(VALU_DEP_2)
	v_dual_add_f32 v4, v4, v6 :: v_dual_lshlrev_b32 v5, 2, v5
	v_cndmask_b32_e64 v24, v3, v24, s4
	ds_bpermute_b32 v23, v5, v2
	v_add_f32_e32 v4, v4, v16
	v_lshlrev_b32_e32 v24, 2, v24
	s_delay_alu instid0(VALU_DEP_2)
	v_add_f32_e32 v4, v4, v9
	ds_bpermute_b32 v5, v5, v4
	s_waitcnt lgkmcnt(1)
	v_add_f32_e32 v2, v2, v23
	s_waitcnt lgkmcnt(0)
	v_add_f32_e32 v4, v4, v5
	ds_bpermute_b32 v5, v24, v2
	ds_bpermute_b32 v23, v24, v4
	v_xor_b32_e32 v24, 4, v3
	s_delay_alu instid0(VALU_DEP_1) | instskip(NEXT) | instid1(VALU_DEP_1)
	v_cmp_gt_i32_e64 s4, 32, v24
	v_cndmask_b32_e64 v24, v3, v24, s4
	s_delay_alu instid0(VALU_DEP_1)
	v_lshlrev_b32_e32 v24, 2, v24
	s_waitcnt lgkmcnt(1)
	v_add_f32_e32 v2, v2, v5
	s_waitcnt lgkmcnt(0)
	v_add_f32_e32 v4, v4, v23
	ds_bpermute_b32 v5, v24, v2
	ds_bpermute_b32 v23, v24, v4
	v_xor_b32_e32 v24, 2, v3
	s_delay_alu instid0(VALU_DEP_1) | instskip(NEXT) | instid1(VALU_DEP_1)
	v_cmp_gt_i32_e64 s4, 32, v24
	v_cndmask_b32_e64 v24, v3, v24, s4
	s_delay_alu instid0(VALU_DEP_1)
	v_lshlrev_b32_e32 v24, 2, v24
	s_waitcnt lgkmcnt(0)
	v_dual_add_f32 v2, v2, v5 :: v_dual_add_f32 v5, v4, v23
	ds_bpermute_b32 v4, v24, v2
	ds_bpermute_b32 v23, v24, v5
	v_xor_b32_e32 v24, 1, v3
	s_delay_alu instid0(VALU_DEP_1) | instskip(NEXT) | instid1(VALU_DEP_1)
	v_cmp_gt_i32_e64 s4, 32, v24
	v_cndmask_b32_e64 v3, v3, v24, s4
	s_waitcnt lgkmcnt(1)
	s_delay_alu instid0(VALU_DEP_1)
	v_dual_add_f32 v4, v2, v4 :: v_dual_lshlrev_b32 v3, 2, v3
	s_waitcnt lgkmcnt(0)
	v_add_f32_e32 v2, v5, v23
	ds_bpermute_b32 v5, v3, v4
	ds_bpermute_b32 v3, v3, v2
	s_and_saveexec_b32 s4, s3
	s_cbranch_execz .LBB243_22
; %bb.17:
	v_add_co_u32 v0, s3, s8, v0
	s_delay_alu instid0(VALU_DEP_1)
	v_add_co_ci_u32_e64 v1, s3, s9, v1, s3
	s_waitcnt lgkmcnt(1)
	v_add_f32_e32 v4, v4, v5
	s_and_saveexec_b32 s4, s2
	s_cbranch_execnz .LBB243_23
; %bb.18:
	s_or_b32 exec_lo, exec_lo, s4
	s_and_saveexec_b32 s4, s1
	s_cbranch_execnz .LBB243_24
.LBB243_19:
	s_or_b32 exec_lo, exec_lo, s4
	s_and_saveexec_b32 s4, s0
	s_cbranch_execnz .LBB243_25
.LBB243_20:
	s_or_b32 exec_lo, exec_lo, s4
	s_and_saveexec_b32 s4, vcc_lo
	s_cbranch_execnz .LBB243_26
.LBB243_21:
	s_or_b32 exec_lo, exec_lo, s4
	v_cmp_ne_u32_e64 s3, 1, v7
	s_delay_alu instid0(VALU_DEP_1)
	s_and_b32 exec_lo, exec_lo, s3
	s_cbranch_execnz .LBB243_27
.LBB243_22:
	s_nop 0
	s_sendmsg sendmsg(MSG_DEALLOC_VGPRS)
	s_endpgm
.LBB243_23:
	s_waitcnt vmcnt(0)
	v_mul_f32_e32 v5, 0x3fb8aa3b, v21
	v_cmp_ngt_f32_e64 s3, 0xc2ce8ed0, v21
	s_delay_alu instid0(VALU_DEP_2) | instskip(SKIP_1) | instid1(VALU_DEP_2)
	v_rndne_f32_e32 v23, v5
	v_fma_f32 v24, 0x3fb8aa3b, v21, -v5
	v_sub_f32_e32 v5, v5, v23
	s_delay_alu instid0(VALU_DEP_2) | instskip(SKIP_1) | instid1(VALU_DEP_2)
	v_fmamk_f32 v24, v21, 0x32a5705f, v24
	v_cvt_i32_f32_e32 v23, v23
	v_add_f32_e32 v5, v5, v24
	s_delay_alu instid0(VALU_DEP_1) | instskip(SKIP_2) | instid1(VALU_DEP_1)
	v_exp_f32_e32 v5, v5
	s_waitcnt_depctr 0xfff
	v_ldexp_f32 v5, v5, v23
	v_cndmask_b32_e64 v5, 0, v5, s3
	v_cmp_nlt_f32_e64 s3, 0x42b17218, v21
	s_delay_alu instid0(VALU_DEP_1) | instskip(NEXT) | instid1(VALU_DEP_1)
	v_cndmask_b32_e64 v5, 0x7f800000, v5, s3
	v_fma_f32 v5, -v4, v5, v17
	global_store_b32 v[0:1], v5, off
	s_or_b32 exec_lo, exec_lo, s4
	s_and_saveexec_b32 s4, s1
	s_cbranch_execz .LBB243_19
.LBB243_24:
	s_waitcnt vmcnt(0)
	v_mul_f32_e32 v5, 0x3fb8aa3b, v20
	v_cmp_ngt_f32_e64 s3, 0xc2ce8ed0, v20
	s_delay_alu instid0(VALU_DEP_2) | instskip(SKIP_1) | instid1(VALU_DEP_2)
	v_rndne_f32_e32 v17, v5
	v_fma_f32 v21, 0x3fb8aa3b, v20, -v5
	v_sub_f32_e32 v5, v5, v17
	s_delay_alu instid0(VALU_DEP_2) | instskip(SKIP_1) | instid1(VALU_DEP_2)
	v_fmamk_f32 v21, v20, 0x32a5705f, v21
	v_cvt_i32_f32_e32 v17, v17
	v_add_f32_e32 v5, v5, v21
	s_delay_alu instid0(VALU_DEP_1) | instskip(SKIP_2) | instid1(VALU_DEP_1)
	v_exp_f32_e32 v5, v5
	s_waitcnt_depctr 0xfff
	v_ldexp_f32 v5, v5, v17
	v_cndmask_b32_e64 v5, 0, v5, s3
	v_cmp_nlt_f32_e64 s3, 0x42b17218, v20
	s_delay_alu instid0(VALU_DEP_1) | instskip(NEXT) | instid1(VALU_DEP_1)
	v_cndmask_b32_e64 v5, 0x7f800000, v5, s3
	v_fma_f32 v5, -v4, v5, v10
	global_store_b32 v[0:1], v5, off offset:128
	s_or_b32 exec_lo, exec_lo, s4
	s_and_saveexec_b32 s4, s0
	s_cbranch_execz .LBB243_20
.LBB243_25:
	s_waitcnt vmcnt(0)
	v_mul_f32_e32 v5, 0x3fb8aa3b, v18
	v_cmp_ngt_f32_e64 s3, 0xc2ce8ed0, v18
	s_delay_alu instid0(VALU_DEP_2) | instskip(SKIP_1) | instid1(VALU_DEP_2)
	v_rndne_f32_e32 v10, v5
	v_fma_f32 v17, 0x3fb8aa3b, v18, -v5
	v_sub_f32_e32 v5, v5, v10
	s_delay_alu instid0(VALU_DEP_2) | instskip(SKIP_1) | instid1(VALU_DEP_2)
	v_fmamk_f32 v17, v18, 0x32a5705f, v17
	v_cvt_i32_f32_e32 v10, v10
	v_add_f32_e32 v5, v5, v17
	s_delay_alu instid0(VALU_DEP_1) | instskip(SKIP_2) | instid1(VALU_DEP_1)
	v_exp_f32_e32 v5, v5
	s_waitcnt_depctr 0xfff
	v_ldexp_f32 v5, v5, v10
	v_cndmask_b32_e64 v5, 0, v5, s3
	v_cmp_nlt_f32_e64 s3, 0x42b17218, v18
	s_delay_alu instid0(VALU_DEP_1) | instskip(NEXT) | instid1(VALU_DEP_1)
	v_cndmask_b32_e64 v5, 0x7f800000, v5, s3
	v_fma_f32 v5, -v4, v5, v14
	global_store_b32 v[0:1], v5, off offset:256
	s_or_b32 exec_lo, exec_lo, s4
	s_and_saveexec_b32 s4, vcc_lo
	s_cbranch_execz .LBB243_21
.LBB243_26:
	s_waitcnt vmcnt(0)
	v_mul_f32_e32 v5, 0x3fb8aa3b, v15
	v_cmp_ngt_f32_e64 s3, 0xc2ce8ed0, v15
	s_delay_alu instid0(VALU_DEP_2) | instskip(SKIP_1) | instid1(VALU_DEP_1)
	v_rndne_f32_e32 v10, v5
	v_fma_f32 v14, 0x3fb8aa3b, v15, -v5
	v_dual_sub_f32 v5, v5, v10 :: v_dual_fmamk_f32 v14, v15, 0x32a5705f, v14
	v_cvt_i32_f32_e32 v10, v10
	s_delay_alu instid0(VALU_DEP_2) | instskip(NEXT) | instid1(VALU_DEP_1)
	v_add_f32_e32 v5, v5, v14
	v_exp_f32_e32 v5, v5
	s_waitcnt_depctr 0xfff
	v_ldexp_f32 v5, v5, v10
	s_delay_alu instid0(VALU_DEP_1) | instskip(SKIP_1) | instid1(VALU_DEP_1)
	v_cndmask_b32_e64 v5, 0, v5, s3
	v_cmp_nlt_f32_e64 s3, 0x42b17218, v15
	v_cndmask_b32_e64 v5, 0x7f800000, v5, s3
	s_delay_alu instid0(VALU_DEP_1) | instskip(SKIP_3) | instid1(VALU_DEP_1)
	v_fma_f32 v4, -v4, v5, v8
	global_store_b32 v[0:1], v4, off offset:384
	s_or_b32 exec_lo, exec_lo, s4
	v_cmp_ne_u32_e64 s3, 1, v7
	s_and_b32 exec_lo, exec_lo, s3
	s_cbranch_execz .LBB243_22
.LBB243_27:
	s_ashr_i32 s7, s6, 31
	s_waitcnt lgkmcnt(0)
	v_add_f32_e32 v2, v2, v3
	s_lshl_b64 s[4:5], s[6:7], 2
	s_delay_alu instid0(SALU_CYCLE_1) | instskip(NEXT) | instid1(VALU_DEP_1)
	v_add_co_u32 v0, s3, v0, s4
	v_add_co_ci_u32_e64 v1, s3, s5, v1, s3
	s_and_saveexec_b32 s3, s2
	s_cbranch_execnz .LBB243_31
; %bb.28:
	s_or_b32 exec_lo, exec_lo, s3
	s_and_saveexec_b32 s2, s1
	s_cbranch_execnz .LBB243_32
.LBB243_29:
	s_or_b32 exec_lo, exec_lo, s2
	s_and_saveexec_b32 s1, s0
	s_cbranch_execnz .LBB243_33
.LBB243_30:
	s_or_b32 exec_lo, exec_lo, s1
	s_delay_alu instid0(SALU_CYCLE_1)
	s_and_b32 exec_lo, exec_lo, vcc_lo
	s_cbranch_execz .LBB243_22
	s_branch .LBB243_34
.LBB243_31:
	s_waitcnt vmcnt(0)
	v_mul_f32_e32 v3, 0x3fb8aa3b, v12
	v_cmp_ngt_f32_e64 s2, 0xc2ce8ed0, v12
	s_delay_alu instid0(VALU_DEP_2) | instskip(SKIP_1) | instid1(VALU_DEP_2)
	v_rndne_f32_e32 v4, v3
	v_fma_f32 v5, 0x3fb8aa3b, v12, -v3
	v_sub_f32_e32 v3, v3, v4
	s_delay_alu instid0(VALU_DEP_2) | instskip(SKIP_1) | instid1(VALU_DEP_2)
	v_fmamk_f32 v5, v12, 0x32a5705f, v5
	v_cvt_i32_f32_e32 v4, v4
	v_add_f32_e32 v3, v3, v5
	s_delay_alu instid0(VALU_DEP_1) | instskip(SKIP_2) | instid1(VALU_DEP_1)
	v_exp_f32_e32 v3, v3
	s_waitcnt_depctr 0xfff
	v_ldexp_f32 v3, v3, v4
	v_cndmask_b32_e64 v3, 0, v3, s2
	v_cmp_nlt_f32_e64 s2, 0x42b17218, v12
	s_delay_alu instid0(VALU_DEP_1) | instskip(NEXT) | instid1(VALU_DEP_1)
	v_cndmask_b32_e64 v3, 0x7f800000, v3, s2
	v_fma_f32 v3, -v2, v3, v11
	global_store_b32 v[0:1], v3, off
	s_or_b32 exec_lo, exec_lo, s3
	s_and_saveexec_b32 s2, s1
	s_cbranch_execz .LBB243_29
.LBB243_32:
	s_waitcnt vmcnt(0)
	v_mul_f32_e32 v3, 0x3fb8aa3b, v13
	v_cmp_ngt_f32_e64 s1, 0xc2ce8ed0, v13
	s_delay_alu instid0(VALU_DEP_2) | instskip(SKIP_1) | instid1(VALU_DEP_2)
	v_rndne_f32_e32 v4, v3
	v_fma_f32 v5, 0x3fb8aa3b, v13, -v3
	v_sub_f32_e32 v3, v3, v4
	s_delay_alu instid0(VALU_DEP_2) | instskip(SKIP_1) | instid1(VALU_DEP_2)
	v_fmamk_f32 v5, v13, 0x32a5705f, v5
	v_cvt_i32_f32_e32 v4, v4
	v_add_f32_e32 v3, v3, v5
	s_delay_alu instid0(VALU_DEP_1) | instskip(SKIP_2) | instid1(VALU_DEP_1)
	v_exp_f32_e32 v3, v3
	s_waitcnt_depctr 0xfff
	v_ldexp_f32 v3, v3, v4
	v_cndmask_b32_e64 v3, 0, v3, s1
	v_cmp_nlt_f32_e64 s1, 0x42b17218, v13
	s_delay_alu instid0(VALU_DEP_1) | instskip(NEXT) | instid1(VALU_DEP_1)
	v_cndmask_b32_e64 v3, 0x7f800000, v3, s1
	v_fma_f32 v3, -v2, v3, v6
	global_store_b32 v[0:1], v3, off offset:128
	s_or_b32 exec_lo, exec_lo, s2
	s_and_saveexec_b32 s1, s0
	s_cbranch_execz .LBB243_30
.LBB243_33:
	s_waitcnt vmcnt(0)
	v_mul_f32_e32 v3, 0x3fb8aa3b, v19
	v_cmp_ngt_f32_e64 s0, 0xc2ce8ed0, v19
	s_delay_alu instid0(VALU_DEP_2) | instskip(SKIP_1) | instid1(VALU_DEP_2)
	v_rndne_f32_e32 v4, v3
	v_fma_f32 v5, 0x3fb8aa3b, v19, -v3
	v_sub_f32_e32 v3, v3, v4
	s_delay_alu instid0(VALU_DEP_2) | instskip(SKIP_1) | instid1(VALU_DEP_2)
	v_fmamk_f32 v5, v19, 0x32a5705f, v5
	v_cvt_i32_f32_e32 v4, v4
	v_add_f32_e32 v3, v3, v5
	s_delay_alu instid0(VALU_DEP_1) | instskip(SKIP_2) | instid1(VALU_DEP_1)
	v_exp_f32_e32 v3, v3
	s_waitcnt_depctr 0xfff
	v_ldexp_f32 v3, v3, v4
	v_cndmask_b32_e64 v3, 0, v3, s0
	v_cmp_nlt_f32_e64 s0, 0x42b17218, v19
	s_delay_alu instid0(VALU_DEP_1) | instskip(NEXT) | instid1(VALU_DEP_1)
	v_cndmask_b32_e64 v3, 0x7f800000, v3, s0
	v_fma_f32 v3, -v2, v3, v16
	global_store_b32 v[0:1], v3, off offset:256
	s_or_b32 exec_lo, exec_lo, s1
	s_delay_alu instid0(SALU_CYCLE_1)
	s_and_b32 exec_lo, exec_lo, vcc_lo
	s_cbranch_execz .LBB243_22
.LBB243_34:
	s_waitcnt vmcnt(0)
	v_mul_f32_e32 v3, 0x3fb8aa3b, v22
	v_cmp_ngt_f32_e32 vcc_lo, 0xc2ce8ed0, v22
	s_delay_alu instid0(VALU_DEP_2) | instskip(SKIP_1) | instid1(VALU_DEP_2)
	v_rndne_f32_e32 v4, v3
	v_fma_f32 v5, 0x3fb8aa3b, v22, -v3
	v_sub_f32_e32 v3, v3, v4
	s_delay_alu instid0(VALU_DEP_2) | instskip(SKIP_1) | instid1(VALU_DEP_2)
	v_fmamk_f32 v5, v22, 0x32a5705f, v5
	v_cvt_i32_f32_e32 v4, v4
	v_add_f32_e32 v3, v3, v5
	s_delay_alu instid0(VALU_DEP_1) | instskip(SKIP_2) | instid1(VALU_DEP_1)
	v_exp_f32_e32 v3, v3
	s_waitcnt_depctr 0xfff
	v_ldexp_f32 v3, v3, v4
	v_cndmask_b32_e32 v3, 0, v3, vcc_lo
	v_cmp_nlt_f32_e32 vcc_lo, 0x42b17218, v22
	s_delay_alu instid0(VALU_DEP_2) | instskip(NEXT) | instid1(VALU_DEP_1)
	v_cndmask_b32_e32 v3, 0x7f800000, v3, vcc_lo
	v_fma_f32 v2, -v2, v3, v9
	global_store_b32 v[0:1], v2, off offset:384
	s_nop 0
	s_sendmsg sendmsg(MSG_DEALLOC_VGPRS)
	s_endpgm
	.section	.rodata,"a",@progbits
	.p2align	6, 0x0
	.amdhsa_kernel _ZN12_GLOBAL__N_121softmax_warp_backwardIfffLi7ELb1ELb0ELi32EEEvPT0_PKT_S5_iiiPKb
		.amdhsa_group_segment_fixed_size 0
		.amdhsa_private_segment_fixed_size 0
		.amdhsa_kernarg_size 304
		.amdhsa_user_sgpr_count 15
		.amdhsa_user_sgpr_dispatch_ptr 0
		.amdhsa_user_sgpr_queue_ptr 0
		.amdhsa_user_sgpr_kernarg_segment_ptr 1
		.amdhsa_user_sgpr_dispatch_id 0
		.amdhsa_user_sgpr_private_segment_size 0
		.amdhsa_wavefront_size32 1
		.amdhsa_uses_dynamic_stack 0
		.amdhsa_enable_private_segment 0
		.amdhsa_system_sgpr_workgroup_id_x 1
		.amdhsa_system_sgpr_workgroup_id_y 0
		.amdhsa_system_sgpr_workgroup_id_z 0
		.amdhsa_system_sgpr_workgroup_info 0
		.amdhsa_system_vgpr_workitem_id 1
		.amdhsa_next_free_vgpr 26
		.amdhsa_next_free_sgpr 16
		.amdhsa_reserve_vcc 1
		.amdhsa_float_round_mode_32 0
		.amdhsa_float_round_mode_16_64 0
		.amdhsa_float_denorm_mode_32 3
		.amdhsa_float_denorm_mode_16_64 3
		.amdhsa_dx10_clamp 1
		.amdhsa_ieee_mode 1
		.amdhsa_fp16_overflow 0
		.amdhsa_workgroup_processor_mode 1
		.amdhsa_memory_ordered 1
		.amdhsa_forward_progress 0
		.amdhsa_shared_vgpr_count 0
		.amdhsa_exception_fp_ieee_invalid_op 0
		.amdhsa_exception_fp_denorm_src 0
		.amdhsa_exception_fp_ieee_div_zero 0
		.amdhsa_exception_fp_ieee_overflow 0
		.amdhsa_exception_fp_ieee_underflow 0
		.amdhsa_exception_fp_ieee_inexact 0
		.amdhsa_exception_int_div_zero 0
	.end_amdhsa_kernel
	.section	.text._ZN12_GLOBAL__N_121softmax_warp_backwardIfffLi7ELb1ELb0ELi32EEEvPT0_PKT_S5_iiiPKb,"axG",@progbits,_ZN12_GLOBAL__N_121softmax_warp_backwardIfffLi7ELb1ELb0ELi32EEEvPT0_PKT_S5_iiiPKb,comdat
.Lfunc_end243:
	.size	_ZN12_GLOBAL__N_121softmax_warp_backwardIfffLi7ELb1ELb0ELi32EEEvPT0_PKT_S5_iiiPKb, .Lfunc_end243-_ZN12_GLOBAL__N_121softmax_warp_backwardIfffLi7ELb1ELb0ELi32EEEvPT0_PKT_S5_iiiPKb
                                        ; -- End function
	.section	.AMDGPU.csdata,"",@progbits
; Kernel info:
; codeLenInByte = 2496
; NumSgprs: 18
; NumVgprs: 26
; ScratchSize: 0
; MemoryBound: 0
; FloatMode: 240
; IeeeMode: 1
; LDSByteSize: 0 bytes/workgroup (compile time only)
; SGPRBlocks: 2
; VGPRBlocks: 3
; NumSGPRsForWavesPerEU: 18
; NumVGPRsForWavesPerEU: 26
; Occupancy: 16
; WaveLimiterHint : 0
; COMPUTE_PGM_RSRC2:SCRATCH_EN: 0
; COMPUTE_PGM_RSRC2:USER_SGPR: 15
; COMPUTE_PGM_RSRC2:TRAP_HANDLER: 0
; COMPUTE_PGM_RSRC2:TGID_X_EN: 1
; COMPUTE_PGM_RSRC2:TGID_Y_EN: 0
; COMPUTE_PGM_RSRC2:TGID_Z_EN: 0
; COMPUTE_PGM_RSRC2:TIDIG_COMP_CNT: 1
	.section	.text._ZN12_GLOBAL__N_121softmax_warp_backwardIfffLi8ELb1ELb0ELi64EEEvPT0_PKT_S5_iiiPKb,"axG",@progbits,_ZN12_GLOBAL__N_121softmax_warp_backwardIfffLi8ELb1ELb0ELi64EEEvPT0_PKT_S5_iiiPKb,comdat
	.globl	_ZN12_GLOBAL__N_121softmax_warp_backwardIfffLi8ELb1ELb0ELi64EEEvPT0_PKT_S5_iiiPKb ; -- Begin function _ZN12_GLOBAL__N_121softmax_warp_backwardIfffLi8ELb1ELb0ELi64EEEvPT0_PKT_S5_iiiPKb
	.p2align	8
	.type	_ZN12_GLOBAL__N_121softmax_warp_backwardIfffLi8ELb1ELb0ELi64EEEvPT0_PKT_S5_iiiPKb,@function
_ZN12_GLOBAL__N_121softmax_warp_backwardIfffLi8ELb1ELb0ELi64EEEvPT0_PKT_S5_iiiPKb: ; @_ZN12_GLOBAL__N_121softmax_warp_backwardIfffLi8ELb1ELb0ELi64EEEvPT0_PKT_S5_iiiPKb
; %bb.0:
	s_clause 0x1
	s_load_b32 s2, s[0:1], 0x3c
	s_load_b128 s[8:11], s[0:1], 0x18
	v_bfe_u32 v1, v0, 10, 10
	s_clause 0x1
	s_load_b128 s[4:7], s[0:1], 0x0
	s_load_b64 s[0:1], s[0:1], 0x10
	v_mov_b32_e32 v8, 0
	v_dual_mov_b32 v10, 0 :: v_dual_mov_b32 v13, 0
	s_waitcnt lgkmcnt(0)
	s_lshr_b32 s2, s2, 16
	s_delay_alu instid0(SALU_CYCLE_1) | instskip(SKIP_1) | instid1(VALU_DEP_1)
	v_mad_u64_u32 v[3:4], null, s15, s2, v[1:2]
	v_and_b32_e32 v2, 63, v0
	v_cmp_gt_i32_e64 s2, s10, v2
	s_delay_alu instid0(VALU_DEP_3) | instskip(SKIP_1) | instid1(VALU_DEP_1)
	v_mad_u64_u32 v[0:1], null, v3, s9, v[2:3]
	v_sub_nc_u32_e32 v14, s8, v3
	v_cmp_lt_i32_e64 s3, 0, v14
	s_delay_alu instid0(VALU_DEP_3) | instskip(NEXT) | instid1(VALU_DEP_1)
	v_ashrrev_i32_e32 v1, 31, v0
	v_lshlrev_b64 v[0:1], 2, v[0:1]
	s_delay_alu instid0(VALU_DEP_1) | instskip(NEXT) | instid1(VALU_DEP_2)
	v_add_co_u32 v3, vcc_lo, s6, v0
	v_add_co_ci_u32_e32 v4, vcc_lo, s7, v1, vcc_lo
	v_add_co_u32 v5, vcc_lo, s0, v0
	v_add_co_ci_u32_e32 v6, vcc_lo, s1, v1, vcc_lo
	s_and_b32 s1, s3, s2
	s_delay_alu instid0(SALU_CYCLE_1)
	s_and_saveexec_b32 s0, s1
	s_cbranch_execz .LBB244_2
; %bb.1:
	global_load_b32 v10, v[3:4], off
	global_load_b32 v13, v[5:6], off
.LBB244_2:
	s_or_b32 exec_lo, exec_lo, s0
	v_or_b32_e32 v7, 64, v2
	v_mov_b32_e32 v12, 0
	s_delay_alu instid0(VALU_DEP_2) | instskip(NEXT) | instid1(VALU_DEP_1)
	v_cmp_gt_i32_e64 s1, s10, v7
	s_and_b32 s6, s3, s1
	s_delay_alu instid0(SALU_CYCLE_1)
	s_and_saveexec_b32 s0, s6
	s_cbranch_execz .LBB244_4
; %bb.3:
	global_load_b32 v8, v[3:4], off offset:256
	global_load_b32 v12, v[5:6], off offset:256
.LBB244_4:
	s_or_b32 exec_lo, exec_lo, s0
	v_or_b32_e32 v7, 0x80, v2
	v_mov_b32_e32 v9, 0
	v_mov_b32_e32 v11, 0
	s_delay_alu instid0(VALU_DEP_3) | instskip(SKIP_1) | instid1(VALU_DEP_2)
	v_cmp_gt_i32_e64 s0, s10, v7
	v_mov_b32_e32 v7, 0
	s_and_b32 s7, s3, s0
	s_delay_alu instid0(SALU_CYCLE_1)
	s_and_saveexec_b32 s6, s7
	s_cbranch_execz .LBB244_6
; %bb.5:
	global_load_b32 v9, v[3:4], off offset:512
	global_load_b32 v11, v[5:6], off offset:512
.LBB244_6:
	s_or_b32 exec_lo, exec_lo, s6
	v_or_b32_e32 v2, 0xc0, v2
	s_delay_alu instid0(VALU_DEP_1) | instskip(SKIP_2) | instid1(SALU_CYCLE_1)
	v_cmp_gt_i32_e32 vcc_lo, s10, v2
	v_mov_b32_e32 v2, 0
	s_and_b32 s6, s3, vcc_lo
	s_and_saveexec_b32 s3, s6
	s_cbranch_execz .LBB244_8
; %bb.7:
	global_load_b32 v7, v[3:4], off offset:768
	global_load_b32 v2, v[5:6], off offset:768
.LBB244_8:
	s_or_b32 exec_lo, exec_lo, s3
	v_mbcnt_lo_u32_b32 v4, -1, 0
	s_waitcnt vmcnt(1)
	v_add_f32_e32 v3, 0, v10
	s_mov_b32 s6, exec_lo
	s_delay_alu instid0(VALU_DEP_2) | instskip(SKIP_1) | instid1(VALU_DEP_2)
	v_or_b32_e32 v5, 32, v4
	v_xor_b32_e32 v6, 16, v4
	v_cmp_gt_i32_e64 s3, 64, v5
	s_delay_alu instid0(VALU_DEP_1) | instskip(NEXT) | instid1(VALU_DEP_3)
	v_cndmask_b32_e64 v5, v4, v5, s3
	v_cmp_gt_i32_e64 s3, 64, v6
	s_delay_alu instid0(VALU_DEP_2) | instskip(NEXT) | instid1(VALU_DEP_2)
	v_lshlrev_b32_e32 v5, 2, v5
	v_cndmask_b32_e64 v6, v4, v6, s3
	s_delay_alu instid0(VALU_DEP_1) | instskip(NEXT) | instid1(VALU_DEP_1)
	v_dual_add_f32 v3, v3, v8 :: v_dual_lshlrev_b32 v6, 2, v6
	v_add_f32_e32 v3, v3, v9
	s_delay_alu instid0(VALU_DEP_1)
	v_add_f32_e32 v3, v3, v7
	ds_bpermute_b32 v5, v5, v3
	s_waitcnt lgkmcnt(0)
	v_add_f32_e32 v3, v3, v5
	ds_bpermute_b32 v5, v6, v3
	v_xor_b32_e32 v6, 8, v4
	s_delay_alu instid0(VALU_DEP_1) | instskip(NEXT) | instid1(VALU_DEP_1)
	v_cmp_gt_i32_e64 s3, 64, v6
	v_cndmask_b32_e64 v6, v4, v6, s3
	s_waitcnt lgkmcnt(0)
	s_delay_alu instid0(VALU_DEP_1) | instskip(SKIP_2) | instid1(VALU_DEP_1)
	v_dual_add_f32 v3, v3, v5 :: v_dual_lshlrev_b32 v6, 2, v6
	ds_bpermute_b32 v5, v6, v3
	v_xor_b32_e32 v6, 4, v4
	v_cmp_gt_i32_e64 s3, 64, v6
	s_delay_alu instid0(VALU_DEP_1) | instskip(SKIP_1) | instid1(VALU_DEP_1)
	v_cndmask_b32_e64 v6, v4, v6, s3
	s_waitcnt lgkmcnt(0)
	v_dual_add_f32 v3, v3, v5 :: v_dual_lshlrev_b32 v6, 2, v6
	ds_bpermute_b32 v5, v6, v3
	v_xor_b32_e32 v6, 2, v4
	s_delay_alu instid0(VALU_DEP_1) | instskip(NEXT) | instid1(VALU_DEP_1)
	v_cmp_gt_i32_e64 s3, 64, v6
	v_cndmask_b32_e64 v6, v4, v6, s3
	s_waitcnt lgkmcnt(0)
	s_delay_alu instid0(VALU_DEP_1) | instskip(SKIP_2) | instid1(VALU_DEP_1)
	v_dual_add_f32 v3, v3, v5 :: v_dual_lshlrev_b32 v6, 2, v6
	ds_bpermute_b32 v5, v6, v3
	v_xor_b32_e32 v6, 1, v4
	v_cmp_gt_i32_e64 s3, 64, v6
	s_delay_alu instid0(VALU_DEP_1) | instskip(SKIP_1) | instid1(VALU_DEP_1)
	v_cndmask_b32_e64 v4, v4, v6, s3
	s_waitcnt lgkmcnt(0)
	v_dual_add_f32 v3, v3, v5 :: v_dual_lshlrev_b32 v4, 2, v4
	ds_bpermute_b32 v4, v4, v3
	v_cmpx_lt_i32_e32 0, v14
	s_cbranch_execz .LBB244_14
; %bb.9:
	v_add_co_u32 v0, s3, s4, v0
	s_delay_alu instid0(VALU_DEP_1)
	v_add_co_ci_u32_e64 v1, s3, s5, v1, s3
	s_waitcnt lgkmcnt(0)
	v_add_f32_e32 v3, v3, v4
	s_and_saveexec_b32 s3, s2
	s_cbranch_execnz .LBB244_15
; %bb.10:
	s_or_b32 exec_lo, exec_lo, s3
	s_and_saveexec_b32 s2, s1
	s_cbranch_execnz .LBB244_16
.LBB244_11:
	s_or_b32 exec_lo, exec_lo, s2
	s_and_saveexec_b32 s1, s0
	s_cbranch_execnz .LBB244_17
.LBB244_12:
	s_or_b32 exec_lo, exec_lo, s1
	s_delay_alu instid0(SALU_CYCLE_1)
	s_and_b32 exec_lo, exec_lo, vcc_lo
	s_cbranch_execz .LBB244_14
.LBB244_13:
	s_waitcnt vmcnt(0)
	v_mul_f32_e32 v4, 0x3fb8aa3b, v2
	v_cmp_ngt_f32_e32 vcc_lo, 0xc2ce8ed0, v2
	s_delay_alu instid0(VALU_DEP_2) | instskip(SKIP_1) | instid1(VALU_DEP_2)
	v_rndne_f32_e32 v5, v4
	v_fma_f32 v6, 0x3fb8aa3b, v2, -v4
	v_sub_f32_e32 v4, v4, v5
	s_delay_alu instid0(VALU_DEP_2) | instskip(SKIP_1) | instid1(VALU_DEP_2)
	v_fmamk_f32 v6, v2, 0x32a5705f, v6
	v_cvt_i32_f32_e32 v5, v5
	v_add_f32_e32 v4, v4, v6
	s_delay_alu instid0(VALU_DEP_1) | instskip(SKIP_2) | instid1(VALU_DEP_1)
	v_exp_f32_e32 v4, v4
	s_waitcnt_depctr 0xfff
	v_ldexp_f32 v4, v4, v5
	v_cndmask_b32_e32 v4, 0, v4, vcc_lo
	v_cmp_nlt_f32_e32 vcc_lo, 0x42b17218, v2
	s_delay_alu instid0(VALU_DEP_2) | instskip(NEXT) | instid1(VALU_DEP_1)
	v_cndmask_b32_e32 v2, 0x7f800000, v4, vcc_lo
	v_fma_f32 v2, -v3, v2, v7
	global_store_b32 v[0:1], v2, off offset:768
.LBB244_14:
	s_nop 0
	s_sendmsg sendmsg(MSG_DEALLOC_VGPRS)
	s_endpgm
.LBB244_15:
	s_waitcnt vmcnt(0)
	v_mul_f32_e32 v4, 0x3fb8aa3b, v13
	v_cmp_ngt_f32_e64 s2, 0xc2ce8ed0, v13
	s_delay_alu instid0(VALU_DEP_2) | instskip(SKIP_1) | instid1(VALU_DEP_2)
	v_rndne_f32_e32 v5, v4
	v_fma_f32 v6, 0x3fb8aa3b, v13, -v4
	v_sub_f32_e32 v4, v4, v5
	s_delay_alu instid0(VALU_DEP_2) | instskip(SKIP_1) | instid1(VALU_DEP_2)
	v_fmamk_f32 v6, v13, 0x32a5705f, v6
	v_cvt_i32_f32_e32 v5, v5
	v_add_f32_e32 v4, v4, v6
	s_delay_alu instid0(VALU_DEP_1) | instskip(SKIP_2) | instid1(VALU_DEP_1)
	v_exp_f32_e32 v4, v4
	s_waitcnt_depctr 0xfff
	v_ldexp_f32 v4, v4, v5
	v_cndmask_b32_e64 v4, 0, v4, s2
	v_cmp_nlt_f32_e64 s2, 0x42b17218, v13
	s_delay_alu instid0(VALU_DEP_1) | instskip(NEXT) | instid1(VALU_DEP_1)
	v_cndmask_b32_e64 v4, 0x7f800000, v4, s2
	v_fma_f32 v4, -v3, v4, v10
	global_store_b32 v[0:1], v4, off
	s_or_b32 exec_lo, exec_lo, s3
	s_and_saveexec_b32 s2, s1
	s_cbranch_execz .LBB244_11
.LBB244_16:
	s_waitcnt vmcnt(0)
	v_mul_f32_e32 v4, 0x3fb8aa3b, v12
	v_cmp_ngt_f32_e64 s1, 0xc2ce8ed0, v12
	s_delay_alu instid0(VALU_DEP_2) | instskip(SKIP_1) | instid1(VALU_DEP_2)
	v_rndne_f32_e32 v5, v4
	v_fma_f32 v6, 0x3fb8aa3b, v12, -v4
	v_sub_f32_e32 v4, v4, v5
	s_delay_alu instid0(VALU_DEP_2) | instskip(SKIP_1) | instid1(VALU_DEP_2)
	v_fmamk_f32 v6, v12, 0x32a5705f, v6
	v_cvt_i32_f32_e32 v5, v5
	v_add_f32_e32 v4, v4, v6
	s_delay_alu instid0(VALU_DEP_1) | instskip(SKIP_2) | instid1(VALU_DEP_1)
	v_exp_f32_e32 v4, v4
	s_waitcnt_depctr 0xfff
	v_ldexp_f32 v4, v4, v5
	v_cndmask_b32_e64 v4, 0, v4, s1
	v_cmp_nlt_f32_e64 s1, 0x42b17218, v12
	s_delay_alu instid0(VALU_DEP_1) | instskip(NEXT) | instid1(VALU_DEP_1)
	v_cndmask_b32_e64 v4, 0x7f800000, v4, s1
	v_fma_f32 v4, -v3, v4, v8
	global_store_b32 v[0:1], v4, off offset:256
	s_or_b32 exec_lo, exec_lo, s2
	s_and_saveexec_b32 s1, s0
	s_cbranch_execz .LBB244_12
.LBB244_17:
	s_waitcnt vmcnt(0)
	v_mul_f32_e32 v4, 0x3fb8aa3b, v11
	v_cmp_ngt_f32_e64 s0, 0xc2ce8ed0, v11
	s_delay_alu instid0(VALU_DEP_2) | instskip(SKIP_1) | instid1(VALU_DEP_2)
	v_rndne_f32_e32 v5, v4
	v_fma_f32 v6, 0x3fb8aa3b, v11, -v4
	v_sub_f32_e32 v4, v4, v5
	s_delay_alu instid0(VALU_DEP_2) | instskip(SKIP_1) | instid1(VALU_DEP_2)
	v_fmamk_f32 v6, v11, 0x32a5705f, v6
	v_cvt_i32_f32_e32 v5, v5
	v_add_f32_e32 v4, v4, v6
	s_delay_alu instid0(VALU_DEP_1) | instskip(SKIP_2) | instid1(VALU_DEP_1)
	v_exp_f32_e32 v4, v4
	s_waitcnt_depctr 0xfff
	v_ldexp_f32 v4, v4, v5
	v_cndmask_b32_e64 v4, 0, v4, s0
	v_cmp_nlt_f32_e64 s0, 0x42b17218, v11
	s_delay_alu instid0(VALU_DEP_1) | instskip(NEXT) | instid1(VALU_DEP_1)
	v_cndmask_b32_e64 v4, 0x7f800000, v4, s0
	v_fma_f32 v4, -v3, v4, v9
	global_store_b32 v[0:1], v4, off offset:512
	s_or_b32 exec_lo, exec_lo, s1
	s_delay_alu instid0(SALU_CYCLE_1)
	s_and_b32 exec_lo, exec_lo, vcc_lo
	s_cbranch_execnz .LBB244_13
	s_branch .LBB244_14
	.section	.rodata,"a",@progbits
	.p2align	6, 0x0
	.amdhsa_kernel _ZN12_GLOBAL__N_121softmax_warp_backwardIfffLi8ELb1ELb0ELi64EEEvPT0_PKT_S5_iiiPKb
		.amdhsa_group_segment_fixed_size 0
		.amdhsa_private_segment_fixed_size 0
		.amdhsa_kernarg_size 304
		.amdhsa_user_sgpr_count 15
		.amdhsa_user_sgpr_dispatch_ptr 0
		.amdhsa_user_sgpr_queue_ptr 0
		.amdhsa_user_sgpr_kernarg_segment_ptr 1
		.amdhsa_user_sgpr_dispatch_id 0
		.amdhsa_user_sgpr_private_segment_size 0
		.amdhsa_wavefront_size32 1
		.amdhsa_uses_dynamic_stack 0
		.amdhsa_enable_private_segment 0
		.amdhsa_system_sgpr_workgroup_id_x 1
		.amdhsa_system_sgpr_workgroup_id_y 0
		.amdhsa_system_sgpr_workgroup_id_z 0
		.amdhsa_system_sgpr_workgroup_info 0
		.amdhsa_system_vgpr_workitem_id 1
		.amdhsa_next_free_vgpr 15
		.amdhsa_next_free_sgpr 16
		.amdhsa_reserve_vcc 1
		.amdhsa_float_round_mode_32 0
		.amdhsa_float_round_mode_16_64 0
		.amdhsa_float_denorm_mode_32 3
		.amdhsa_float_denorm_mode_16_64 3
		.amdhsa_dx10_clamp 1
		.amdhsa_ieee_mode 1
		.amdhsa_fp16_overflow 0
		.amdhsa_workgroup_processor_mode 1
		.amdhsa_memory_ordered 1
		.amdhsa_forward_progress 0
		.amdhsa_shared_vgpr_count 0
		.amdhsa_exception_fp_ieee_invalid_op 0
		.amdhsa_exception_fp_denorm_src 0
		.amdhsa_exception_fp_ieee_div_zero 0
		.amdhsa_exception_fp_ieee_overflow 0
		.amdhsa_exception_fp_ieee_underflow 0
		.amdhsa_exception_fp_ieee_inexact 0
		.amdhsa_exception_int_div_zero 0
	.end_amdhsa_kernel
	.section	.text._ZN12_GLOBAL__N_121softmax_warp_backwardIfffLi8ELb1ELb0ELi64EEEvPT0_PKT_S5_iiiPKb,"axG",@progbits,_ZN12_GLOBAL__N_121softmax_warp_backwardIfffLi8ELb1ELb0ELi64EEEvPT0_PKT_S5_iiiPKb,comdat
.Lfunc_end244:
	.size	_ZN12_GLOBAL__N_121softmax_warp_backwardIfffLi8ELb1ELb0ELi64EEEvPT0_PKT_S5_iiiPKb, .Lfunc_end244-_ZN12_GLOBAL__N_121softmax_warp_backwardIfffLi8ELb1ELb0ELi64EEEvPT0_PKT_S5_iiiPKb
                                        ; -- End function
	.section	.AMDGPU.csdata,"",@progbits
; Kernel info:
; codeLenInByte = 1364
; NumSgprs: 18
; NumVgprs: 15
; ScratchSize: 0
; MemoryBound: 0
; FloatMode: 240
; IeeeMode: 1
; LDSByteSize: 0 bytes/workgroup (compile time only)
; SGPRBlocks: 2
; VGPRBlocks: 1
; NumSGPRsForWavesPerEU: 18
; NumVGPRsForWavesPerEU: 15
; Occupancy: 16
; WaveLimiterHint : 0
; COMPUTE_PGM_RSRC2:SCRATCH_EN: 0
; COMPUTE_PGM_RSRC2:USER_SGPR: 15
; COMPUTE_PGM_RSRC2:TRAP_HANDLER: 0
; COMPUTE_PGM_RSRC2:TGID_X_EN: 1
; COMPUTE_PGM_RSRC2:TGID_Y_EN: 0
; COMPUTE_PGM_RSRC2:TGID_Z_EN: 0
; COMPUTE_PGM_RSRC2:TIDIG_COMP_CNT: 1
	.section	.text._ZN12_GLOBAL__N_121softmax_warp_backwardIfffLi8ELb1ELb0ELi32EEEvPT0_PKT_S5_iiiPKb,"axG",@progbits,_ZN12_GLOBAL__N_121softmax_warp_backwardIfffLi8ELb1ELb0ELi32EEEvPT0_PKT_S5_iiiPKb,comdat
	.globl	_ZN12_GLOBAL__N_121softmax_warp_backwardIfffLi8ELb1ELb0ELi32EEEvPT0_PKT_S5_iiiPKb ; -- Begin function _ZN12_GLOBAL__N_121softmax_warp_backwardIfffLi8ELb1ELb0ELi32EEEvPT0_PKT_S5_iiiPKb
	.p2align	8
	.type	_ZN12_GLOBAL__N_121softmax_warp_backwardIfffLi8ELb1ELb0ELi32EEEvPT0_PKT_S5_iiiPKb,@function
_ZN12_GLOBAL__N_121softmax_warp_backwardIfffLi8ELb1ELb0ELi32EEEvPT0_PKT_S5_iiiPKb: ; @_ZN12_GLOBAL__N_121softmax_warp_backwardIfffLi8ELb1ELb0ELi32EEEvPT0_PKT_S5_iiiPKb
; %bb.0:
	s_clause 0x1
	s_load_b32 s2, s[0:1], 0x3c
	s_load_b128 s[16:19], s[0:1], 0x18
	v_bfe_u32 v1, v0, 10, 10
	s_clause 0x1
	s_load_b128 s[8:11], s[0:1], 0x0
	s_load_b64 s[0:1], s[0:1], 0x10
	v_mov_b32_e32 v10, 0
	v_dual_mov_b32 v18, 0 :: v_dual_mov_b32 v21, 0
	s_waitcnt lgkmcnt(0)
	s_lshr_b32 s2, s2, 16
	s_delay_alu instid0(SALU_CYCLE_1) | instskip(SKIP_1) | instid1(VALU_DEP_1)
	v_mad_u64_u32 v[3:4], null, s15, s2, v[1:2]
	v_and_b32_e32 v2, 31, v0
	v_cmp_gt_i32_e64 s6, s18, v2
	s_delay_alu instid0(VALU_DEP_3) | instskip(SKIP_1) | instid1(VALU_DEP_1)
	v_mad_u64_u32 v[0:1], null, v3, s17, v[2:3]
	v_sub_nc_u32_e32 v22, s16, v3
	v_cmp_lt_i32_e64 s7, 0, v22
	s_delay_alu instid0(VALU_DEP_3) | instskip(NEXT) | instid1(VALU_DEP_1)
	v_ashrrev_i32_e32 v1, 31, v0
	v_lshlrev_b64 v[0:1], 2, v[0:1]
	s_delay_alu instid0(VALU_DEP_1) | instskip(NEXT) | instid1(VALU_DEP_2)
	v_add_co_u32 v3, vcc_lo, s10, v0
	v_add_co_ci_u32_e32 v4, vcc_lo, s11, v1, vcc_lo
	v_add_co_u32 v5, vcc_lo, s0, v0
	v_add_co_ci_u32_e32 v6, vcc_lo, s1, v1, vcc_lo
	s_and_b32 s1, s7, s6
	s_delay_alu instid0(SALU_CYCLE_1)
	s_and_saveexec_b32 s0, s1
	s_cbranch_execz .LBB245_2
; %bb.1:
	global_load_b32 v18, v[3:4], off
	global_load_b32 v21, v[5:6], off
.LBB245_2:
	s_or_b32 exec_lo, exec_lo, s0
	v_or_b32_e32 v7, 32, v2
	v_mov_b32_e32 v20, 0
	s_delay_alu instid0(VALU_DEP_2) | instskip(NEXT) | instid1(VALU_DEP_1)
	v_cmp_gt_i32_e64 s5, s18, v7
	s_and_b32 s1, s7, s5
	s_delay_alu instid0(SALU_CYCLE_1)
	s_and_saveexec_b32 s0, s1
	s_cbranch_execz .LBB245_4
; %bb.3:
	global_load_b32 v10, v[3:4], off offset:128
	global_load_b32 v20, v[5:6], off offset:128
.LBB245_4:
	s_or_b32 exec_lo, exec_lo, s0
	v_or_b32_e32 v7, 64, v2
	v_dual_mov_b32 v9, 0 :: v_dual_mov_b32 v16, 0
	v_mov_b32_e32 v19, 0
	s_delay_alu instid0(VALU_DEP_3) | instskip(NEXT) | instid1(VALU_DEP_1)
	v_cmp_gt_i32_e64 s4, s18, v7
	s_and_b32 s1, s7, s4
	s_delay_alu instid0(SALU_CYCLE_1)
	s_and_saveexec_b32 s0, s1
	s_cbranch_execz .LBB245_6
; %bb.5:
	global_load_b32 v16, v[3:4], off offset:256
	global_load_b32 v19, v[5:6], off offset:256
.LBB245_6:
	s_or_b32 exec_lo, exec_lo, s0
	v_or_b32_e32 v7, 0x60, v2
	v_mov_b32_e32 v17, 0
	s_delay_alu instid0(VALU_DEP_2) | instskip(NEXT) | instid1(VALU_DEP_1)
	v_cmp_gt_i32_e64 s3, s18, v7
	s_and_b32 s1, s7, s3
	s_delay_alu instid0(SALU_CYCLE_1)
	s_and_saveexec_b32 s0, s1
	s_cbranch_execz .LBB245_8
; %bb.7:
	global_load_b32 v9, v[3:4], off offset:384
	global_load_b32 v17, v[5:6], off offset:384
.LBB245_8:
	s_or_b32 exec_lo, exec_lo, s0
	v_or_b32_e32 v7, 0x80, v2
	v_dual_mov_b32 v8, 0 :: v_dual_mov_b32 v13, 0
	v_mov_b32_e32 v15, 0
	s_delay_alu instid0(VALU_DEP_3) | instskip(NEXT) | instid1(VALU_DEP_1)
	v_cmp_gt_i32_e64 s2, s18, v7
	s_and_b32 s1, s7, s2
	s_delay_alu instid0(SALU_CYCLE_1)
	s_and_saveexec_b32 s0, s1
	s_cbranch_execz .LBB245_10
; %bb.9:
	global_load_b32 v13, v[3:4], off offset:512
	global_load_b32 v15, v[5:6], off offset:512
.LBB245_10:
	s_or_b32 exec_lo, exec_lo, s0
	v_or_b32_e32 v7, 0xa0, v2
	v_mov_b32_e32 v14, 0
	s_delay_alu instid0(VALU_DEP_2) | instskip(NEXT) | instid1(VALU_DEP_1)
	v_cmp_gt_i32_e64 s1, s18, v7
	s_and_b32 s10, s7, s1
	s_delay_alu instid0(SALU_CYCLE_1)
	s_and_saveexec_b32 s0, s10
	s_cbranch_execz .LBB245_12
; %bb.11:
	global_load_b32 v8, v[3:4], off offset:640
	global_load_b32 v14, v[5:6], off offset:640
.LBB245_12:
	s_or_b32 exec_lo, exec_lo, s0
	v_or_b32_e32 v7, 0xc0, v2
	v_dual_mov_b32 v11, 0 :: v_dual_mov_b32 v12, 0
	s_delay_alu instid0(VALU_DEP_2) | instskip(SKIP_1) | instid1(VALU_DEP_2)
	v_cmp_gt_i32_e64 s0, s18, v7
	v_mov_b32_e32 v7, 0
	s_and_b32 s11, s7, s0
	s_delay_alu instid0(SALU_CYCLE_1)
	s_and_saveexec_b32 s10, s11
	s_cbranch_execz .LBB245_14
; %bb.13:
	global_load_b32 v11, v[3:4], off offset:768
	global_load_b32 v12, v[5:6], off offset:768
.LBB245_14:
	s_or_b32 exec_lo, exec_lo, s10
	v_or_b32_e32 v2, 0xe0, v2
	s_delay_alu instid0(VALU_DEP_1) | instskip(SKIP_2) | instid1(SALU_CYCLE_1)
	v_cmp_gt_i32_e32 vcc_lo, s18, v2
	v_mov_b32_e32 v2, 0
	s_and_b32 s10, s7, vcc_lo
	s_and_saveexec_b32 s7, s10
	s_cbranch_execz .LBB245_16
; %bb.15:
	global_load_b32 v7, v[3:4], off offset:896
	global_load_b32 v2, v[5:6], off offset:896
.LBB245_16:
	s_or_b32 exec_lo, exec_lo, s7
	v_mbcnt_lo_u32_b32 v4, -1, 0
	s_waitcnt vmcnt(1)
	v_add_f32_e32 v3, 0, v18
	s_mov_b32 s10, exec_lo
	s_delay_alu instid0(VALU_DEP_2) | instskip(SKIP_1) | instid1(VALU_DEP_3)
	v_xor_b32_e32 v5, 16, v4
	v_xor_b32_e32 v6, 8, v4
	v_add_f32_e32 v3, v3, v10
	s_delay_alu instid0(VALU_DEP_3) | instskip(NEXT) | instid1(VALU_DEP_1)
	v_cmp_gt_i32_e64 s7, 32, v5
	v_cndmask_b32_e64 v5, v4, v5, s7
	s_delay_alu instid0(VALU_DEP_4) | instskip(NEXT) | instid1(VALU_DEP_2)
	v_cmp_gt_i32_e64 s7, 32, v6
	v_lshlrev_b32_e32 v5, 2, v5
	s_delay_alu instid0(VALU_DEP_2) | instskip(NEXT) | instid1(VALU_DEP_1)
	v_cndmask_b32_e64 v6, v4, v6, s7
	v_dual_add_f32 v3, v3, v16 :: v_dual_lshlrev_b32 v6, 2, v6
	s_delay_alu instid0(VALU_DEP_1) | instskip(NEXT) | instid1(VALU_DEP_1)
	v_add_f32_e32 v3, v3, v9
	v_add_f32_e32 v3, v3, v13
	s_delay_alu instid0(VALU_DEP_1) | instskip(NEXT) | instid1(VALU_DEP_1)
	v_add_f32_e32 v3, v3, v8
	v_add_f32_e32 v3, v3, v11
	s_delay_alu instid0(VALU_DEP_1)
	v_add_f32_e32 v3, v3, v7
	ds_bpermute_b32 v5, v5, v3
	s_waitcnt lgkmcnt(0)
	v_add_f32_e32 v3, v3, v5
	ds_bpermute_b32 v5, v6, v3
	v_xor_b32_e32 v6, 4, v4
	s_delay_alu instid0(VALU_DEP_1) | instskip(NEXT) | instid1(VALU_DEP_1)
	v_cmp_gt_i32_e64 s7, 32, v6
	v_cndmask_b32_e64 v6, v4, v6, s7
	s_waitcnt lgkmcnt(0)
	s_delay_alu instid0(VALU_DEP_1) | instskip(SKIP_2) | instid1(VALU_DEP_1)
	v_dual_add_f32 v3, v3, v5 :: v_dual_lshlrev_b32 v6, 2, v6
	ds_bpermute_b32 v5, v6, v3
	v_xor_b32_e32 v6, 2, v4
	v_cmp_gt_i32_e64 s7, 32, v6
	s_delay_alu instid0(VALU_DEP_1) | instskip(SKIP_1) | instid1(VALU_DEP_1)
	v_cndmask_b32_e64 v6, v4, v6, s7
	s_waitcnt lgkmcnt(0)
	v_dual_add_f32 v3, v3, v5 :: v_dual_lshlrev_b32 v6, 2, v6
	ds_bpermute_b32 v5, v6, v3
	v_xor_b32_e32 v6, 1, v4
	s_delay_alu instid0(VALU_DEP_1) | instskip(NEXT) | instid1(VALU_DEP_1)
	v_cmp_gt_i32_e64 s7, 32, v6
	v_cndmask_b32_e64 v4, v4, v6, s7
	s_waitcnt lgkmcnt(0)
	s_delay_alu instid0(VALU_DEP_1)
	v_dual_add_f32 v3, v3, v5 :: v_dual_lshlrev_b32 v4, 2, v4
	ds_bpermute_b32 v4, v4, v3
	v_cmpx_lt_i32_e32 0, v22
	s_cbranch_execz .LBB245_26
; %bb.17:
	v_add_co_u32 v0, s7, s8, v0
	s_delay_alu instid0(VALU_DEP_1)
	v_add_co_ci_u32_e64 v1, s7, s9, v1, s7
	s_waitcnt lgkmcnt(0)
	v_add_f32_e32 v3, v3, v4
	s_and_saveexec_b32 s7, s6
	s_cbranch_execnz .LBB245_27
; %bb.18:
	s_or_b32 exec_lo, exec_lo, s7
	s_and_saveexec_b32 s6, s5
	s_cbranch_execnz .LBB245_28
.LBB245_19:
	s_or_b32 exec_lo, exec_lo, s6
	s_and_saveexec_b32 s5, s4
	s_cbranch_execnz .LBB245_29
.LBB245_20:
	s_or_b32 exec_lo, exec_lo, s5
	s_and_saveexec_b32 s4, s3
	s_cbranch_execnz .LBB245_30
.LBB245_21:
	s_or_b32 exec_lo, exec_lo, s4
	s_and_saveexec_b32 s3, s2
	s_cbranch_execnz .LBB245_31
.LBB245_22:
	s_or_b32 exec_lo, exec_lo, s3
	s_and_saveexec_b32 s2, s1
	s_cbranch_execnz .LBB245_32
.LBB245_23:
	s_or_b32 exec_lo, exec_lo, s2
	s_and_saveexec_b32 s1, s0
	s_cbranch_execnz .LBB245_33
.LBB245_24:
	s_or_b32 exec_lo, exec_lo, s1
	s_delay_alu instid0(SALU_CYCLE_1)
	s_and_b32 exec_lo, exec_lo, vcc_lo
	s_cbranch_execz .LBB245_26
.LBB245_25:
	s_waitcnt vmcnt(0)
	v_mul_f32_e32 v4, 0x3fb8aa3b, v2
	v_cmp_ngt_f32_e32 vcc_lo, 0xc2ce8ed0, v2
	s_delay_alu instid0(VALU_DEP_2) | instskip(SKIP_1) | instid1(VALU_DEP_2)
	v_rndne_f32_e32 v5, v4
	v_fma_f32 v6, 0x3fb8aa3b, v2, -v4
	v_sub_f32_e32 v4, v4, v5
	s_delay_alu instid0(VALU_DEP_2) | instskip(SKIP_1) | instid1(VALU_DEP_2)
	v_fmamk_f32 v6, v2, 0x32a5705f, v6
	v_cvt_i32_f32_e32 v5, v5
	v_add_f32_e32 v4, v4, v6
	s_delay_alu instid0(VALU_DEP_1) | instskip(SKIP_2) | instid1(VALU_DEP_1)
	v_exp_f32_e32 v4, v4
	s_waitcnt_depctr 0xfff
	v_ldexp_f32 v4, v4, v5
	v_cndmask_b32_e32 v4, 0, v4, vcc_lo
	v_cmp_nlt_f32_e32 vcc_lo, 0x42b17218, v2
	s_delay_alu instid0(VALU_DEP_2) | instskip(NEXT) | instid1(VALU_DEP_1)
	v_cndmask_b32_e32 v2, 0x7f800000, v4, vcc_lo
	v_fma_f32 v2, -v3, v2, v7
	global_store_b32 v[0:1], v2, off offset:896
.LBB245_26:
	s_nop 0
	s_sendmsg sendmsg(MSG_DEALLOC_VGPRS)
	s_endpgm
.LBB245_27:
	s_waitcnt vmcnt(0)
	v_mul_f32_e32 v4, 0x3fb8aa3b, v21
	v_cmp_ngt_f32_e64 s6, 0xc2ce8ed0, v21
	s_delay_alu instid0(VALU_DEP_2) | instskip(SKIP_1) | instid1(VALU_DEP_2)
	v_rndne_f32_e32 v5, v4
	v_fma_f32 v6, 0x3fb8aa3b, v21, -v4
	v_sub_f32_e32 v4, v4, v5
	s_delay_alu instid0(VALU_DEP_2) | instskip(SKIP_1) | instid1(VALU_DEP_2)
	v_fmamk_f32 v6, v21, 0x32a5705f, v6
	v_cvt_i32_f32_e32 v5, v5
	v_add_f32_e32 v4, v4, v6
	s_delay_alu instid0(VALU_DEP_1) | instskip(SKIP_2) | instid1(VALU_DEP_1)
	v_exp_f32_e32 v4, v4
	s_waitcnt_depctr 0xfff
	v_ldexp_f32 v4, v4, v5
	v_cndmask_b32_e64 v4, 0, v4, s6
	v_cmp_nlt_f32_e64 s6, 0x42b17218, v21
	s_delay_alu instid0(VALU_DEP_1) | instskip(NEXT) | instid1(VALU_DEP_1)
	v_cndmask_b32_e64 v4, 0x7f800000, v4, s6
	v_fma_f32 v4, -v3, v4, v18
	global_store_b32 v[0:1], v4, off
	s_or_b32 exec_lo, exec_lo, s7
	s_and_saveexec_b32 s6, s5
	s_cbranch_execz .LBB245_19
.LBB245_28:
	s_waitcnt vmcnt(0)
	v_mul_f32_e32 v4, 0x3fb8aa3b, v20
	v_cmp_ngt_f32_e64 s5, 0xc2ce8ed0, v20
	s_delay_alu instid0(VALU_DEP_2) | instskip(SKIP_1) | instid1(VALU_DEP_2)
	v_rndne_f32_e32 v5, v4
	v_fma_f32 v6, 0x3fb8aa3b, v20, -v4
	v_sub_f32_e32 v4, v4, v5
	s_delay_alu instid0(VALU_DEP_2) | instskip(SKIP_1) | instid1(VALU_DEP_2)
	v_fmamk_f32 v6, v20, 0x32a5705f, v6
	v_cvt_i32_f32_e32 v5, v5
	v_add_f32_e32 v4, v4, v6
	s_delay_alu instid0(VALU_DEP_1) | instskip(SKIP_2) | instid1(VALU_DEP_1)
	v_exp_f32_e32 v4, v4
	s_waitcnt_depctr 0xfff
	v_ldexp_f32 v4, v4, v5
	v_cndmask_b32_e64 v4, 0, v4, s5
	v_cmp_nlt_f32_e64 s5, 0x42b17218, v20
	s_delay_alu instid0(VALU_DEP_1) | instskip(NEXT) | instid1(VALU_DEP_1)
	v_cndmask_b32_e64 v4, 0x7f800000, v4, s5
	v_fma_f32 v4, -v3, v4, v10
	global_store_b32 v[0:1], v4, off offset:128
	s_or_b32 exec_lo, exec_lo, s6
	s_and_saveexec_b32 s5, s4
	s_cbranch_execz .LBB245_20
.LBB245_29:
	s_waitcnt vmcnt(0)
	v_mul_f32_e32 v4, 0x3fb8aa3b, v19
	v_cmp_ngt_f32_e64 s4, 0xc2ce8ed0, v19
	s_delay_alu instid0(VALU_DEP_2) | instskip(SKIP_1) | instid1(VALU_DEP_2)
	v_rndne_f32_e32 v5, v4
	v_fma_f32 v6, 0x3fb8aa3b, v19, -v4
	v_sub_f32_e32 v4, v4, v5
	s_delay_alu instid0(VALU_DEP_2) | instskip(SKIP_1) | instid1(VALU_DEP_2)
	v_fmamk_f32 v6, v19, 0x32a5705f, v6
	v_cvt_i32_f32_e32 v5, v5
	v_add_f32_e32 v4, v4, v6
	s_delay_alu instid0(VALU_DEP_1) | instskip(SKIP_2) | instid1(VALU_DEP_1)
	v_exp_f32_e32 v4, v4
	s_waitcnt_depctr 0xfff
	v_ldexp_f32 v4, v4, v5
	v_cndmask_b32_e64 v4, 0, v4, s4
	v_cmp_nlt_f32_e64 s4, 0x42b17218, v19
	s_delay_alu instid0(VALU_DEP_1) | instskip(NEXT) | instid1(VALU_DEP_1)
	v_cndmask_b32_e64 v4, 0x7f800000, v4, s4
	v_fma_f32 v4, -v3, v4, v16
	global_store_b32 v[0:1], v4, off offset:256
	s_or_b32 exec_lo, exec_lo, s5
	s_and_saveexec_b32 s4, s3
	s_cbranch_execz .LBB245_21
.LBB245_30:
	s_waitcnt vmcnt(0)
	v_mul_f32_e32 v4, 0x3fb8aa3b, v17
	v_cmp_ngt_f32_e64 s3, 0xc2ce8ed0, v17
	s_delay_alu instid0(VALU_DEP_2) | instskip(SKIP_1) | instid1(VALU_DEP_2)
	v_rndne_f32_e32 v5, v4
	v_fma_f32 v6, 0x3fb8aa3b, v17, -v4
	v_sub_f32_e32 v4, v4, v5
	s_delay_alu instid0(VALU_DEP_2) | instskip(SKIP_1) | instid1(VALU_DEP_2)
	v_fmamk_f32 v6, v17, 0x32a5705f, v6
	v_cvt_i32_f32_e32 v5, v5
	v_add_f32_e32 v4, v4, v6
	s_delay_alu instid0(VALU_DEP_1) | instskip(SKIP_2) | instid1(VALU_DEP_1)
	v_exp_f32_e32 v4, v4
	s_waitcnt_depctr 0xfff
	v_ldexp_f32 v4, v4, v5
	v_cndmask_b32_e64 v4, 0, v4, s3
	v_cmp_nlt_f32_e64 s3, 0x42b17218, v17
	s_delay_alu instid0(VALU_DEP_1) | instskip(NEXT) | instid1(VALU_DEP_1)
	v_cndmask_b32_e64 v4, 0x7f800000, v4, s3
	v_fma_f32 v4, -v3, v4, v9
	global_store_b32 v[0:1], v4, off offset:384
	s_or_b32 exec_lo, exec_lo, s4
	s_and_saveexec_b32 s3, s2
	s_cbranch_execz .LBB245_22
.LBB245_31:
	s_waitcnt vmcnt(0)
	v_mul_f32_e32 v4, 0x3fb8aa3b, v15
	v_cmp_ngt_f32_e64 s2, 0xc2ce8ed0, v15
	s_delay_alu instid0(VALU_DEP_2) | instskip(SKIP_1) | instid1(VALU_DEP_2)
	v_rndne_f32_e32 v5, v4
	v_fma_f32 v6, 0x3fb8aa3b, v15, -v4
	v_sub_f32_e32 v4, v4, v5
	s_delay_alu instid0(VALU_DEP_2) | instskip(SKIP_1) | instid1(VALU_DEP_2)
	v_fmamk_f32 v6, v15, 0x32a5705f, v6
	v_cvt_i32_f32_e32 v5, v5
	v_add_f32_e32 v4, v4, v6
	s_delay_alu instid0(VALU_DEP_1) | instskip(SKIP_2) | instid1(VALU_DEP_1)
	v_exp_f32_e32 v4, v4
	s_waitcnt_depctr 0xfff
	v_ldexp_f32 v4, v4, v5
	v_cndmask_b32_e64 v4, 0, v4, s2
	v_cmp_nlt_f32_e64 s2, 0x42b17218, v15
	s_delay_alu instid0(VALU_DEP_1) | instskip(NEXT) | instid1(VALU_DEP_1)
	v_cndmask_b32_e64 v4, 0x7f800000, v4, s2
	v_fma_f32 v4, -v3, v4, v13
	global_store_b32 v[0:1], v4, off offset:512
	s_or_b32 exec_lo, exec_lo, s3
	s_and_saveexec_b32 s2, s1
	s_cbranch_execz .LBB245_23
.LBB245_32:
	s_waitcnt vmcnt(0)
	v_mul_f32_e32 v4, 0x3fb8aa3b, v14
	v_cmp_ngt_f32_e64 s1, 0xc2ce8ed0, v14
	s_delay_alu instid0(VALU_DEP_2) | instskip(SKIP_1) | instid1(VALU_DEP_2)
	v_rndne_f32_e32 v5, v4
	v_fma_f32 v6, 0x3fb8aa3b, v14, -v4
	v_sub_f32_e32 v4, v4, v5
	s_delay_alu instid0(VALU_DEP_2) | instskip(SKIP_1) | instid1(VALU_DEP_2)
	v_fmamk_f32 v6, v14, 0x32a5705f, v6
	v_cvt_i32_f32_e32 v5, v5
	v_add_f32_e32 v4, v4, v6
	s_delay_alu instid0(VALU_DEP_1) | instskip(SKIP_2) | instid1(VALU_DEP_1)
	v_exp_f32_e32 v4, v4
	s_waitcnt_depctr 0xfff
	v_ldexp_f32 v4, v4, v5
	v_cndmask_b32_e64 v4, 0, v4, s1
	v_cmp_nlt_f32_e64 s1, 0x42b17218, v14
	s_delay_alu instid0(VALU_DEP_1) | instskip(NEXT) | instid1(VALU_DEP_1)
	v_cndmask_b32_e64 v4, 0x7f800000, v4, s1
	v_fma_f32 v4, -v3, v4, v8
	global_store_b32 v[0:1], v4, off offset:640
	s_or_b32 exec_lo, exec_lo, s2
	s_and_saveexec_b32 s1, s0
	s_cbranch_execz .LBB245_24
.LBB245_33:
	s_waitcnt vmcnt(0)
	v_mul_f32_e32 v4, 0x3fb8aa3b, v12
	v_cmp_ngt_f32_e64 s0, 0xc2ce8ed0, v12
	s_delay_alu instid0(VALU_DEP_2) | instskip(SKIP_1) | instid1(VALU_DEP_2)
	v_rndne_f32_e32 v5, v4
	v_fma_f32 v6, 0x3fb8aa3b, v12, -v4
	v_sub_f32_e32 v4, v4, v5
	s_delay_alu instid0(VALU_DEP_2) | instskip(SKIP_1) | instid1(VALU_DEP_2)
	v_fmamk_f32 v6, v12, 0x32a5705f, v6
	v_cvt_i32_f32_e32 v5, v5
	v_add_f32_e32 v4, v4, v6
	s_delay_alu instid0(VALU_DEP_1) | instskip(SKIP_2) | instid1(VALU_DEP_1)
	v_exp_f32_e32 v4, v4
	s_waitcnt_depctr 0xfff
	v_ldexp_f32 v4, v4, v5
	v_cndmask_b32_e64 v4, 0, v4, s0
	v_cmp_nlt_f32_e64 s0, 0x42b17218, v12
	s_delay_alu instid0(VALU_DEP_1) | instskip(NEXT) | instid1(VALU_DEP_1)
	v_cndmask_b32_e64 v4, 0x7f800000, v4, s0
	v_fma_f32 v4, -v3, v4, v11
	global_store_b32 v[0:1], v4, off offset:768
	s_or_b32 exec_lo, exec_lo, s1
	s_delay_alu instid0(SALU_CYCLE_1)
	s_and_b32 exec_lo, exec_lo, vcc_lo
	s_cbranch_execnz .LBB245_25
	s_branch .LBB245_26
	.section	.rodata,"a",@progbits
	.p2align	6, 0x0
	.amdhsa_kernel _ZN12_GLOBAL__N_121softmax_warp_backwardIfffLi8ELb1ELb0ELi32EEEvPT0_PKT_S5_iiiPKb
		.amdhsa_group_segment_fixed_size 0
		.amdhsa_private_segment_fixed_size 0
		.amdhsa_kernarg_size 304
		.amdhsa_user_sgpr_count 15
		.amdhsa_user_sgpr_dispatch_ptr 0
		.amdhsa_user_sgpr_queue_ptr 0
		.amdhsa_user_sgpr_kernarg_segment_ptr 1
		.amdhsa_user_sgpr_dispatch_id 0
		.amdhsa_user_sgpr_private_segment_size 0
		.amdhsa_wavefront_size32 1
		.amdhsa_uses_dynamic_stack 0
		.amdhsa_enable_private_segment 0
		.amdhsa_system_sgpr_workgroup_id_x 1
		.amdhsa_system_sgpr_workgroup_id_y 0
		.amdhsa_system_sgpr_workgroup_id_z 0
		.amdhsa_system_sgpr_workgroup_info 0
		.amdhsa_system_vgpr_workitem_id 1
		.amdhsa_next_free_vgpr 23
		.amdhsa_next_free_sgpr 20
		.amdhsa_reserve_vcc 1
		.amdhsa_float_round_mode_32 0
		.amdhsa_float_round_mode_16_64 0
		.amdhsa_float_denorm_mode_32 3
		.amdhsa_float_denorm_mode_16_64 3
		.amdhsa_dx10_clamp 1
		.amdhsa_ieee_mode 1
		.amdhsa_fp16_overflow 0
		.amdhsa_workgroup_processor_mode 1
		.amdhsa_memory_ordered 1
		.amdhsa_forward_progress 0
		.amdhsa_shared_vgpr_count 0
		.amdhsa_exception_fp_ieee_invalid_op 0
		.amdhsa_exception_fp_denorm_src 0
		.amdhsa_exception_fp_ieee_div_zero 0
		.amdhsa_exception_fp_ieee_overflow 0
		.amdhsa_exception_fp_ieee_underflow 0
		.amdhsa_exception_fp_ieee_inexact 0
		.amdhsa_exception_int_div_zero 0
	.end_amdhsa_kernel
	.section	.text._ZN12_GLOBAL__N_121softmax_warp_backwardIfffLi8ELb1ELb0ELi32EEEvPT0_PKT_S5_iiiPKb,"axG",@progbits,_ZN12_GLOBAL__N_121softmax_warp_backwardIfffLi8ELb1ELb0ELi32EEEvPT0_PKT_S5_iiiPKb,comdat
.Lfunc_end245:
	.size	_ZN12_GLOBAL__N_121softmax_warp_backwardIfffLi8ELb1ELb0ELi32EEEvPT0_PKT_S5_iiiPKb, .Lfunc_end245-_ZN12_GLOBAL__N_121softmax_warp_backwardIfffLi8ELb1ELb0ELi32EEEvPT0_PKT_S5_iiiPKb
                                        ; -- End function
	.section	.AMDGPU.csdata,"",@progbits
; Kernel info:
; codeLenInByte = 2252
; NumSgprs: 22
; NumVgprs: 23
; ScratchSize: 0
; MemoryBound: 0
; FloatMode: 240
; IeeeMode: 1
; LDSByteSize: 0 bytes/workgroup (compile time only)
; SGPRBlocks: 2
; VGPRBlocks: 2
; NumSGPRsForWavesPerEU: 22
; NumVGPRsForWavesPerEU: 23
; Occupancy: 16
; WaveLimiterHint : 0
; COMPUTE_PGM_RSRC2:SCRATCH_EN: 0
; COMPUTE_PGM_RSRC2:USER_SGPR: 15
; COMPUTE_PGM_RSRC2:TRAP_HANDLER: 0
; COMPUTE_PGM_RSRC2:TGID_X_EN: 1
; COMPUTE_PGM_RSRC2:TGID_Y_EN: 0
; COMPUTE_PGM_RSRC2:TGID_Z_EN: 0
; COMPUTE_PGM_RSRC2:TIDIG_COMP_CNT: 1
	.section	.text._ZN12_GLOBAL__N_121softmax_warp_backwardIfffLi9ELb1ELb0ELi64EEEvPT0_PKT_S5_iiiPKb,"axG",@progbits,_ZN12_GLOBAL__N_121softmax_warp_backwardIfffLi9ELb1ELb0ELi64EEEvPT0_PKT_S5_iiiPKb,comdat
	.globl	_ZN12_GLOBAL__N_121softmax_warp_backwardIfffLi9ELb1ELb0ELi64EEEvPT0_PKT_S5_iiiPKb ; -- Begin function _ZN12_GLOBAL__N_121softmax_warp_backwardIfffLi9ELb1ELb0ELi64EEEvPT0_PKT_S5_iiiPKb
	.p2align	8
	.type	_ZN12_GLOBAL__N_121softmax_warp_backwardIfffLi9ELb1ELb0ELi64EEEvPT0_PKT_S5_iiiPKb,@function
_ZN12_GLOBAL__N_121softmax_warp_backwardIfffLi9ELb1ELb0ELi64EEEvPT0_PKT_S5_iiiPKb: ; @_ZN12_GLOBAL__N_121softmax_warp_backwardIfffLi9ELb1ELb0ELi64EEEvPT0_PKT_S5_iiiPKb
; %bb.0:
	s_clause 0x1
	s_load_b32 s2, s[0:1], 0x3c
	s_load_b128 s[16:19], s[0:1], 0x18
	v_bfe_u32 v1, v0, 10, 10
	s_clause 0x1
	s_load_b128 s[8:11], s[0:1], 0x0
	s_load_b64 s[0:1], s[0:1], 0x10
	v_mov_b32_e32 v10, 0
	v_dual_mov_b32 v18, 0 :: v_dual_mov_b32 v21, 0
	s_waitcnt lgkmcnt(0)
	s_lshr_b32 s2, s2, 16
	s_delay_alu instid0(SALU_CYCLE_1) | instskip(SKIP_1) | instid1(VALU_DEP_1)
	v_mad_u64_u32 v[3:4], null, s15, s2, v[1:2]
	v_and_b32_e32 v2, 63, v0
	v_cmp_gt_i32_e64 s6, s18, v2
	s_delay_alu instid0(VALU_DEP_3) | instskip(SKIP_1) | instid1(VALU_DEP_1)
	v_mad_u64_u32 v[0:1], null, v3, s17, v[2:3]
	v_sub_nc_u32_e32 v22, s16, v3
	v_cmp_lt_i32_e64 s7, 0, v22
	s_delay_alu instid0(VALU_DEP_3) | instskip(NEXT) | instid1(VALU_DEP_1)
	v_ashrrev_i32_e32 v1, 31, v0
	v_lshlrev_b64 v[0:1], 2, v[0:1]
	s_delay_alu instid0(VALU_DEP_1) | instskip(NEXT) | instid1(VALU_DEP_2)
	v_add_co_u32 v3, vcc_lo, s10, v0
	v_add_co_ci_u32_e32 v4, vcc_lo, s11, v1, vcc_lo
	v_add_co_u32 v5, vcc_lo, s0, v0
	v_add_co_ci_u32_e32 v6, vcc_lo, s1, v1, vcc_lo
	s_and_b32 s1, s7, s6
	s_delay_alu instid0(SALU_CYCLE_1)
	s_and_saveexec_b32 s0, s1
	s_cbranch_execz .LBB246_2
; %bb.1:
	global_load_b32 v18, v[3:4], off
	global_load_b32 v21, v[5:6], off
.LBB246_2:
	s_or_b32 exec_lo, exec_lo, s0
	v_or_b32_e32 v7, 64, v2
	v_mov_b32_e32 v20, 0
	s_delay_alu instid0(VALU_DEP_2) | instskip(NEXT) | instid1(VALU_DEP_1)
	v_cmp_gt_i32_e64 s5, s18, v7
	s_and_b32 s1, s7, s5
	s_delay_alu instid0(SALU_CYCLE_1)
	s_and_saveexec_b32 s0, s1
	s_cbranch_execz .LBB246_4
; %bb.3:
	global_load_b32 v10, v[3:4], off offset:256
	global_load_b32 v20, v[5:6], off offset:256
.LBB246_4:
	s_or_b32 exec_lo, exec_lo, s0
	v_or_b32_e32 v7, 0x80, v2
	v_dual_mov_b32 v9, 0 :: v_dual_mov_b32 v16, 0
	v_mov_b32_e32 v19, 0
	s_delay_alu instid0(VALU_DEP_3) | instskip(NEXT) | instid1(VALU_DEP_1)
	v_cmp_gt_i32_e64 s4, s18, v7
	s_and_b32 s1, s7, s4
	s_delay_alu instid0(SALU_CYCLE_1)
	s_and_saveexec_b32 s0, s1
	s_cbranch_execz .LBB246_6
; %bb.5:
	global_load_b32 v16, v[3:4], off offset:512
	global_load_b32 v19, v[5:6], off offset:512
.LBB246_6:
	s_or_b32 exec_lo, exec_lo, s0
	v_or_b32_e32 v7, 0xc0, v2
	v_mov_b32_e32 v17, 0
	s_delay_alu instid0(VALU_DEP_2) | instskip(NEXT) | instid1(VALU_DEP_1)
	v_cmp_gt_i32_e64 s3, s18, v7
	s_and_b32 s1, s7, s3
	s_delay_alu instid0(SALU_CYCLE_1)
	s_and_saveexec_b32 s0, s1
	s_cbranch_execz .LBB246_8
; %bb.7:
	global_load_b32 v9, v[3:4], off offset:768
	global_load_b32 v17, v[5:6], off offset:768
.LBB246_8:
	s_or_b32 exec_lo, exec_lo, s0
	v_or_b32_e32 v7, 0x100, v2
	v_dual_mov_b32 v8, 0 :: v_dual_mov_b32 v13, 0
	v_mov_b32_e32 v15, 0
	s_delay_alu instid0(VALU_DEP_3) | instskip(NEXT) | instid1(VALU_DEP_1)
	v_cmp_gt_i32_e64 s2, s18, v7
	s_and_b32 s1, s7, s2
	s_delay_alu instid0(SALU_CYCLE_1)
	s_and_saveexec_b32 s0, s1
	s_cbranch_execz .LBB246_10
; %bb.9:
	global_load_b32 v13, v[3:4], off offset:1024
	global_load_b32 v15, v[5:6], off offset:1024
.LBB246_10:
	s_or_b32 exec_lo, exec_lo, s0
	v_or_b32_e32 v7, 0x140, v2
	v_mov_b32_e32 v14, 0
	s_delay_alu instid0(VALU_DEP_2) | instskip(NEXT) | instid1(VALU_DEP_1)
	v_cmp_gt_i32_e64 s1, s18, v7
	s_and_b32 s10, s7, s1
	s_delay_alu instid0(SALU_CYCLE_1)
	s_and_saveexec_b32 s0, s10
	s_cbranch_execz .LBB246_12
; %bb.11:
	global_load_b32 v8, v[3:4], off offset:1280
	global_load_b32 v14, v[5:6], off offset:1280
.LBB246_12:
	s_or_b32 exec_lo, exec_lo, s0
	v_or_b32_e32 v7, 0x180, v2
	v_dual_mov_b32 v11, 0 :: v_dual_mov_b32 v12, 0
	s_delay_alu instid0(VALU_DEP_2) | instskip(SKIP_1) | instid1(VALU_DEP_2)
	v_cmp_gt_i32_e64 s0, s18, v7
	v_mov_b32_e32 v7, 0
	s_and_b32 s11, s7, s0
	s_delay_alu instid0(SALU_CYCLE_1)
	s_and_saveexec_b32 s10, s11
	s_cbranch_execz .LBB246_14
; %bb.13:
	global_load_b32 v11, v[3:4], off offset:1536
	global_load_b32 v12, v[5:6], off offset:1536
.LBB246_14:
	s_or_b32 exec_lo, exec_lo, s10
	v_or_b32_e32 v2, 0x1c0, v2
	s_delay_alu instid0(VALU_DEP_1) | instskip(SKIP_2) | instid1(SALU_CYCLE_1)
	v_cmp_gt_i32_e32 vcc_lo, s18, v2
	v_mov_b32_e32 v2, 0
	s_and_b32 s10, s7, vcc_lo
	s_and_saveexec_b32 s7, s10
	s_cbranch_execz .LBB246_16
; %bb.15:
	global_load_b32 v7, v[3:4], off offset:1792
	global_load_b32 v2, v[5:6], off offset:1792
.LBB246_16:
	s_or_b32 exec_lo, exec_lo, s7
	v_mbcnt_lo_u32_b32 v4, -1, 0
	s_waitcnt vmcnt(1)
	v_add_f32_e32 v3, 0, v18
	s_mov_b32 s10, exec_lo
	s_delay_alu instid0(VALU_DEP_2) | instskip(SKIP_1) | instid1(VALU_DEP_3)
	v_or_b32_e32 v5, 32, v4
	v_xor_b32_e32 v6, 16, v4
	v_add_f32_e32 v3, v3, v10
	s_delay_alu instid0(VALU_DEP_3) | instskip(NEXT) | instid1(VALU_DEP_1)
	v_cmp_gt_i32_e64 s7, 64, v5
	v_cndmask_b32_e64 v5, v4, v5, s7
	s_delay_alu instid0(VALU_DEP_4) | instskip(NEXT) | instid1(VALU_DEP_2)
	v_cmp_gt_i32_e64 s7, 64, v6
	v_lshlrev_b32_e32 v5, 2, v5
	s_delay_alu instid0(VALU_DEP_2) | instskip(NEXT) | instid1(VALU_DEP_1)
	v_cndmask_b32_e64 v6, v4, v6, s7
	v_dual_add_f32 v3, v3, v16 :: v_dual_lshlrev_b32 v6, 2, v6
	s_delay_alu instid0(VALU_DEP_1) | instskip(NEXT) | instid1(VALU_DEP_1)
	v_add_f32_e32 v3, v3, v9
	v_add_f32_e32 v3, v3, v13
	s_delay_alu instid0(VALU_DEP_1) | instskip(NEXT) | instid1(VALU_DEP_1)
	v_add_f32_e32 v3, v3, v8
	v_add_f32_e32 v3, v3, v11
	s_delay_alu instid0(VALU_DEP_1)
	v_add_f32_e32 v3, v3, v7
	ds_bpermute_b32 v5, v5, v3
	s_waitcnt lgkmcnt(0)
	v_add_f32_e32 v3, v3, v5
	ds_bpermute_b32 v5, v6, v3
	v_xor_b32_e32 v6, 8, v4
	s_delay_alu instid0(VALU_DEP_1) | instskip(NEXT) | instid1(VALU_DEP_1)
	v_cmp_gt_i32_e64 s7, 64, v6
	v_cndmask_b32_e64 v6, v4, v6, s7
	s_waitcnt lgkmcnt(0)
	s_delay_alu instid0(VALU_DEP_1) | instskip(SKIP_2) | instid1(VALU_DEP_1)
	v_dual_add_f32 v3, v3, v5 :: v_dual_lshlrev_b32 v6, 2, v6
	ds_bpermute_b32 v5, v6, v3
	v_xor_b32_e32 v6, 4, v4
	v_cmp_gt_i32_e64 s7, 64, v6
	s_delay_alu instid0(VALU_DEP_1) | instskip(SKIP_1) | instid1(VALU_DEP_1)
	v_cndmask_b32_e64 v6, v4, v6, s7
	s_waitcnt lgkmcnt(0)
	v_dual_add_f32 v3, v3, v5 :: v_dual_lshlrev_b32 v6, 2, v6
	ds_bpermute_b32 v5, v6, v3
	v_xor_b32_e32 v6, 2, v4
	s_delay_alu instid0(VALU_DEP_1) | instskip(NEXT) | instid1(VALU_DEP_1)
	v_cmp_gt_i32_e64 s7, 64, v6
	v_cndmask_b32_e64 v6, v4, v6, s7
	s_waitcnt lgkmcnt(0)
	s_delay_alu instid0(VALU_DEP_1) | instskip(SKIP_2) | instid1(VALU_DEP_1)
	v_dual_add_f32 v3, v3, v5 :: v_dual_lshlrev_b32 v6, 2, v6
	ds_bpermute_b32 v5, v6, v3
	v_xor_b32_e32 v6, 1, v4
	v_cmp_gt_i32_e64 s7, 64, v6
	s_delay_alu instid0(VALU_DEP_1) | instskip(SKIP_1) | instid1(VALU_DEP_1)
	v_cndmask_b32_e64 v4, v4, v6, s7
	s_waitcnt lgkmcnt(0)
	v_dual_add_f32 v3, v3, v5 :: v_dual_lshlrev_b32 v4, 2, v4
	ds_bpermute_b32 v4, v4, v3
	v_cmpx_lt_i32_e32 0, v22
	s_cbranch_execz .LBB246_26
; %bb.17:
	v_add_co_u32 v0, s7, s8, v0
	s_delay_alu instid0(VALU_DEP_1)
	v_add_co_ci_u32_e64 v1, s7, s9, v1, s7
	s_waitcnt lgkmcnt(0)
	v_add_f32_e32 v3, v3, v4
	s_and_saveexec_b32 s7, s6
	s_cbranch_execnz .LBB246_27
; %bb.18:
	s_or_b32 exec_lo, exec_lo, s7
	s_and_saveexec_b32 s6, s5
	s_cbranch_execnz .LBB246_28
.LBB246_19:
	s_or_b32 exec_lo, exec_lo, s6
	s_and_saveexec_b32 s5, s4
	s_cbranch_execnz .LBB246_29
.LBB246_20:
	s_or_b32 exec_lo, exec_lo, s5
	s_and_saveexec_b32 s4, s3
	s_cbranch_execnz .LBB246_30
.LBB246_21:
	s_or_b32 exec_lo, exec_lo, s4
	s_and_saveexec_b32 s3, s2
	s_cbranch_execnz .LBB246_31
.LBB246_22:
	s_or_b32 exec_lo, exec_lo, s3
	s_and_saveexec_b32 s2, s1
	s_cbranch_execnz .LBB246_32
.LBB246_23:
	s_or_b32 exec_lo, exec_lo, s2
	s_and_saveexec_b32 s1, s0
	s_cbranch_execnz .LBB246_33
.LBB246_24:
	s_or_b32 exec_lo, exec_lo, s1
	s_delay_alu instid0(SALU_CYCLE_1)
	s_and_b32 exec_lo, exec_lo, vcc_lo
	s_cbranch_execz .LBB246_26
.LBB246_25:
	s_waitcnt vmcnt(0)
	v_mul_f32_e32 v4, 0x3fb8aa3b, v2
	v_cmp_ngt_f32_e32 vcc_lo, 0xc2ce8ed0, v2
	s_delay_alu instid0(VALU_DEP_2) | instskip(SKIP_1) | instid1(VALU_DEP_2)
	v_rndne_f32_e32 v5, v4
	v_fma_f32 v6, 0x3fb8aa3b, v2, -v4
	v_sub_f32_e32 v4, v4, v5
	s_delay_alu instid0(VALU_DEP_2) | instskip(SKIP_1) | instid1(VALU_DEP_2)
	v_fmamk_f32 v6, v2, 0x32a5705f, v6
	v_cvt_i32_f32_e32 v5, v5
	v_add_f32_e32 v4, v4, v6
	s_delay_alu instid0(VALU_DEP_1) | instskip(SKIP_2) | instid1(VALU_DEP_1)
	v_exp_f32_e32 v4, v4
	s_waitcnt_depctr 0xfff
	v_ldexp_f32 v4, v4, v5
	v_cndmask_b32_e32 v4, 0, v4, vcc_lo
	v_cmp_nlt_f32_e32 vcc_lo, 0x42b17218, v2
	s_delay_alu instid0(VALU_DEP_2) | instskip(NEXT) | instid1(VALU_DEP_1)
	v_cndmask_b32_e32 v2, 0x7f800000, v4, vcc_lo
	v_fma_f32 v2, -v3, v2, v7
	global_store_b32 v[0:1], v2, off offset:1792
.LBB246_26:
	s_nop 0
	s_sendmsg sendmsg(MSG_DEALLOC_VGPRS)
	s_endpgm
.LBB246_27:
	s_waitcnt vmcnt(0)
	v_mul_f32_e32 v4, 0x3fb8aa3b, v21
	v_cmp_ngt_f32_e64 s6, 0xc2ce8ed0, v21
	s_delay_alu instid0(VALU_DEP_2) | instskip(SKIP_1) | instid1(VALU_DEP_2)
	v_rndne_f32_e32 v5, v4
	v_fma_f32 v6, 0x3fb8aa3b, v21, -v4
	v_sub_f32_e32 v4, v4, v5
	s_delay_alu instid0(VALU_DEP_2) | instskip(SKIP_1) | instid1(VALU_DEP_2)
	v_fmamk_f32 v6, v21, 0x32a5705f, v6
	v_cvt_i32_f32_e32 v5, v5
	v_add_f32_e32 v4, v4, v6
	s_delay_alu instid0(VALU_DEP_1) | instskip(SKIP_2) | instid1(VALU_DEP_1)
	v_exp_f32_e32 v4, v4
	s_waitcnt_depctr 0xfff
	v_ldexp_f32 v4, v4, v5
	v_cndmask_b32_e64 v4, 0, v4, s6
	v_cmp_nlt_f32_e64 s6, 0x42b17218, v21
	s_delay_alu instid0(VALU_DEP_1) | instskip(NEXT) | instid1(VALU_DEP_1)
	v_cndmask_b32_e64 v4, 0x7f800000, v4, s6
	v_fma_f32 v4, -v3, v4, v18
	global_store_b32 v[0:1], v4, off
	s_or_b32 exec_lo, exec_lo, s7
	s_and_saveexec_b32 s6, s5
	s_cbranch_execz .LBB246_19
.LBB246_28:
	s_waitcnt vmcnt(0)
	v_mul_f32_e32 v4, 0x3fb8aa3b, v20
	v_cmp_ngt_f32_e64 s5, 0xc2ce8ed0, v20
	s_delay_alu instid0(VALU_DEP_2) | instskip(SKIP_1) | instid1(VALU_DEP_2)
	v_rndne_f32_e32 v5, v4
	v_fma_f32 v6, 0x3fb8aa3b, v20, -v4
	v_sub_f32_e32 v4, v4, v5
	s_delay_alu instid0(VALU_DEP_2) | instskip(SKIP_1) | instid1(VALU_DEP_2)
	v_fmamk_f32 v6, v20, 0x32a5705f, v6
	v_cvt_i32_f32_e32 v5, v5
	v_add_f32_e32 v4, v4, v6
	s_delay_alu instid0(VALU_DEP_1) | instskip(SKIP_2) | instid1(VALU_DEP_1)
	v_exp_f32_e32 v4, v4
	s_waitcnt_depctr 0xfff
	v_ldexp_f32 v4, v4, v5
	v_cndmask_b32_e64 v4, 0, v4, s5
	v_cmp_nlt_f32_e64 s5, 0x42b17218, v20
	s_delay_alu instid0(VALU_DEP_1) | instskip(NEXT) | instid1(VALU_DEP_1)
	v_cndmask_b32_e64 v4, 0x7f800000, v4, s5
	v_fma_f32 v4, -v3, v4, v10
	global_store_b32 v[0:1], v4, off offset:256
	s_or_b32 exec_lo, exec_lo, s6
	s_and_saveexec_b32 s5, s4
	s_cbranch_execz .LBB246_20
.LBB246_29:
	s_waitcnt vmcnt(0)
	v_mul_f32_e32 v4, 0x3fb8aa3b, v19
	v_cmp_ngt_f32_e64 s4, 0xc2ce8ed0, v19
	s_delay_alu instid0(VALU_DEP_2) | instskip(SKIP_1) | instid1(VALU_DEP_2)
	v_rndne_f32_e32 v5, v4
	v_fma_f32 v6, 0x3fb8aa3b, v19, -v4
	v_sub_f32_e32 v4, v4, v5
	s_delay_alu instid0(VALU_DEP_2) | instskip(SKIP_1) | instid1(VALU_DEP_2)
	v_fmamk_f32 v6, v19, 0x32a5705f, v6
	v_cvt_i32_f32_e32 v5, v5
	v_add_f32_e32 v4, v4, v6
	s_delay_alu instid0(VALU_DEP_1) | instskip(SKIP_2) | instid1(VALU_DEP_1)
	v_exp_f32_e32 v4, v4
	s_waitcnt_depctr 0xfff
	v_ldexp_f32 v4, v4, v5
	v_cndmask_b32_e64 v4, 0, v4, s4
	v_cmp_nlt_f32_e64 s4, 0x42b17218, v19
	s_delay_alu instid0(VALU_DEP_1) | instskip(NEXT) | instid1(VALU_DEP_1)
	v_cndmask_b32_e64 v4, 0x7f800000, v4, s4
	v_fma_f32 v4, -v3, v4, v16
	global_store_b32 v[0:1], v4, off offset:512
	s_or_b32 exec_lo, exec_lo, s5
	s_and_saveexec_b32 s4, s3
	s_cbranch_execz .LBB246_21
.LBB246_30:
	s_waitcnt vmcnt(0)
	v_mul_f32_e32 v4, 0x3fb8aa3b, v17
	v_cmp_ngt_f32_e64 s3, 0xc2ce8ed0, v17
	s_delay_alu instid0(VALU_DEP_2) | instskip(SKIP_1) | instid1(VALU_DEP_2)
	v_rndne_f32_e32 v5, v4
	v_fma_f32 v6, 0x3fb8aa3b, v17, -v4
	v_sub_f32_e32 v4, v4, v5
	s_delay_alu instid0(VALU_DEP_2) | instskip(SKIP_1) | instid1(VALU_DEP_2)
	v_fmamk_f32 v6, v17, 0x32a5705f, v6
	v_cvt_i32_f32_e32 v5, v5
	v_add_f32_e32 v4, v4, v6
	s_delay_alu instid0(VALU_DEP_1) | instskip(SKIP_2) | instid1(VALU_DEP_1)
	v_exp_f32_e32 v4, v4
	s_waitcnt_depctr 0xfff
	v_ldexp_f32 v4, v4, v5
	v_cndmask_b32_e64 v4, 0, v4, s3
	v_cmp_nlt_f32_e64 s3, 0x42b17218, v17
	s_delay_alu instid0(VALU_DEP_1) | instskip(NEXT) | instid1(VALU_DEP_1)
	v_cndmask_b32_e64 v4, 0x7f800000, v4, s3
	v_fma_f32 v4, -v3, v4, v9
	global_store_b32 v[0:1], v4, off offset:768
	s_or_b32 exec_lo, exec_lo, s4
	s_and_saveexec_b32 s3, s2
	s_cbranch_execz .LBB246_22
.LBB246_31:
	s_waitcnt vmcnt(0)
	v_mul_f32_e32 v4, 0x3fb8aa3b, v15
	v_cmp_ngt_f32_e64 s2, 0xc2ce8ed0, v15
	s_delay_alu instid0(VALU_DEP_2) | instskip(SKIP_1) | instid1(VALU_DEP_2)
	v_rndne_f32_e32 v5, v4
	v_fma_f32 v6, 0x3fb8aa3b, v15, -v4
	v_sub_f32_e32 v4, v4, v5
	s_delay_alu instid0(VALU_DEP_2) | instskip(SKIP_1) | instid1(VALU_DEP_2)
	v_fmamk_f32 v6, v15, 0x32a5705f, v6
	v_cvt_i32_f32_e32 v5, v5
	v_add_f32_e32 v4, v4, v6
	s_delay_alu instid0(VALU_DEP_1) | instskip(SKIP_2) | instid1(VALU_DEP_1)
	v_exp_f32_e32 v4, v4
	s_waitcnt_depctr 0xfff
	v_ldexp_f32 v4, v4, v5
	v_cndmask_b32_e64 v4, 0, v4, s2
	v_cmp_nlt_f32_e64 s2, 0x42b17218, v15
	s_delay_alu instid0(VALU_DEP_1) | instskip(NEXT) | instid1(VALU_DEP_1)
	v_cndmask_b32_e64 v4, 0x7f800000, v4, s2
	v_fma_f32 v4, -v3, v4, v13
	global_store_b32 v[0:1], v4, off offset:1024
	s_or_b32 exec_lo, exec_lo, s3
	s_and_saveexec_b32 s2, s1
	s_cbranch_execz .LBB246_23
.LBB246_32:
	s_waitcnt vmcnt(0)
	v_mul_f32_e32 v4, 0x3fb8aa3b, v14
	v_cmp_ngt_f32_e64 s1, 0xc2ce8ed0, v14
	s_delay_alu instid0(VALU_DEP_2) | instskip(SKIP_1) | instid1(VALU_DEP_2)
	v_rndne_f32_e32 v5, v4
	v_fma_f32 v6, 0x3fb8aa3b, v14, -v4
	v_sub_f32_e32 v4, v4, v5
	s_delay_alu instid0(VALU_DEP_2) | instskip(SKIP_1) | instid1(VALU_DEP_2)
	v_fmamk_f32 v6, v14, 0x32a5705f, v6
	v_cvt_i32_f32_e32 v5, v5
	v_add_f32_e32 v4, v4, v6
	s_delay_alu instid0(VALU_DEP_1) | instskip(SKIP_2) | instid1(VALU_DEP_1)
	v_exp_f32_e32 v4, v4
	s_waitcnt_depctr 0xfff
	v_ldexp_f32 v4, v4, v5
	v_cndmask_b32_e64 v4, 0, v4, s1
	v_cmp_nlt_f32_e64 s1, 0x42b17218, v14
	s_delay_alu instid0(VALU_DEP_1) | instskip(NEXT) | instid1(VALU_DEP_1)
	v_cndmask_b32_e64 v4, 0x7f800000, v4, s1
	v_fma_f32 v4, -v3, v4, v8
	global_store_b32 v[0:1], v4, off offset:1280
	s_or_b32 exec_lo, exec_lo, s2
	s_and_saveexec_b32 s1, s0
	s_cbranch_execz .LBB246_24
.LBB246_33:
	s_waitcnt vmcnt(0)
	v_mul_f32_e32 v4, 0x3fb8aa3b, v12
	v_cmp_ngt_f32_e64 s0, 0xc2ce8ed0, v12
	s_delay_alu instid0(VALU_DEP_2) | instskip(SKIP_1) | instid1(VALU_DEP_2)
	v_rndne_f32_e32 v5, v4
	v_fma_f32 v6, 0x3fb8aa3b, v12, -v4
	v_sub_f32_e32 v4, v4, v5
	s_delay_alu instid0(VALU_DEP_2) | instskip(SKIP_1) | instid1(VALU_DEP_2)
	v_fmamk_f32 v6, v12, 0x32a5705f, v6
	v_cvt_i32_f32_e32 v5, v5
	v_add_f32_e32 v4, v4, v6
	s_delay_alu instid0(VALU_DEP_1) | instskip(SKIP_2) | instid1(VALU_DEP_1)
	v_exp_f32_e32 v4, v4
	s_waitcnt_depctr 0xfff
	v_ldexp_f32 v4, v4, v5
	v_cndmask_b32_e64 v4, 0, v4, s0
	v_cmp_nlt_f32_e64 s0, 0x42b17218, v12
	s_delay_alu instid0(VALU_DEP_1) | instskip(NEXT) | instid1(VALU_DEP_1)
	v_cndmask_b32_e64 v4, 0x7f800000, v4, s0
	v_fma_f32 v4, -v3, v4, v11
	global_store_b32 v[0:1], v4, off offset:1536
	s_or_b32 exec_lo, exec_lo, s1
	s_delay_alu instid0(SALU_CYCLE_1)
	s_and_b32 exec_lo, exec_lo, vcc_lo
	s_cbranch_execnz .LBB246_25
	s_branch .LBB246_26
	.section	.rodata,"a",@progbits
	.p2align	6, 0x0
	.amdhsa_kernel _ZN12_GLOBAL__N_121softmax_warp_backwardIfffLi9ELb1ELb0ELi64EEEvPT0_PKT_S5_iiiPKb
		.amdhsa_group_segment_fixed_size 0
		.amdhsa_private_segment_fixed_size 0
		.amdhsa_kernarg_size 304
		.amdhsa_user_sgpr_count 15
		.amdhsa_user_sgpr_dispatch_ptr 0
		.amdhsa_user_sgpr_queue_ptr 0
		.amdhsa_user_sgpr_kernarg_segment_ptr 1
		.amdhsa_user_sgpr_dispatch_id 0
		.amdhsa_user_sgpr_private_segment_size 0
		.amdhsa_wavefront_size32 1
		.amdhsa_uses_dynamic_stack 0
		.amdhsa_enable_private_segment 0
		.amdhsa_system_sgpr_workgroup_id_x 1
		.amdhsa_system_sgpr_workgroup_id_y 0
		.amdhsa_system_sgpr_workgroup_id_z 0
		.amdhsa_system_sgpr_workgroup_info 0
		.amdhsa_system_vgpr_workitem_id 1
		.amdhsa_next_free_vgpr 23
		.amdhsa_next_free_sgpr 20
		.amdhsa_reserve_vcc 1
		.amdhsa_float_round_mode_32 0
		.amdhsa_float_round_mode_16_64 0
		.amdhsa_float_denorm_mode_32 3
		.amdhsa_float_denorm_mode_16_64 3
		.amdhsa_dx10_clamp 1
		.amdhsa_ieee_mode 1
		.amdhsa_fp16_overflow 0
		.amdhsa_workgroup_processor_mode 1
		.amdhsa_memory_ordered 1
		.amdhsa_forward_progress 0
		.amdhsa_shared_vgpr_count 0
		.amdhsa_exception_fp_ieee_invalid_op 0
		.amdhsa_exception_fp_denorm_src 0
		.amdhsa_exception_fp_ieee_div_zero 0
		.amdhsa_exception_fp_ieee_overflow 0
		.amdhsa_exception_fp_ieee_underflow 0
		.amdhsa_exception_fp_ieee_inexact 0
		.amdhsa_exception_int_div_zero 0
	.end_amdhsa_kernel
	.section	.text._ZN12_GLOBAL__N_121softmax_warp_backwardIfffLi9ELb1ELb0ELi64EEEvPT0_PKT_S5_iiiPKb,"axG",@progbits,_ZN12_GLOBAL__N_121softmax_warp_backwardIfffLi9ELb1ELb0ELi64EEEvPT0_PKT_S5_iiiPKb,comdat
.Lfunc_end246:
	.size	_ZN12_GLOBAL__N_121softmax_warp_backwardIfffLi9ELb1ELb0ELi64EEEvPT0_PKT_S5_iiiPKb, .Lfunc_end246-_ZN12_GLOBAL__N_121softmax_warp_backwardIfffLi9ELb1ELb0ELi64EEEvPT0_PKT_S5_iiiPKb
                                        ; -- End function
	.section	.AMDGPU.csdata,"",@progbits
; Kernel info:
; codeLenInByte = 2300
; NumSgprs: 22
; NumVgprs: 23
; ScratchSize: 0
; MemoryBound: 0
; FloatMode: 240
; IeeeMode: 1
; LDSByteSize: 0 bytes/workgroup (compile time only)
; SGPRBlocks: 2
; VGPRBlocks: 2
; NumSGPRsForWavesPerEU: 22
; NumVGPRsForWavesPerEU: 23
; Occupancy: 16
; WaveLimiterHint : 0
; COMPUTE_PGM_RSRC2:SCRATCH_EN: 0
; COMPUTE_PGM_RSRC2:USER_SGPR: 15
; COMPUTE_PGM_RSRC2:TRAP_HANDLER: 0
; COMPUTE_PGM_RSRC2:TGID_X_EN: 1
; COMPUTE_PGM_RSRC2:TGID_Y_EN: 0
; COMPUTE_PGM_RSRC2:TGID_Z_EN: 0
; COMPUTE_PGM_RSRC2:TIDIG_COMP_CNT: 1
	.section	.text._ZN12_GLOBAL__N_121softmax_warp_backwardIfffLi9ELb1ELb0ELi32EEEvPT0_PKT_S5_iiiPKb,"axG",@progbits,_ZN12_GLOBAL__N_121softmax_warp_backwardIfffLi9ELb1ELb0ELi32EEEvPT0_PKT_S5_iiiPKb,comdat
	.globl	_ZN12_GLOBAL__N_121softmax_warp_backwardIfffLi9ELb1ELb0ELi32EEEvPT0_PKT_S5_iiiPKb ; -- Begin function _ZN12_GLOBAL__N_121softmax_warp_backwardIfffLi9ELb1ELb0ELi32EEEvPT0_PKT_S5_iiiPKb
	.p2align	8
	.type	_ZN12_GLOBAL__N_121softmax_warp_backwardIfffLi9ELb1ELb0ELi32EEEvPT0_PKT_S5_iiiPKb,@function
_ZN12_GLOBAL__N_121softmax_warp_backwardIfffLi9ELb1ELb0ELi32EEEvPT0_PKT_S5_iiiPKb: ; @_ZN12_GLOBAL__N_121softmax_warp_backwardIfffLi9ELb1ELb0ELi32EEEvPT0_PKT_S5_iiiPKb
; %bb.0:
	s_clause 0x1
	s_load_b32 s2, s[0:1], 0x3c
	s_load_b128 s[20:23], s[0:1], 0x18
	v_bfe_u32 v1, v0, 10, 10
	s_clause 0x1
	s_load_b128 s[16:19], s[0:1], 0x0
	s_load_b64 s[0:1], s[0:1], 0x10
	v_dual_mov_b32 v34, 0 :: v_dual_mov_b32 v37, 0
	v_mov_b32_e32 v21, 0
	s_waitcnt lgkmcnt(0)
	s_lshr_b32 s2, s2, 16
	s_delay_alu instid0(SALU_CYCLE_1) | instskip(SKIP_1) | instid1(VALU_DEP_1)
	v_mad_u64_u32 v[3:4], null, s15, s2, v[1:2]
	v_and_b32_e32 v2, 31, v0
	v_cmp_gt_i32_e64 s14, s22, v2
	s_delay_alu instid0(VALU_DEP_3) | instskip(SKIP_1) | instid1(VALU_DEP_1)
	v_mad_u64_u32 v[0:1], null, v3, s21, v[2:3]
	v_sub_nc_u32_e32 v38, s20, v3
	v_cmp_lt_i32_e64 s15, 0, v38
	s_delay_alu instid0(VALU_DEP_3) | instskip(NEXT) | instid1(VALU_DEP_1)
	v_ashrrev_i32_e32 v1, 31, v0
	v_lshlrev_b64 v[0:1], 2, v[0:1]
	s_delay_alu instid0(VALU_DEP_1) | instskip(NEXT) | instid1(VALU_DEP_2)
	v_add_co_u32 v3, vcc_lo, s18, v0
	v_add_co_ci_u32_e32 v4, vcc_lo, s19, v1, vcc_lo
	v_add_co_u32 v5, vcc_lo, s0, v0
	v_add_co_ci_u32_e32 v6, vcc_lo, s1, v1, vcc_lo
	s_and_b32 s1, s15, s14
	s_delay_alu instid0(SALU_CYCLE_1)
	s_and_saveexec_b32 s0, s1
	s_cbranch_execz .LBB247_2
; %bb.1:
	global_load_b32 v34, v[3:4], off
	global_load_b32 v37, v[5:6], off
.LBB247_2:
	s_or_b32 exec_lo, exec_lo, s0
	v_or_b32_e32 v7, 32, v2
	v_mov_b32_e32 v36, 0
	s_delay_alu instid0(VALU_DEP_2) | instskip(NEXT) | instid1(VALU_DEP_1)
	v_cmp_gt_i32_e64 s13, s22, v7
	s_and_b32 s1, s15, s13
	s_delay_alu instid0(SALU_CYCLE_1)
	s_and_saveexec_b32 s0, s1
	s_cbranch_execz .LBB247_4
; %bb.3:
	global_load_b32 v21, v[3:4], off offset:128
	global_load_b32 v36, v[5:6], off offset:128
.LBB247_4:
	s_or_b32 exec_lo, exec_lo, s0
	v_or_b32_e32 v7, 64, v2
	v_dual_mov_b32 v20, 0 :: v_dual_mov_b32 v35, 0
	v_mov_b32_e32 v32, 0
	s_delay_alu instid0(VALU_DEP_3) | instskip(NEXT) | instid1(VALU_DEP_1)
	v_cmp_gt_i32_e64 s12, s22, v7
	s_and_b32 s1, s15, s12
	s_delay_alu instid0(SALU_CYCLE_1)
	s_and_saveexec_b32 s0, s1
	s_cbranch_execz .LBB247_6
; %bb.5:
	global_load_b32 v32, v[3:4], off offset:256
	global_load_b32 v35, v[5:6], off offset:256
.LBB247_6:
	s_or_b32 exec_lo, exec_lo, s0
	v_or_b32_e32 v7, 0x60, v2
	v_mov_b32_e32 v33, 0
	s_delay_alu instid0(VALU_DEP_2) | instskip(NEXT) | instid1(VALU_DEP_1)
	v_cmp_gt_i32_e64 s11, s22, v7
	s_and_b32 s1, s15, s11
	s_delay_alu instid0(SALU_CYCLE_1)
	s_and_saveexec_b32 s0, s1
	s_cbranch_execz .LBB247_8
; %bb.7:
	global_load_b32 v20, v[3:4], off offset:384
	global_load_b32 v33, v[5:6], off offset:384
.LBB247_8:
	s_or_b32 exec_lo, exec_lo, s0
	v_or_b32_e32 v7, 0x80, v2
	v_dual_mov_b32 v16, 0 :: v_dual_mov_b32 v29, 0
	v_mov_b32_e32 v31, 0
	s_delay_alu instid0(VALU_DEP_3) | instskip(NEXT) | instid1(VALU_DEP_1)
	v_cmp_gt_i32_e64 s10, s22, v7
	s_and_b32 s1, s15, s10
	s_delay_alu instid0(SALU_CYCLE_1)
	s_and_saveexec_b32 s0, s1
	s_cbranch_execz .LBB247_10
; %bb.9:
	global_load_b32 v29, v[3:4], off offset:512
	global_load_b32 v31, v[5:6], off offset:512
.LBB247_10:
	s_or_b32 exec_lo, exec_lo, s0
	v_or_b32_e32 v7, 0xa0, v2
	v_mov_b32_e32 v30, 0
	s_delay_alu instid0(VALU_DEP_2) | instskip(NEXT) | instid1(VALU_DEP_1)
	v_cmp_gt_i32_e64 s9, s22, v7
	s_and_b32 s1, s15, s9
	s_delay_alu instid0(SALU_CYCLE_1)
	s_and_saveexec_b32 s0, s1
	s_cbranch_execz .LBB247_12
; %bb.11:
	global_load_b32 v16, v[3:4], off offset:640
	global_load_b32 v30, v[5:6], off offset:640
.LBB247_12:
	s_or_b32 exec_lo, exec_lo, s0
	v_or_b32_e32 v7, 0xc0, v2
	v_mov_b32_e32 v12, 0
	v_mov_b32_e32 v26, 0
	v_mov_b32_e32 v28, 0
	s_delay_alu instid0(VALU_DEP_4) | instskip(NEXT) | instid1(VALU_DEP_1)
	v_cmp_gt_i32_e64 s8, s22, v7
	s_and_b32 s1, s15, s8
	s_delay_alu instid0(SALU_CYCLE_1)
	s_and_saveexec_b32 s0, s1
	s_cbranch_execz .LBB247_14
; %bb.13:
	global_load_b32 v26, v[3:4], off offset:768
	global_load_b32 v28, v[5:6], off offset:768
.LBB247_14:
	s_or_b32 exec_lo, exec_lo, s0
	v_or_b32_e32 v7, 0xe0, v2
	v_mov_b32_e32 v27, 0
	s_delay_alu instid0(VALU_DEP_2) | instskip(NEXT) | instid1(VALU_DEP_1)
	v_cmp_gt_i32_e64 s7, s22, v7
	s_and_b32 s1, s15, s7
	s_delay_alu instid0(SALU_CYCLE_1)
	s_and_saveexec_b32 s0, s1
	s_cbranch_execz .LBB247_16
; %bb.15:
	global_load_b32 v12, v[3:4], off offset:896
	global_load_b32 v27, v[5:6], off offset:896
.LBB247_16:
	s_or_b32 exec_lo, exec_lo, s0
	v_or_b32_e32 v7, 0x100, v2
	v_dual_mov_b32 v10, 0 :: v_dual_mov_b32 v23, 0
	v_mov_b32_e32 v25, 0
	s_delay_alu instid0(VALU_DEP_3) | instskip(NEXT) | instid1(VALU_DEP_1)
	v_cmp_gt_i32_e64 s6, s22, v7
	s_and_b32 s1, s15, s6
	s_delay_alu instid0(SALU_CYCLE_1)
	s_and_saveexec_b32 s0, s1
	s_cbranch_execz .LBB247_18
; %bb.17:
	global_load_b32 v23, v[3:4], off offset:1024
	global_load_b32 v25, v[5:6], off offset:1024
.LBB247_18:
	s_or_b32 exec_lo, exec_lo, s0
	v_or_b32_e32 v7, 0x120, v2
	v_mov_b32_e32 v24, 0
	s_delay_alu instid0(VALU_DEP_2) | instskip(NEXT) | instid1(VALU_DEP_1)
	v_cmp_gt_i32_e64 s5, s22, v7
	s_and_b32 s1, s15, s5
	s_delay_alu instid0(SALU_CYCLE_1)
	s_and_saveexec_b32 s0, s1
	s_cbranch_execz .LBB247_20
; %bb.19:
	global_load_b32 v10, v[3:4], off offset:1152
	global_load_b32 v24, v[5:6], off offset:1152
.LBB247_20:
	s_or_b32 exec_lo, exec_lo, s0
	v_or_b32_e32 v7, 0x140, v2
	v_dual_mov_b32 v9, 0 :: v_dual_mov_b32 v18, 0
	v_mov_b32_e32 v22, 0
	s_delay_alu instid0(VALU_DEP_3) | instskip(NEXT) | instid1(VALU_DEP_1)
	;; [unrolled: 27-line block ×3, first 2 shown]
	v_cmp_gt_i32_e64 s2, s22, v7
	s_and_b32 s1, s15, s2
	s_delay_alu instid0(SALU_CYCLE_1)
	s_and_saveexec_b32 s0, s1
	s_cbranch_execz .LBB247_26
; %bb.25:
	global_load_b32 v14, v[3:4], off offset:1536
	global_load_b32 v17, v[5:6], off offset:1536
.LBB247_26:
	s_or_b32 exec_lo, exec_lo, s0
	v_or_b32_e32 v7, 0x1a0, v2
	v_mov_b32_e32 v15, 0
	s_delay_alu instid0(VALU_DEP_2) | instskip(NEXT) | instid1(VALU_DEP_1)
	v_cmp_gt_i32_e64 s1, s22, v7
	s_and_b32 s18, s15, s1
	s_delay_alu instid0(SALU_CYCLE_1)
	s_and_saveexec_b32 s0, s18
	s_cbranch_execz .LBB247_28
; %bb.27:
	global_load_b32 v8, v[3:4], off offset:1664
	global_load_b32 v15, v[5:6], off offset:1664
.LBB247_28:
	s_or_b32 exec_lo, exec_lo, s0
	v_or_b32_e32 v7, 0x1c0, v2
	v_mov_b32_e32 v11, 0
	v_mov_b32_e32 v13, 0
	s_delay_alu instid0(VALU_DEP_3) | instskip(SKIP_1) | instid1(VALU_DEP_2)
	v_cmp_gt_i32_e64 s0, s22, v7
	v_mov_b32_e32 v7, 0
	s_and_b32 s19, s15, s0
	s_delay_alu instid0(SALU_CYCLE_1)
	s_and_saveexec_b32 s18, s19
	s_cbranch_execz .LBB247_30
; %bb.29:
	global_load_b32 v11, v[3:4], off offset:1792
	global_load_b32 v13, v[5:6], off offset:1792
.LBB247_30:
	s_or_b32 exec_lo, exec_lo, s18
	v_or_b32_e32 v2, 0x1e0, v2
	s_delay_alu instid0(VALU_DEP_1) | instskip(SKIP_2) | instid1(SALU_CYCLE_1)
	v_cmp_gt_i32_e32 vcc_lo, s22, v2
	v_mov_b32_e32 v2, 0
	s_and_b32 s18, s15, vcc_lo
	s_and_saveexec_b32 s15, s18
	s_cbranch_execz .LBB247_32
; %bb.31:
	global_load_b32 v7, v[3:4], off offset:1920
	global_load_b32 v2, v[5:6], off offset:1920
.LBB247_32:
	s_or_b32 exec_lo, exec_lo, s15
	v_mbcnt_lo_u32_b32 v4, -1, 0
	s_waitcnt vmcnt(1)
	v_add_f32_e32 v3, 0, v34
	s_mov_b32 s18, exec_lo
	s_delay_alu instid0(VALU_DEP_2) | instskip(SKIP_1) | instid1(VALU_DEP_2)
	v_xor_b32_e32 v5, 16, v4
	v_xor_b32_e32 v6, 8, v4
	v_cmp_gt_i32_e64 s15, 32, v5
	s_delay_alu instid0(VALU_DEP_1) | instskip(NEXT) | instid1(VALU_DEP_3)
	v_cndmask_b32_e64 v5, v4, v5, s15
	v_cmp_gt_i32_e64 s15, 32, v6
	s_delay_alu instid0(VALU_DEP_2) | instskip(NEXT) | instid1(VALU_DEP_2)
	v_lshlrev_b32_e32 v5, 2, v5
	v_cndmask_b32_e64 v6, v4, v6, s15
	s_delay_alu instid0(VALU_DEP_1) | instskip(NEXT) | instid1(VALU_DEP_1)
	v_dual_add_f32 v3, v3, v21 :: v_dual_lshlrev_b32 v6, 2, v6
	v_add_f32_e32 v3, v3, v32
	s_delay_alu instid0(VALU_DEP_1) | instskip(NEXT) | instid1(VALU_DEP_1)
	v_add_f32_e32 v3, v3, v20
	v_add_f32_e32 v3, v3, v29
	s_delay_alu instid0(VALU_DEP_1) | instskip(NEXT) | instid1(VALU_DEP_1)
	v_add_f32_e32 v3, v3, v16
	v_add_f32_e32 v3, v3, v26
	s_delay_alu instid0(VALU_DEP_1) | instskip(NEXT) | instid1(VALU_DEP_1)
	v_add_f32_e32 v3, v3, v12
	v_add_f32_e32 v3, v3, v23
	s_delay_alu instid0(VALU_DEP_1) | instskip(NEXT) | instid1(VALU_DEP_1)
	v_add_f32_e32 v3, v3, v10
	v_add_f32_e32 v3, v3, v18
	s_delay_alu instid0(VALU_DEP_1) | instskip(NEXT) | instid1(VALU_DEP_1)
	v_add_f32_e32 v3, v3, v9
	v_add_f32_e32 v3, v3, v14
	s_delay_alu instid0(VALU_DEP_1) | instskip(NEXT) | instid1(VALU_DEP_1)
	v_add_f32_e32 v3, v3, v8
	v_add_f32_e32 v3, v3, v11
	s_delay_alu instid0(VALU_DEP_1)
	v_add_f32_e32 v3, v3, v7
	ds_bpermute_b32 v5, v5, v3
	s_waitcnt lgkmcnt(0)
	v_add_f32_e32 v3, v3, v5
	ds_bpermute_b32 v5, v6, v3
	v_xor_b32_e32 v6, 4, v4
	s_delay_alu instid0(VALU_DEP_1) | instskip(NEXT) | instid1(VALU_DEP_1)
	v_cmp_gt_i32_e64 s15, 32, v6
	v_cndmask_b32_e64 v6, v4, v6, s15
	s_waitcnt lgkmcnt(0)
	s_delay_alu instid0(VALU_DEP_1) | instskip(SKIP_2) | instid1(VALU_DEP_1)
	v_dual_add_f32 v3, v3, v5 :: v_dual_lshlrev_b32 v6, 2, v6
	ds_bpermute_b32 v5, v6, v3
	v_xor_b32_e32 v6, 2, v4
	v_cmp_gt_i32_e64 s15, 32, v6
	s_delay_alu instid0(VALU_DEP_1) | instskip(SKIP_1) | instid1(VALU_DEP_1)
	v_cndmask_b32_e64 v6, v4, v6, s15
	s_waitcnt lgkmcnt(0)
	v_dual_add_f32 v3, v3, v5 :: v_dual_lshlrev_b32 v6, 2, v6
	ds_bpermute_b32 v5, v6, v3
	v_xor_b32_e32 v6, 1, v4
	s_delay_alu instid0(VALU_DEP_1) | instskip(NEXT) | instid1(VALU_DEP_1)
	v_cmp_gt_i32_e64 s15, 32, v6
	v_cndmask_b32_e64 v4, v4, v6, s15
	s_waitcnt lgkmcnt(0)
	s_delay_alu instid0(VALU_DEP_1)
	v_dual_add_f32 v3, v3, v5 :: v_dual_lshlrev_b32 v4, 2, v4
	ds_bpermute_b32 v4, v4, v3
	v_cmpx_lt_i32_e32 0, v38
	s_cbranch_execz .LBB247_50
; %bb.33:
	v_add_co_u32 v0, s15, s16, v0
	s_delay_alu instid0(VALU_DEP_1)
	v_add_co_ci_u32_e64 v1, s15, s17, v1, s15
	s_waitcnt lgkmcnt(0)
	v_add_f32_e32 v3, v3, v4
	s_and_saveexec_b32 s15, s14
	s_cbranch_execnz .LBB247_51
; %bb.34:
	s_or_b32 exec_lo, exec_lo, s15
	s_and_saveexec_b32 s14, s13
	s_cbranch_execnz .LBB247_52
.LBB247_35:
	s_or_b32 exec_lo, exec_lo, s14
	s_and_saveexec_b32 s13, s12
	s_cbranch_execnz .LBB247_53
.LBB247_36:
	s_or_b32 exec_lo, exec_lo, s13
	s_and_saveexec_b32 s12, s11
	s_cbranch_execnz .LBB247_54
.LBB247_37:
	s_or_b32 exec_lo, exec_lo, s12
	s_and_saveexec_b32 s11, s10
	s_cbranch_execnz .LBB247_55
.LBB247_38:
	s_or_b32 exec_lo, exec_lo, s11
	s_and_saveexec_b32 s10, s9
	s_cbranch_execnz .LBB247_56
.LBB247_39:
	s_or_b32 exec_lo, exec_lo, s10
	s_and_saveexec_b32 s9, s8
	s_cbranch_execnz .LBB247_57
.LBB247_40:
	s_or_b32 exec_lo, exec_lo, s9
	s_and_saveexec_b32 s8, s7
	s_cbranch_execnz .LBB247_58
.LBB247_41:
	s_or_b32 exec_lo, exec_lo, s8
	s_and_saveexec_b32 s7, s6
	s_cbranch_execnz .LBB247_59
.LBB247_42:
	s_or_b32 exec_lo, exec_lo, s7
	s_and_saveexec_b32 s6, s5
	s_cbranch_execnz .LBB247_60
.LBB247_43:
	s_or_b32 exec_lo, exec_lo, s6
	s_and_saveexec_b32 s5, s4
	s_cbranch_execnz .LBB247_61
.LBB247_44:
	s_or_b32 exec_lo, exec_lo, s5
	s_and_saveexec_b32 s4, s3
	s_cbranch_execnz .LBB247_62
.LBB247_45:
	s_or_b32 exec_lo, exec_lo, s4
	s_and_saveexec_b32 s3, s2
	s_cbranch_execnz .LBB247_63
.LBB247_46:
	s_or_b32 exec_lo, exec_lo, s3
	s_and_saveexec_b32 s2, s1
	s_cbranch_execnz .LBB247_64
.LBB247_47:
	s_or_b32 exec_lo, exec_lo, s2
	s_and_saveexec_b32 s1, s0
	s_cbranch_execnz .LBB247_65
.LBB247_48:
	s_or_b32 exec_lo, exec_lo, s1
	s_delay_alu instid0(SALU_CYCLE_1)
	s_and_b32 exec_lo, exec_lo, vcc_lo
	s_cbranch_execz .LBB247_50
.LBB247_49:
	s_waitcnt vmcnt(0)
	v_mul_f32_e32 v4, 0x3fb8aa3b, v2
	v_cmp_ngt_f32_e32 vcc_lo, 0xc2ce8ed0, v2
	s_delay_alu instid0(VALU_DEP_2) | instskip(SKIP_1) | instid1(VALU_DEP_2)
	v_rndne_f32_e32 v5, v4
	v_fma_f32 v6, 0x3fb8aa3b, v2, -v4
	v_sub_f32_e32 v4, v4, v5
	s_delay_alu instid0(VALU_DEP_2) | instskip(SKIP_1) | instid1(VALU_DEP_2)
	v_fmamk_f32 v6, v2, 0x32a5705f, v6
	v_cvt_i32_f32_e32 v5, v5
	v_add_f32_e32 v4, v4, v6
	s_delay_alu instid0(VALU_DEP_1) | instskip(SKIP_2) | instid1(VALU_DEP_1)
	v_exp_f32_e32 v4, v4
	s_waitcnt_depctr 0xfff
	v_ldexp_f32 v4, v4, v5
	v_cndmask_b32_e32 v4, 0, v4, vcc_lo
	v_cmp_nlt_f32_e32 vcc_lo, 0x42b17218, v2
	s_delay_alu instid0(VALU_DEP_2) | instskip(NEXT) | instid1(VALU_DEP_1)
	v_cndmask_b32_e32 v2, 0x7f800000, v4, vcc_lo
	v_fma_f32 v2, -v3, v2, v7
	global_store_b32 v[0:1], v2, off offset:1920
.LBB247_50:
	s_nop 0
	s_sendmsg sendmsg(MSG_DEALLOC_VGPRS)
	s_endpgm
.LBB247_51:
	s_waitcnt vmcnt(0)
	v_mul_f32_e32 v4, 0x3fb8aa3b, v37
	v_cmp_ngt_f32_e64 s14, 0xc2ce8ed0, v37
	s_delay_alu instid0(VALU_DEP_2) | instskip(SKIP_1) | instid1(VALU_DEP_2)
	v_rndne_f32_e32 v5, v4
	v_fma_f32 v6, 0x3fb8aa3b, v37, -v4
	v_sub_f32_e32 v4, v4, v5
	s_delay_alu instid0(VALU_DEP_2) | instskip(SKIP_1) | instid1(VALU_DEP_2)
	v_fmamk_f32 v6, v37, 0x32a5705f, v6
	v_cvt_i32_f32_e32 v5, v5
	v_add_f32_e32 v4, v4, v6
	s_delay_alu instid0(VALU_DEP_1) | instskip(SKIP_2) | instid1(VALU_DEP_1)
	v_exp_f32_e32 v4, v4
	s_waitcnt_depctr 0xfff
	v_ldexp_f32 v4, v4, v5
	v_cndmask_b32_e64 v4, 0, v4, s14
	v_cmp_nlt_f32_e64 s14, 0x42b17218, v37
	s_delay_alu instid0(VALU_DEP_1) | instskip(NEXT) | instid1(VALU_DEP_1)
	v_cndmask_b32_e64 v4, 0x7f800000, v4, s14
	v_fma_f32 v4, -v3, v4, v34
	global_store_b32 v[0:1], v4, off
	s_or_b32 exec_lo, exec_lo, s15
	s_and_saveexec_b32 s14, s13
	s_cbranch_execz .LBB247_35
.LBB247_52:
	s_waitcnt vmcnt(0)
	v_mul_f32_e32 v4, 0x3fb8aa3b, v36
	v_cmp_ngt_f32_e64 s13, 0xc2ce8ed0, v36
	s_delay_alu instid0(VALU_DEP_2) | instskip(SKIP_1) | instid1(VALU_DEP_2)
	v_rndne_f32_e32 v5, v4
	v_fma_f32 v6, 0x3fb8aa3b, v36, -v4
	v_sub_f32_e32 v4, v4, v5
	s_delay_alu instid0(VALU_DEP_2) | instskip(SKIP_1) | instid1(VALU_DEP_2)
	v_fmamk_f32 v6, v36, 0x32a5705f, v6
	v_cvt_i32_f32_e32 v5, v5
	v_add_f32_e32 v4, v4, v6
	s_delay_alu instid0(VALU_DEP_1) | instskip(SKIP_2) | instid1(VALU_DEP_1)
	v_exp_f32_e32 v4, v4
	s_waitcnt_depctr 0xfff
	v_ldexp_f32 v4, v4, v5
	v_cndmask_b32_e64 v4, 0, v4, s13
	v_cmp_nlt_f32_e64 s13, 0x42b17218, v36
	s_delay_alu instid0(VALU_DEP_1) | instskip(NEXT) | instid1(VALU_DEP_1)
	v_cndmask_b32_e64 v4, 0x7f800000, v4, s13
	v_fma_f32 v4, -v3, v4, v21
	global_store_b32 v[0:1], v4, off offset:128
	s_or_b32 exec_lo, exec_lo, s14
	s_and_saveexec_b32 s13, s12
	s_cbranch_execz .LBB247_36
.LBB247_53:
	s_waitcnt vmcnt(0)
	v_mul_f32_e32 v4, 0x3fb8aa3b, v35
	v_cmp_ngt_f32_e64 s12, 0xc2ce8ed0, v35
	s_delay_alu instid0(VALU_DEP_2) | instskip(SKIP_1) | instid1(VALU_DEP_2)
	v_rndne_f32_e32 v5, v4
	v_fma_f32 v6, 0x3fb8aa3b, v35, -v4
	v_sub_f32_e32 v4, v4, v5
	s_delay_alu instid0(VALU_DEP_2) | instskip(SKIP_1) | instid1(VALU_DEP_2)
	v_fmamk_f32 v6, v35, 0x32a5705f, v6
	v_cvt_i32_f32_e32 v5, v5
	v_add_f32_e32 v4, v4, v6
	s_delay_alu instid0(VALU_DEP_1) | instskip(SKIP_2) | instid1(VALU_DEP_1)
	v_exp_f32_e32 v4, v4
	s_waitcnt_depctr 0xfff
	v_ldexp_f32 v4, v4, v5
	v_cndmask_b32_e64 v4, 0, v4, s12
	v_cmp_nlt_f32_e64 s12, 0x42b17218, v35
	s_delay_alu instid0(VALU_DEP_1) | instskip(NEXT) | instid1(VALU_DEP_1)
	v_cndmask_b32_e64 v4, 0x7f800000, v4, s12
	v_fma_f32 v4, -v3, v4, v32
	global_store_b32 v[0:1], v4, off offset:256
	s_or_b32 exec_lo, exec_lo, s13
	s_and_saveexec_b32 s12, s11
	s_cbranch_execz .LBB247_37
.LBB247_54:
	s_waitcnt vmcnt(0)
	v_mul_f32_e32 v4, 0x3fb8aa3b, v33
	v_cmp_ngt_f32_e64 s11, 0xc2ce8ed0, v33
	s_delay_alu instid0(VALU_DEP_2) | instskip(SKIP_1) | instid1(VALU_DEP_2)
	v_rndne_f32_e32 v5, v4
	v_fma_f32 v6, 0x3fb8aa3b, v33, -v4
	v_sub_f32_e32 v4, v4, v5
	s_delay_alu instid0(VALU_DEP_2) | instskip(SKIP_1) | instid1(VALU_DEP_2)
	v_fmamk_f32 v6, v33, 0x32a5705f, v6
	v_cvt_i32_f32_e32 v5, v5
	v_add_f32_e32 v4, v4, v6
	s_delay_alu instid0(VALU_DEP_1) | instskip(SKIP_2) | instid1(VALU_DEP_1)
	v_exp_f32_e32 v4, v4
	s_waitcnt_depctr 0xfff
	v_ldexp_f32 v4, v4, v5
	v_cndmask_b32_e64 v4, 0, v4, s11
	v_cmp_nlt_f32_e64 s11, 0x42b17218, v33
	s_delay_alu instid0(VALU_DEP_1) | instskip(NEXT) | instid1(VALU_DEP_1)
	v_cndmask_b32_e64 v4, 0x7f800000, v4, s11
	v_fma_f32 v4, -v3, v4, v20
	global_store_b32 v[0:1], v4, off offset:384
	s_or_b32 exec_lo, exec_lo, s12
	s_and_saveexec_b32 s11, s10
	s_cbranch_execz .LBB247_38
.LBB247_55:
	s_waitcnt vmcnt(0)
	v_mul_f32_e32 v4, 0x3fb8aa3b, v31
	v_cmp_ngt_f32_e64 s10, 0xc2ce8ed0, v31
	s_delay_alu instid0(VALU_DEP_2) | instskip(SKIP_1) | instid1(VALU_DEP_2)
	v_rndne_f32_e32 v5, v4
	v_fma_f32 v6, 0x3fb8aa3b, v31, -v4
	v_sub_f32_e32 v4, v4, v5
	s_delay_alu instid0(VALU_DEP_2) | instskip(SKIP_1) | instid1(VALU_DEP_2)
	v_fmamk_f32 v6, v31, 0x32a5705f, v6
	v_cvt_i32_f32_e32 v5, v5
	v_add_f32_e32 v4, v4, v6
	s_delay_alu instid0(VALU_DEP_1) | instskip(SKIP_2) | instid1(VALU_DEP_1)
	v_exp_f32_e32 v4, v4
	s_waitcnt_depctr 0xfff
	v_ldexp_f32 v4, v4, v5
	v_cndmask_b32_e64 v4, 0, v4, s10
	v_cmp_nlt_f32_e64 s10, 0x42b17218, v31
	s_delay_alu instid0(VALU_DEP_1) | instskip(NEXT) | instid1(VALU_DEP_1)
	v_cndmask_b32_e64 v4, 0x7f800000, v4, s10
	v_fma_f32 v4, -v3, v4, v29
	global_store_b32 v[0:1], v4, off offset:512
	s_or_b32 exec_lo, exec_lo, s11
	s_and_saveexec_b32 s10, s9
	s_cbranch_execz .LBB247_39
.LBB247_56:
	s_waitcnt vmcnt(0)
	v_mul_f32_e32 v4, 0x3fb8aa3b, v30
	v_cmp_ngt_f32_e64 s9, 0xc2ce8ed0, v30
	s_delay_alu instid0(VALU_DEP_2) | instskip(SKIP_1) | instid1(VALU_DEP_2)
	v_rndne_f32_e32 v5, v4
	v_fma_f32 v6, 0x3fb8aa3b, v30, -v4
	v_sub_f32_e32 v4, v4, v5
	s_delay_alu instid0(VALU_DEP_2) | instskip(SKIP_1) | instid1(VALU_DEP_2)
	v_fmamk_f32 v6, v30, 0x32a5705f, v6
	v_cvt_i32_f32_e32 v5, v5
	v_add_f32_e32 v4, v4, v6
	s_delay_alu instid0(VALU_DEP_1) | instskip(SKIP_2) | instid1(VALU_DEP_1)
	v_exp_f32_e32 v4, v4
	s_waitcnt_depctr 0xfff
	v_ldexp_f32 v4, v4, v5
	v_cndmask_b32_e64 v4, 0, v4, s9
	v_cmp_nlt_f32_e64 s9, 0x42b17218, v30
	s_delay_alu instid0(VALU_DEP_1) | instskip(NEXT) | instid1(VALU_DEP_1)
	v_cndmask_b32_e64 v4, 0x7f800000, v4, s9
	v_fma_f32 v4, -v3, v4, v16
	global_store_b32 v[0:1], v4, off offset:640
	s_or_b32 exec_lo, exec_lo, s10
	s_and_saveexec_b32 s9, s8
	s_cbranch_execz .LBB247_40
.LBB247_57:
	s_waitcnt vmcnt(0)
	v_mul_f32_e32 v4, 0x3fb8aa3b, v28
	v_cmp_ngt_f32_e64 s8, 0xc2ce8ed0, v28
	s_delay_alu instid0(VALU_DEP_2) | instskip(SKIP_1) | instid1(VALU_DEP_2)
	v_rndne_f32_e32 v5, v4
	v_fma_f32 v6, 0x3fb8aa3b, v28, -v4
	v_sub_f32_e32 v4, v4, v5
	s_delay_alu instid0(VALU_DEP_2) | instskip(SKIP_1) | instid1(VALU_DEP_2)
	v_fmamk_f32 v6, v28, 0x32a5705f, v6
	v_cvt_i32_f32_e32 v5, v5
	v_add_f32_e32 v4, v4, v6
	s_delay_alu instid0(VALU_DEP_1) | instskip(SKIP_2) | instid1(VALU_DEP_1)
	v_exp_f32_e32 v4, v4
	s_waitcnt_depctr 0xfff
	v_ldexp_f32 v4, v4, v5
	v_cndmask_b32_e64 v4, 0, v4, s8
	v_cmp_nlt_f32_e64 s8, 0x42b17218, v28
	s_delay_alu instid0(VALU_DEP_1) | instskip(NEXT) | instid1(VALU_DEP_1)
	v_cndmask_b32_e64 v4, 0x7f800000, v4, s8
	v_fma_f32 v4, -v3, v4, v26
	global_store_b32 v[0:1], v4, off offset:768
	s_or_b32 exec_lo, exec_lo, s9
	s_and_saveexec_b32 s8, s7
	s_cbranch_execz .LBB247_41
.LBB247_58:
	s_waitcnt vmcnt(0)
	v_mul_f32_e32 v4, 0x3fb8aa3b, v27
	v_cmp_ngt_f32_e64 s7, 0xc2ce8ed0, v27
	s_delay_alu instid0(VALU_DEP_2) | instskip(SKIP_1) | instid1(VALU_DEP_2)
	v_rndne_f32_e32 v5, v4
	v_fma_f32 v6, 0x3fb8aa3b, v27, -v4
	v_sub_f32_e32 v4, v4, v5
	s_delay_alu instid0(VALU_DEP_2) | instskip(SKIP_1) | instid1(VALU_DEP_2)
	v_fmamk_f32 v6, v27, 0x32a5705f, v6
	v_cvt_i32_f32_e32 v5, v5
	v_add_f32_e32 v4, v4, v6
	s_delay_alu instid0(VALU_DEP_1) | instskip(SKIP_2) | instid1(VALU_DEP_1)
	v_exp_f32_e32 v4, v4
	s_waitcnt_depctr 0xfff
	v_ldexp_f32 v4, v4, v5
	v_cndmask_b32_e64 v4, 0, v4, s7
	v_cmp_nlt_f32_e64 s7, 0x42b17218, v27
	s_delay_alu instid0(VALU_DEP_1) | instskip(NEXT) | instid1(VALU_DEP_1)
	v_cndmask_b32_e64 v4, 0x7f800000, v4, s7
	v_fma_f32 v4, -v3, v4, v12
	global_store_b32 v[0:1], v4, off offset:896
	s_or_b32 exec_lo, exec_lo, s8
	s_and_saveexec_b32 s7, s6
	s_cbranch_execz .LBB247_42
.LBB247_59:
	s_waitcnt vmcnt(0)
	v_mul_f32_e32 v4, 0x3fb8aa3b, v25
	v_cmp_ngt_f32_e64 s6, 0xc2ce8ed0, v25
	s_delay_alu instid0(VALU_DEP_2) | instskip(SKIP_1) | instid1(VALU_DEP_2)
	v_rndne_f32_e32 v5, v4
	v_fma_f32 v6, 0x3fb8aa3b, v25, -v4
	v_sub_f32_e32 v4, v4, v5
	s_delay_alu instid0(VALU_DEP_2) | instskip(SKIP_1) | instid1(VALU_DEP_2)
	v_fmamk_f32 v6, v25, 0x32a5705f, v6
	v_cvt_i32_f32_e32 v5, v5
	v_add_f32_e32 v4, v4, v6
	s_delay_alu instid0(VALU_DEP_1) | instskip(SKIP_2) | instid1(VALU_DEP_1)
	v_exp_f32_e32 v4, v4
	s_waitcnt_depctr 0xfff
	v_ldexp_f32 v4, v4, v5
	v_cndmask_b32_e64 v4, 0, v4, s6
	v_cmp_nlt_f32_e64 s6, 0x42b17218, v25
	s_delay_alu instid0(VALU_DEP_1) | instskip(NEXT) | instid1(VALU_DEP_1)
	v_cndmask_b32_e64 v4, 0x7f800000, v4, s6
	v_fma_f32 v4, -v3, v4, v23
	global_store_b32 v[0:1], v4, off offset:1024
	s_or_b32 exec_lo, exec_lo, s7
	s_and_saveexec_b32 s6, s5
	s_cbranch_execz .LBB247_43
.LBB247_60:
	s_waitcnt vmcnt(0)
	v_mul_f32_e32 v4, 0x3fb8aa3b, v24
	v_cmp_ngt_f32_e64 s5, 0xc2ce8ed0, v24
	s_delay_alu instid0(VALU_DEP_2) | instskip(SKIP_1) | instid1(VALU_DEP_2)
	v_rndne_f32_e32 v5, v4
	v_fma_f32 v6, 0x3fb8aa3b, v24, -v4
	v_sub_f32_e32 v4, v4, v5
	s_delay_alu instid0(VALU_DEP_2) | instskip(SKIP_1) | instid1(VALU_DEP_2)
	v_fmamk_f32 v6, v24, 0x32a5705f, v6
	v_cvt_i32_f32_e32 v5, v5
	v_add_f32_e32 v4, v4, v6
	s_delay_alu instid0(VALU_DEP_1) | instskip(SKIP_2) | instid1(VALU_DEP_1)
	v_exp_f32_e32 v4, v4
	s_waitcnt_depctr 0xfff
	v_ldexp_f32 v4, v4, v5
	v_cndmask_b32_e64 v4, 0, v4, s5
	v_cmp_nlt_f32_e64 s5, 0x42b17218, v24
	s_delay_alu instid0(VALU_DEP_1) | instskip(NEXT) | instid1(VALU_DEP_1)
	v_cndmask_b32_e64 v4, 0x7f800000, v4, s5
	v_fma_f32 v4, -v3, v4, v10
	global_store_b32 v[0:1], v4, off offset:1152
	s_or_b32 exec_lo, exec_lo, s6
	s_and_saveexec_b32 s5, s4
	s_cbranch_execz .LBB247_44
.LBB247_61:
	s_waitcnt vmcnt(0)
	v_mul_f32_e32 v4, 0x3fb8aa3b, v22
	v_cmp_ngt_f32_e64 s4, 0xc2ce8ed0, v22
	s_delay_alu instid0(VALU_DEP_2) | instskip(SKIP_1) | instid1(VALU_DEP_2)
	v_rndne_f32_e32 v5, v4
	v_fma_f32 v6, 0x3fb8aa3b, v22, -v4
	v_sub_f32_e32 v4, v4, v5
	s_delay_alu instid0(VALU_DEP_2) | instskip(SKIP_1) | instid1(VALU_DEP_2)
	v_fmamk_f32 v6, v22, 0x32a5705f, v6
	v_cvt_i32_f32_e32 v5, v5
	v_add_f32_e32 v4, v4, v6
	s_delay_alu instid0(VALU_DEP_1) | instskip(SKIP_2) | instid1(VALU_DEP_1)
	v_exp_f32_e32 v4, v4
	s_waitcnt_depctr 0xfff
	v_ldexp_f32 v4, v4, v5
	v_cndmask_b32_e64 v4, 0, v4, s4
	v_cmp_nlt_f32_e64 s4, 0x42b17218, v22
	s_delay_alu instid0(VALU_DEP_1) | instskip(NEXT) | instid1(VALU_DEP_1)
	v_cndmask_b32_e64 v4, 0x7f800000, v4, s4
	v_fma_f32 v4, -v3, v4, v18
	global_store_b32 v[0:1], v4, off offset:1280
	s_or_b32 exec_lo, exec_lo, s5
	s_and_saveexec_b32 s4, s3
	s_cbranch_execz .LBB247_45
.LBB247_62:
	s_waitcnt vmcnt(0)
	v_mul_f32_e32 v4, 0x3fb8aa3b, v19
	v_cmp_ngt_f32_e64 s3, 0xc2ce8ed0, v19
	s_delay_alu instid0(VALU_DEP_2) | instskip(SKIP_1) | instid1(VALU_DEP_2)
	v_rndne_f32_e32 v5, v4
	v_fma_f32 v6, 0x3fb8aa3b, v19, -v4
	v_sub_f32_e32 v4, v4, v5
	s_delay_alu instid0(VALU_DEP_2) | instskip(SKIP_1) | instid1(VALU_DEP_2)
	v_fmamk_f32 v6, v19, 0x32a5705f, v6
	v_cvt_i32_f32_e32 v5, v5
	v_add_f32_e32 v4, v4, v6
	s_delay_alu instid0(VALU_DEP_1) | instskip(SKIP_2) | instid1(VALU_DEP_1)
	v_exp_f32_e32 v4, v4
	s_waitcnt_depctr 0xfff
	v_ldexp_f32 v4, v4, v5
	v_cndmask_b32_e64 v4, 0, v4, s3
	v_cmp_nlt_f32_e64 s3, 0x42b17218, v19
	s_delay_alu instid0(VALU_DEP_1) | instskip(NEXT) | instid1(VALU_DEP_1)
	v_cndmask_b32_e64 v4, 0x7f800000, v4, s3
	v_fma_f32 v4, -v3, v4, v9
	global_store_b32 v[0:1], v4, off offset:1408
	s_or_b32 exec_lo, exec_lo, s4
	s_and_saveexec_b32 s3, s2
	s_cbranch_execz .LBB247_46
.LBB247_63:
	s_waitcnt vmcnt(0)
	v_mul_f32_e32 v4, 0x3fb8aa3b, v17
	v_cmp_ngt_f32_e64 s2, 0xc2ce8ed0, v17
	s_delay_alu instid0(VALU_DEP_2) | instskip(SKIP_1) | instid1(VALU_DEP_2)
	v_rndne_f32_e32 v5, v4
	v_fma_f32 v6, 0x3fb8aa3b, v17, -v4
	v_sub_f32_e32 v4, v4, v5
	s_delay_alu instid0(VALU_DEP_2) | instskip(SKIP_1) | instid1(VALU_DEP_2)
	v_fmamk_f32 v6, v17, 0x32a5705f, v6
	v_cvt_i32_f32_e32 v5, v5
	v_add_f32_e32 v4, v4, v6
	s_delay_alu instid0(VALU_DEP_1) | instskip(SKIP_2) | instid1(VALU_DEP_1)
	v_exp_f32_e32 v4, v4
	s_waitcnt_depctr 0xfff
	v_ldexp_f32 v4, v4, v5
	v_cndmask_b32_e64 v4, 0, v4, s2
	v_cmp_nlt_f32_e64 s2, 0x42b17218, v17
	s_delay_alu instid0(VALU_DEP_1) | instskip(NEXT) | instid1(VALU_DEP_1)
	v_cndmask_b32_e64 v4, 0x7f800000, v4, s2
	v_fma_f32 v4, -v3, v4, v14
	global_store_b32 v[0:1], v4, off offset:1536
	s_or_b32 exec_lo, exec_lo, s3
	s_and_saveexec_b32 s2, s1
	s_cbranch_execz .LBB247_47
.LBB247_64:
	s_waitcnt vmcnt(0)
	v_mul_f32_e32 v4, 0x3fb8aa3b, v15
	v_cmp_ngt_f32_e64 s1, 0xc2ce8ed0, v15
	s_delay_alu instid0(VALU_DEP_2) | instskip(SKIP_1) | instid1(VALU_DEP_2)
	v_rndne_f32_e32 v5, v4
	v_fma_f32 v6, 0x3fb8aa3b, v15, -v4
	v_sub_f32_e32 v4, v4, v5
	s_delay_alu instid0(VALU_DEP_2) | instskip(SKIP_1) | instid1(VALU_DEP_2)
	v_fmamk_f32 v6, v15, 0x32a5705f, v6
	v_cvt_i32_f32_e32 v5, v5
	v_add_f32_e32 v4, v4, v6
	s_delay_alu instid0(VALU_DEP_1) | instskip(SKIP_2) | instid1(VALU_DEP_1)
	v_exp_f32_e32 v4, v4
	s_waitcnt_depctr 0xfff
	v_ldexp_f32 v4, v4, v5
	v_cndmask_b32_e64 v4, 0, v4, s1
	v_cmp_nlt_f32_e64 s1, 0x42b17218, v15
	s_delay_alu instid0(VALU_DEP_1) | instskip(NEXT) | instid1(VALU_DEP_1)
	v_cndmask_b32_e64 v4, 0x7f800000, v4, s1
	v_fma_f32 v4, -v3, v4, v8
	global_store_b32 v[0:1], v4, off offset:1664
	s_or_b32 exec_lo, exec_lo, s2
	s_and_saveexec_b32 s1, s0
	s_cbranch_execz .LBB247_48
.LBB247_65:
	s_waitcnt vmcnt(0)
	v_mul_f32_e32 v4, 0x3fb8aa3b, v13
	v_cmp_ngt_f32_e64 s0, 0xc2ce8ed0, v13
	s_delay_alu instid0(VALU_DEP_2) | instskip(SKIP_1) | instid1(VALU_DEP_2)
	v_rndne_f32_e32 v5, v4
	v_fma_f32 v6, 0x3fb8aa3b, v13, -v4
	v_sub_f32_e32 v4, v4, v5
	s_delay_alu instid0(VALU_DEP_2) | instskip(SKIP_1) | instid1(VALU_DEP_2)
	v_fmamk_f32 v6, v13, 0x32a5705f, v6
	v_cvt_i32_f32_e32 v5, v5
	v_add_f32_e32 v4, v4, v6
	s_delay_alu instid0(VALU_DEP_1) | instskip(SKIP_2) | instid1(VALU_DEP_1)
	v_exp_f32_e32 v4, v4
	s_waitcnt_depctr 0xfff
	v_ldexp_f32 v4, v4, v5
	v_cndmask_b32_e64 v4, 0, v4, s0
	v_cmp_nlt_f32_e64 s0, 0x42b17218, v13
	s_delay_alu instid0(VALU_DEP_1) | instskip(NEXT) | instid1(VALU_DEP_1)
	v_cndmask_b32_e64 v4, 0x7f800000, v4, s0
	v_fma_f32 v4, -v3, v4, v11
	global_store_b32 v[0:1], v4, off offset:1792
	s_or_b32 exec_lo, exec_lo, s1
	s_delay_alu instid0(SALU_CYCLE_1)
	s_and_b32 exec_lo, exec_lo, vcc_lo
	s_cbranch_execnz .LBB247_49
	s_branch .LBB247_50
	.section	.rodata,"a",@progbits
	.p2align	6, 0x0
	.amdhsa_kernel _ZN12_GLOBAL__N_121softmax_warp_backwardIfffLi9ELb1ELb0ELi32EEEvPT0_PKT_S5_iiiPKb
		.amdhsa_group_segment_fixed_size 0
		.amdhsa_private_segment_fixed_size 0
		.amdhsa_kernarg_size 304
		.amdhsa_user_sgpr_count 15
		.amdhsa_user_sgpr_dispatch_ptr 0
		.amdhsa_user_sgpr_queue_ptr 0
		.amdhsa_user_sgpr_kernarg_segment_ptr 1
		.amdhsa_user_sgpr_dispatch_id 0
		.amdhsa_user_sgpr_private_segment_size 0
		.amdhsa_wavefront_size32 1
		.amdhsa_uses_dynamic_stack 0
		.amdhsa_enable_private_segment 0
		.amdhsa_system_sgpr_workgroup_id_x 1
		.amdhsa_system_sgpr_workgroup_id_y 0
		.amdhsa_system_sgpr_workgroup_id_z 0
		.amdhsa_system_sgpr_workgroup_info 0
		.amdhsa_system_vgpr_workitem_id 1
		.amdhsa_next_free_vgpr 39
		.amdhsa_next_free_sgpr 24
		.amdhsa_reserve_vcc 1
		.amdhsa_float_round_mode_32 0
		.amdhsa_float_round_mode_16_64 0
		.amdhsa_float_denorm_mode_32 3
		.amdhsa_float_denorm_mode_16_64 3
		.amdhsa_dx10_clamp 1
		.amdhsa_ieee_mode 1
		.amdhsa_fp16_overflow 0
		.amdhsa_workgroup_processor_mode 1
		.amdhsa_memory_ordered 1
		.amdhsa_forward_progress 0
		.amdhsa_shared_vgpr_count 0
		.amdhsa_exception_fp_ieee_invalid_op 0
		.amdhsa_exception_fp_denorm_src 0
		.amdhsa_exception_fp_ieee_div_zero 0
		.amdhsa_exception_fp_ieee_overflow 0
		.amdhsa_exception_fp_ieee_underflow 0
		.amdhsa_exception_fp_ieee_inexact 0
		.amdhsa_exception_int_div_zero 0
	.end_amdhsa_kernel
	.section	.text._ZN12_GLOBAL__N_121softmax_warp_backwardIfffLi9ELb1ELb0ELi32EEEvPT0_PKT_S5_iiiPKb,"axG",@progbits,_ZN12_GLOBAL__N_121softmax_warp_backwardIfffLi9ELb1ELb0ELi32EEEvPT0_PKT_S5_iiiPKb,comdat
.Lfunc_end247:
	.size	_ZN12_GLOBAL__N_121softmax_warp_backwardIfffLi9ELb1ELb0ELi32EEEvPT0_PKT_S5_iiiPKb, .Lfunc_end247-_ZN12_GLOBAL__N_121softmax_warp_backwardIfffLi9ELb1ELb0ELi32EEEvPT0_PKT_S5_iiiPKb
                                        ; -- End function
	.section	.AMDGPU.csdata,"",@progbits
; Kernel info:
; codeLenInByte = 4124
; NumSgprs: 26
; NumVgprs: 39
; ScratchSize: 0
; MemoryBound: 0
; FloatMode: 240
; IeeeMode: 1
; LDSByteSize: 0 bytes/workgroup (compile time only)
; SGPRBlocks: 3
; VGPRBlocks: 4
; NumSGPRsForWavesPerEU: 26
; NumVGPRsForWavesPerEU: 39
; Occupancy: 16
; WaveLimiterHint : 0
; COMPUTE_PGM_RSRC2:SCRATCH_EN: 0
; COMPUTE_PGM_RSRC2:USER_SGPR: 15
; COMPUTE_PGM_RSRC2:TRAP_HANDLER: 0
; COMPUTE_PGM_RSRC2:TGID_X_EN: 1
; COMPUTE_PGM_RSRC2:TGID_Y_EN: 0
; COMPUTE_PGM_RSRC2:TGID_Z_EN: 0
; COMPUTE_PGM_RSRC2:TIDIG_COMP_CNT: 1
	.section	.text._ZN12_GLOBAL__N_121softmax_warp_backwardIfffLi10ELb1ELb0ELi64EEEvPT0_PKT_S5_iiiPKb,"axG",@progbits,_ZN12_GLOBAL__N_121softmax_warp_backwardIfffLi10ELb1ELb0ELi64EEEvPT0_PKT_S5_iiiPKb,comdat
	.globl	_ZN12_GLOBAL__N_121softmax_warp_backwardIfffLi10ELb1ELb0ELi64EEEvPT0_PKT_S5_iiiPKb ; -- Begin function _ZN12_GLOBAL__N_121softmax_warp_backwardIfffLi10ELb1ELb0ELi64EEEvPT0_PKT_S5_iiiPKb
	.p2align	8
	.type	_ZN12_GLOBAL__N_121softmax_warp_backwardIfffLi10ELb1ELb0ELi64EEEvPT0_PKT_S5_iiiPKb,@function
_ZN12_GLOBAL__N_121softmax_warp_backwardIfffLi10ELb1ELb0ELi64EEEvPT0_PKT_S5_iiiPKb: ; @_ZN12_GLOBAL__N_121softmax_warp_backwardIfffLi10ELb1ELb0ELi64EEEvPT0_PKT_S5_iiiPKb
; %bb.0:
	s_clause 0x1
	s_load_b32 s2, s[0:1], 0x3c
	s_load_b128 s[20:23], s[0:1], 0x18
	v_bfe_u32 v1, v0, 10, 10
	v_dual_mov_b32 v34, 0 :: v_dual_and_b32 v11, 0x3ff, v0
	s_load_b128 s[16:19], s[0:1], 0x0
	v_mov_b32_e32 v21, 0
	s_load_b64 s[0:1], s[0:1], 0x10
	s_delay_alu instid0(VALU_DEP_2) | instskip(SKIP_2) | instid1(VALU_DEP_1)
	v_dual_mov_b32 v37, 0 :: v_dual_and_b32 v6, 63, v11
	s_waitcnt lgkmcnt(0)
	s_lshr_b32 s2, s2, 16
	v_cmp_gt_i32_e64 s14, s22, v6
	v_mad_u64_u32 v[2:3], null, s15, s2, v[1:2]
	s_delay_alu instid0(VALU_DEP_1) | instskip(SKIP_1) | instid1(VALU_DEP_1)
	v_mad_u64_u32 v[0:1], null, v2, s21, v[6:7]
	v_sub_nc_u32_e32 v38, s20, v2
	v_cmp_lt_i32_e64 s15, 0, v38
	s_delay_alu instid0(VALU_DEP_3) | instskip(NEXT) | instid1(VALU_DEP_1)
	v_ashrrev_i32_e32 v1, 31, v0
	v_lshlrev_b64 v[0:1], 2, v[0:1]
	s_delay_alu instid0(VALU_DEP_1) | instskip(NEXT) | instid1(VALU_DEP_2)
	v_add_co_u32 v2, vcc_lo, s18, v0
	v_add_co_ci_u32_e32 v3, vcc_lo, s19, v1, vcc_lo
	v_add_co_u32 v4, vcc_lo, s0, v0
	v_add_co_ci_u32_e32 v5, vcc_lo, s1, v1, vcc_lo
	s_and_b32 s1, s15, s14
	s_delay_alu instid0(SALU_CYCLE_1)
	s_and_saveexec_b32 s0, s1
	s_cbranch_execz .LBB248_2
; %bb.1:
	global_load_b32 v34, v[2:3], off
	global_load_b32 v37, v[4:5], off
.LBB248_2:
	s_or_b32 exec_lo, exec_lo, s0
	v_or_b32_e32 v7, 64, v6
	v_mov_b32_e32 v36, 0
	s_delay_alu instid0(VALU_DEP_2) | instskip(NEXT) | instid1(VALU_DEP_1)
	v_cmp_gt_i32_e64 s13, s22, v7
	s_and_b32 s1, s15, s13
	s_delay_alu instid0(SALU_CYCLE_1)
	s_and_saveexec_b32 s0, s1
	s_cbranch_execz .LBB248_4
; %bb.3:
	global_load_b32 v21, v[2:3], off offset:256
	global_load_b32 v36, v[4:5], off offset:256
.LBB248_4:
	s_or_b32 exec_lo, exec_lo, s0
	v_or_b32_e32 v7, 0x80, v6
	v_dual_mov_b32 v20, 0 :: v_dual_mov_b32 v35, 0
	v_mov_b32_e32 v32, 0
	s_delay_alu instid0(VALU_DEP_3) | instskip(NEXT) | instid1(VALU_DEP_1)
	v_cmp_gt_i32_e64 s12, s22, v7
	s_and_b32 s1, s15, s12
	s_delay_alu instid0(SALU_CYCLE_1)
	s_and_saveexec_b32 s0, s1
	s_cbranch_execz .LBB248_6
; %bb.5:
	global_load_b32 v32, v[2:3], off offset:512
	global_load_b32 v35, v[4:5], off offset:512
.LBB248_6:
	s_or_b32 exec_lo, exec_lo, s0
	v_or_b32_e32 v7, 0xc0, v6
	v_mov_b32_e32 v33, 0
	s_delay_alu instid0(VALU_DEP_2) | instskip(NEXT) | instid1(VALU_DEP_1)
	v_cmp_gt_i32_e64 s11, s22, v7
	s_and_b32 s1, s15, s11
	s_delay_alu instid0(SALU_CYCLE_1)
	s_and_saveexec_b32 s0, s1
	s_cbranch_execz .LBB248_8
; %bb.7:
	global_load_b32 v20, v[2:3], off offset:768
	global_load_b32 v33, v[4:5], off offset:768
.LBB248_8:
	s_or_b32 exec_lo, exec_lo, s0
	v_or_b32_e32 v7, 0x100, v6
	v_dual_mov_b32 v16, 0 :: v_dual_mov_b32 v29, 0
	v_mov_b32_e32 v31, 0
	s_delay_alu instid0(VALU_DEP_3) | instskip(NEXT) | instid1(VALU_DEP_1)
	v_cmp_gt_i32_e64 s10, s22, v7
	s_and_b32 s1, s15, s10
	s_delay_alu instid0(SALU_CYCLE_1)
	s_and_saveexec_b32 s0, s1
	s_cbranch_execz .LBB248_10
; %bb.9:
	global_load_b32 v29, v[2:3], off offset:1024
	global_load_b32 v31, v[4:5], off offset:1024
.LBB248_10:
	s_or_b32 exec_lo, exec_lo, s0
	v_or_b32_e32 v7, 0x140, v6
	v_mov_b32_e32 v30, 0
	s_delay_alu instid0(VALU_DEP_2) | instskip(NEXT) | instid1(VALU_DEP_1)
	v_cmp_gt_i32_e64 s9, s22, v7
	s_and_b32 s1, s15, s9
	s_delay_alu instid0(SALU_CYCLE_1)
	s_and_saveexec_b32 s0, s1
	s_cbranch_execz .LBB248_12
; %bb.11:
	global_load_b32 v16, v[2:3], off offset:1280
	global_load_b32 v30, v[4:5], off offset:1280
.LBB248_12:
	s_or_b32 exec_lo, exec_lo, s0
	v_or_b32_e32 v7, 0x180, v6
	v_mov_b32_e32 v12, 0
	v_mov_b32_e32 v26, 0
	v_mov_b32_e32 v28, 0
	s_delay_alu instid0(VALU_DEP_4) | instskip(NEXT) | instid1(VALU_DEP_1)
	v_cmp_gt_i32_e64 s8, s22, v7
	s_and_b32 s1, s15, s8
	s_delay_alu instid0(SALU_CYCLE_1)
	s_and_saveexec_b32 s0, s1
	s_cbranch_execz .LBB248_14
; %bb.13:
	global_load_b32 v26, v[2:3], off offset:1536
	global_load_b32 v28, v[4:5], off offset:1536
.LBB248_14:
	s_or_b32 exec_lo, exec_lo, s0
	v_or_b32_e32 v7, 0x1c0, v6
	v_mov_b32_e32 v27, 0
	s_delay_alu instid0(VALU_DEP_2) | instskip(NEXT) | instid1(VALU_DEP_1)
	v_cmp_gt_i32_e64 s7, s22, v7
	s_and_b32 s1, s15, s7
	s_delay_alu instid0(SALU_CYCLE_1)
	s_and_saveexec_b32 s0, s1
	s_cbranch_execz .LBB248_16
; %bb.15:
	global_load_b32 v12, v[2:3], off offset:1792
	global_load_b32 v27, v[4:5], off offset:1792
.LBB248_16:
	s_or_b32 exec_lo, exec_lo, s0
	v_or_b32_e32 v7, 0x200, v6
	v_mov_b32_e32 v9, 0
	v_mov_b32_e32 v23, 0
	v_mov_b32_e32 v25, 0
	s_delay_alu instid0(VALU_DEP_4) | instskip(NEXT) | instid1(VALU_DEP_1)
	;; [unrolled: 28-line block ×3, first 2 shown]
	v_cmp_gt_i32_e64 s4, s22, v7
	s_and_b32 s1, s15, s4
	s_delay_alu instid0(SALU_CYCLE_1)
	s_and_saveexec_b32 s0, s1
	s_cbranch_execz .LBB248_22
; %bb.21:
	global_load_b32 v18, v[2:3], off offset:2560
	global_load_b32 v22, v[4:5], off offset:2560
.LBB248_22:
	s_or_b32 exec_lo, exec_lo, s0
	v_or_b32_e32 v7, 0x2c0, v6
	v_mov_b32_e32 v19, 0
	s_delay_alu instid0(VALU_DEP_2) | instskip(NEXT) | instid1(VALU_DEP_1)
	v_cmp_gt_i32_e64 s3, s22, v7
	s_and_b32 s1, s15, s3
	s_delay_alu instid0(SALU_CYCLE_1)
	s_and_saveexec_b32 s0, s1
	s_cbranch_execz .LBB248_24
; %bb.23:
	global_load_b32 v8, v[2:3], off offset:2816
	global_load_b32 v19, v[4:5], off offset:2816
.LBB248_24:
	s_or_b32 exec_lo, exec_lo, s0
	v_or_b32_e32 v7, 0x300, v6
	v_dual_mov_b32 v17, 0 :: v_dual_mov_b32 v14, 0
	s_delay_alu instid0(VALU_DEP_2) | instskip(SKIP_1) | instid1(VALU_DEP_2)
	v_cmp_gt_i32_e64 s2, s22, v7
	v_mov_b32_e32 v7, 0
	s_and_b32 s1, s15, s2
	s_delay_alu instid0(SALU_CYCLE_1)
	s_and_saveexec_b32 s0, s1
	s_cbranch_execz .LBB248_26
; %bb.25:
	global_load_b32 v14, v[2:3], off offset:3072
	global_load_b32 v17, v[4:5], off offset:3072
.LBB248_26:
	s_or_b32 exec_lo, exec_lo, s0
	v_or_b32_e32 v10, 0x340, v6
	v_mov_b32_e32 v15, 0
	s_delay_alu instid0(VALU_DEP_2) | instskip(NEXT) | instid1(VALU_DEP_1)
	v_cmp_gt_i32_e64 s1, s22, v10
	s_and_b32 s18, s15, s1
	s_delay_alu instid0(SALU_CYCLE_1)
	s_and_saveexec_b32 s0, s18
	s_cbranch_execz .LBB248_28
; %bb.27:
	global_load_b32 v7, v[2:3], off offset:3328
	global_load_b32 v15, v[4:5], off offset:3328
.LBB248_28:
	s_or_b32 exec_lo, exec_lo, s0
	v_or_b32_e32 v6, 0x380, v6
	v_dual_mov_b32 v10, 0 :: v_dual_mov_b32 v13, 0
	s_delay_alu instid0(VALU_DEP_2) | instskip(SKIP_1) | instid1(VALU_DEP_2)
	v_cmp_gt_i32_e64 s0, s22, v6
	v_mov_b32_e32 v6, 0
	s_and_b32 s19, s15, s0
	s_delay_alu instid0(SALU_CYCLE_1)
	s_and_saveexec_b32 s18, s19
	s_cbranch_execz .LBB248_30
; %bb.29:
	global_load_b32 v10, v[2:3], off offset:3584
	global_load_b32 v13, v[4:5], off offset:3584
.LBB248_30:
	s_or_b32 exec_lo, exec_lo, s18
	v_or_b32_e32 v11, 0x3c0, v11
	s_delay_alu instid0(VALU_DEP_1) | instskip(SKIP_2) | instid1(SALU_CYCLE_1)
	v_cmp_gt_i32_e32 vcc_lo, s22, v11
	v_mov_b32_e32 v11, 0
	s_and_b32 s18, s15, vcc_lo
	s_and_saveexec_b32 s15, s18
	s_cbranch_execz .LBB248_32
; %bb.31:
	global_load_b32 v6, v[2:3], off offset:3840
	global_load_b32 v11, v[4:5], off offset:3840
.LBB248_32:
	s_or_b32 exec_lo, exec_lo, s15
	v_mbcnt_lo_u32_b32 v3, -1, 0
	s_mov_b32 s18, exec_lo
	s_delay_alu instid0(VALU_DEP_1) | instskip(SKIP_1) | instid1(VALU_DEP_2)
	v_or_b32_e32 v4, 32, v3
	v_xor_b32_e32 v5, 16, v3
	v_cmp_gt_i32_e64 s15, 64, v4
	s_delay_alu instid0(VALU_DEP_1) | instskip(NEXT) | instid1(VALU_DEP_3)
	v_cndmask_b32_e64 v4, v3, v4, s15
	v_cmp_gt_i32_e64 s15, 64, v5
	s_delay_alu instid0(VALU_DEP_2) | instskip(NEXT) | instid1(VALU_DEP_2)
	v_lshlrev_b32_e32 v4, 2, v4
	v_cndmask_b32_e64 v5, v3, v5, s15
	s_waitcnt vmcnt(1)
	s_delay_alu instid0(VALU_DEP_1) | instskip(NEXT) | instid1(VALU_DEP_1)
	v_dual_add_f32 v2, 0, v34 :: v_dual_lshlrev_b32 v5, 2, v5
	v_add_f32_e32 v2, v2, v21
	s_delay_alu instid0(VALU_DEP_1) | instskip(NEXT) | instid1(VALU_DEP_1)
	v_add_f32_e32 v2, v2, v32
	v_add_f32_e32 v2, v2, v20
	s_delay_alu instid0(VALU_DEP_1) | instskip(NEXT) | instid1(VALU_DEP_1)
	v_add_f32_e32 v2, v2, v29
	;; [unrolled: 3-line block ×7, first 2 shown]
	v_add_f32_e32 v2, v2, v6
	ds_bpermute_b32 v4, v4, v2
	s_waitcnt lgkmcnt(0)
	v_add_f32_e32 v2, v2, v4
	ds_bpermute_b32 v4, v5, v2
	v_xor_b32_e32 v5, 8, v3
	s_delay_alu instid0(VALU_DEP_1) | instskip(NEXT) | instid1(VALU_DEP_1)
	v_cmp_gt_i32_e64 s15, 64, v5
	v_cndmask_b32_e64 v5, v3, v5, s15
	s_waitcnt lgkmcnt(0)
	s_delay_alu instid0(VALU_DEP_1) | instskip(SKIP_2) | instid1(VALU_DEP_1)
	v_dual_add_f32 v2, v2, v4 :: v_dual_lshlrev_b32 v5, 2, v5
	ds_bpermute_b32 v4, v5, v2
	v_xor_b32_e32 v5, 4, v3
	v_cmp_gt_i32_e64 s15, 64, v5
	s_delay_alu instid0(VALU_DEP_1) | instskip(SKIP_1) | instid1(VALU_DEP_1)
	v_cndmask_b32_e64 v5, v3, v5, s15
	s_waitcnt lgkmcnt(0)
	v_dual_add_f32 v2, v2, v4 :: v_dual_lshlrev_b32 v5, 2, v5
	ds_bpermute_b32 v4, v5, v2
	v_xor_b32_e32 v5, 2, v3
	s_delay_alu instid0(VALU_DEP_1) | instskip(NEXT) | instid1(VALU_DEP_1)
	v_cmp_gt_i32_e64 s15, 64, v5
	v_cndmask_b32_e64 v5, v3, v5, s15
	s_waitcnt lgkmcnt(0)
	s_delay_alu instid0(VALU_DEP_1) | instskip(SKIP_2) | instid1(VALU_DEP_1)
	v_dual_add_f32 v2, v2, v4 :: v_dual_lshlrev_b32 v5, 2, v5
	ds_bpermute_b32 v4, v5, v2
	v_xor_b32_e32 v5, 1, v3
	v_cmp_gt_i32_e64 s15, 64, v5
	s_delay_alu instid0(VALU_DEP_1) | instskip(SKIP_1) | instid1(VALU_DEP_1)
	v_cndmask_b32_e64 v3, v3, v5, s15
	s_waitcnt lgkmcnt(0)
	v_dual_add_f32 v2, v2, v4 :: v_dual_lshlrev_b32 v3, 2, v3
	ds_bpermute_b32 v3, v3, v2
	v_cmpx_lt_i32_e32 0, v38
	s_cbranch_execz .LBB248_50
; %bb.33:
	v_add_co_u32 v0, s15, s16, v0
	s_delay_alu instid0(VALU_DEP_1)
	v_add_co_ci_u32_e64 v1, s15, s17, v1, s15
	s_waitcnt lgkmcnt(0)
	v_add_f32_e32 v2, v2, v3
	s_and_saveexec_b32 s15, s14
	s_cbranch_execnz .LBB248_51
; %bb.34:
	s_or_b32 exec_lo, exec_lo, s15
	s_and_saveexec_b32 s14, s13
	s_cbranch_execnz .LBB248_52
.LBB248_35:
	s_or_b32 exec_lo, exec_lo, s14
	s_and_saveexec_b32 s13, s12
	s_cbranch_execnz .LBB248_53
.LBB248_36:
	s_or_b32 exec_lo, exec_lo, s13
	s_and_saveexec_b32 s12, s11
	s_cbranch_execnz .LBB248_54
.LBB248_37:
	s_or_b32 exec_lo, exec_lo, s12
	s_and_saveexec_b32 s11, s10
	s_cbranch_execnz .LBB248_55
.LBB248_38:
	s_or_b32 exec_lo, exec_lo, s11
	s_and_saveexec_b32 s10, s9
	s_cbranch_execnz .LBB248_56
.LBB248_39:
	s_or_b32 exec_lo, exec_lo, s10
	s_and_saveexec_b32 s9, s8
	s_cbranch_execnz .LBB248_57
.LBB248_40:
	s_or_b32 exec_lo, exec_lo, s9
	s_and_saveexec_b32 s8, s7
	s_cbranch_execnz .LBB248_58
.LBB248_41:
	s_or_b32 exec_lo, exec_lo, s8
	s_and_saveexec_b32 s7, s6
	s_cbranch_execnz .LBB248_59
.LBB248_42:
	s_or_b32 exec_lo, exec_lo, s7
	s_and_saveexec_b32 s6, s5
	s_cbranch_execnz .LBB248_60
.LBB248_43:
	s_or_b32 exec_lo, exec_lo, s6
	s_and_saveexec_b32 s5, s4
	s_cbranch_execnz .LBB248_61
.LBB248_44:
	s_or_b32 exec_lo, exec_lo, s5
	s_and_saveexec_b32 s4, s3
	s_cbranch_execnz .LBB248_62
.LBB248_45:
	s_or_b32 exec_lo, exec_lo, s4
	s_and_saveexec_b32 s3, s2
	s_cbranch_execnz .LBB248_63
.LBB248_46:
	s_or_b32 exec_lo, exec_lo, s3
	s_and_saveexec_b32 s2, s1
	s_cbranch_execnz .LBB248_64
.LBB248_47:
	s_or_b32 exec_lo, exec_lo, s2
	s_and_saveexec_b32 s1, s0
	s_cbranch_execnz .LBB248_65
.LBB248_48:
	s_or_b32 exec_lo, exec_lo, s1
	s_delay_alu instid0(SALU_CYCLE_1)
	s_and_b32 exec_lo, exec_lo, vcc_lo
	s_cbranch_execz .LBB248_50
.LBB248_49:
	s_waitcnt vmcnt(0)
	v_mul_f32_e32 v3, 0x3fb8aa3b, v11
	v_cmp_ngt_f32_e32 vcc_lo, 0xc2ce8ed0, v11
	s_delay_alu instid0(VALU_DEP_2) | instskip(SKIP_1) | instid1(VALU_DEP_2)
	v_rndne_f32_e32 v4, v3
	v_fma_f32 v5, 0x3fb8aa3b, v11, -v3
	v_sub_f32_e32 v3, v3, v4
	s_delay_alu instid0(VALU_DEP_2) | instskip(SKIP_1) | instid1(VALU_DEP_2)
	v_fmamk_f32 v5, v11, 0x32a5705f, v5
	v_cvt_i32_f32_e32 v4, v4
	v_add_f32_e32 v3, v3, v5
	s_delay_alu instid0(VALU_DEP_1) | instskip(SKIP_2) | instid1(VALU_DEP_1)
	v_exp_f32_e32 v3, v3
	s_waitcnt_depctr 0xfff
	v_ldexp_f32 v3, v3, v4
	v_cndmask_b32_e32 v3, 0, v3, vcc_lo
	v_cmp_nlt_f32_e32 vcc_lo, 0x42b17218, v11
	s_delay_alu instid0(VALU_DEP_2) | instskip(NEXT) | instid1(VALU_DEP_1)
	v_cndmask_b32_e32 v3, 0x7f800000, v3, vcc_lo
	v_fma_f32 v2, -v2, v3, v6
	global_store_b32 v[0:1], v2, off offset:3840
.LBB248_50:
	s_nop 0
	s_sendmsg sendmsg(MSG_DEALLOC_VGPRS)
	s_endpgm
.LBB248_51:
	s_waitcnt vmcnt(0)
	v_mul_f32_e32 v3, 0x3fb8aa3b, v37
	v_cmp_ngt_f32_e64 s14, 0xc2ce8ed0, v37
	s_delay_alu instid0(VALU_DEP_2) | instskip(SKIP_1) | instid1(VALU_DEP_2)
	v_rndne_f32_e32 v4, v3
	v_fma_f32 v5, 0x3fb8aa3b, v37, -v3
	v_sub_f32_e32 v3, v3, v4
	s_delay_alu instid0(VALU_DEP_2) | instskip(SKIP_1) | instid1(VALU_DEP_2)
	v_fmamk_f32 v5, v37, 0x32a5705f, v5
	v_cvt_i32_f32_e32 v4, v4
	v_add_f32_e32 v3, v3, v5
	s_delay_alu instid0(VALU_DEP_1) | instskip(SKIP_2) | instid1(VALU_DEP_1)
	v_exp_f32_e32 v3, v3
	s_waitcnt_depctr 0xfff
	v_ldexp_f32 v3, v3, v4
	v_cndmask_b32_e64 v3, 0, v3, s14
	v_cmp_nlt_f32_e64 s14, 0x42b17218, v37
	s_delay_alu instid0(VALU_DEP_1) | instskip(NEXT) | instid1(VALU_DEP_1)
	v_cndmask_b32_e64 v3, 0x7f800000, v3, s14
	v_fma_f32 v3, -v2, v3, v34
	global_store_b32 v[0:1], v3, off
	s_or_b32 exec_lo, exec_lo, s15
	s_and_saveexec_b32 s14, s13
	s_cbranch_execz .LBB248_35
.LBB248_52:
	s_waitcnt vmcnt(0)
	v_mul_f32_e32 v3, 0x3fb8aa3b, v36
	v_cmp_ngt_f32_e64 s13, 0xc2ce8ed0, v36
	s_delay_alu instid0(VALU_DEP_2) | instskip(SKIP_1) | instid1(VALU_DEP_2)
	v_rndne_f32_e32 v4, v3
	v_fma_f32 v5, 0x3fb8aa3b, v36, -v3
	v_sub_f32_e32 v3, v3, v4
	s_delay_alu instid0(VALU_DEP_2) | instskip(SKIP_1) | instid1(VALU_DEP_2)
	v_fmamk_f32 v5, v36, 0x32a5705f, v5
	v_cvt_i32_f32_e32 v4, v4
	v_add_f32_e32 v3, v3, v5
	s_delay_alu instid0(VALU_DEP_1) | instskip(SKIP_2) | instid1(VALU_DEP_1)
	v_exp_f32_e32 v3, v3
	s_waitcnt_depctr 0xfff
	v_ldexp_f32 v3, v3, v4
	v_cndmask_b32_e64 v3, 0, v3, s13
	v_cmp_nlt_f32_e64 s13, 0x42b17218, v36
	s_delay_alu instid0(VALU_DEP_1) | instskip(NEXT) | instid1(VALU_DEP_1)
	v_cndmask_b32_e64 v3, 0x7f800000, v3, s13
	v_fma_f32 v3, -v2, v3, v21
	global_store_b32 v[0:1], v3, off offset:256
	s_or_b32 exec_lo, exec_lo, s14
	s_and_saveexec_b32 s13, s12
	s_cbranch_execz .LBB248_36
.LBB248_53:
	s_waitcnt vmcnt(0)
	v_mul_f32_e32 v3, 0x3fb8aa3b, v35
	v_cmp_ngt_f32_e64 s12, 0xc2ce8ed0, v35
	s_delay_alu instid0(VALU_DEP_2) | instskip(SKIP_1) | instid1(VALU_DEP_2)
	v_rndne_f32_e32 v4, v3
	v_fma_f32 v5, 0x3fb8aa3b, v35, -v3
	v_sub_f32_e32 v3, v3, v4
	s_delay_alu instid0(VALU_DEP_2) | instskip(SKIP_1) | instid1(VALU_DEP_2)
	v_fmamk_f32 v5, v35, 0x32a5705f, v5
	v_cvt_i32_f32_e32 v4, v4
	v_add_f32_e32 v3, v3, v5
	s_delay_alu instid0(VALU_DEP_1) | instskip(SKIP_2) | instid1(VALU_DEP_1)
	v_exp_f32_e32 v3, v3
	s_waitcnt_depctr 0xfff
	v_ldexp_f32 v3, v3, v4
	v_cndmask_b32_e64 v3, 0, v3, s12
	v_cmp_nlt_f32_e64 s12, 0x42b17218, v35
	s_delay_alu instid0(VALU_DEP_1) | instskip(NEXT) | instid1(VALU_DEP_1)
	v_cndmask_b32_e64 v3, 0x7f800000, v3, s12
	v_fma_f32 v3, -v2, v3, v32
	global_store_b32 v[0:1], v3, off offset:512
	s_or_b32 exec_lo, exec_lo, s13
	s_and_saveexec_b32 s12, s11
	s_cbranch_execz .LBB248_37
.LBB248_54:
	s_waitcnt vmcnt(0)
	v_mul_f32_e32 v3, 0x3fb8aa3b, v33
	v_cmp_ngt_f32_e64 s11, 0xc2ce8ed0, v33
	s_delay_alu instid0(VALU_DEP_2) | instskip(SKIP_1) | instid1(VALU_DEP_2)
	v_rndne_f32_e32 v4, v3
	v_fma_f32 v5, 0x3fb8aa3b, v33, -v3
	v_sub_f32_e32 v3, v3, v4
	s_delay_alu instid0(VALU_DEP_2) | instskip(SKIP_1) | instid1(VALU_DEP_2)
	v_fmamk_f32 v5, v33, 0x32a5705f, v5
	v_cvt_i32_f32_e32 v4, v4
	v_add_f32_e32 v3, v3, v5
	s_delay_alu instid0(VALU_DEP_1) | instskip(SKIP_2) | instid1(VALU_DEP_1)
	v_exp_f32_e32 v3, v3
	s_waitcnt_depctr 0xfff
	v_ldexp_f32 v3, v3, v4
	v_cndmask_b32_e64 v3, 0, v3, s11
	v_cmp_nlt_f32_e64 s11, 0x42b17218, v33
	s_delay_alu instid0(VALU_DEP_1) | instskip(NEXT) | instid1(VALU_DEP_1)
	v_cndmask_b32_e64 v3, 0x7f800000, v3, s11
	v_fma_f32 v3, -v2, v3, v20
	global_store_b32 v[0:1], v3, off offset:768
	s_or_b32 exec_lo, exec_lo, s12
	s_and_saveexec_b32 s11, s10
	s_cbranch_execz .LBB248_38
.LBB248_55:
	s_waitcnt vmcnt(0)
	v_mul_f32_e32 v3, 0x3fb8aa3b, v31
	v_cmp_ngt_f32_e64 s10, 0xc2ce8ed0, v31
	s_delay_alu instid0(VALU_DEP_2) | instskip(SKIP_1) | instid1(VALU_DEP_2)
	v_rndne_f32_e32 v4, v3
	v_fma_f32 v5, 0x3fb8aa3b, v31, -v3
	v_sub_f32_e32 v3, v3, v4
	s_delay_alu instid0(VALU_DEP_2) | instskip(SKIP_1) | instid1(VALU_DEP_2)
	v_fmamk_f32 v5, v31, 0x32a5705f, v5
	v_cvt_i32_f32_e32 v4, v4
	v_add_f32_e32 v3, v3, v5
	s_delay_alu instid0(VALU_DEP_1) | instskip(SKIP_2) | instid1(VALU_DEP_1)
	v_exp_f32_e32 v3, v3
	s_waitcnt_depctr 0xfff
	v_ldexp_f32 v3, v3, v4
	v_cndmask_b32_e64 v3, 0, v3, s10
	v_cmp_nlt_f32_e64 s10, 0x42b17218, v31
	s_delay_alu instid0(VALU_DEP_1) | instskip(NEXT) | instid1(VALU_DEP_1)
	v_cndmask_b32_e64 v3, 0x7f800000, v3, s10
	v_fma_f32 v3, -v2, v3, v29
	global_store_b32 v[0:1], v3, off offset:1024
	s_or_b32 exec_lo, exec_lo, s11
	s_and_saveexec_b32 s10, s9
	s_cbranch_execz .LBB248_39
.LBB248_56:
	s_waitcnt vmcnt(0)
	v_mul_f32_e32 v3, 0x3fb8aa3b, v30
	v_cmp_ngt_f32_e64 s9, 0xc2ce8ed0, v30
	s_delay_alu instid0(VALU_DEP_2) | instskip(SKIP_1) | instid1(VALU_DEP_2)
	v_rndne_f32_e32 v4, v3
	v_fma_f32 v5, 0x3fb8aa3b, v30, -v3
	v_sub_f32_e32 v3, v3, v4
	s_delay_alu instid0(VALU_DEP_2) | instskip(SKIP_1) | instid1(VALU_DEP_2)
	v_fmamk_f32 v5, v30, 0x32a5705f, v5
	v_cvt_i32_f32_e32 v4, v4
	v_add_f32_e32 v3, v3, v5
	s_delay_alu instid0(VALU_DEP_1) | instskip(SKIP_2) | instid1(VALU_DEP_1)
	v_exp_f32_e32 v3, v3
	s_waitcnt_depctr 0xfff
	v_ldexp_f32 v3, v3, v4
	v_cndmask_b32_e64 v3, 0, v3, s9
	v_cmp_nlt_f32_e64 s9, 0x42b17218, v30
	s_delay_alu instid0(VALU_DEP_1) | instskip(NEXT) | instid1(VALU_DEP_1)
	v_cndmask_b32_e64 v3, 0x7f800000, v3, s9
	v_fma_f32 v3, -v2, v3, v16
	global_store_b32 v[0:1], v3, off offset:1280
	s_or_b32 exec_lo, exec_lo, s10
	s_and_saveexec_b32 s9, s8
	s_cbranch_execz .LBB248_40
.LBB248_57:
	s_waitcnt vmcnt(0)
	v_mul_f32_e32 v3, 0x3fb8aa3b, v28
	v_cmp_ngt_f32_e64 s8, 0xc2ce8ed0, v28
	s_delay_alu instid0(VALU_DEP_2) | instskip(SKIP_1) | instid1(VALU_DEP_2)
	v_rndne_f32_e32 v4, v3
	v_fma_f32 v5, 0x3fb8aa3b, v28, -v3
	v_sub_f32_e32 v3, v3, v4
	s_delay_alu instid0(VALU_DEP_2) | instskip(SKIP_1) | instid1(VALU_DEP_2)
	v_fmamk_f32 v5, v28, 0x32a5705f, v5
	v_cvt_i32_f32_e32 v4, v4
	v_add_f32_e32 v3, v3, v5
	s_delay_alu instid0(VALU_DEP_1) | instskip(SKIP_2) | instid1(VALU_DEP_1)
	v_exp_f32_e32 v3, v3
	s_waitcnt_depctr 0xfff
	v_ldexp_f32 v3, v3, v4
	v_cndmask_b32_e64 v3, 0, v3, s8
	v_cmp_nlt_f32_e64 s8, 0x42b17218, v28
	s_delay_alu instid0(VALU_DEP_1) | instskip(NEXT) | instid1(VALU_DEP_1)
	v_cndmask_b32_e64 v3, 0x7f800000, v3, s8
	v_fma_f32 v3, -v2, v3, v26
	global_store_b32 v[0:1], v3, off offset:1536
	s_or_b32 exec_lo, exec_lo, s9
	s_and_saveexec_b32 s8, s7
	s_cbranch_execz .LBB248_41
.LBB248_58:
	s_waitcnt vmcnt(0)
	v_mul_f32_e32 v3, 0x3fb8aa3b, v27
	v_cmp_ngt_f32_e64 s7, 0xc2ce8ed0, v27
	s_delay_alu instid0(VALU_DEP_2) | instskip(SKIP_1) | instid1(VALU_DEP_2)
	v_rndne_f32_e32 v4, v3
	v_fma_f32 v5, 0x3fb8aa3b, v27, -v3
	v_sub_f32_e32 v3, v3, v4
	s_delay_alu instid0(VALU_DEP_2) | instskip(SKIP_1) | instid1(VALU_DEP_2)
	v_fmamk_f32 v5, v27, 0x32a5705f, v5
	v_cvt_i32_f32_e32 v4, v4
	v_add_f32_e32 v3, v3, v5
	s_delay_alu instid0(VALU_DEP_1) | instskip(SKIP_2) | instid1(VALU_DEP_1)
	v_exp_f32_e32 v3, v3
	s_waitcnt_depctr 0xfff
	v_ldexp_f32 v3, v3, v4
	v_cndmask_b32_e64 v3, 0, v3, s7
	v_cmp_nlt_f32_e64 s7, 0x42b17218, v27
	s_delay_alu instid0(VALU_DEP_1) | instskip(NEXT) | instid1(VALU_DEP_1)
	v_cndmask_b32_e64 v3, 0x7f800000, v3, s7
	v_fma_f32 v3, -v2, v3, v12
	global_store_b32 v[0:1], v3, off offset:1792
	s_or_b32 exec_lo, exec_lo, s8
	s_and_saveexec_b32 s7, s6
	s_cbranch_execz .LBB248_42
.LBB248_59:
	s_waitcnt vmcnt(0)
	v_mul_f32_e32 v3, 0x3fb8aa3b, v25
	v_cmp_ngt_f32_e64 s6, 0xc2ce8ed0, v25
	s_delay_alu instid0(VALU_DEP_2) | instskip(SKIP_1) | instid1(VALU_DEP_2)
	v_rndne_f32_e32 v4, v3
	v_fma_f32 v5, 0x3fb8aa3b, v25, -v3
	v_sub_f32_e32 v3, v3, v4
	s_delay_alu instid0(VALU_DEP_2) | instskip(SKIP_1) | instid1(VALU_DEP_2)
	v_fmamk_f32 v5, v25, 0x32a5705f, v5
	v_cvt_i32_f32_e32 v4, v4
	v_add_f32_e32 v3, v3, v5
	s_delay_alu instid0(VALU_DEP_1) | instskip(SKIP_2) | instid1(VALU_DEP_1)
	v_exp_f32_e32 v3, v3
	s_waitcnt_depctr 0xfff
	v_ldexp_f32 v3, v3, v4
	v_cndmask_b32_e64 v3, 0, v3, s6
	v_cmp_nlt_f32_e64 s6, 0x42b17218, v25
	s_delay_alu instid0(VALU_DEP_1) | instskip(NEXT) | instid1(VALU_DEP_1)
	v_cndmask_b32_e64 v3, 0x7f800000, v3, s6
	v_fma_f32 v3, -v2, v3, v23
	global_store_b32 v[0:1], v3, off offset:2048
	s_or_b32 exec_lo, exec_lo, s7
	s_and_saveexec_b32 s6, s5
	s_cbranch_execz .LBB248_43
.LBB248_60:
	s_waitcnt vmcnt(0)
	v_mul_f32_e32 v3, 0x3fb8aa3b, v24
	v_cmp_ngt_f32_e64 s5, 0xc2ce8ed0, v24
	s_delay_alu instid0(VALU_DEP_2) | instskip(SKIP_1) | instid1(VALU_DEP_2)
	v_rndne_f32_e32 v4, v3
	v_fma_f32 v5, 0x3fb8aa3b, v24, -v3
	v_sub_f32_e32 v3, v3, v4
	s_delay_alu instid0(VALU_DEP_2) | instskip(SKIP_1) | instid1(VALU_DEP_2)
	v_fmamk_f32 v5, v24, 0x32a5705f, v5
	v_cvt_i32_f32_e32 v4, v4
	v_add_f32_e32 v3, v3, v5
	s_delay_alu instid0(VALU_DEP_1) | instskip(SKIP_2) | instid1(VALU_DEP_1)
	v_exp_f32_e32 v3, v3
	s_waitcnt_depctr 0xfff
	v_ldexp_f32 v3, v3, v4
	v_cndmask_b32_e64 v3, 0, v3, s5
	v_cmp_nlt_f32_e64 s5, 0x42b17218, v24
	s_delay_alu instid0(VALU_DEP_1) | instskip(NEXT) | instid1(VALU_DEP_1)
	v_cndmask_b32_e64 v3, 0x7f800000, v3, s5
	v_fma_f32 v3, -v2, v3, v9
	global_store_b32 v[0:1], v3, off offset:2304
	s_or_b32 exec_lo, exec_lo, s6
	s_and_saveexec_b32 s5, s4
	s_cbranch_execz .LBB248_44
.LBB248_61:
	s_waitcnt vmcnt(0)
	v_mul_f32_e32 v3, 0x3fb8aa3b, v22
	v_cmp_ngt_f32_e64 s4, 0xc2ce8ed0, v22
	s_delay_alu instid0(VALU_DEP_2) | instskip(SKIP_1) | instid1(VALU_DEP_2)
	v_rndne_f32_e32 v4, v3
	v_fma_f32 v5, 0x3fb8aa3b, v22, -v3
	v_sub_f32_e32 v3, v3, v4
	s_delay_alu instid0(VALU_DEP_2) | instskip(SKIP_1) | instid1(VALU_DEP_2)
	v_fmamk_f32 v5, v22, 0x32a5705f, v5
	v_cvt_i32_f32_e32 v4, v4
	v_add_f32_e32 v3, v3, v5
	s_delay_alu instid0(VALU_DEP_1) | instskip(SKIP_2) | instid1(VALU_DEP_1)
	v_exp_f32_e32 v3, v3
	s_waitcnt_depctr 0xfff
	v_ldexp_f32 v3, v3, v4
	v_cndmask_b32_e64 v3, 0, v3, s4
	v_cmp_nlt_f32_e64 s4, 0x42b17218, v22
	s_delay_alu instid0(VALU_DEP_1) | instskip(NEXT) | instid1(VALU_DEP_1)
	v_cndmask_b32_e64 v3, 0x7f800000, v3, s4
	v_fma_f32 v3, -v2, v3, v18
	global_store_b32 v[0:1], v3, off offset:2560
	s_or_b32 exec_lo, exec_lo, s5
	s_and_saveexec_b32 s4, s3
	s_cbranch_execz .LBB248_45
.LBB248_62:
	s_waitcnt vmcnt(0)
	v_mul_f32_e32 v3, 0x3fb8aa3b, v19
	v_cmp_ngt_f32_e64 s3, 0xc2ce8ed0, v19
	s_delay_alu instid0(VALU_DEP_2) | instskip(SKIP_1) | instid1(VALU_DEP_2)
	v_rndne_f32_e32 v4, v3
	v_fma_f32 v5, 0x3fb8aa3b, v19, -v3
	v_sub_f32_e32 v3, v3, v4
	s_delay_alu instid0(VALU_DEP_2) | instskip(SKIP_1) | instid1(VALU_DEP_2)
	v_fmamk_f32 v5, v19, 0x32a5705f, v5
	v_cvt_i32_f32_e32 v4, v4
	v_add_f32_e32 v3, v3, v5
	s_delay_alu instid0(VALU_DEP_1) | instskip(SKIP_2) | instid1(VALU_DEP_1)
	v_exp_f32_e32 v3, v3
	s_waitcnt_depctr 0xfff
	v_ldexp_f32 v3, v3, v4
	v_cndmask_b32_e64 v3, 0, v3, s3
	v_cmp_nlt_f32_e64 s3, 0x42b17218, v19
	s_delay_alu instid0(VALU_DEP_1) | instskip(NEXT) | instid1(VALU_DEP_1)
	v_cndmask_b32_e64 v3, 0x7f800000, v3, s3
	v_fma_f32 v3, -v2, v3, v8
	global_store_b32 v[0:1], v3, off offset:2816
	s_or_b32 exec_lo, exec_lo, s4
	s_and_saveexec_b32 s3, s2
	s_cbranch_execz .LBB248_46
.LBB248_63:
	s_waitcnt vmcnt(0)
	v_mul_f32_e32 v3, 0x3fb8aa3b, v17
	v_cmp_ngt_f32_e64 s2, 0xc2ce8ed0, v17
	s_delay_alu instid0(VALU_DEP_2) | instskip(SKIP_1) | instid1(VALU_DEP_2)
	v_rndne_f32_e32 v4, v3
	v_fma_f32 v5, 0x3fb8aa3b, v17, -v3
	v_sub_f32_e32 v3, v3, v4
	s_delay_alu instid0(VALU_DEP_2) | instskip(SKIP_1) | instid1(VALU_DEP_2)
	v_fmamk_f32 v5, v17, 0x32a5705f, v5
	v_cvt_i32_f32_e32 v4, v4
	v_add_f32_e32 v3, v3, v5
	s_delay_alu instid0(VALU_DEP_1) | instskip(SKIP_2) | instid1(VALU_DEP_1)
	v_exp_f32_e32 v3, v3
	s_waitcnt_depctr 0xfff
	v_ldexp_f32 v3, v3, v4
	v_cndmask_b32_e64 v3, 0, v3, s2
	v_cmp_nlt_f32_e64 s2, 0x42b17218, v17
	s_delay_alu instid0(VALU_DEP_1) | instskip(NEXT) | instid1(VALU_DEP_1)
	v_cndmask_b32_e64 v3, 0x7f800000, v3, s2
	v_fma_f32 v3, -v2, v3, v14
	global_store_b32 v[0:1], v3, off offset:3072
	s_or_b32 exec_lo, exec_lo, s3
	s_and_saveexec_b32 s2, s1
	s_cbranch_execz .LBB248_47
.LBB248_64:
	s_waitcnt vmcnt(0)
	v_mul_f32_e32 v3, 0x3fb8aa3b, v15
	v_cmp_ngt_f32_e64 s1, 0xc2ce8ed0, v15
	s_delay_alu instid0(VALU_DEP_2) | instskip(SKIP_1) | instid1(VALU_DEP_2)
	v_rndne_f32_e32 v4, v3
	v_fma_f32 v5, 0x3fb8aa3b, v15, -v3
	v_sub_f32_e32 v3, v3, v4
	s_delay_alu instid0(VALU_DEP_2) | instskip(SKIP_1) | instid1(VALU_DEP_2)
	v_fmamk_f32 v5, v15, 0x32a5705f, v5
	v_cvt_i32_f32_e32 v4, v4
	v_add_f32_e32 v3, v3, v5
	s_delay_alu instid0(VALU_DEP_1) | instskip(SKIP_2) | instid1(VALU_DEP_1)
	v_exp_f32_e32 v3, v3
	s_waitcnt_depctr 0xfff
	v_ldexp_f32 v3, v3, v4
	v_cndmask_b32_e64 v3, 0, v3, s1
	v_cmp_nlt_f32_e64 s1, 0x42b17218, v15
	s_delay_alu instid0(VALU_DEP_1) | instskip(NEXT) | instid1(VALU_DEP_1)
	v_cndmask_b32_e64 v3, 0x7f800000, v3, s1
	v_fma_f32 v3, -v2, v3, v7
	global_store_b32 v[0:1], v3, off offset:3328
	s_or_b32 exec_lo, exec_lo, s2
	s_and_saveexec_b32 s1, s0
	s_cbranch_execz .LBB248_48
.LBB248_65:
	s_waitcnt vmcnt(0)
	v_mul_f32_e32 v3, 0x3fb8aa3b, v13
	v_cmp_ngt_f32_e64 s0, 0xc2ce8ed0, v13
	s_delay_alu instid0(VALU_DEP_2) | instskip(SKIP_1) | instid1(VALU_DEP_2)
	v_rndne_f32_e32 v4, v3
	v_fma_f32 v5, 0x3fb8aa3b, v13, -v3
	v_sub_f32_e32 v3, v3, v4
	s_delay_alu instid0(VALU_DEP_2) | instskip(SKIP_1) | instid1(VALU_DEP_2)
	v_fmamk_f32 v5, v13, 0x32a5705f, v5
	v_cvt_i32_f32_e32 v4, v4
	v_add_f32_e32 v3, v3, v5
	s_delay_alu instid0(VALU_DEP_1) | instskip(SKIP_2) | instid1(VALU_DEP_1)
	v_exp_f32_e32 v3, v3
	s_waitcnt_depctr 0xfff
	v_ldexp_f32 v3, v3, v4
	v_cndmask_b32_e64 v3, 0, v3, s0
	v_cmp_nlt_f32_e64 s0, 0x42b17218, v13
	s_delay_alu instid0(VALU_DEP_1) | instskip(NEXT) | instid1(VALU_DEP_1)
	v_cndmask_b32_e64 v3, 0x7f800000, v3, s0
	v_fma_f32 v3, -v2, v3, v10
	global_store_b32 v[0:1], v3, off offset:3584
	s_or_b32 exec_lo, exec_lo, s1
	s_delay_alu instid0(SALU_CYCLE_1)
	s_and_b32 exec_lo, exec_lo, vcc_lo
	s_cbranch_execnz .LBB248_49
	s_branch .LBB248_50
	.section	.rodata,"a",@progbits
	.p2align	6, 0x0
	.amdhsa_kernel _ZN12_GLOBAL__N_121softmax_warp_backwardIfffLi10ELb1ELb0ELi64EEEvPT0_PKT_S5_iiiPKb
		.amdhsa_group_segment_fixed_size 0
		.amdhsa_private_segment_fixed_size 0
		.amdhsa_kernarg_size 304
		.amdhsa_user_sgpr_count 15
		.amdhsa_user_sgpr_dispatch_ptr 0
		.amdhsa_user_sgpr_queue_ptr 0
		.amdhsa_user_sgpr_kernarg_segment_ptr 1
		.amdhsa_user_sgpr_dispatch_id 0
		.amdhsa_user_sgpr_private_segment_size 0
		.amdhsa_wavefront_size32 1
		.amdhsa_uses_dynamic_stack 0
		.amdhsa_enable_private_segment 0
		.amdhsa_system_sgpr_workgroup_id_x 1
		.amdhsa_system_sgpr_workgroup_id_y 0
		.amdhsa_system_sgpr_workgroup_id_z 0
		.amdhsa_system_sgpr_workgroup_info 0
		.amdhsa_system_vgpr_workitem_id 1
		.amdhsa_next_free_vgpr 39
		.amdhsa_next_free_sgpr 24
		.amdhsa_reserve_vcc 1
		.amdhsa_float_round_mode_32 0
		.amdhsa_float_round_mode_16_64 0
		.amdhsa_float_denorm_mode_32 3
		.amdhsa_float_denorm_mode_16_64 3
		.amdhsa_dx10_clamp 1
		.amdhsa_ieee_mode 1
		.amdhsa_fp16_overflow 0
		.amdhsa_workgroup_processor_mode 1
		.amdhsa_memory_ordered 1
		.amdhsa_forward_progress 0
		.amdhsa_shared_vgpr_count 0
		.amdhsa_exception_fp_ieee_invalid_op 0
		.amdhsa_exception_fp_denorm_src 0
		.amdhsa_exception_fp_ieee_div_zero 0
		.amdhsa_exception_fp_ieee_overflow 0
		.amdhsa_exception_fp_ieee_underflow 0
		.amdhsa_exception_fp_ieee_inexact 0
		.amdhsa_exception_int_div_zero 0
	.end_amdhsa_kernel
	.section	.text._ZN12_GLOBAL__N_121softmax_warp_backwardIfffLi10ELb1ELb0ELi64EEEvPT0_PKT_S5_iiiPKb,"axG",@progbits,_ZN12_GLOBAL__N_121softmax_warp_backwardIfffLi10ELb1ELb0ELi64EEEvPT0_PKT_S5_iiiPKb,comdat
.Lfunc_end248:
	.size	_ZN12_GLOBAL__N_121softmax_warp_backwardIfffLi10ELb1ELb0ELi64EEEvPT0_PKT_S5_iiiPKb, .Lfunc_end248-_ZN12_GLOBAL__N_121softmax_warp_backwardIfffLi10ELb1ELb0ELi64EEEvPT0_PKT_S5_iiiPKb
                                        ; -- End function
	.section	.AMDGPU.csdata,"",@progbits
; Kernel info:
; codeLenInByte = 4176
; NumSgprs: 26
; NumVgprs: 39
; ScratchSize: 0
; MemoryBound: 0
; FloatMode: 240
; IeeeMode: 1
; LDSByteSize: 0 bytes/workgroup (compile time only)
; SGPRBlocks: 3
; VGPRBlocks: 4
; NumSGPRsForWavesPerEU: 26
; NumVGPRsForWavesPerEU: 39
; Occupancy: 16
; WaveLimiterHint : 0
; COMPUTE_PGM_RSRC2:SCRATCH_EN: 0
; COMPUTE_PGM_RSRC2:USER_SGPR: 15
; COMPUTE_PGM_RSRC2:TRAP_HANDLER: 0
; COMPUTE_PGM_RSRC2:TGID_X_EN: 1
; COMPUTE_PGM_RSRC2:TGID_Y_EN: 0
; COMPUTE_PGM_RSRC2:TGID_Z_EN: 0
; COMPUTE_PGM_RSRC2:TIDIG_COMP_CNT: 1
	.section	.text._ZN12_GLOBAL__N_121softmax_warp_backwardIfffLi10ELb1ELb0ELi32EEEvPT0_PKT_S5_iiiPKb,"axG",@progbits,_ZN12_GLOBAL__N_121softmax_warp_backwardIfffLi10ELb1ELb0ELi32EEEvPT0_PKT_S5_iiiPKb,comdat
	.globl	_ZN12_GLOBAL__N_121softmax_warp_backwardIfffLi10ELb1ELb0ELi32EEEvPT0_PKT_S5_iiiPKb ; -- Begin function _ZN12_GLOBAL__N_121softmax_warp_backwardIfffLi10ELb1ELb0ELi32EEEvPT0_PKT_S5_iiiPKb
	.p2align	8
	.type	_ZN12_GLOBAL__N_121softmax_warp_backwardIfffLi10ELb1ELb0ELi32EEEvPT0_PKT_S5_iiiPKb,@function
_ZN12_GLOBAL__N_121softmax_warp_backwardIfffLi10ELb1ELb0ELi32EEEvPT0_PKT_S5_iiiPKb: ; @_ZN12_GLOBAL__N_121softmax_warp_backwardIfffLi10ELb1ELb0ELi32EEEvPT0_PKT_S5_iiiPKb
; %bb.0:
	s_clause 0x1
	s_load_b32 s2, s[0:1], 0x3c
	s_load_b128 s[40:43], s[0:1], 0x18
	v_bfe_u32 v1, v0, 10, 10
	v_dual_mov_b32 v66, 0 :: v_dual_and_b32 v11, 0x3ff, v0
	s_load_b128 s[36:39], s[0:1], 0x0
	v_mov_b32_e32 v53, 0
	s_load_b64 s[0:1], s[0:1], 0x10
	s_delay_alu instid0(VALU_DEP_2) | instskip(SKIP_2) | instid1(VALU_DEP_1)
	v_dual_mov_b32 v69, 0 :: v_dual_and_b32 v6, 31, v11
	s_waitcnt lgkmcnt(0)
	s_lshr_b32 s2, s2, 16
	v_cmp_gt_i32_e64 s30, s42, v6
	v_mad_u64_u32 v[2:3], null, s15, s2, v[1:2]
	s_delay_alu instid0(VALU_DEP_1) | instskip(SKIP_1) | instid1(VALU_DEP_1)
	v_mad_u64_u32 v[0:1], null, v2, s41, v[6:7]
	v_sub_nc_u32_e32 v70, s40, v2
	v_cmp_lt_i32_e64 s31, 0, v70
	s_delay_alu instid0(VALU_DEP_3) | instskip(NEXT) | instid1(VALU_DEP_1)
	v_ashrrev_i32_e32 v1, 31, v0
	v_lshlrev_b64 v[0:1], 2, v[0:1]
	s_delay_alu instid0(VALU_DEP_1) | instskip(NEXT) | instid1(VALU_DEP_2)
	v_add_co_u32 v2, vcc_lo, s38, v0
	v_add_co_ci_u32_e32 v3, vcc_lo, s39, v1, vcc_lo
	v_add_co_u32 v4, vcc_lo, s0, v0
	v_add_co_ci_u32_e32 v5, vcc_lo, s1, v1, vcc_lo
	s_and_b32 s1, s31, s30
	s_delay_alu instid0(SALU_CYCLE_1)
	s_and_saveexec_b32 s0, s1
	s_cbranch_execz .LBB249_2
; %bb.1:
	global_load_b32 v66, v[2:3], off
	global_load_b32 v69, v[4:5], off
.LBB249_2:
	s_or_b32 exec_lo, exec_lo, s0
	v_or_b32_e32 v7, 32, v6
	v_mov_b32_e32 v68, 0
	s_delay_alu instid0(VALU_DEP_2) | instskip(NEXT) | instid1(VALU_DEP_1)
	v_cmp_gt_i32_e64 s29, s42, v7
	s_and_b32 s1, s31, s29
	s_delay_alu instid0(SALU_CYCLE_1)
	s_and_saveexec_b32 s0, s1
	s_cbranch_execz .LBB249_4
; %bb.3:
	global_load_b32 v53, v[2:3], off offset:128
	global_load_b32 v68, v[4:5], off offset:128
.LBB249_4:
	s_or_b32 exec_lo, exec_lo, s0
	v_or_b32_e32 v7, 64, v6
	v_dual_mov_b32 v52, 0 :: v_dual_mov_b32 v67, 0
	v_mov_b32_e32 v64, 0
	s_delay_alu instid0(VALU_DEP_3) | instskip(NEXT) | instid1(VALU_DEP_1)
	v_cmp_gt_i32_e64 s28, s42, v7
	s_and_b32 s1, s31, s28
	s_delay_alu instid0(SALU_CYCLE_1)
	s_and_saveexec_b32 s0, s1
	s_cbranch_execz .LBB249_6
; %bb.5:
	global_load_b32 v64, v[2:3], off offset:256
	global_load_b32 v67, v[4:5], off offset:256
.LBB249_6:
	s_or_b32 exec_lo, exec_lo, s0
	v_or_b32_e32 v7, 0x60, v6
	v_mov_b32_e32 v65, 0
	s_delay_alu instid0(VALU_DEP_2) | instskip(NEXT) | instid1(VALU_DEP_1)
	v_cmp_gt_i32_e64 s27, s42, v7
	s_and_b32 s1, s31, s27
	s_delay_alu instid0(SALU_CYCLE_1)
	s_and_saveexec_b32 s0, s1
	s_cbranch_execz .LBB249_8
; %bb.7:
	global_load_b32 v52, v[2:3], off offset:384
	global_load_b32 v65, v[4:5], off offset:384
.LBB249_8:
	s_or_b32 exec_lo, exec_lo, s0
	v_or_b32_e32 v7, 0x80, v6
	v_dual_mov_b32 v48, 0 :: v_dual_mov_b32 v61, 0
	v_mov_b32_e32 v63, 0
	s_delay_alu instid0(VALU_DEP_3) | instskip(NEXT) | instid1(VALU_DEP_1)
	v_cmp_gt_i32_e64 s26, s42, v7
	s_and_b32 s1, s31, s26
	s_delay_alu instid0(SALU_CYCLE_1)
	s_and_saveexec_b32 s0, s1
	s_cbranch_execz .LBB249_10
; %bb.9:
	global_load_b32 v61, v[2:3], off offset:512
	global_load_b32 v63, v[4:5], off offset:512
.LBB249_10:
	s_or_b32 exec_lo, exec_lo, s0
	v_or_b32_e32 v7, 0xa0, v6
	v_mov_b32_e32 v62, 0
	s_delay_alu instid0(VALU_DEP_2) | instskip(NEXT) | instid1(VALU_DEP_1)
	v_cmp_gt_i32_e64 s25, s42, v7
	s_and_b32 s1, s31, s25
	s_delay_alu instid0(SALU_CYCLE_1)
	s_and_saveexec_b32 s0, s1
	s_cbranch_execz .LBB249_12
; %bb.11:
	global_load_b32 v48, v[2:3], off offset:640
	global_load_b32 v62, v[4:5], off offset:640
.LBB249_12:
	s_or_b32 exec_lo, exec_lo, s0
	v_or_b32_e32 v7, 0xc0, v6
	v_mov_b32_e32 v44, 0
	v_mov_b32_e32 v58, 0
	;; [unrolled: 1-line block ×3, first 2 shown]
	s_delay_alu instid0(VALU_DEP_4) | instskip(NEXT) | instid1(VALU_DEP_1)
	v_cmp_gt_i32_e64 s24, s42, v7
	s_and_b32 s1, s31, s24
	s_delay_alu instid0(SALU_CYCLE_1)
	s_and_saveexec_b32 s0, s1
	s_cbranch_execz .LBB249_14
; %bb.13:
	global_load_b32 v58, v[2:3], off offset:768
	global_load_b32 v60, v[4:5], off offset:768
.LBB249_14:
	s_or_b32 exec_lo, exec_lo, s0
	v_or_b32_e32 v7, 0xe0, v6
	v_mov_b32_e32 v59, 0
	s_delay_alu instid0(VALU_DEP_2) | instskip(NEXT) | instid1(VALU_DEP_1)
	v_cmp_gt_i32_e64 s23, s42, v7
	s_and_b32 s1, s31, s23
	s_delay_alu instid0(SALU_CYCLE_1)
	s_and_saveexec_b32 s0, s1
	s_cbranch_execz .LBB249_16
; %bb.15:
	global_load_b32 v44, v[2:3], off offset:896
	global_load_b32 v59, v[4:5], off offset:896
.LBB249_16:
	s_or_b32 exec_lo, exec_lo, s0
	v_or_b32_e32 v7, 0x100, v6
	v_dual_mov_b32 v40, 0 :: v_dual_mov_b32 v55, 0
	v_mov_b32_e32 v57, 0
	s_delay_alu instid0(VALU_DEP_3) | instskip(NEXT) | instid1(VALU_DEP_1)
	v_cmp_gt_i32_e64 s22, s42, v7
	s_and_b32 s1, s31, s22
	s_delay_alu instid0(SALU_CYCLE_1)
	s_and_saveexec_b32 s0, s1
	s_cbranch_execz .LBB249_18
; %bb.17:
	global_load_b32 v55, v[2:3], off offset:1024
	global_load_b32 v57, v[4:5], off offset:1024
.LBB249_18:
	s_or_b32 exec_lo, exec_lo, s0
	v_or_b32_e32 v7, 0x120, v6
	v_mov_b32_e32 v56, 0
	s_delay_alu instid0(VALU_DEP_2) | instskip(NEXT) | instid1(VALU_DEP_1)
	v_cmp_gt_i32_e64 s21, s42, v7
	s_and_b32 s1, s31, s21
	s_delay_alu instid0(SALU_CYCLE_1)
	s_and_saveexec_b32 s0, s1
	s_cbranch_execz .LBB249_20
; %bb.19:
	global_load_b32 v40, v[2:3], off offset:1152
	global_load_b32 v56, v[4:5], off offset:1152
.LBB249_20:
	s_or_b32 exec_lo, exec_lo, s0
	v_or_b32_e32 v7, 0x140, v6
	v_mov_b32_e32 v36, 0
	v_mov_b32_e32 v50, 0
	;; [unrolled: 1-line block ×3, first 2 shown]
	s_delay_alu instid0(VALU_DEP_4) | instskip(NEXT) | instid1(VALU_DEP_1)
	v_cmp_gt_i32_e64 s20, s42, v7
	s_and_b32 s1, s31, s20
	s_delay_alu instid0(SALU_CYCLE_1)
	s_and_saveexec_b32 s0, s1
	s_cbranch_execz .LBB249_22
; %bb.21:
	global_load_b32 v50, v[2:3], off offset:1280
	global_load_b32 v54, v[4:5], off offset:1280
.LBB249_22:
	s_or_b32 exec_lo, exec_lo, s0
	v_or_b32_e32 v7, 0x160, v6
	v_mov_b32_e32 v51, 0
	s_delay_alu instid0(VALU_DEP_2) | instskip(NEXT) | instid1(VALU_DEP_1)
	v_cmp_gt_i32_e64 s19, s42, v7
	s_and_b32 s1, s31, s19
	s_delay_alu instid0(SALU_CYCLE_1)
	s_and_saveexec_b32 s0, s1
	s_cbranch_execz .LBB249_24
; %bb.23:
	global_load_b32 v36, v[2:3], off offset:1408
	global_load_b32 v51, v[4:5], off offset:1408
.LBB249_24:
	s_or_b32 exec_lo, exec_lo, s0
	v_or_b32_e32 v7, 0x180, v6
	v_dual_mov_b32 v32, 0 :: v_dual_mov_b32 v49, 0
	v_mov_b32_e32 v46, 0
	s_delay_alu instid0(VALU_DEP_3) | instskip(NEXT) | instid1(VALU_DEP_1)
	v_cmp_gt_i32_e64 s18, s42, v7
	s_and_b32 s1, s31, s18
	s_delay_alu instid0(SALU_CYCLE_1)
	s_and_saveexec_b32 s0, s1
	s_cbranch_execz .LBB249_26
; %bb.25:
	global_load_b32 v46, v[2:3], off offset:1536
	global_load_b32 v49, v[4:5], off offset:1536
.LBB249_26:
	s_or_b32 exec_lo, exec_lo, s0
	v_or_b32_e32 v7, 0x1a0, v6
	v_mov_b32_e32 v47, 0
	s_delay_alu instid0(VALU_DEP_2) | instskip(NEXT) | instid1(VALU_DEP_1)
	v_cmp_gt_i32_e64 s17, s42, v7
	s_and_b32 s1, s31, s17
	s_delay_alu instid0(SALU_CYCLE_1)
	s_and_saveexec_b32 s0, s1
	s_cbranch_execz .LBB249_28
; %bb.27:
	global_load_b32 v32, v[2:3], off offset:1664
	global_load_b32 v47, v[4:5], off offset:1664
.LBB249_28:
	s_or_b32 exec_lo, exec_lo, s0
	v_or_b32_e32 v7, 0x1c0, v6
	v_dual_mov_b32 v28, 0 :: v_dual_mov_b32 v45, 0
	v_mov_b32_e32 v42, 0
	s_delay_alu instid0(VALU_DEP_3) | instskip(NEXT) | instid1(VALU_DEP_1)
	;; [unrolled: 27-line block ×8, first 2 shown]
	v_cmp_gt_i32_e64 s4, s42, v7
	s_and_b32 s1, s31, s4
	s_delay_alu instid0(SALU_CYCLE_1)
	s_and_saveexec_b32 s0, s1
	s_cbranch_execz .LBB249_54
; %bb.53:
	global_load_b32 v18, v[2:3], off offset:3328
	global_load_b32 v21, v[4:5], off offset:3328
.LBB249_54:
	s_or_b32 exec_lo, exec_lo, s0
	v_or_b32_e32 v7, 0x360, v6
	v_mov_b32_e32 v19, 0
	s_delay_alu instid0(VALU_DEP_2) | instskip(NEXT) | instid1(VALU_DEP_1)
	v_cmp_gt_i32_e64 s3, s42, v7
	s_and_b32 s1, s31, s3
	s_delay_alu instid0(SALU_CYCLE_1)
	s_and_saveexec_b32 s0, s1
	s_cbranch_execz .LBB249_56
; %bb.55:
	global_load_b32 v8, v[2:3], off offset:3456
	global_load_b32 v19, v[4:5], off offset:3456
.LBB249_56:
	s_or_b32 exec_lo, exec_lo, s0
	v_or_b32_e32 v7, 0x380, v6
	v_dual_mov_b32 v17, 0 :: v_dual_mov_b32 v14, 0
	s_delay_alu instid0(VALU_DEP_2) | instskip(SKIP_1) | instid1(VALU_DEP_2)
	v_cmp_gt_i32_e64 s2, s42, v7
	v_mov_b32_e32 v7, 0
	s_and_b32 s1, s31, s2
	s_delay_alu instid0(SALU_CYCLE_1)
	s_and_saveexec_b32 s0, s1
	s_cbranch_execz .LBB249_58
; %bb.57:
	global_load_b32 v14, v[2:3], off offset:3584
	global_load_b32 v17, v[4:5], off offset:3584
.LBB249_58:
	s_or_b32 exec_lo, exec_lo, s0
	v_or_b32_e32 v10, 0x3a0, v6
	v_mov_b32_e32 v15, 0
	s_delay_alu instid0(VALU_DEP_2) | instskip(NEXT) | instid1(VALU_DEP_1)
	v_cmp_gt_i32_e64 s1, s42, v10
	s_and_b32 s33, s31, s1
	s_delay_alu instid0(SALU_CYCLE_1)
	s_and_saveexec_b32 s0, s33
	s_cbranch_execz .LBB249_60
; %bb.59:
	global_load_b32 v7, v[2:3], off offset:3712
	global_load_b32 v15, v[4:5], off offset:3712
.LBB249_60:
	s_or_b32 exec_lo, exec_lo, s0
	v_or_b32_e32 v6, 0x3c0, v6
	v_dual_mov_b32 v10, 0 :: v_dual_mov_b32 v13, 0
	s_delay_alu instid0(VALU_DEP_2) | instskip(SKIP_1) | instid1(VALU_DEP_2)
	v_cmp_gt_i32_e64 s0, s42, v6
	v_mov_b32_e32 v6, 0
	s_and_b32 s34, s31, s0
	s_delay_alu instid0(SALU_CYCLE_1)
	s_and_saveexec_b32 s33, s34
	s_cbranch_execz .LBB249_62
; %bb.61:
	global_load_b32 v10, v[2:3], off offset:3840
	global_load_b32 v13, v[4:5], off offset:3840
.LBB249_62:
	s_or_b32 exec_lo, exec_lo, s33
	v_or_b32_e32 v11, 0x3e0, v11
	s_delay_alu instid0(VALU_DEP_1) | instskip(SKIP_2) | instid1(SALU_CYCLE_1)
	v_cmp_gt_i32_e32 vcc_lo, s42, v11
	v_mov_b32_e32 v11, 0
	s_and_b32 s33, s31, vcc_lo
	s_and_saveexec_b32 s31, s33
	s_cbranch_execz .LBB249_64
; %bb.63:
	global_load_b32 v6, v[2:3], off offset:3968
	global_load_b32 v11, v[4:5], off offset:3968
.LBB249_64:
	s_or_b32 exec_lo, exec_lo, s31
	v_mbcnt_lo_u32_b32 v3, -1, 0
	s_mov_b32 s33, exec_lo
	s_delay_alu instid0(VALU_DEP_1) | instskip(SKIP_1) | instid1(VALU_DEP_2)
	v_xor_b32_e32 v4, 16, v3
	v_xor_b32_e32 v5, 8, v3
	v_cmp_gt_i32_e64 s31, 32, v4
	s_delay_alu instid0(VALU_DEP_1) | instskip(NEXT) | instid1(VALU_DEP_3)
	v_cndmask_b32_e64 v4, v3, v4, s31
	v_cmp_gt_i32_e64 s31, 32, v5
	s_delay_alu instid0(VALU_DEP_2) | instskip(NEXT) | instid1(VALU_DEP_2)
	v_lshlrev_b32_e32 v4, 2, v4
	v_cndmask_b32_e64 v5, v3, v5, s31
	s_waitcnt vmcnt(1)
	s_delay_alu instid0(VALU_DEP_1) | instskip(NEXT) | instid1(VALU_DEP_1)
	v_dual_add_f32 v2, 0, v66 :: v_dual_lshlrev_b32 v5, 2, v5
	v_add_f32_e32 v2, v2, v53
	s_delay_alu instid0(VALU_DEP_1) | instskip(NEXT) | instid1(VALU_DEP_1)
	v_add_f32_e32 v2, v2, v64
	v_add_f32_e32 v2, v2, v52
	s_delay_alu instid0(VALU_DEP_1) | instskip(NEXT) | instid1(VALU_DEP_1)
	v_add_f32_e32 v2, v2, v61
	;; [unrolled: 3-line block ×15, first 2 shown]
	v_add_f32_e32 v2, v2, v6
	ds_bpermute_b32 v4, v4, v2
	s_waitcnt lgkmcnt(0)
	v_add_f32_e32 v2, v2, v4
	ds_bpermute_b32 v4, v5, v2
	v_xor_b32_e32 v5, 4, v3
	s_delay_alu instid0(VALU_DEP_1) | instskip(NEXT) | instid1(VALU_DEP_1)
	v_cmp_gt_i32_e64 s31, 32, v5
	v_cndmask_b32_e64 v5, v3, v5, s31
	s_waitcnt lgkmcnt(0)
	s_delay_alu instid0(VALU_DEP_1) | instskip(SKIP_2) | instid1(VALU_DEP_1)
	v_dual_add_f32 v2, v2, v4 :: v_dual_lshlrev_b32 v5, 2, v5
	ds_bpermute_b32 v4, v5, v2
	v_xor_b32_e32 v5, 2, v3
	v_cmp_gt_i32_e64 s31, 32, v5
	s_delay_alu instid0(VALU_DEP_1) | instskip(SKIP_1) | instid1(VALU_DEP_1)
	v_cndmask_b32_e64 v5, v3, v5, s31
	s_waitcnt lgkmcnt(0)
	v_dual_add_f32 v2, v2, v4 :: v_dual_lshlrev_b32 v5, 2, v5
	ds_bpermute_b32 v4, v5, v2
	v_xor_b32_e32 v5, 1, v3
	s_delay_alu instid0(VALU_DEP_1) | instskip(NEXT) | instid1(VALU_DEP_1)
	v_cmp_gt_i32_e64 s31, 32, v5
	v_cndmask_b32_e64 v3, v3, v5, s31
	s_waitcnt lgkmcnt(0)
	s_delay_alu instid0(VALU_DEP_1)
	v_dual_add_f32 v2, v2, v4 :: v_dual_lshlrev_b32 v3, 2, v3
	ds_bpermute_b32 v3, v3, v2
	v_cmpx_lt_i32_e32 0, v70
	s_cbranch_execz .LBB249_98
; %bb.65:
	v_add_co_u32 v0, s31, s36, v0
	s_delay_alu instid0(VALU_DEP_1)
	v_add_co_ci_u32_e64 v1, s31, s37, v1, s31
	s_waitcnt lgkmcnt(0)
	v_add_f32_e32 v2, v2, v3
	s_and_saveexec_b32 s31, s30
	s_cbranch_execnz .LBB249_99
; %bb.66:
	s_or_b32 exec_lo, exec_lo, s31
	s_and_saveexec_b32 s30, s29
	s_cbranch_execnz .LBB249_100
.LBB249_67:
	s_or_b32 exec_lo, exec_lo, s30
	s_and_saveexec_b32 s29, s28
	s_cbranch_execnz .LBB249_101
.LBB249_68:
	s_or_b32 exec_lo, exec_lo, s29
	s_and_saveexec_b32 s28, s27
	s_cbranch_execnz .LBB249_102
.LBB249_69:
	s_or_b32 exec_lo, exec_lo, s28
	s_and_saveexec_b32 s27, s26
	s_cbranch_execnz .LBB249_103
.LBB249_70:
	s_or_b32 exec_lo, exec_lo, s27
	s_and_saveexec_b32 s26, s25
	s_cbranch_execnz .LBB249_104
.LBB249_71:
	s_or_b32 exec_lo, exec_lo, s26
	s_and_saveexec_b32 s25, s24
	s_cbranch_execnz .LBB249_105
.LBB249_72:
	s_or_b32 exec_lo, exec_lo, s25
	s_and_saveexec_b32 s24, s23
	s_cbranch_execnz .LBB249_106
.LBB249_73:
	s_or_b32 exec_lo, exec_lo, s24
	s_and_saveexec_b32 s23, s22
	s_cbranch_execnz .LBB249_107
.LBB249_74:
	s_or_b32 exec_lo, exec_lo, s23
	s_and_saveexec_b32 s22, s21
	s_cbranch_execnz .LBB249_108
.LBB249_75:
	s_or_b32 exec_lo, exec_lo, s22
	s_and_saveexec_b32 s21, s20
	s_cbranch_execnz .LBB249_109
.LBB249_76:
	s_or_b32 exec_lo, exec_lo, s21
	s_and_saveexec_b32 s20, s19
	s_cbranch_execnz .LBB249_110
.LBB249_77:
	s_or_b32 exec_lo, exec_lo, s20
	s_and_saveexec_b32 s19, s18
	s_cbranch_execnz .LBB249_111
.LBB249_78:
	s_or_b32 exec_lo, exec_lo, s19
	s_and_saveexec_b32 s18, s17
	s_cbranch_execnz .LBB249_112
.LBB249_79:
	s_or_b32 exec_lo, exec_lo, s18
	s_and_saveexec_b32 s17, s16
	s_cbranch_execnz .LBB249_113
.LBB249_80:
	s_or_b32 exec_lo, exec_lo, s17
	s_and_saveexec_b32 s16, s15
	s_cbranch_execnz .LBB249_114
.LBB249_81:
	s_or_b32 exec_lo, exec_lo, s16
	s_and_saveexec_b32 s15, s14
	s_cbranch_execnz .LBB249_115
.LBB249_82:
	s_or_b32 exec_lo, exec_lo, s15
	s_and_saveexec_b32 s14, s13
	s_cbranch_execnz .LBB249_116
.LBB249_83:
	s_or_b32 exec_lo, exec_lo, s14
	s_and_saveexec_b32 s13, s12
	s_cbranch_execnz .LBB249_117
.LBB249_84:
	s_or_b32 exec_lo, exec_lo, s13
	s_and_saveexec_b32 s12, s11
	s_cbranch_execnz .LBB249_118
.LBB249_85:
	s_or_b32 exec_lo, exec_lo, s12
	s_and_saveexec_b32 s11, s10
	s_cbranch_execnz .LBB249_119
.LBB249_86:
	s_or_b32 exec_lo, exec_lo, s11
	s_and_saveexec_b32 s10, s9
	s_cbranch_execnz .LBB249_120
.LBB249_87:
	s_or_b32 exec_lo, exec_lo, s10
	s_and_saveexec_b32 s9, s8
	s_cbranch_execnz .LBB249_121
.LBB249_88:
	s_or_b32 exec_lo, exec_lo, s9
	s_and_saveexec_b32 s8, s7
	s_cbranch_execnz .LBB249_122
.LBB249_89:
	s_or_b32 exec_lo, exec_lo, s8
	s_and_saveexec_b32 s7, s6
	s_cbranch_execnz .LBB249_123
.LBB249_90:
	s_or_b32 exec_lo, exec_lo, s7
	s_and_saveexec_b32 s6, s5
	s_cbranch_execnz .LBB249_124
.LBB249_91:
	s_or_b32 exec_lo, exec_lo, s6
	s_and_saveexec_b32 s5, s4
	s_cbranch_execnz .LBB249_125
.LBB249_92:
	s_or_b32 exec_lo, exec_lo, s5
	s_and_saveexec_b32 s4, s3
	s_cbranch_execnz .LBB249_126
.LBB249_93:
	s_or_b32 exec_lo, exec_lo, s4
	s_and_saveexec_b32 s3, s2
	s_cbranch_execnz .LBB249_127
.LBB249_94:
	s_or_b32 exec_lo, exec_lo, s3
	s_and_saveexec_b32 s2, s1
	s_cbranch_execnz .LBB249_128
.LBB249_95:
	s_or_b32 exec_lo, exec_lo, s2
	s_and_saveexec_b32 s1, s0
	s_cbranch_execnz .LBB249_129
.LBB249_96:
	s_or_b32 exec_lo, exec_lo, s1
	s_delay_alu instid0(SALU_CYCLE_1)
	s_and_b32 exec_lo, exec_lo, vcc_lo
	s_cbranch_execz .LBB249_98
.LBB249_97:
	s_waitcnt vmcnt(0)
	v_mul_f32_e32 v3, 0x3fb8aa3b, v11
	v_cmp_ngt_f32_e32 vcc_lo, 0xc2ce8ed0, v11
	s_delay_alu instid0(VALU_DEP_2) | instskip(SKIP_1) | instid1(VALU_DEP_2)
	v_rndne_f32_e32 v4, v3
	v_fma_f32 v5, 0x3fb8aa3b, v11, -v3
	v_sub_f32_e32 v3, v3, v4
	s_delay_alu instid0(VALU_DEP_2) | instskip(SKIP_1) | instid1(VALU_DEP_2)
	v_fmamk_f32 v5, v11, 0x32a5705f, v5
	v_cvt_i32_f32_e32 v4, v4
	v_add_f32_e32 v3, v3, v5
	s_delay_alu instid0(VALU_DEP_1) | instskip(SKIP_2) | instid1(VALU_DEP_1)
	v_exp_f32_e32 v3, v3
	s_waitcnt_depctr 0xfff
	v_ldexp_f32 v3, v3, v4
	v_cndmask_b32_e32 v3, 0, v3, vcc_lo
	v_cmp_nlt_f32_e32 vcc_lo, 0x42b17218, v11
	s_delay_alu instid0(VALU_DEP_2) | instskip(NEXT) | instid1(VALU_DEP_1)
	v_cndmask_b32_e32 v3, 0x7f800000, v3, vcc_lo
	v_fma_f32 v2, -v2, v3, v6
	global_store_b32 v[0:1], v2, off offset:3968
.LBB249_98:
	s_nop 0
	s_sendmsg sendmsg(MSG_DEALLOC_VGPRS)
	s_endpgm
.LBB249_99:
	s_waitcnt vmcnt(0)
	v_mul_f32_e32 v3, 0x3fb8aa3b, v69
	v_cmp_ngt_f32_e64 s30, 0xc2ce8ed0, v69
	s_delay_alu instid0(VALU_DEP_2) | instskip(SKIP_1) | instid1(VALU_DEP_2)
	v_rndne_f32_e32 v4, v3
	v_fma_f32 v5, 0x3fb8aa3b, v69, -v3
	v_sub_f32_e32 v3, v3, v4
	s_delay_alu instid0(VALU_DEP_2) | instskip(SKIP_1) | instid1(VALU_DEP_2)
	v_fmamk_f32 v5, v69, 0x32a5705f, v5
	v_cvt_i32_f32_e32 v4, v4
	v_add_f32_e32 v3, v3, v5
	s_delay_alu instid0(VALU_DEP_1) | instskip(SKIP_2) | instid1(VALU_DEP_1)
	v_exp_f32_e32 v3, v3
	s_waitcnt_depctr 0xfff
	v_ldexp_f32 v3, v3, v4
	v_cndmask_b32_e64 v3, 0, v3, s30
	v_cmp_nlt_f32_e64 s30, 0x42b17218, v69
	s_delay_alu instid0(VALU_DEP_1) | instskip(NEXT) | instid1(VALU_DEP_1)
	v_cndmask_b32_e64 v3, 0x7f800000, v3, s30
	v_fma_f32 v3, -v2, v3, v66
	global_store_b32 v[0:1], v3, off
	s_or_b32 exec_lo, exec_lo, s31
	s_and_saveexec_b32 s30, s29
	s_cbranch_execz .LBB249_67
.LBB249_100:
	s_waitcnt vmcnt(0)
	v_mul_f32_e32 v3, 0x3fb8aa3b, v68
	v_cmp_ngt_f32_e64 s29, 0xc2ce8ed0, v68
	s_delay_alu instid0(VALU_DEP_2) | instskip(SKIP_1) | instid1(VALU_DEP_2)
	v_rndne_f32_e32 v4, v3
	v_fma_f32 v5, 0x3fb8aa3b, v68, -v3
	v_sub_f32_e32 v3, v3, v4
	s_delay_alu instid0(VALU_DEP_2) | instskip(SKIP_1) | instid1(VALU_DEP_2)
	v_fmamk_f32 v5, v68, 0x32a5705f, v5
	v_cvt_i32_f32_e32 v4, v4
	v_add_f32_e32 v3, v3, v5
	s_delay_alu instid0(VALU_DEP_1) | instskip(SKIP_2) | instid1(VALU_DEP_1)
	v_exp_f32_e32 v3, v3
	s_waitcnt_depctr 0xfff
	v_ldexp_f32 v3, v3, v4
	v_cndmask_b32_e64 v3, 0, v3, s29
	v_cmp_nlt_f32_e64 s29, 0x42b17218, v68
	s_delay_alu instid0(VALU_DEP_1) | instskip(NEXT) | instid1(VALU_DEP_1)
	v_cndmask_b32_e64 v3, 0x7f800000, v3, s29
	v_fma_f32 v3, -v2, v3, v53
	global_store_b32 v[0:1], v3, off offset:128
	s_or_b32 exec_lo, exec_lo, s30
	s_and_saveexec_b32 s29, s28
	s_cbranch_execz .LBB249_68
.LBB249_101:
	s_waitcnt vmcnt(0)
	v_mul_f32_e32 v3, 0x3fb8aa3b, v67
	v_cmp_ngt_f32_e64 s28, 0xc2ce8ed0, v67
	s_delay_alu instid0(VALU_DEP_2) | instskip(SKIP_1) | instid1(VALU_DEP_2)
	v_rndne_f32_e32 v4, v3
	v_fma_f32 v5, 0x3fb8aa3b, v67, -v3
	v_sub_f32_e32 v3, v3, v4
	s_delay_alu instid0(VALU_DEP_2) | instskip(SKIP_1) | instid1(VALU_DEP_2)
	v_fmamk_f32 v5, v67, 0x32a5705f, v5
	v_cvt_i32_f32_e32 v4, v4
	v_add_f32_e32 v3, v3, v5
	s_delay_alu instid0(VALU_DEP_1) | instskip(SKIP_2) | instid1(VALU_DEP_1)
	v_exp_f32_e32 v3, v3
	s_waitcnt_depctr 0xfff
	v_ldexp_f32 v3, v3, v4
	v_cndmask_b32_e64 v3, 0, v3, s28
	v_cmp_nlt_f32_e64 s28, 0x42b17218, v67
	s_delay_alu instid0(VALU_DEP_1) | instskip(NEXT) | instid1(VALU_DEP_1)
	v_cndmask_b32_e64 v3, 0x7f800000, v3, s28
	v_fma_f32 v3, -v2, v3, v64
	global_store_b32 v[0:1], v3, off offset:256
	s_or_b32 exec_lo, exec_lo, s29
	s_and_saveexec_b32 s28, s27
	s_cbranch_execz .LBB249_69
.LBB249_102:
	s_waitcnt vmcnt(0)
	v_mul_f32_e32 v3, 0x3fb8aa3b, v65
	v_cmp_ngt_f32_e64 s27, 0xc2ce8ed0, v65
	s_delay_alu instid0(VALU_DEP_2) | instskip(SKIP_1) | instid1(VALU_DEP_2)
	v_rndne_f32_e32 v4, v3
	v_fma_f32 v5, 0x3fb8aa3b, v65, -v3
	v_sub_f32_e32 v3, v3, v4
	s_delay_alu instid0(VALU_DEP_2) | instskip(SKIP_1) | instid1(VALU_DEP_2)
	v_fmamk_f32 v5, v65, 0x32a5705f, v5
	v_cvt_i32_f32_e32 v4, v4
	v_add_f32_e32 v3, v3, v5
	s_delay_alu instid0(VALU_DEP_1) | instskip(SKIP_2) | instid1(VALU_DEP_1)
	v_exp_f32_e32 v3, v3
	s_waitcnt_depctr 0xfff
	v_ldexp_f32 v3, v3, v4
	v_cndmask_b32_e64 v3, 0, v3, s27
	v_cmp_nlt_f32_e64 s27, 0x42b17218, v65
	s_delay_alu instid0(VALU_DEP_1) | instskip(NEXT) | instid1(VALU_DEP_1)
	v_cndmask_b32_e64 v3, 0x7f800000, v3, s27
	v_fma_f32 v3, -v2, v3, v52
	global_store_b32 v[0:1], v3, off offset:384
	s_or_b32 exec_lo, exec_lo, s28
	s_and_saveexec_b32 s27, s26
	s_cbranch_execz .LBB249_70
.LBB249_103:
	s_waitcnt vmcnt(0)
	v_mul_f32_e32 v3, 0x3fb8aa3b, v63
	v_cmp_ngt_f32_e64 s26, 0xc2ce8ed0, v63
	s_delay_alu instid0(VALU_DEP_2) | instskip(SKIP_1) | instid1(VALU_DEP_2)
	v_rndne_f32_e32 v4, v3
	v_fma_f32 v5, 0x3fb8aa3b, v63, -v3
	v_sub_f32_e32 v3, v3, v4
	s_delay_alu instid0(VALU_DEP_2) | instskip(SKIP_1) | instid1(VALU_DEP_2)
	v_fmamk_f32 v5, v63, 0x32a5705f, v5
	v_cvt_i32_f32_e32 v4, v4
	v_add_f32_e32 v3, v3, v5
	s_delay_alu instid0(VALU_DEP_1) | instskip(SKIP_2) | instid1(VALU_DEP_1)
	v_exp_f32_e32 v3, v3
	s_waitcnt_depctr 0xfff
	v_ldexp_f32 v3, v3, v4
	v_cndmask_b32_e64 v3, 0, v3, s26
	v_cmp_nlt_f32_e64 s26, 0x42b17218, v63
	s_delay_alu instid0(VALU_DEP_1) | instskip(NEXT) | instid1(VALU_DEP_1)
	v_cndmask_b32_e64 v3, 0x7f800000, v3, s26
	v_fma_f32 v3, -v2, v3, v61
	global_store_b32 v[0:1], v3, off offset:512
	s_or_b32 exec_lo, exec_lo, s27
	s_and_saveexec_b32 s26, s25
	s_cbranch_execz .LBB249_71
.LBB249_104:
	s_waitcnt vmcnt(0)
	v_mul_f32_e32 v3, 0x3fb8aa3b, v62
	v_cmp_ngt_f32_e64 s25, 0xc2ce8ed0, v62
	s_delay_alu instid0(VALU_DEP_2) | instskip(SKIP_1) | instid1(VALU_DEP_2)
	v_rndne_f32_e32 v4, v3
	v_fma_f32 v5, 0x3fb8aa3b, v62, -v3
	v_sub_f32_e32 v3, v3, v4
	s_delay_alu instid0(VALU_DEP_2) | instskip(SKIP_1) | instid1(VALU_DEP_2)
	v_fmamk_f32 v5, v62, 0x32a5705f, v5
	v_cvt_i32_f32_e32 v4, v4
	v_add_f32_e32 v3, v3, v5
	s_delay_alu instid0(VALU_DEP_1) | instskip(SKIP_2) | instid1(VALU_DEP_1)
	v_exp_f32_e32 v3, v3
	s_waitcnt_depctr 0xfff
	v_ldexp_f32 v3, v3, v4
	v_cndmask_b32_e64 v3, 0, v3, s25
	v_cmp_nlt_f32_e64 s25, 0x42b17218, v62
	s_delay_alu instid0(VALU_DEP_1) | instskip(NEXT) | instid1(VALU_DEP_1)
	v_cndmask_b32_e64 v3, 0x7f800000, v3, s25
	v_fma_f32 v3, -v2, v3, v48
	global_store_b32 v[0:1], v3, off offset:640
	s_or_b32 exec_lo, exec_lo, s26
	s_and_saveexec_b32 s25, s24
	s_cbranch_execz .LBB249_72
.LBB249_105:
	s_waitcnt vmcnt(0)
	v_mul_f32_e32 v3, 0x3fb8aa3b, v60
	v_cmp_ngt_f32_e64 s24, 0xc2ce8ed0, v60
	s_delay_alu instid0(VALU_DEP_2) | instskip(SKIP_1) | instid1(VALU_DEP_2)
	v_rndne_f32_e32 v4, v3
	v_fma_f32 v5, 0x3fb8aa3b, v60, -v3
	v_sub_f32_e32 v3, v3, v4
	s_delay_alu instid0(VALU_DEP_2) | instskip(SKIP_1) | instid1(VALU_DEP_2)
	v_fmamk_f32 v5, v60, 0x32a5705f, v5
	v_cvt_i32_f32_e32 v4, v4
	v_add_f32_e32 v3, v3, v5
	s_delay_alu instid0(VALU_DEP_1) | instskip(SKIP_2) | instid1(VALU_DEP_1)
	v_exp_f32_e32 v3, v3
	s_waitcnt_depctr 0xfff
	v_ldexp_f32 v3, v3, v4
	v_cndmask_b32_e64 v3, 0, v3, s24
	v_cmp_nlt_f32_e64 s24, 0x42b17218, v60
	s_delay_alu instid0(VALU_DEP_1) | instskip(NEXT) | instid1(VALU_DEP_1)
	v_cndmask_b32_e64 v3, 0x7f800000, v3, s24
	v_fma_f32 v3, -v2, v3, v58
	global_store_b32 v[0:1], v3, off offset:768
	s_or_b32 exec_lo, exec_lo, s25
	s_and_saveexec_b32 s24, s23
	s_cbranch_execz .LBB249_73
.LBB249_106:
	s_waitcnt vmcnt(0)
	v_mul_f32_e32 v3, 0x3fb8aa3b, v59
	v_cmp_ngt_f32_e64 s23, 0xc2ce8ed0, v59
	s_delay_alu instid0(VALU_DEP_2) | instskip(SKIP_1) | instid1(VALU_DEP_2)
	v_rndne_f32_e32 v4, v3
	v_fma_f32 v5, 0x3fb8aa3b, v59, -v3
	v_sub_f32_e32 v3, v3, v4
	s_delay_alu instid0(VALU_DEP_2) | instskip(SKIP_1) | instid1(VALU_DEP_2)
	v_fmamk_f32 v5, v59, 0x32a5705f, v5
	v_cvt_i32_f32_e32 v4, v4
	v_add_f32_e32 v3, v3, v5
	s_delay_alu instid0(VALU_DEP_1) | instskip(SKIP_2) | instid1(VALU_DEP_1)
	v_exp_f32_e32 v3, v3
	s_waitcnt_depctr 0xfff
	v_ldexp_f32 v3, v3, v4
	v_cndmask_b32_e64 v3, 0, v3, s23
	v_cmp_nlt_f32_e64 s23, 0x42b17218, v59
	s_delay_alu instid0(VALU_DEP_1) | instskip(NEXT) | instid1(VALU_DEP_1)
	v_cndmask_b32_e64 v3, 0x7f800000, v3, s23
	v_fma_f32 v3, -v2, v3, v44
	global_store_b32 v[0:1], v3, off offset:896
	s_or_b32 exec_lo, exec_lo, s24
	s_and_saveexec_b32 s23, s22
	s_cbranch_execz .LBB249_74
.LBB249_107:
	s_waitcnt vmcnt(0)
	v_mul_f32_e32 v3, 0x3fb8aa3b, v57
	v_cmp_ngt_f32_e64 s22, 0xc2ce8ed0, v57
	s_delay_alu instid0(VALU_DEP_2) | instskip(SKIP_1) | instid1(VALU_DEP_2)
	v_rndne_f32_e32 v4, v3
	v_fma_f32 v5, 0x3fb8aa3b, v57, -v3
	v_sub_f32_e32 v3, v3, v4
	s_delay_alu instid0(VALU_DEP_2) | instskip(SKIP_1) | instid1(VALU_DEP_2)
	v_fmamk_f32 v5, v57, 0x32a5705f, v5
	v_cvt_i32_f32_e32 v4, v4
	v_add_f32_e32 v3, v3, v5
	s_delay_alu instid0(VALU_DEP_1) | instskip(SKIP_2) | instid1(VALU_DEP_1)
	v_exp_f32_e32 v3, v3
	s_waitcnt_depctr 0xfff
	v_ldexp_f32 v3, v3, v4
	v_cndmask_b32_e64 v3, 0, v3, s22
	v_cmp_nlt_f32_e64 s22, 0x42b17218, v57
	s_delay_alu instid0(VALU_DEP_1) | instskip(NEXT) | instid1(VALU_DEP_1)
	v_cndmask_b32_e64 v3, 0x7f800000, v3, s22
	v_fma_f32 v3, -v2, v3, v55
	global_store_b32 v[0:1], v3, off offset:1024
	s_or_b32 exec_lo, exec_lo, s23
	s_and_saveexec_b32 s22, s21
	s_cbranch_execz .LBB249_75
.LBB249_108:
	s_waitcnt vmcnt(0)
	v_mul_f32_e32 v3, 0x3fb8aa3b, v56
	v_cmp_ngt_f32_e64 s21, 0xc2ce8ed0, v56
	s_delay_alu instid0(VALU_DEP_2) | instskip(SKIP_1) | instid1(VALU_DEP_2)
	v_rndne_f32_e32 v4, v3
	v_fma_f32 v5, 0x3fb8aa3b, v56, -v3
	v_sub_f32_e32 v3, v3, v4
	s_delay_alu instid0(VALU_DEP_2) | instskip(SKIP_1) | instid1(VALU_DEP_2)
	v_fmamk_f32 v5, v56, 0x32a5705f, v5
	v_cvt_i32_f32_e32 v4, v4
	v_add_f32_e32 v3, v3, v5
	s_delay_alu instid0(VALU_DEP_1) | instskip(SKIP_2) | instid1(VALU_DEP_1)
	v_exp_f32_e32 v3, v3
	s_waitcnt_depctr 0xfff
	v_ldexp_f32 v3, v3, v4
	v_cndmask_b32_e64 v3, 0, v3, s21
	v_cmp_nlt_f32_e64 s21, 0x42b17218, v56
	s_delay_alu instid0(VALU_DEP_1) | instskip(NEXT) | instid1(VALU_DEP_1)
	v_cndmask_b32_e64 v3, 0x7f800000, v3, s21
	v_fma_f32 v3, -v2, v3, v40
	global_store_b32 v[0:1], v3, off offset:1152
	s_or_b32 exec_lo, exec_lo, s22
	s_and_saveexec_b32 s21, s20
	s_cbranch_execz .LBB249_76
.LBB249_109:
	s_waitcnt vmcnt(0)
	v_mul_f32_e32 v3, 0x3fb8aa3b, v54
	v_cmp_ngt_f32_e64 s20, 0xc2ce8ed0, v54
	s_delay_alu instid0(VALU_DEP_2) | instskip(SKIP_1) | instid1(VALU_DEP_2)
	v_rndne_f32_e32 v4, v3
	v_fma_f32 v5, 0x3fb8aa3b, v54, -v3
	v_sub_f32_e32 v3, v3, v4
	s_delay_alu instid0(VALU_DEP_2) | instskip(SKIP_1) | instid1(VALU_DEP_2)
	v_fmamk_f32 v5, v54, 0x32a5705f, v5
	v_cvt_i32_f32_e32 v4, v4
	v_add_f32_e32 v3, v3, v5
	s_delay_alu instid0(VALU_DEP_1) | instskip(SKIP_2) | instid1(VALU_DEP_1)
	v_exp_f32_e32 v3, v3
	s_waitcnt_depctr 0xfff
	v_ldexp_f32 v3, v3, v4
	v_cndmask_b32_e64 v3, 0, v3, s20
	v_cmp_nlt_f32_e64 s20, 0x42b17218, v54
	s_delay_alu instid0(VALU_DEP_1) | instskip(NEXT) | instid1(VALU_DEP_1)
	v_cndmask_b32_e64 v3, 0x7f800000, v3, s20
	v_fma_f32 v3, -v2, v3, v50
	global_store_b32 v[0:1], v3, off offset:1280
	s_or_b32 exec_lo, exec_lo, s21
	s_and_saveexec_b32 s20, s19
	s_cbranch_execz .LBB249_77
.LBB249_110:
	s_waitcnt vmcnt(0)
	v_mul_f32_e32 v3, 0x3fb8aa3b, v51
	v_cmp_ngt_f32_e64 s19, 0xc2ce8ed0, v51
	s_delay_alu instid0(VALU_DEP_2) | instskip(SKIP_1) | instid1(VALU_DEP_2)
	v_rndne_f32_e32 v4, v3
	v_fma_f32 v5, 0x3fb8aa3b, v51, -v3
	v_sub_f32_e32 v3, v3, v4
	s_delay_alu instid0(VALU_DEP_2) | instskip(SKIP_1) | instid1(VALU_DEP_2)
	v_fmamk_f32 v5, v51, 0x32a5705f, v5
	v_cvt_i32_f32_e32 v4, v4
	v_add_f32_e32 v3, v3, v5
	s_delay_alu instid0(VALU_DEP_1) | instskip(SKIP_2) | instid1(VALU_DEP_1)
	v_exp_f32_e32 v3, v3
	s_waitcnt_depctr 0xfff
	v_ldexp_f32 v3, v3, v4
	v_cndmask_b32_e64 v3, 0, v3, s19
	v_cmp_nlt_f32_e64 s19, 0x42b17218, v51
	s_delay_alu instid0(VALU_DEP_1) | instskip(NEXT) | instid1(VALU_DEP_1)
	v_cndmask_b32_e64 v3, 0x7f800000, v3, s19
	v_fma_f32 v3, -v2, v3, v36
	global_store_b32 v[0:1], v3, off offset:1408
	s_or_b32 exec_lo, exec_lo, s20
	s_and_saveexec_b32 s19, s18
	s_cbranch_execz .LBB249_78
.LBB249_111:
	s_waitcnt vmcnt(0)
	v_mul_f32_e32 v3, 0x3fb8aa3b, v49
	v_cmp_ngt_f32_e64 s18, 0xc2ce8ed0, v49
	s_delay_alu instid0(VALU_DEP_2) | instskip(SKIP_1) | instid1(VALU_DEP_2)
	v_rndne_f32_e32 v4, v3
	v_fma_f32 v5, 0x3fb8aa3b, v49, -v3
	v_sub_f32_e32 v3, v3, v4
	s_delay_alu instid0(VALU_DEP_2) | instskip(SKIP_1) | instid1(VALU_DEP_2)
	v_fmamk_f32 v5, v49, 0x32a5705f, v5
	v_cvt_i32_f32_e32 v4, v4
	v_add_f32_e32 v3, v3, v5
	s_delay_alu instid0(VALU_DEP_1) | instskip(SKIP_2) | instid1(VALU_DEP_1)
	v_exp_f32_e32 v3, v3
	s_waitcnt_depctr 0xfff
	v_ldexp_f32 v3, v3, v4
	v_cndmask_b32_e64 v3, 0, v3, s18
	v_cmp_nlt_f32_e64 s18, 0x42b17218, v49
	s_delay_alu instid0(VALU_DEP_1) | instskip(NEXT) | instid1(VALU_DEP_1)
	v_cndmask_b32_e64 v3, 0x7f800000, v3, s18
	v_fma_f32 v3, -v2, v3, v46
	global_store_b32 v[0:1], v3, off offset:1536
	s_or_b32 exec_lo, exec_lo, s19
	s_and_saveexec_b32 s18, s17
	s_cbranch_execz .LBB249_79
.LBB249_112:
	s_waitcnt vmcnt(0)
	v_mul_f32_e32 v3, 0x3fb8aa3b, v47
	v_cmp_ngt_f32_e64 s17, 0xc2ce8ed0, v47
	s_delay_alu instid0(VALU_DEP_2) | instskip(SKIP_1) | instid1(VALU_DEP_2)
	v_rndne_f32_e32 v4, v3
	v_fma_f32 v5, 0x3fb8aa3b, v47, -v3
	v_sub_f32_e32 v3, v3, v4
	s_delay_alu instid0(VALU_DEP_2) | instskip(SKIP_1) | instid1(VALU_DEP_2)
	v_fmamk_f32 v5, v47, 0x32a5705f, v5
	v_cvt_i32_f32_e32 v4, v4
	v_add_f32_e32 v3, v3, v5
	s_delay_alu instid0(VALU_DEP_1) | instskip(SKIP_2) | instid1(VALU_DEP_1)
	v_exp_f32_e32 v3, v3
	s_waitcnt_depctr 0xfff
	v_ldexp_f32 v3, v3, v4
	v_cndmask_b32_e64 v3, 0, v3, s17
	v_cmp_nlt_f32_e64 s17, 0x42b17218, v47
	s_delay_alu instid0(VALU_DEP_1) | instskip(NEXT) | instid1(VALU_DEP_1)
	v_cndmask_b32_e64 v3, 0x7f800000, v3, s17
	v_fma_f32 v3, -v2, v3, v32
	global_store_b32 v[0:1], v3, off offset:1664
	s_or_b32 exec_lo, exec_lo, s18
	s_and_saveexec_b32 s17, s16
	s_cbranch_execz .LBB249_80
.LBB249_113:
	s_waitcnt vmcnt(0)
	v_mul_f32_e32 v3, 0x3fb8aa3b, v45
	v_cmp_ngt_f32_e64 s16, 0xc2ce8ed0, v45
	s_delay_alu instid0(VALU_DEP_2) | instskip(SKIP_1) | instid1(VALU_DEP_2)
	v_rndne_f32_e32 v4, v3
	v_fma_f32 v5, 0x3fb8aa3b, v45, -v3
	v_sub_f32_e32 v3, v3, v4
	s_delay_alu instid0(VALU_DEP_2) | instskip(SKIP_1) | instid1(VALU_DEP_2)
	v_fmamk_f32 v5, v45, 0x32a5705f, v5
	v_cvt_i32_f32_e32 v4, v4
	v_add_f32_e32 v3, v3, v5
	s_delay_alu instid0(VALU_DEP_1) | instskip(SKIP_2) | instid1(VALU_DEP_1)
	v_exp_f32_e32 v3, v3
	s_waitcnt_depctr 0xfff
	v_ldexp_f32 v3, v3, v4
	v_cndmask_b32_e64 v3, 0, v3, s16
	v_cmp_nlt_f32_e64 s16, 0x42b17218, v45
	s_delay_alu instid0(VALU_DEP_1) | instskip(NEXT) | instid1(VALU_DEP_1)
	v_cndmask_b32_e64 v3, 0x7f800000, v3, s16
	v_fma_f32 v3, -v2, v3, v42
	global_store_b32 v[0:1], v3, off offset:1792
	s_or_b32 exec_lo, exec_lo, s17
	s_and_saveexec_b32 s16, s15
	s_cbranch_execz .LBB249_81
.LBB249_114:
	s_waitcnt vmcnt(0)
	v_mul_f32_e32 v3, 0x3fb8aa3b, v43
	v_cmp_ngt_f32_e64 s15, 0xc2ce8ed0, v43
	s_delay_alu instid0(VALU_DEP_2) | instskip(SKIP_1) | instid1(VALU_DEP_2)
	v_rndne_f32_e32 v4, v3
	v_fma_f32 v5, 0x3fb8aa3b, v43, -v3
	v_sub_f32_e32 v3, v3, v4
	s_delay_alu instid0(VALU_DEP_2) | instskip(SKIP_1) | instid1(VALU_DEP_2)
	v_fmamk_f32 v5, v43, 0x32a5705f, v5
	v_cvt_i32_f32_e32 v4, v4
	v_add_f32_e32 v3, v3, v5
	s_delay_alu instid0(VALU_DEP_1) | instskip(SKIP_2) | instid1(VALU_DEP_1)
	v_exp_f32_e32 v3, v3
	s_waitcnt_depctr 0xfff
	v_ldexp_f32 v3, v3, v4
	v_cndmask_b32_e64 v3, 0, v3, s15
	v_cmp_nlt_f32_e64 s15, 0x42b17218, v43
	s_delay_alu instid0(VALU_DEP_1) | instskip(NEXT) | instid1(VALU_DEP_1)
	v_cndmask_b32_e64 v3, 0x7f800000, v3, s15
	v_fma_f32 v3, -v2, v3, v28
	global_store_b32 v[0:1], v3, off offset:1920
	s_or_b32 exec_lo, exec_lo, s16
	s_and_saveexec_b32 s15, s14
	s_cbranch_execz .LBB249_82
.LBB249_115:
	s_waitcnt vmcnt(0)
	v_mul_f32_e32 v3, 0x3fb8aa3b, v41
	v_cmp_ngt_f32_e64 s14, 0xc2ce8ed0, v41
	s_delay_alu instid0(VALU_DEP_2) | instskip(SKIP_1) | instid1(VALU_DEP_2)
	v_rndne_f32_e32 v4, v3
	v_fma_f32 v5, 0x3fb8aa3b, v41, -v3
	v_sub_f32_e32 v3, v3, v4
	s_delay_alu instid0(VALU_DEP_2) | instskip(SKIP_1) | instid1(VALU_DEP_2)
	v_fmamk_f32 v5, v41, 0x32a5705f, v5
	v_cvt_i32_f32_e32 v4, v4
	v_add_f32_e32 v3, v3, v5
	s_delay_alu instid0(VALU_DEP_1) | instskip(SKIP_2) | instid1(VALU_DEP_1)
	v_exp_f32_e32 v3, v3
	s_waitcnt_depctr 0xfff
	v_ldexp_f32 v3, v3, v4
	v_cndmask_b32_e64 v3, 0, v3, s14
	v_cmp_nlt_f32_e64 s14, 0x42b17218, v41
	s_delay_alu instid0(VALU_DEP_1) | instskip(NEXT) | instid1(VALU_DEP_1)
	v_cndmask_b32_e64 v3, 0x7f800000, v3, s14
	v_fma_f32 v3, -v2, v3, v38
	global_store_b32 v[0:1], v3, off offset:2048
	s_or_b32 exec_lo, exec_lo, s15
	s_and_saveexec_b32 s14, s13
	s_cbranch_execz .LBB249_83
.LBB249_116:
	s_waitcnt vmcnt(0)
	v_mul_f32_e32 v3, 0x3fb8aa3b, v39
	v_cmp_ngt_f32_e64 s13, 0xc2ce8ed0, v39
	s_delay_alu instid0(VALU_DEP_2) | instskip(SKIP_1) | instid1(VALU_DEP_2)
	v_rndne_f32_e32 v4, v3
	v_fma_f32 v5, 0x3fb8aa3b, v39, -v3
	v_sub_f32_e32 v3, v3, v4
	s_delay_alu instid0(VALU_DEP_2) | instskip(SKIP_1) | instid1(VALU_DEP_2)
	v_fmamk_f32 v5, v39, 0x32a5705f, v5
	v_cvt_i32_f32_e32 v4, v4
	v_add_f32_e32 v3, v3, v5
	s_delay_alu instid0(VALU_DEP_1) | instskip(SKIP_2) | instid1(VALU_DEP_1)
	v_exp_f32_e32 v3, v3
	s_waitcnt_depctr 0xfff
	v_ldexp_f32 v3, v3, v4
	v_cndmask_b32_e64 v3, 0, v3, s13
	v_cmp_nlt_f32_e64 s13, 0x42b17218, v39
	s_delay_alu instid0(VALU_DEP_1) | instskip(NEXT) | instid1(VALU_DEP_1)
	v_cndmask_b32_e64 v3, 0x7f800000, v3, s13
	v_fma_f32 v3, -v2, v3, v24
	global_store_b32 v[0:1], v3, off offset:2176
	s_or_b32 exec_lo, exec_lo, s14
	s_and_saveexec_b32 s13, s12
	s_cbranch_execz .LBB249_84
.LBB249_117:
	s_waitcnt vmcnt(0)
	v_mul_f32_e32 v3, 0x3fb8aa3b, v37
	v_cmp_ngt_f32_e64 s12, 0xc2ce8ed0, v37
	s_delay_alu instid0(VALU_DEP_2) | instskip(SKIP_1) | instid1(VALU_DEP_2)
	v_rndne_f32_e32 v4, v3
	v_fma_f32 v5, 0x3fb8aa3b, v37, -v3
	v_sub_f32_e32 v3, v3, v4
	s_delay_alu instid0(VALU_DEP_2) | instskip(SKIP_1) | instid1(VALU_DEP_2)
	v_fmamk_f32 v5, v37, 0x32a5705f, v5
	v_cvt_i32_f32_e32 v4, v4
	v_add_f32_e32 v3, v3, v5
	s_delay_alu instid0(VALU_DEP_1) | instskip(SKIP_2) | instid1(VALU_DEP_1)
	v_exp_f32_e32 v3, v3
	s_waitcnt_depctr 0xfff
	v_ldexp_f32 v3, v3, v4
	v_cndmask_b32_e64 v3, 0, v3, s12
	v_cmp_nlt_f32_e64 s12, 0x42b17218, v37
	s_delay_alu instid0(VALU_DEP_1) | instskip(NEXT) | instid1(VALU_DEP_1)
	v_cndmask_b32_e64 v3, 0x7f800000, v3, s12
	v_fma_f32 v3, -v2, v3, v34
	global_store_b32 v[0:1], v3, off offset:2304
	s_or_b32 exec_lo, exec_lo, s13
	s_and_saveexec_b32 s12, s11
	s_cbranch_execz .LBB249_85
.LBB249_118:
	s_waitcnt vmcnt(0)
	v_mul_f32_e32 v3, 0x3fb8aa3b, v35
	v_cmp_ngt_f32_e64 s11, 0xc2ce8ed0, v35
	s_delay_alu instid0(VALU_DEP_2) | instskip(SKIP_1) | instid1(VALU_DEP_2)
	v_rndne_f32_e32 v4, v3
	v_fma_f32 v5, 0x3fb8aa3b, v35, -v3
	v_sub_f32_e32 v3, v3, v4
	s_delay_alu instid0(VALU_DEP_2) | instskip(SKIP_1) | instid1(VALU_DEP_2)
	v_fmamk_f32 v5, v35, 0x32a5705f, v5
	v_cvt_i32_f32_e32 v4, v4
	v_add_f32_e32 v3, v3, v5
	s_delay_alu instid0(VALU_DEP_1) | instskip(SKIP_2) | instid1(VALU_DEP_1)
	v_exp_f32_e32 v3, v3
	s_waitcnt_depctr 0xfff
	v_ldexp_f32 v3, v3, v4
	v_cndmask_b32_e64 v3, 0, v3, s11
	v_cmp_nlt_f32_e64 s11, 0x42b17218, v35
	s_delay_alu instid0(VALU_DEP_1) | instskip(NEXT) | instid1(VALU_DEP_1)
	v_cndmask_b32_e64 v3, 0x7f800000, v3, s11
	v_fma_f32 v3, -v2, v3, v20
	global_store_b32 v[0:1], v3, off offset:2432
	s_or_b32 exec_lo, exec_lo, s12
	s_and_saveexec_b32 s11, s10
	s_cbranch_execz .LBB249_86
.LBB249_119:
	s_waitcnt vmcnt(0)
	v_mul_f32_e32 v3, 0x3fb8aa3b, v33
	v_cmp_ngt_f32_e64 s10, 0xc2ce8ed0, v33
	s_delay_alu instid0(VALU_DEP_2) | instskip(SKIP_1) | instid1(VALU_DEP_2)
	v_rndne_f32_e32 v4, v3
	v_fma_f32 v5, 0x3fb8aa3b, v33, -v3
	v_sub_f32_e32 v3, v3, v4
	s_delay_alu instid0(VALU_DEP_2) | instskip(SKIP_1) | instid1(VALU_DEP_2)
	v_fmamk_f32 v5, v33, 0x32a5705f, v5
	v_cvt_i32_f32_e32 v4, v4
	v_add_f32_e32 v3, v3, v5
	s_delay_alu instid0(VALU_DEP_1) | instskip(SKIP_2) | instid1(VALU_DEP_1)
	v_exp_f32_e32 v3, v3
	s_waitcnt_depctr 0xfff
	v_ldexp_f32 v3, v3, v4
	v_cndmask_b32_e64 v3, 0, v3, s10
	v_cmp_nlt_f32_e64 s10, 0x42b17218, v33
	s_delay_alu instid0(VALU_DEP_1) | instskip(NEXT) | instid1(VALU_DEP_1)
	v_cndmask_b32_e64 v3, 0x7f800000, v3, s10
	v_fma_f32 v3, -v2, v3, v30
	global_store_b32 v[0:1], v3, off offset:2560
	s_or_b32 exec_lo, exec_lo, s11
	s_and_saveexec_b32 s10, s9
	s_cbranch_execz .LBB249_87
.LBB249_120:
	s_waitcnt vmcnt(0)
	v_mul_f32_e32 v3, 0x3fb8aa3b, v31
	v_cmp_ngt_f32_e64 s9, 0xc2ce8ed0, v31
	s_delay_alu instid0(VALU_DEP_2) | instskip(SKIP_1) | instid1(VALU_DEP_2)
	v_rndne_f32_e32 v4, v3
	v_fma_f32 v5, 0x3fb8aa3b, v31, -v3
	v_sub_f32_e32 v3, v3, v4
	s_delay_alu instid0(VALU_DEP_2) | instskip(SKIP_1) | instid1(VALU_DEP_2)
	v_fmamk_f32 v5, v31, 0x32a5705f, v5
	v_cvt_i32_f32_e32 v4, v4
	v_add_f32_e32 v3, v3, v5
	s_delay_alu instid0(VALU_DEP_1) | instskip(SKIP_2) | instid1(VALU_DEP_1)
	v_exp_f32_e32 v3, v3
	s_waitcnt_depctr 0xfff
	v_ldexp_f32 v3, v3, v4
	v_cndmask_b32_e64 v3, 0, v3, s9
	v_cmp_nlt_f32_e64 s9, 0x42b17218, v31
	s_delay_alu instid0(VALU_DEP_1) | instskip(NEXT) | instid1(VALU_DEP_1)
	v_cndmask_b32_e64 v3, 0x7f800000, v3, s9
	v_fma_f32 v3, -v2, v3, v16
	global_store_b32 v[0:1], v3, off offset:2688
	s_or_b32 exec_lo, exec_lo, s10
	s_and_saveexec_b32 s9, s8
	s_cbranch_execz .LBB249_88
.LBB249_121:
	s_waitcnt vmcnt(0)
	v_mul_f32_e32 v3, 0x3fb8aa3b, v29
	v_cmp_ngt_f32_e64 s8, 0xc2ce8ed0, v29
	s_delay_alu instid0(VALU_DEP_2) | instskip(SKIP_1) | instid1(VALU_DEP_2)
	v_rndne_f32_e32 v4, v3
	v_fma_f32 v5, 0x3fb8aa3b, v29, -v3
	v_sub_f32_e32 v3, v3, v4
	s_delay_alu instid0(VALU_DEP_2) | instskip(SKIP_1) | instid1(VALU_DEP_2)
	v_fmamk_f32 v5, v29, 0x32a5705f, v5
	v_cvt_i32_f32_e32 v4, v4
	v_add_f32_e32 v3, v3, v5
	s_delay_alu instid0(VALU_DEP_1) | instskip(SKIP_2) | instid1(VALU_DEP_1)
	v_exp_f32_e32 v3, v3
	s_waitcnt_depctr 0xfff
	v_ldexp_f32 v3, v3, v4
	v_cndmask_b32_e64 v3, 0, v3, s8
	v_cmp_nlt_f32_e64 s8, 0x42b17218, v29
	s_delay_alu instid0(VALU_DEP_1) | instskip(NEXT) | instid1(VALU_DEP_1)
	v_cndmask_b32_e64 v3, 0x7f800000, v3, s8
	v_fma_f32 v3, -v2, v3, v26
	global_store_b32 v[0:1], v3, off offset:2816
	s_or_b32 exec_lo, exec_lo, s9
	s_and_saveexec_b32 s8, s7
	s_cbranch_execz .LBB249_89
.LBB249_122:
	s_waitcnt vmcnt(0)
	v_mul_f32_e32 v3, 0x3fb8aa3b, v27
	v_cmp_ngt_f32_e64 s7, 0xc2ce8ed0, v27
	s_delay_alu instid0(VALU_DEP_2) | instskip(SKIP_1) | instid1(VALU_DEP_2)
	v_rndne_f32_e32 v4, v3
	v_fma_f32 v5, 0x3fb8aa3b, v27, -v3
	v_sub_f32_e32 v3, v3, v4
	s_delay_alu instid0(VALU_DEP_2) | instskip(SKIP_1) | instid1(VALU_DEP_2)
	v_fmamk_f32 v5, v27, 0x32a5705f, v5
	v_cvt_i32_f32_e32 v4, v4
	v_add_f32_e32 v3, v3, v5
	s_delay_alu instid0(VALU_DEP_1) | instskip(SKIP_2) | instid1(VALU_DEP_1)
	v_exp_f32_e32 v3, v3
	s_waitcnt_depctr 0xfff
	v_ldexp_f32 v3, v3, v4
	v_cndmask_b32_e64 v3, 0, v3, s7
	v_cmp_nlt_f32_e64 s7, 0x42b17218, v27
	s_delay_alu instid0(VALU_DEP_1) | instskip(NEXT) | instid1(VALU_DEP_1)
	v_cndmask_b32_e64 v3, 0x7f800000, v3, s7
	v_fma_f32 v3, -v2, v3, v12
	global_store_b32 v[0:1], v3, off offset:2944
	s_or_b32 exec_lo, exec_lo, s8
	s_and_saveexec_b32 s7, s6
	s_cbranch_execz .LBB249_90
.LBB249_123:
	s_waitcnt vmcnt(0)
	v_mul_f32_e32 v3, 0x3fb8aa3b, v25
	v_cmp_ngt_f32_e64 s6, 0xc2ce8ed0, v25
	s_delay_alu instid0(VALU_DEP_2) | instskip(SKIP_1) | instid1(VALU_DEP_2)
	v_rndne_f32_e32 v4, v3
	v_fma_f32 v5, 0x3fb8aa3b, v25, -v3
	v_sub_f32_e32 v3, v3, v4
	s_delay_alu instid0(VALU_DEP_2) | instskip(SKIP_1) | instid1(VALU_DEP_2)
	v_fmamk_f32 v5, v25, 0x32a5705f, v5
	v_cvt_i32_f32_e32 v4, v4
	v_add_f32_e32 v3, v3, v5
	s_delay_alu instid0(VALU_DEP_1) | instskip(SKIP_2) | instid1(VALU_DEP_1)
	v_exp_f32_e32 v3, v3
	s_waitcnt_depctr 0xfff
	v_ldexp_f32 v3, v3, v4
	v_cndmask_b32_e64 v3, 0, v3, s6
	v_cmp_nlt_f32_e64 s6, 0x42b17218, v25
	s_delay_alu instid0(VALU_DEP_1) | instskip(NEXT) | instid1(VALU_DEP_1)
	v_cndmask_b32_e64 v3, 0x7f800000, v3, s6
	v_fma_f32 v3, -v2, v3, v22
	global_store_b32 v[0:1], v3, off offset:3072
	s_or_b32 exec_lo, exec_lo, s7
	s_and_saveexec_b32 s6, s5
	s_cbranch_execz .LBB249_91
.LBB249_124:
	s_waitcnt vmcnt(0)
	v_mul_f32_e32 v3, 0x3fb8aa3b, v23
	v_cmp_ngt_f32_e64 s5, 0xc2ce8ed0, v23
	s_delay_alu instid0(VALU_DEP_2) | instskip(SKIP_1) | instid1(VALU_DEP_2)
	v_rndne_f32_e32 v4, v3
	v_fma_f32 v5, 0x3fb8aa3b, v23, -v3
	v_sub_f32_e32 v3, v3, v4
	s_delay_alu instid0(VALU_DEP_2) | instskip(SKIP_1) | instid1(VALU_DEP_2)
	v_fmamk_f32 v5, v23, 0x32a5705f, v5
	v_cvt_i32_f32_e32 v4, v4
	v_add_f32_e32 v3, v3, v5
	s_delay_alu instid0(VALU_DEP_1) | instskip(SKIP_2) | instid1(VALU_DEP_1)
	v_exp_f32_e32 v3, v3
	s_waitcnt_depctr 0xfff
	v_ldexp_f32 v3, v3, v4
	v_cndmask_b32_e64 v3, 0, v3, s5
	v_cmp_nlt_f32_e64 s5, 0x42b17218, v23
	s_delay_alu instid0(VALU_DEP_1) | instskip(NEXT) | instid1(VALU_DEP_1)
	v_cndmask_b32_e64 v3, 0x7f800000, v3, s5
	v_fma_f32 v3, -v2, v3, v9
	global_store_b32 v[0:1], v3, off offset:3200
	s_or_b32 exec_lo, exec_lo, s6
	s_and_saveexec_b32 s5, s4
	s_cbranch_execz .LBB249_92
.LBB249_125:
	s_waitcnt vmcnt(0)
	v_mul_f32_e32 v3, 0x3fb8aa3b, v21
	v_cmp_ngt_f32_e64 s4, 0xc2ce8ed0, v21
	s_delay_alu instid0(VALU_DEP_2) | instskip(SKIP_1) | instid1(VALU_DEP_2)
	v_rndne_f32_e32 v4, v3
	v_fma_f32 v5, 0x3fb8aa3b, v21, -v3
	v_sub_f32_e32 v3, v3, v4
	s_delay_alu instid0(VALU_DEP_2) | instskip(SKIP_1) | instid1(VALU_DEP_2)
	v_fmamk_f32 v5, v21, 0x32a5705f, v5
	v_cvt_i32_f32_e32 v4, v4
	v_add_f32_e32 v3, v3, v5
	s_delay_alu instid0(VALU_DEP_1) | instskip(SKIP_2) | instid1(VALU_DEP_1)
	v_exp_f32_e32 v3, v3
	s_waitcnt_depctr 0xfff
	v_ldexp_f32 v3, v3, v4
	v_cndmask_b32_e64 v3, 0, v3, s4
	v_cmp_nlt_f32_e64 s4, 0x42b17218, v21
	s_delay_alu instid0(VALU_DEP_1) | instskip(NEXT) | instid1(VALU_DEP_1)
	v_cndmask_b32_e64 v3, 0x7f800000, v3, s4
	v_fma_f32 v3, -v2, v3, v18
	global_store_b32 v[0:1], v3, off offset:3328
	s_or_b32 exec_lo, exec_lo, s5
	s_and_saveexec_b32 s4, s3
	s_cbranch_execz .LBB249_93
.LBB249_126:
	s_waitcnt vmcnt(0)
	v_mul_f32_e32 v3, 0x3fb8aa3b, v19
	v_cmp_ngt_f32_e64 s3, 0xc2ce8ed0, v19
	s_delay_alu instid0(VALU_DEP_2) | instskip(SKIP_1) | instid1(VALU_DEP_2)
	v_rndne_f32_e32 v4, v3
	v_fma_f32 v5, 0x3fb8aa3b, v19, -v3
	v_sub_f32_e32 v3, v3, v4
	s_delay_alu instid0(VALU_DEP_2) | instskip(SKIP_1) | instid1(VALU_DEP_2)
	v_fmamk_f32 v5, v19, 0x32a5705f, v5
	v_cvt_i32_f32_e32 v4, v4
	v_add_f32_e32 v3, v3, v5
	s_delay_alu instid0(VALU_DEP_1) | instskip(SKIP_2) | instid1(VALU_DEP_1)
	v_exp_f32_e32 v3, v3
	s_waitcnt_depctr 0xfff
	v_ldexp_f32 v3, v3, v4
	v_cndmask_b32_e64 v3, 0, v3, s3
	v_cmp_nlt_f32_e64 s3, 0x42b17218, v19
	s_delay_alu instid0(VALU_DEP_1) | instskip(NEXT) | instid1(VALU_DEP_1)
	v_cndmask_b32_e64 v3, 0x7f800000, v3, s3
	v_fma_f32 v3, -v2, v3, v8
	global_store_b32 v[0:1], v3, off offset:3456
	s_or_b32 exec_lo, exec_lo, s4
	s_and_saveexec_b32 s3, s2
	s_cbranch_execz .LBB249_94
.LBB249_127:
	s_waitcnt vmcnt(0)
	v_mul_f32_e32 v3, 0x3fb8aa3b, v17
	v_cmp_ngt_f32_e64 s2, 0xc2ce8ed0, v17
	s_delay_alu instid0(VALU_DEP_2) | instskip(SKIP_1) | instid1(VALU_DEP_2)
	v_rndne_f32_e32 v4, v3
	v_fma_f32 v5, 0x3fb8aa3b, v17, -v3
	v_sub_f32_e32 v3, v3, v4
	s_delay_alu instid0(VALU_DEP_2) | instskip(SKIP_1) | instid1(VALU_DEP_2)
	v_fmamk_f32 v5, v17, 0x32a5705f, v5
	v_cvt_i32_f32_e32 v4, v4
	v_add_f32_e32 v3, v3, v5
	s_delay_alu instid0(VALU_DEP_1) | instskip(SKIP_2) | instid1(VALU_DEP_1)
	v_exp_f32_e32 v3, v3
	s_waitcnt_depctr 0xfff
	v_ldexp_f32 v3, v3, v4
	v_cndmask_b32_e64 v3, 0, v3, s2
	v_cmp_nlt_f32_e64 s2, 0x42b17218, v17
	s_delay_alu instid0(VALU_DEP_1) | instskip(NEXT) | instid1(VALU_DEP_1)
	v_cndmask_b32_e64 v3, 0x7f800000, v3, s2
	v_fma_f32 v3, -v2, v3, v14
	global_store_b32 v[0:1], v3, off offset:3584
	s_or_b32 exec_lo, exec_lo, s3
	s_and_saveexec_b32 s2, s1
	s_cbranch_execz .LBB249_95
.LBB249_128:
	s_waitcnt vmcnt(0)
	v_mul_f32_e32 v3, 0x3fb8aa3b, v15
	v_cmp_ngt_f32_e64 s1, 0xc2ce8ed0, v15
	s_delay_alu instid0(VALU_DEP_2) | instskip(SKIP_1) | instid1(VALU_DEP_2)
	v_rndne_f32_e32 v4, v3
	v_fma_f32 v5, 0x3fb8aa3b, v15, -v3
	v_sub_f32_e32 v3, v3, v4
	s_delay_alu instid0(VALU_DEP_2) | instskip(SKIP_1) | instid1(VALU_DEP_2)
	v_fmamk_f32 v5, v15, 0x32a5705f, v5
	v_cvt_i32_f32_e32 v4, v4
	v_add_f32_e32 v3, v3, v5
	s_delay_alu instid0(VALU_DEP_1) | instskip(SKIP_2) | instid1(VALU_DEP_1)
	v_exp_f32_e32 v3, v3
	s_waitcnt_depctr 0xfff
	v_ldexp_f32 v3, v3, v4
	v_cndmask_b32_e64 v3, 0, v3, s1
	v_cmp_nlt_f32_e64 s1, 0x42b17218, v15
	s_delay_alu instid0(VALU_DEP_1) | instskip(NEXT) | instid1(VALU_DEP_1)
	v_cndmask_b32_e64 v3, 0x7f800000, v3, s1
	v_fma_f32 v3, -v2, v3, v7
	global_store_b32 v[0:1], v3, off offset:3712
	s_or_b32 exec_lo, exec_lo, s2
	s_and_saveexec_b32 s1, s0
	s_cbranch_execz .LBB249_96
.LBB249_129:
	s_waitcnt vmcnt(0)
	v_mul_f32_e32 v3, 0x3fb8aa3b, v13
	v_cmp_ngt_f32_e64 s0, 0xc2ce8ed0, v13
	s_delay_alu instid0(VALU_DEP_2) | instskip(SKIP_1) | instid1(VALU_DEP_2)
	v_rndne_f32_e32 v4, v3
	v_fma_f32 v5, 0x3fb8aa3b, v13, -v3
	v_sub_f32_e32 v3, v3, v4
	s_delay_alu instid0(VALU_DEP_2) | instskip(SKIP_1) | instid1(VALU_DEP_2)
	v_fmamk_f32 v5, v13, 0x32a5705f, v5
	v_cvt_i32_f32_e32 v4, v4
	v_add_f32_e32 v3, v3, v5
	s_delay_alu instid0(VALU_DEP_1) | instskip(SKIP_2) | instid1(VALU_DEP_1)
	v_exp_f32_e32 v3, v3
	s_waitcnt_depctr 0xfff
	v_ldexp_f32 v3, v3, v4
	v_cndmask_b32_e64 v3, 0, v3, s0
	v_cmp_nlt_f32_e64 s0, 0x42b17218, v13
	s_delay_alu instid0(VALU_DEP_1) | instskip(NEXT) | instid1(VALU_DEP_1)
	v_cndmask_b32_e64 v3, 0x7f800000, v3, s0
	v_fma_f32 v3, -v2, v3, v10
	global_store_b32 v[0:1], v3, off offset:3840
	s_or_b32 exec_lo, exec_lo, s1
	s_delay_alu instid0(SALU_CYCLE_1)
	s_and_b32 exec_lo, exec_lo, vcc_lo
	s_cbranch_execnz .LBB249_97
	s_branch .LBB249_98
	.section	.rodata,"a",@progbits
	.p2align	6, 0x0
	.amdhsa_kernel _ZN12_GLOBAL__N_121softmax_warp_backwardIfffLi10ELb1ELb0ELi32EEEvPT0_PKT_S5_iiiPKb
		.amdhsa_group_segment_fixed_size 0
		.amdhsa_private_segment_fixed_size 0
		.amdhsa_kernarg_size 304
		.amdhsa_user_sgpr_count 15
		.amdhsa_user_sgpr_dispatch_ptr 0
		.amdhsa_user_sgpr_queue_ptr 0
		.amdhsa_user_sgpr_kernarg_segment_ptr 1
		.amdhsa_user_sgpr_dispatch_id 0
		.amdhsa_user_sgpr_private_segment_size 0
		.amdhsa_wavefront_size32 1
		.amdhsa_uses_dynamic_stack 0
		.amdhsa_enable_private_segment 0
		.amdhsa_system_sgpr_workgroup_id_x 1
		.amdhsa_system_sgpr_workgroup_id_y 0
		.amdhsa_system_sgpr_workgroup_id_z 0
		.amdhsa_system_sgpr_workgroup_info 0
		.amdhsa_system_vgpr_workitem_id 1
		.amdhsa_next_free_vgpr 71
		.amdhsa_next_free_sgpr 44
		.amdhsa_reserve_vcc 1
		.amdhsa_float_round_mode_32 0
		.amdhsa_float_round_mode_16_64 0
		.amdhsa_float_denorm_mode_32 3
		.amdhsa_float_denorm_mode_16_64 3
		.amdhsa_dx10_clamp 1
		.amdhsa_ieee_mode 1
		.amdhsa_fp16_overflow 0
		.amdhsa_workgroup_processor_mode 1
		.amdhsa_memory_ordered 1
		.amdhsa_forward_progress 0
		.amdhsa_shared_vgpr_count 0
		.amdhsa_exception_fp_ieee_invalid_op 0
		.amdhsa_exception_fp_denorm_src 0
		.amdhsa_exception_fp_ieee_div_zero 0
		.amdhsa_exception_fp_ieee_overflow 0
		.amdhsa_exception_fp_ieee_underflow 0
		.amdhsa_exception_fp_ieee_inexact 0
		.amdhsa_exception_int_div_zero 0
	.end_amdhsa_kernel
	.section	.text._ZN12_GLOBAL__N_121softmax_warp_backwardIfffLi10ELb1ELb0ELi32EEEvPT0_PKT_S5_iiiPKb,"axG",@progbits,_ZN12_GLOBAL__N_121softmax_warp_backwardIfffLi10ELb1ELb0ELi32EEEvPT0_PKT_S5_iiiPKb,comdat
.Lfunc_end249:
	.size	_ZN12_GLOBAL__N_121softmax_warp_backwardIfffLi10ELb1ELb0ELi32EEEvPT0_PKT_S5_iiiPKb, .Lfunc_end249-_ZN12_GLOBAL__N_121softmax_warp_backwardIfffLi10ELb1ELb0ELi32EEEvPT0_PKT_S5_iiiPKb
                                        ; -- End function
	.section	.AMDGPU.csdata,"",@progbits
; Kernel info:
; codeLenInByte = 7872
; NumSgprs: 46
; NumVgprs: 71
; ScratchSize: 0
; MemoryBound: 0
; FloatMode: 240
; IeeeMode: 1
; LDSByteSize: 0 bytes/workgroup (compile time only)
; SGPRBlocks: 5
; VGPRBlocks: 8
; NumSGPRsForWavesPerEU: 46
; NumVGPRsForWavesPerEU: 71
; Occupancy: 16
; WaveLimiterHint : 0
; COMPUTE_PGM_RSRC2:SCRATCH_EN: 0
; COMPUTE_PGM_RSRC2:USER_SGPR: 15
; COMPUTE_PGM_RSRC2:TRAP_HANDLER: 0
; COMPUTE_PGM_RSRC2:TGID_X_EN: 1
; COMPUTE_PGM_RSRC2:TGID_Y_EN: 0
; COMPUTE_PGM_RSRC2:TGID_Z_EN: 0
; COMPUTE_PGM_RSRC2:TIDIG_COMP_CNT: 1
	.section	.text._ZN2at6native12_GLOBAL__N_124cunn_SoftMaxBackwardSmemILi4EfffNS1_26LogSoftMaxBackwardEpilogueEEEvPT0_PKT2_S8_l,"axG",@progbits,_ZN2at6native12_GLOBAL__N_124cunn_SoftMaxBackwardSmemILi4EfffNS1_26LogSoftMaxBackwardEpilogueEEEvPT0_PKT2_S8_l,comdat
	.globl	_ZN2at6native12_GLOBAL__N_124cunn_SoftMaxBackwardSmemILi4EfffNS1_26LogSoftMaxBackwardEpilogueEEEvPT0_PKT2_S8_l ; -- Begin function _ZN2at6native12_GLOBAL__N_124cunn_SoftMaxBackwardSmemILi4EfffNS1_26LogSoftMaxBackwardEpilogueEEEvPT0_PKT2_S8_l
	.p2align	8
	.type	_ZN2at6native12_GLOBAL__N_124cunn_SoftMaxBackwardSmemILi4EfffNS1_26LogSoftMaxBackwardEpilogueEEEvPT0_PKT2_S8_l,@function
_ZN2at6native12_GLOBAL__N_124cunn_SoftMaxBackwardSmemILi4EfffNS1_26LogSoftMaxBackwardEpilogueEEEvPT0_PKT2_S8_l: ; @_ZN2at6native12_GLOBAL__N_124cunn_SoftMaxBackwardSmemILi4EfffNS1_26LogSoftMaxBackwardEpilogueEEEvPT0_PKT2_S8_l
; %bb.0:
	s_load_b256 s[4:11], s[0:1], 0x0
	v_dual_mov_b32 v2, 0 :: v_dual_lshlrev_b32 v1, 2, v0
	v_lshl_add_u32 v5, v0, 4, 0
	s_waitcnt lgkmcnt(0)
	s_delay_alu instid0(VALU_DEP_2)
	v_cmp_gt_i64_e32 vcc_lo, s[10:11], v[1:2]
	s_mul_i32 s2, s15, s11
	s_mul_hi_u32 s3, s15, s10
	s_mul_i32 s12, s15, s10
	s_add_i32 s13, s3, s2
	s_and_saveexec_b32 s3, vcc_lo
	s_cbranch_execz .LBB250_4
; %bb.1:
	s_load_b32 s2, s[0:1], 0x2c
	s_lshl_b64 s[14:15], s[12:13], 2
	v_lshl_add_u32 v6, v0, 4, 0
	s_add_u32 s8, s8, s14
	s_addc_u32 s9, s9, s15
	v_dual_mov_b32 v2, 0 :: v_dual_mov_b32 v3, v0
	s_mov_b32 s15, 0
	s_waitcnt lgkmcnt(0)
	s_and_b32 s14, s2, 0xffff
	s_delay_alu instid0(SALU_CYCLE_1)
	v_add_lshl_u32 v1, v0, s14, 2
	s_lshl_b32 s16, s14, 2
	s_lshl_b32 s17, s14, 4
	.p2align	6
.LBB250_2:                              ; =>This Inner Loop Header: Depth=1
	v_ashrrev_i32_e32 v4, 31, v3
	s_delay_alu instid0(VALU_DEP_1) | instskip(SKIP_1) | instid1(VALU_DEP_2)
	v_lshlrev_b64 v[7:8], 4, v[3:4]
	v_add_nc_u32_e32 v3, s14, v3
	v_add_co_u32 v7, s2, s8, v7
	s_delay_alu instid0(VALU_DEP_1)
	v_add_co_ci_u32_e64 v8, s2, s9, v8, s2
	global_load_b128 v[7:10], v[7:8], off
	s_waitcnt vmcnt(0)
	v_add_f32_e32 v2, v2, v7
	ds_store_b128 v6, v[7:10]
	v_add_nc_u32_e32 v6, s17, v6
	v_add_f32_e32 v4, v2, v8
	v_ashrrev_i32_e32 v2, 31, v1
	s_delay_alu instid0(VALU_DEP_2) | instskip(NEXT) | instid1(VALU_DEP_2)
	v_add_f32_e32 v4, v4, v9
	v_cmp_le_i64_e64 s2, s[10:11], v[1:2]
	s_delay_alu instid0(VALU_DEP_2) | instskip(NEXT) | instid1(VALU_DEP_2)
	v_dual_add_f32 v2, v4, v10 :: v_dual_add_nc_u32 v1, s16, v1
	s_or_b32 s15, s2, s15
	s_delay_alu instid0(SALU_CYCLE_1)
	s_and_not1_b32 exec_lo, exec_lo, s15
	s_cbranch_execnz .LBB250_2
; %bb.3:
	s_or_b32 exec_lo, exec_lo, s15
.LBB250_4:
	s_delay_alu instid0(SALU_CYCLE_1)
	s_or_b32 exec_lo, exec_lo, s3
	v_mbcnt_lo_u32_b32 v6, -1, 0
	s_lshl_b32 s3, s10, 2
	s_mov_b32 s8, exec_lo
	s_add_i32 s3, s3, 0
	s_waitcnt lgkmcnt(0)
	v_cmp_gt_u32_e64 s2, 16, v6
	s_barrier
	buffer_gl0_inv
	v_cndmask_b32_e64 v1, 0, 1, s2
	v_cmp_gt_u32_e64 s2, 24, v6
	s_delay_alu instid0(VALU_DEP_2) | instskip(NEXT) | instid1(VALU_DEP_2)
	v_lshlrev_b32_e32 v1, 4, v1
	v_cndmask_b32_e64 v3, 0, 1, s2
	v_cmp_gt_u32_e64 s2, 28, v6
	s_delay_alu instid0(VALU_DEP_3) | instskip(NEXT) | instid1(VALU_DEP_3)
	v_add_lshl_u32 v1, v1, v6, 2
	v_lshlrev_b32_e32 v3, 3, v3
	ds_bpermute_b32 v4, v1, v2
	v_add_lshl_u32 v3, v3, v6, 2
	s_waitcnt lgkmcnt(0)
	v_add_f32_e32 v4, v2, v4
	v_cndmask_b32_e64 v2, 0, 1, s2
	v_cmp_gt_u32_e64 s2, 30, v6
	ds_bpermute_b32 v7, v3, v4
	s_waitcnt lgkmcnt(0)
	v_dual_add_f32 v7, v4, v7 :: v_dual_lshlrev_b32 v2, 2, v2
	s_delay_alu instid0(VALU_DEP_1) | instskip(SKIP_4) | instid1(VALU_DEP_1)
	v_add_lshl_u32 v2, v2, v6, 2
	v_cndmask_b32_e64 v4, 0, 1, s2
	v_cmp_ne_u32_e64 s2, 31, v6
	ds_bpermute_b32 v8, v2, v7
	v_lshlrev_b32_e32 v4, 1, v4
	v_add_lshl_u32 v4, v4, v6, 2
	v_add_co_ci_u32_e64 v6, s2, 0, v6, s2
	s_waitcnt lgkmcnt(0)
	s_delay_alu instid0(VALU_DEP_1)
	v_dual_add_f32 v7, v7, v8 :: v_dual_lshlrev_b32 v6, 2, v6
	ds_bpermute_b32 v8, v4, v7
	s_waitcnt lgkmcnt(0)
	v_add_f32_e32 v8, v7, v8
	v_and_b32_e32 v7, 31, v0
	ds_bpermute_b32 v9, v6, v8
	v_cmpx_eq_u32_e32 0, v7
	s_cbranch_execz .LBB250_6
; %bb.5:
	v_lshrrev_b32_e32 v10, 3, v0
	s_waitcnt lgkmcnt(0)
	v_add_f32_e32 v8, v8, v9
	s_delay_alu instid0(VALU_DEP_2)
	v_add_nc_u32_e32 v10, s3, v10
	ds_store_b32 v10, v8
.LBB250_6:
	s_or_b32 exec_lo, exec_lo, s8
	s_waitcnt lgkmcnt(0)
	s_barrier
	buffer_gl0_inv
	s_load_b32 s1, s[0:1], 0x2c
	v_mov_b32_e32 v8, 0
	s_mov_b32 s2, exec_lo
	s_waitcnt lgkmcnt(0)
	s_bfe_u32 s0, s1, 0xb0005
	s_delay_alu instid0(SALU_CYCLE_1)
	v_cmpx_gt_u32_e64 s0, v0
	s_cbranch_execz .LBB250_8
; %bb.7:
	v_lshl_add_u32 v7, v7, 2, s3
	ds_load_b32 v8, v7
.LBB250_8:
	s_or_b32 exec_lo, exec_lo, s2
	s_delay_alu instid0(SALU_CYCLE_1)
	s_mov_b32 s2, exec_lo
	v_cmpx_gt_u32_e32 32, v0
	s_cbranch_execz .LBB250_10
; %bb.9:
	s_waitcnt lgkmcnt(0)
	ds_bpermute_b32 v1, v1, v8
	s_waitcnt lgkmcnt(0)
	v_add_f32_e32 v1, v8, v1
	ds_bpermute_b32 v3, v3, v1
	s_waitcnt lgkmcnt(0)
	v_add_f32_e32 v1, v1, v3
	;; [unrolled: 3-line block ×5, first 2 shown]
.LBB250_10:
	s_or_b32 exec_lo, exec_lo, s2
	s_delay_alu instid0(SALU_CYCLE_1)
	s_mov_b32 s2, exec_lo
	v_cmpx_eq_u32_e32 0, v0
	s_cbranch_execz .LBB250_12
; %bb.11:
	v_mov_b32_e32 v1, s3
	s_waitcnt lgkmcnt(0)
	ds_store_b32 v1, v8
.LBB250_12:
	s_or_b32 exec_lo, exec_lo, s2
	s_waitcnt lgkmcnt(0)
	s_barrier
	buffer_gl0_inv
	s_and_saveexec_b32 s0, vcc_lo
	s_cbranch_execz .LBB250_15
; %bb.13:
	v_mov_b32_e32 v1, s3
	s_lshl_b64 s[2:3], s[12:13], 2
	s_and_b32 s8, s1, 0xffff
	s_add_u32 s9, s4, s2
	v_add_lshl_u32 v2, v0, s8, 2
	ds_load_b32 v4, v1
	s_addc_u32 s5, s5, s3
	s_add_u32 s6, s6, s2
	s_addc_u32 s7, s7, s3
	s_lshl_b32 s12, s8, 2
	s_mov_b32 s13, 0
	s_lshl_b32 s14, s8, 4
.LBB250_14:                             ; =>This Inner Loop Header: Depth=1
	v_ashrrev_i32_e32 v1, 31, v0
	ds_load_b128 v[10:13], v5
	v_ashrrev_i32_e32 v3, 31, v2
	v_lshlrev_b64 v[14:15], 4, v[0:1]
	s_delay_alu instid0(VALU_DEP_1) | instskip(NEXT) | instid1(VALU_DEP_2)
	v_add_co_u32 v6, vcc_lo, s6, v14
	v_add_co_ci_u32_e32 v7, vcc_lo, s7, v15, vcc_lo
	s_delay_alu instid0(VALU_DEP_4)
	v_cmp_le_i64_e32 vcc_lo, s[10:11], v[2:3]
	v_add_co_u32 v14, s0, s9, v14
	global_load_b128 v[6:9], v[6:7], off
	v_add_nc_u32_e32 v5, s14, v5
	v_add_nc_u32_e32 v0, s8, v0
	v_add_co_ci_u32_e64 v15, s0, s5, v15, s0
	s_or_b32 s13, vcc_lo, s13
	v_add_nc_u32_e32 v2, s12, v2
	s_waitcnt vmcnt(0)
	v_dual_mul_f32 v1, 0x3fb8aa3b, v6 :: v_dual_mul_f32 v16, 0x3fb8aa3b, v8
	v_cmp_ngt_f32_e64 s1, 0xc2ce8ed0, v7
	v_cmp_ngt_f32_e64 s2, 0xc2ce8ed0, v8
	;; [unrolled: 1-line block ×3, first 2 shown]
	s_delay_alu instid0(VALU_DEP_4)
	v_fma_f32 v18, 0x3fb8aa3b, v6, -v1
	v_rndne_f32_e32 v23, v16
	v_mul_f32_e32 v17, 0x3fb8aa3b, v9
	v_fma_f32 v22, 0x3fb8aa3b, v8, -v16
	v_rndne_f32_e32 v19, v1
	v_fmac_f32_e32 v18, 0x32a5705f, v6
	v_sub_f32_e32 v16, v16, v23
	v_rndne_f32_e32 v25, v17
	v_fma_f32 v24, 0x3fb8aa3b, v9, -v17
	v_dual_sub_f32 v1, v1, v19 :: v_dual_fmac_f32 v22, 0x32a5705f, v8
	v_cvt_i32_f32_e32 v19, v19
	s_delay_alu instid0(VALU_DEP_4) | instskip(SKIP_1) | instid1(VALU_DEP_4)
	v_sub_f32_e32 v17, v17, v25
	v_mul_f32_e32 v3, 0x3fb8aa3b, v7
	v_dual_fmac_f32 v24, 0x32a5705f, v9 :: v_dual_add_f32 v1, v1, v18
	v_add_f32_e32 v16, v16, v22
	v_cvt_i32_f32_e32 v23, v23
	s_delay_alu instid0(VALU_DEP_4) | instskip(SKIP_4) | instid1(VALU_DEP_2)
	v_fma_f32 v20, 0x3fb8aa3b, v7, -v3
	v_rndne_f32_e32 v21, v3
	v_add_f32_e32 v17, v17, v24
	v_exp_f32_e32 v1, v1
	v_exp_f32_e32 v16, v16
	v_dual_fmac_f32 v20, 0x32a5705f, v7 :: v_dual_sub_f32 v3, v3, v21
	s_delay_alu instid0(VALU_DEP_2) | instskip(SKIP_4) | instid1(TRANS32_DEP_3)
	v_exp_f32_e32 v17, v17
	v_cvt_i32_f32_e32 v21, v21
	v_cvt_i32_f32_e32 v25, v25
	v_cmp_ngt_f32_e64 s4, 0xc2ce8ed0, v6
	v_add_f32_e32 v3, v3, v20
	v_ldexp_f32 v1, v1, v19
	s_delay_alu instid0(TRANS32_DEP_2) | instskip(NEXT) | instid1(VALU_DEP_3)
	v_ldexp_f32 v16, v16, v23
	v_exp_f32_e32 v3, v3
	s_delay_alu instid0(TRANS32_DEP_2) | instskip(NEXT) | instid1(VALU_DEP_3)
	v_ldexp_f32 v17, v17, v25
	v_cndmask_b32_e64 v1, 0, v1, s4
	v_cmp_nlt_f32_e64 s4, 0x42b17218, v6
	s_delay_alu instid0(VALU_DEP_1) | instskip(SKIP_4) | instid1(VALU_DEP_2)
	v_cndmask_b32_e64 v1, 0x7f800000, v1, s4
	s_waitcnt_depctr 0xfff
	v_ldexp_f32 v3, v3, v21
	s_waitcnt lgkmcnt(0)
	v_fma_f32 v6, -v4, v1, v10
	v_cndmask_b32_e64 v3, 0, v3, s1
	v_cmp_nlt_f32_e64 s1, 0x42b17218, v7
	v_cndmask_b32_e64 v7, 0, v16, s2
	v_cmp_nlt_f32_e64 s2, 0x42b17218, v8
	;; [unrolled: 2-line block ×3, first 2 shown]
	v_cndmask_b32_e64 v3, 0x7f800000, v3, s1
	s_delay_alu instid0(VALU_DEP_4) | instskip(NEXT) | instid1(VALU_DEP_3)
	v_cndmask_b32_e64 v9, 0x7f800000, v7, s2
	v_cndmask_b32_e64 v16, 0x7f800000, v8, s3
	s_delay_alu instid0(VALU_DEP_3) | instskip(NEXT) | instid1(VALU_DEP_3)
	v_fma_f32 v7, -v4, v3, v11
	v_fma_f32 v8, -v4, v9, v12
	s_delay_alu instid0(VALU_DEP_3)
	v_fma_f32 v9, -v4, v16, v13
	global_store_b128 v[14:15], v[6:9], off
	s_and_not1_b32 exec_lo, exec_lo, s13
	s_cbranch_execnz .LBB250_14
.LBB250_15:
	s_nop 0
	s_sendmsg sendmsg(MSG_DEALLOC_VGPRS)
	s_endpgm
	.section	.rodata,"a",@progbits
	.p2align	6, 0x0
	.amdhsa_kernel _ZN2at6native12_GLOBAL__N_124cunn_SoftMaxBackwardSmemILi4EfffNS1_26LogSoftMaxBackwardEpilogueEEEvPT0_PKT2_S8_l
		.amdhsa_group_segment_fixed_size 0
		.amdhsa_private_segment_fixed_size 0
		.amdhsa_kernarg_size 288
		.amdhsa_user_sgpr_count 15
		.amdhsa_user_sgpr_dispatch_ptr 0
		.amdhsa_user_sgpr_queue_ptr 0
		.amdhsa_user_sgpr_kernarg_segment_ptr 1
		.amdhsa_user_sgpr_dispatch_id 0
		.amdhsa_user_sgpr_private_segment_size 0
		.amdhsa_wavefront_size32 1
		.amdhsa_uses_dynamic_stack 0
		.amdhsa_enable_private_segment 0
		.amdhsa_system_sgpr_workgroup_id_x 1
		.amdhsa_system_sgpr_workgroup_id_y 0
		.amdhsa_system_sgpr_workgroup_id_z 0
		.amdhsa_system_sgpr_workgroup_info 0
		.amdhsa_system_vgpr_workitem_id 0
		.amdhsa_next_free_vgpr 26
		.amdhsa_next_free_sgpr 18
		.amdhsa_reserve_vcc 1
		.amdhsa_float_round_mode_32 0
		.amdhsa_float_round_mode_16_64 0
		.amdhsa_float_denorm_mode_32 3
		.amdhsa_float_denorm_mode_16_64 3
		.amdhsa_dx10_clamp 1
		.amdhsa_ieee_mode 1
		.amdhsa_fp16_overflow 0
		.amdhsa_workgroup_processor_mode 1
		.amdhsa_memory_ordered 1
		.amdhsa_forward_progress 0
		.amdhsa_shared_vgpr_count 0
		.amdhsa_exception_fp_ieee_invalid_op 0
		.amdhsa_exception_fp_denorm_src 0
		.amdhsa_exception_fp_ieee_div_zero 0
		.amdhsa_exception_fp_ieee_overflow 0
		.amdhsa_exception_fp_ieee_underflow 0
		.amdhsa_exception_fp_ieee_inexact 0
		.amdhsa_exception_int_div_zero 0
	.end_amdhsa_kernel
	.section	.text._ZN2at6native12_GLOBAL__N_124cunn_SoftMaxBackwardSmemILi4EfffNS1_26LogSoftMaxBackwardEpilogueEEEvPT0_PKT2_S8_l,"axG",@progbits,_ZN2at6native12_GLOBAL__N_124cunn_SoftMaxBackwardSmemILi4EfffNS1_26LogSoftMaxBackwardEpilogueEEEvPT0_PKT2_S8_l,comdat
.Lfunc_end250:
	.size	_ZN2at6native12_GLOBAL__N_124cunn_SoftMaxBackwardSmemILi4EfffNS1_26LogSoftMaxBackwardEpilogueEEEvPT0_PKT2_S8_l, .Lfunc_end250-_ZN2at6native12_GLOBAL__N_124cunn_SoftMaxBackwardSmemILi4EfffNS1_26LogSoftMaxBackwardEpilogueEEEvPT0_PKT2_S8_l
                                        ; -- End function
	.section	.AMDGPU.csdata,"",@progbits
; Kernel info:
; codeLenInByte = 1464
; NumSgprs: 20
; NumVgprs: 26
; ScratchSize: 0
; MemoryBound: 0
; FloatMode: 240
; IeeeMode: 1
; LDSByteSize: 0 bytes/workgroup (compile time only)
; SGPRBlocks: 2
; VGPRBlocks: 3
; NumSGPRsForWavesPerEU: 20
; NumVGPRsForWavesPerEU: 26
; Occupancy: 16
; WaveLimiterHint : 0
; COMPUTE_PGM_RSRC2:SCRATCH_EN: 0
; COMPUTE_PGM_RSRC2:USER_SGPR: 15
; COMPUTE_PGM_RSRC2:TRAP_HANDLER: 0
; COMPUTE_PGM_RSRC2:TGID_X_EN: 1
; COMPUTE_PGM_RSRC2:TGID_Y_EN: 0
; COMPUTE_PGM_RSRC2:TGID_Z_EN: 0
; COMPUTE_PGM_RSRC2:TIDIG_COMP_CNT: 0
	.section	.text._ZN2at6native12_GLOBAL__N_120cunn_SoftMaxBackwardILi4EfffNS1_26LogSoftMaxBackwardEpilogueEEEvPT0_PKT2_S8_l,"axG",@progbits,_ZN2at6native12_GLOBAL__N_120cunn_SoftMaxBackwardILi4EfffNS1_26LogSoftMaxBackwardEpilogueEEEvPT0_PKT2_S8_l,comdat
	.globl	_ZN2at6native12_GLOBAL__N_120cunn_SoftMaxBackwardILi4EfffNS1_26LogSoftMaxBackwardEpilogueEEEvPT0_PKT2_S8_l ; -- Begin function _ZN2at6native12_GLOBAL__N_120cunn_SoftMaxBackwardILi4EfffNS1_26LogSoftMaxBackwardEpilogueEEEvPT0_PKT2_S8_l
	.p2align	8
	.type	_ZN2at6native12_GLOBAL__N_120cunn_SoftMaxBackwardILi4EfffNS1_26LogSoftMaxBackwardEpilogueEEEvPT0_PKT2_S8_l,@function
_ZN2at6native12_GLOBAL__N_120cunn_SoftMaxBackwardILi4EfffNS1_26LogSoftMaxBackwardEpilogueEEEvPT0_PKT2_S8_l: ; @_ZN2at6native12_GLOBAL__N_120cunn_SoftMaxBackwardILi4EfffNS1_26LogSoftMaxBackwardEpilogueEEEvPT0_PKT2_S8_l
; %bb.0:
	s_load_b256 s[4:11], s[0:1], 0x0
	s_mov_b32 s29, 0
	s_waitcnt lgkmcnt(0)
	s_mul_i32 s3, s15, s11
	s_mul_hi_u32 s12, s15, s10
	s_mul_i32 s2, s15, s10
	s_add_i32 s3, s12, s3
	v_cmp_lt_i64_e64 s14, 0x7ffffffe, s[10:11]
	s_lshl_b64 s[26:27], s[2:3], 2
	s_delay_alu instid0(SALU_CYCLE_1) | instskip(SKIP_2) | instid1(SALU_CYCLE_1)
	s_add_u32 s12, s8, s26
	s_addc_u32 s13, s9, s27
	s_bfe_u32 s28, s12, 0x20002
	s_cmp_lg_u32 s28, 0
	s_cselect_b32 s22, -1, 0
	s_and_b32 vcc_lo, exec_lo, s14
	s_cbranch_vccz .LBB251_16
; %bb.1:
	v_mov_b32_e32 v1, 0
	s_and_b32 vcc_lo, exec_lo, s22
	s_cbranch_vccz .LBB251_39
; %bb.2:
	s_lshl_b32 s2, s28, 2
	s_delay_alu instid0(VALU_DEP_1)
	v_mov_b32_e32 v8, v1
	s_sub_u32 s18, s12, s2
	s_mov_b32 s20, 0
	s_subb_u32 s19, s13, 0
	s_mov_b32 s2, exec_lo
	v_cmpx_le_u64_e64 s[28:29], v[0:1]
	s_cbranch_execz .LBB251_4
; %bb.3:
	v_lshlrev_b32_e32 v2, 2, v0
	global_load_b32 v2, v2, s[18:19]
	s_waitcnt vmcnt(0)
	v_add_f32_e32 v8, 0, v2
.LBB251_4:
	s_or_b32 exec_lo, exec_lo, s2
	s_load_b32 s16, s[0:1], 0x2c
	s_add_u32 s17, s28, s10
	s_addc_u32 s21, 0, s11
	s_add_u32 s2, s0, 32
	s_addc_u32 s3, s1, 0
	s_waitcnt lgkmcnt(0)
	s_and_b32 s23, s16, 0xffff
	s_delay_alu instid0(SALU_CYCLE_1) | instskip(SKIP_2) | instid1(SALU_CYCLE_1)
	s_sub_u32 s16, s17, s23
	s_subb_u32 s17, s21, 0
	s_lshl_b32 s21, s23, 2
	s_add_u32 s18, s18, s21
	s_addc_u32 s19, s19, 0
	s_and_b32 vcc_lo, exec_lo, s20
	s_cbranch_vccz .LBB251_6
.LBB251_5:
	v_mov_b32_e32 v8, 0
	s_add_u32 s2, s0, 32
	s_addc_u32 s3, s1, 0
	s_mov_b64 s[16:17], s[10:11]
	s_mov_b64 s[18:19], s[12:13]
.LBB251_6:
	s_load_b32 s20, s[2:3], 0x0
	v_mov_b32_e32 v2, 0
	s_mov_b32 s21, s17
	s_waitcnt lgkmcnt(0)
	s_cmp_lt_u32 s15, s20
	s_cselect_b32 s20, 12, 18
	s_delay_alu instid0(SALU_CYCLE_1)
	s_add_u32 s2, s2, s20
	s_addc_u32 s3, s3, 0
	s_mov_b32 s20, 0
	global_load_u16 v2, v2, s[2:3]
	s_waitcnt vmcnt(0)
	v_readfirstlane_b32 s2, v2
	v_and_b32_e32 v9, 0xffff, v2
	s_delay_alu instid0(VALU_DEP_2) | instskip(NEXT) | instid1(SALU_CYCLE_1)
	s_and_b32 s2, 0xffff, s2
	s_lshl_b32 s3, s2, 2
	s_cmp_lg_u64 s[20:21], 0
	s_cbranch_scc0 .LBB251_40
; %bb.7:
	v_cvt_f32_u32_e32 v2, s3
	s_sub_u32 s23, 0, s3
	s_subb_u32 s24, 0, 0
	s_delay_alu instid0(VALU_DEP_1) | instskip(NEXT) | instid1(VALU_DEP_1)
	v_fmamk_f32 v2, 0, 0x4f800000, v2
	v_rcp_f32_e32 v2, v2
	s_waitcnt_depctr 0xfff
	v_mul_f32_e32 v2, 0x5f7ffffc, v2
	s_delay_alu instid0(VALU_DEP_1) | instskip(NEXT) | instid1(VALU_DEP_1)
	v_mul_f32_e32 v3, 0x2f800000, v2
	v_trunc_f32_e32 v3, v3
	s_delay_alu instid0(VALU_DEP_1) | instskip(SKIP_1) | instid1(VALU_DEP_2)
	v_fmamk_f32 v2, v3, 0xcf800000, v2
	v_cvt_u32_f32_e32 v3, v3
	v_cvt_u32_f32_e32 v2, v2
	s_delay_alu instid0(VALU_DEP_2) | instskip(NEXT) | instid1(VALU_DEP_2)
	v_readfirstlane_b32 s2, v3
	v_readfirstlane_b32 s21, v2
	s_delay_alu instid0(VALU_DEP_2) | instskip(NEXT) | instid1(VALU_DEP_1)
	s_mul_i32 s25, s23, s2
	s_mul_hi_u32 s31, s23, s21
	s_mul_i32 s30, s24, s21
	s_add_i32 s25, s31, s25
	s_mul_i32 s33, s23, s21
	s_add_i32 s25, s25, s30
	s_mul_hi_u32 s31, s21, s33
	s_mul_hi_u32 s34, s2, s33
	s_mul_i32 s30, s2, s33
	s_mul_hi_u32 s33, s21, s25
	s_mul_i32 s21, s21, s25
	s_mul_hi_u32 s35, s2, s25
	s_add_u32 s21, s31, s21
	s_addc_u32 s31, 0, s33
	s_add_u32 s21, s21, s30
	s_mul_i32 s25, s2, s25
	s_addc_u32 s21, s31, s34
	s_addc_u32 s30, s35, 0
	s_add_u32 s21, s21, s25
	s_addc_u32 s25, 0, s30
	v_add_co_u32 v2, s21, v2, s21
	s_delay_alu instid0(VALU_DEP_1) | instskip(SKIP_1) | instid1(VALU_DEP_1)
	s_cmp_lg_u32 s21, 0
	s_addc_u32 s2, s2, s25
	v_readfirstlane_b32 s21, v2
	s_mul_i32 s25, s23, s2
	s_delay_alu instid0(VALU_DEP_1)
	s_mul_hi_u32 s30, s23, s21
	s_mul_i32 s24, s24, s21
	s_add_i32 s25, s30, s25
	s_mul_i32 s23, s23, s21
	s_add_i32 s25, s25, s24
	s_mul_hi_u32 s30, s2, s23
	s_mul_i32 s31, s2, s23
	s_mul_hi_u32 s23, s21, s23
	s_mul_hi_u32 s33, s21, s25
	s_mul_i32 s21, s21, s25
	s_mul_hi_u32 s24, s2, s25
	s_add_u32 s21, s23, s21
	s_addc_u32 s23, 0, s33
	s_add_u32 s21, s21, s31
	s_mul_i32 s25, s2, s25
	s_addc_u32 s21, s23, s30
	s_addc_u32 s23, s24, 0
	s_add_u32 s21, s21, s25
	s_addc_u32 s23, 0, s23
	v_add_co_u32 v2, s21, v2, s21
	s_delay_alu instid0(VALU_DEP_1) | instskip(SKIP_1) | instid1(VALU_DEP_1)
	s_cmp_lg_u32 s21, 0
	s_addc_u32 s2, s2, s23
	v_readfirstlane_b32 s21, v2
	s_mul_i32 s24, s16, s2
	s_mul_hi_u32 s23, s16, s2
	s_mul_hi_u32 s25, s17, s2
	s_mul_i32 s2, s17, s2
	s_mul_hi_u32 s30, s16, s21
	s_mul_hi_u32 s31, s17, s21
	s_mul_i32 s21, s17, s21
	s_add_u32 s24, s30, s24
	s_addc_u32 s23, 0, s23
	s_add_u32 s21, s24, s21
	s_addc_u32 s21, s23, s31
	s_addc_u32 s23, s25, 0
	s_add_u32 s2, s21, s2
	s_addc_u32 s21, 0, s23
	s_mul_hi_u32 s23, s3, s2
	s_mul_i32 s2, s3, s2
	s_mul_i32 s21, s3, s21
	v_sub_co_u32 v2, s2, s16, s2
	s_add_i32 s23, s23, s21
	s_cmp_lg_u32 s2, 0
	s_delay_alu instid0(VALU_DEP_1) | instskip(SKIP_2) | instid1(VALU_DEP_1)
	v_sub_co_u32 v3, s2, v2, s3
	s_subb_u32 s21, s17, s23
	s_cmp_lg_u32 s2, 0
	v_cmp_le_u32_e32 vcc_lo, s3, v3
	v_sub_co_u32 v4, s2, v3, s3
	s_subb_u32 s23, s21, 0
	s_cmp_lg_u32 s2, 0
	v_cndmask_b32_e64 v5, 0, -1, vcc_lo
	s_subb_u32 s2, s23, 0
	s_cmp_eq_u32 s23, 0
	v_mov_b32_e32 v7, s2
	s_cselect_b32 vcc_lo, -1, 0
	s_cmp_eq_u32 s21, 0
	v_cndmask_b32_e32 v5, -1, v5, vcc_lo
	v_cmp_le_u32_e32 vcc_lo, s3, v2
	s_cselect_b32 s2, -1, 0
	v_cndmask_b32_e64 v6, 0, -1, vcc_lo
	s_delay_alu instid0(VALU_DEP_3) | instskip(NEXT) | instid1(VALU_DEP_2)
	v_cmp_ne_u32_e32 vcc_lo, 0, v5
	v_cndmask_b32_e64 v5, -1, v6, s2
	v_cndmask_b32_e32 v6, s23, v7, vcc_lo
	v_cndmask_b32_e32 v4, v3, v4, vcc_lo
	s_delay_alu instid0(VALU_DEP_3) | instskip(NEXT) | instid1(VALU_DEP_2)
	v_cmp_ne_u32_e32 vcc_lo, 0, v5
	v_cndmask_b32_e32 v2, v2, v4, vcc_lo
	s_delay_alu instid0(VALU_DEP_4)
	v_cndmask_b32_e32 v3, s21, v6, vcc_lo
	s_and_not1_b32 vcc_lo, exec_lo, s20
	s_cbranch_vccnz .LBB251_9
.LBB251_8:
	v_cvt_f32_u32_e32 v2, s3
	s_sub_i32 s2, 0, s3
	s_delay_alu instid0(VALU_DEP_1) | instskip(SKIP_2) | instid1(VALU_DEP_1)
	v_rcp_iflag_f32_e32 v2, v2
	s_waitcnt_depctr 0xfff
	v_mul_f32_e32 v2, 0x4f7ffffe, v2
	v_cvt_u32_f32_e32 v2, v2
	s_delay_alu instid0(VALU_DEP_1) | instskip(NEXT) | instid1(VALU_DEP_1)
	v_mul_lo_u32 v3, s2, v2
	v_mul_hi_u32 v3, v2, v3
	s_delay_alu instid0(VALU_DEP_1) | instskip(NEXT) | instid1(VALU_DEP_1)
	v_add_nc_u32_e32 v2, v2, v3
	v_mul_hi_u32 v2, s16, v2
	s_delay_alu instid0(VALU_DEP_1) | instskip(NEXT) | instid1(VALU_DEP_1)
	v_mul_lo_u32 v2, v2, s3
	v_sub_nc_u32_e32 v2, s16, v2
	s_delay_alu instid0(VALU_DEP_1) | instskip(SKIP_1) | instid1(VALU_DEP_2)
	v_subrev_nc_u32_e32 v3, s3, v2
	v_cmp_le_u32_e32 vcc_lo, s3, v2
	v_cndmask_b32_e32 v2, v2, v3, vcc_lo
	s_delay_alu instid0(VALU_DEP_1) | instskip(SKIP_1) | instid1(VALU_DEP_2)
	v_subrev_nc_u32_e32 v3, s3, v2
	v_cmp_le_u32_e32 vcc_lo, s3, v2
	v_dual_cndmask_b32 v2, v2, v3 :: v_dual_mov_b32 v3, 0
.LBB251_9:
	v_dual_mov_b32 v7, v1 :: v_dual_lshlrev_b32 v4, 4, v0
	s_delay_alu instid0(VALU_DEP_2) | instskip(NEXT) | instid1(VALU_DEP_3)
	v_sub_co_u32 v2, vcc_lo, s16, v2
	v_sub_co_ci_u32_e32 v3, vcc_lo, s17, v3, vcc_lo
	s_delay_alu instid0(VALU_DEP_3) | instskip(NEXT) | instid1(VALU_DEP_1)
	v_add_co_u32 v4, s2, v4, s18
	v_add_co_ci_u32_e64 v5, null, 0, s19, s2
	v_lshlrev_b32_e32 v10, 4, v9
	s_delay_alu instid0(VALU_DEP_3) | instskip(NEXT) | instid1(VALU_DEP_3)
	v_add_co_u32 v4, vcc_lo, v4, 8
	v_add_co_ci_u32_e32 v5, vcc_lo, 0, v5, vcc_lo
	v_mov_b32_e32 v6, v0
	s_mov_b32 s3, 0
	.p2align	6
.LBB251_10:                             ; =>This Inner Loop Header: Depth=1
	global_load_b128 v[11:14], v[4:5], off offset:-8
	v_add_co_u32 v6, vcc_lo, v6, v9
	v_add_co_ci_u32_e32 v7, vcc_lo, 0, v7, vcc_lo
	v_add_co_u32 v4, s2, v4, v10
	s_delay_alu instid0(VALU_DEP_1) | instskip(NEXT) | instid1(VALU_DEP_3)
	v_add_co_ci_u32_e64 v5, s2, 0, v5, s2
	v_lshlrev_b64 v[15:16], 2, v[6:7]
	s_delay_alu instid0(VALU_DEP_1) | instskip(SKIP_3) | instid1(VALU_DEP_1)
	v_cmp_ge_i64_e32 vcc_lo, v[15:16], v[2:3]
	s_or_b32 s3, vcc_lo, s3
	s_waitcnt vmcnt(0)
	v_add_f32_e32 v1, v8, v11
	v_add_f32_e32 v1, v1, v12
	s_delay_alu instid0(VALU_DEP_1) | instskip(NEXT) | instid1(VALU_DEP_1)
	v_add_f32_e32 v1, v1, v13
	v_add_f32_e32 v8, v1, v14
	s_and_not1_b32 exec_lo, exec_lo, s3
	s_cbranch_execnz .LBB251_10
; %bb.11:
	s_or_b32 exec_lo, exec_lo, s3
	v_add_co_u32 v1, vcc_lo, v2, v0
	v_add_co_ci_u32_e32 v2, vcc_lo, 0, v3, vcc_lo
	s_mov_b32 s2, exec_lo
	s_delay_alu instid0(VALU_DEP_1)
	v_cmpx_gt_i64_e64 s[16:17], v[1:2]
	s_cbranch_execz .LBB251_15
; %bb.12:
	s_mov_b32 s3, 0
.LBB251_13:                             ; =>This Inner Loop Header: Depth=1
	v_lshlrev_b64 v[3:4], 2, v[1:2]
	s_delay_alu instid0(VALU_DEP_1) | instskip(NEXT) | instid1(VALU_DEP_2)
	v_add_co_u32 v3, vcc_lo, s18, v3
	v_add_co_ci_u32_e32 v4, vcc_lo, s19, v4, vcc_lo
	v_add_co_u32 v1, vcc_lo, v1, v9
	v_add_co_ci_u32_e32 v2, vcc_lo, 0, v2, vcc_lo
	global_load_b32 v3, v[3:4], off
	v_cmp_le_i64_e32 vcc_lo, s[16:17], v[1:2]
	s_or_b32 s3, vcc_lo, s3
	s_waitcnt vmcnt(0)
	v_add_f32_e32 v8, v8, v3
	s_and_not1_b32 exec_lo, exec_lo, s3
	s_cbranch_execnz .LBB251_13
; %bb.14:
	s_or_b32 exec_lo, exec_lo, s3
.LBB251_15:
	s_delay_alu instid0(SALU_CYCLE_1)
	s_or_b32 exec_lo, exec_lo, s2
	s_branch .LBB251_31
.LBB251_16:
                                        ; implicit-def: $vgpr8
	s_cbranch_execz .LBB251_31
; %bb.17:
	s_and_b32 vcc_lo, exec_lo, s22
	s_cbranch_vccz .LBB251_41
; %bb.18:
	s_lshl_b64 s[2:3], s[28:29], 2
	v_cmp_le_u32_e32 vcc_lo, s28, v0
	s_sub_u32 s18, s12, s2
	s_subb_u32 s19, s13, s3
	s_add_i32 s3, s28, s10
	v_mov_b32_e32 v8, 0
	v_cmp_gt_i32_e64 s2, s3, v0
	s_delay_alu instid0(VALU_DEP_1) | instskip(NEXT) | instid1(SALU_CYCLE_1)
	s_and_b32 s16, vcc_lo, s2
	s_and_saveexec_b32 s2, s16
	s_cbranch_execz .LBB251_20
; %bb.19:
	v_lshlrev_b32_e32 v1, 2, v0
	global_load_b32 v1, v1, s[18:19]
	s_waitcnt vmcnt(0)
	v_add_f32_e32 v8, 0, v1
.LBB251_20:
	s_or_b32 exec_lo, exec_lo, s2
	s_load_b32 s2, s[0:1], 0x2c
	s_add_u32 s16, s0, 32
	s_addc_u32 s17, s1, 0
	s_waitcnt lgkmcnt(0)
	s_and_b32 s2, s2, 0xffff
	s_delay_alu instid0(SALU_CYCLE_1) | instskip(SKIP_1) | instid1(SALU_CYCLE_1)
	v_sub_nc_u32_e64 v1, s3, s2 clamp
	s_lshl_b32 s2, s2, 2
	s_add_u32 s2, s18, s2
	s_addc_u32 s3, s19, 0
	s_delay_alu instid0(VALU_DEP_1)
	v_readfirstlane_b32 s20, v1
	s_branch .LBB251_22
.LBB251_21:
	v_mov_b32_e32 v8, 0
	s_add_u32 s16, s0, 32
	s_addc_u32 s17, s1, 0
	s_mov_b32 s20, s10
	s_mov_b64 s[2:3], s[12:13]
.LBB251_22:
	s_load_b32 s18, s[16:17], 0x0
	v_mov_b32_e32 v1, 0
	s_waitcnt lgkmcnt(0)
	s_cmp_lt_u32 s15, s18
	s_cselect_b32 s18, 12, 18
	s_delay_alu instid0(SALU_CYCLE_1) | instskip(SKIP_4) | instid1(VALU_DEP_1)
	s_add_u32 s16, s16, s18
	s_addc_u32 s17, s17, 0
	global_load_u16 v3, v1, s[16:17]
	s_waitcnt vmcnt(0)
	v_readfirstlane_b32 s16, v3
	s_lshl_b32 s16, s16, 2
	s_delay_alu instid0(SALU_CYCLE_1) | instskip(SKIP_1) | instid1(VALU_DEP_1)
	v_cvt_f32_u32_e32 v1, s16
	s_sub_i32 s18, 0, s16
	v_rcp_iflag_f32_e32 v1, v1
	s_waitcnt_depctr 0xfff
	v_mul_f32_e32 v1, 0x4f7ffffe, v1
	s_delay_alu instid0(VALU_DEP_1) | instskip(NEXT) | instid1(VALU_DEP_1)
	v_cvt_u32_f32_e32 v1, v1
	v_readfirstlane_b32 s17, v1
	v_lshlrev_b32_e32 v1, 2, v0
	s_delay_alu instid0(VALU_DEP_2) | instskip(NEXT) | instid1(SALU_CYCLE_1)
	s_mul_i32 s18, s18, s17
	s_mul_hi_u32 s18, s17, s18
	s_delay_alu instid0(SALU_CYCLE_1) | instskip(NEXT) | instid1(SALU_CYCLE_1)
	s_add_i32 s17, s17, s18
	s_mul_hi_u32 s17, s20, s17
	s_delay_alu instid0(SALU_CYCLE_1) | instskip(NEXT) | instid1(SALU_CYCLE_1)
	s_mul_i32 s17, s17, s16
	s_sub_i32 s17, s20, s17
	s_delay_alu instid0(SALU_CYCLE_1) | instskip(SKIP_2) | instid1(SALU_CYCLE_1)
	s_sub_i32 s18, s17, s16
	s_cmp_ge_u32 s17, s16
	s_cselect_b32 s17, s18, s17
	s_sub_i32 s18, s17, s16
	s_cmp_ge_u32 s17, s16
	s_cselect_b32 s16, s18, s17
	s_mov_b32 s18, 0
	s_sub_i32 s16, s20, s16
	s_mov_b32 s17, exec_lo
	v_cmpx_gt_i32_e64 s16, v1
	s_cbranch_execz .LBB251_26
; %bb.23:
	v_mov_b32_e32 v1, v0
	.p2align	6
.LBB251_24:                             ; =>This Inner Loop Header: Depth=1
	s_delay_alu instid0(VALU_DEP_1) | instskip(NEXT) | instid1(VALU_DEP_1)
	v_ashrrev_i32_e32 v2, 31, v1
	v_lshlrev_b64 v[4:5], 4, v[1:2]
	v_add_nc_u32_e32 v1, v1, v3
	s_delay_alu instid0(VALU_DEP_2) | instskip(NEXT) | instid1(VALU_DEP_3)
	v_add_co_u32 v4, vcc_lo, s2, v4
	v_add_co_ci_u32_e32 v5, vcc_lo, s3, v5, vcc_lo
	global_load_b128 v[4:7], v[4:5], off
	s_waitcnt vmcnt(0)
	v_add_f32_e32 v2, v8, v4
	v_lshlrev_b32_e32 v4, 2, v1
	s_delay_alu instid0(VALU_DEP_2) | instskip(NEXT) | instid1(VALU_DEP_2)
	v_add_f32_e32 v2, v2, v5
	v_cmp_le_i32_e32 vcc_lo, s16, v4
	s_delay_alu instid0(VALU_DEP_2) | instskip(SKIP_1) | instid1(VALU_DEP_1)
	v_add_f32_e32 v2, v2, v6
	s_or_b32 s18, vcc_lo, s18
	v_add_f32_e32 v8, v2, v7
	s_and_not1_b32 exec_lo, exec_lo, s18
	s_cbranch_execnz .LBB251_24
; %bb.25:
	s_or_b32 exec_lo, exec_lo, s18
.LBB251_26:
	s_delay_alu instid0(SALU_CYCLE_1) | instskip(SKIP_2) | instid1(VALU_DEP_1)
	s_or_b32 exec_lo, exec_lo, s17
	v_add_nc_u32_e32 v1, s16, v0
	s_mov_b32 s16, exec_lo
	v_cmpx_gt_i32_e64 s20, v1
	s_cbranch_execz .LBB251_30
; %bb.27:
	s_mov_b32 s17, 0
.LBB251_28:                             ; =>This Inner Loop Header: Depth=1
	v_ashrrev_i32_e32 v2, 31, v1
	s_delay_alu instid0(VALU_DEP_1) | instskip(NEXT) | instid1(VALU_DEP_1)
	v_lshlrev_b64 v[4:5], 2, v[1:2]
	v_add_co_u32 v4, vcc_lo, s2, v4
	s_delay_alu instid0(VALU_DEP_2) | instskip(SKIP_3) | instid1(VALU_DEP_1)
	v_add_co_ci_u32_e32 v5, vcc_lo, s3, v5, vcc_lo
	global_load_b32 v2, v[4:5], off
	s_waitcnt vmcnt(0)
	v_dual_add_f32 v8, v8, v2 :: v_dual_add_nc_u32 v1, v1, v3
	v_cmp_le_i32_e32 vcc_lo, s20, v1
	s_or_b32 s17, vcc_lo, s17
	s_delay_alu instid0(SALU_CYCLE_1)
	s_and_not1_b32 exec_lo, exec_lo, s17
	s_cbranch_execnz .LBB251_28
; %bb.29:
	s_or_b32 exec_lo, exec_lo, s17
.LBB251_30:
	s_delay_alu instid0(SALU_CYCLE_1)
	s_or_b32 exec_lo, exec_lo, s16
.LBB251_31:
	v_lshl_add_u32 v1, v0, 2, 0
	s_barrier
	buffer_gl0_inv
	s_add_u32 s16, s0, 32
	ds_store_b32 v1, v8
	s_waitcnt lgkmcnt(0)
	s_barrier
	buffer_gl0_inv
	s_load_b32 s2, s[0:1], 0x2c
	s_addc_u32 s17, s1, 0
	s_waitcnt lgkmcnt(0)
	s_bfe_u32 s0, s2, 0xb0005
	s_delay_alu instid0(SALU_CYCLE_1) | instskip(NEXT) | instid1(SALU_CYCLE_1)
	s_min_u32 s1, s0, 32
	v_cmp_gt_u32_e32 vcc_lo, s1, v0
	s_and_saveexec_b32 s1, vcc_lo
	s_cbranch_execz .LBB251_33
; %bb.32:
	v_mad_u32_u24 v10, 0x7c, v0, v1
	ds_load_2addr_b32 v[2:3], v10 offset1:1
	ds_load_2addr_b32 v[4:5], v10 offset0:2 offset1:3
	ds_load_2addr_b32 v[6:7], v10 offset0:4 offset1:5
	;; [unrolled: 1-line block ×3, first 2 shown]
	s_waitcnt lgkmcnt(3)
	v_add_f32_e32 v2, 0, v2
	s_delay_alu instid0(VALU_DEP_1) | instskip(SKIP_1) | instid1(VALU_DEP_1)
	v_add_f32_e32 v2, v2, v3
	s_waitcnt lgkmcnt(2)
	v_add_f32_e32 v2, v2, v4
	s_delay_alu instid0(VALU_DEP_1) | instskip(SKIP_1) | instid1(VALU_DEP_1)
	v_add_f32_e32 v2, v2, v5
	s_waitcnt lgkmcnt(1)
	v_add_f32_e32 v4, v2, v6
	ds_load_2addr_b32 v[2:3], v10 offset0:8 offset1:9
	v_add_f32_e32 v4, v4, v7
	s_waitcnt lgkmcnt(1)
	s_delay_alu instid0(VALU_DEP_1)
	v_add_f32_e32 v6, v4, v8
	ds_load_2addr_b32 v[4:5], v10 offset0:10 offset1:11
	v_add_f32_e32 v11, v6, v9
	ds_load_2addr_b32 v[6:7], v10 offset0:12 offset1:13
	ds_load_2addr_b32 v[8:9], v10 offset0:14 offset1:15
	s_waitcnt lgkmcnt(3)
	v_add_f32_e32 v2, v11, v2
	s_delay_alu instid0(VALU_DEP_1) | instskip(SKIP_1) | instid1(VALU_DEP_1)
	v_add_f32_e32 v2, v2, v3
	s_waitcnt lgkmcnt(2)
	v_add_f32_e32 v2, v2, v4
	s_delay_alu instid0(VALU_DEP_1) | instskip(SKIP_1) | instid1(VALU_DEP_1)
	v_add_f32_e32 v2, v2, v5
	s_waitcnt lgkmcnt(1)
	v_add_f32_e32 v4, v2, v6
	ds_load_2addr_b32 v[2:3], v10 offset0:16 offset1:17
	v_add_f32_e32 v4, v4, v7
	s_waitcnt lgkmcnt(1)
	s_delay_alu instid0(VALU_DEP_1)
	v_add_f32_e32 v6, v4, v8
	ds_load_2addr_b32 v[4:5], v10 offset0:18 offset1:19
	v_add_f32_e32 v11, v6, v9
	ds_load_2addr_b32 v[6:7], v10 offset0:20 offset1:21
	ds_load_2addr_b32 v[8:9], v10 offset0:22 offset1:23
	;; [unrolled: 19-line block ×3, first 2 shown]
	s_waitcnt lgkmcnt(3)
	v_add_f32_e32 v2, v11, v2
	s_delay_alu instid0(VALU_DEP_1) | instskip(SKIP_1) | instid1(VALU_DEP_1)
	v_add_f32_e32 v2, v2, v3
	s_waitcnt lgkmcnt(2)
	v_add_f32_e32 v2, v2, v4
	s_delay_alu instid0(VALU_DEP_1) | instskip(SKIP_1) | instid1(VALU_DEP_1)
	v_add_f32_e32 v2, v2, v5
	;; [unrolled: 4-line block ×3, first 2 shown]
	s_waitcnt lgkmcnt(0)
	v_add_f32_e32 v2, v2, v8
	s_delay_alu instid0(VALU_DEP_1)
	v_add_f32_e32 v2, v2, v9
	ds_store_b32 v1, v2
.LBB251_33:
	s_or_b32 exec_lo, exec_lo, s1
	s_and_b32 s22, s2, 0xffff
	s_mov_b32 s1, exec_lo
	s_waitcnt lgkmcnt(0)
	s_barrier
	buffer_gl0_inv
	v_cmpx_eq_u32_e32 0, v0
	s_cbranch_execz .LBB251_46
; %bb.34:
	v_mov_b32_e32 v1, 0
	s_cmp_lt_u32 s22, 32
	s_cbranch_scc1 .LBB251_45
; %bb.35:
	v_mov_b32_e32 v1, 0
	s_add_i32 s2, s0, -1
	s_delay_alu instid0(SALU_CYCLE_1)
	s_cmp_lt_u32 s2, 7
	s_cbranch_scc1 .LBB251_42
; %bb.36:
	s_and_b32 s2, s0, 0x7f8
	s_mov_b32 s3, 0
	s_mov_b32 s18, 0
	.p2align	6
.LBB251_37:                             ; =>This Inner Loop Header: Depth=1
	s_delay_alu instid0(SALU_CYCLE_1)
	v_mov_b32_e32 v8, s18
	s_add_i32 s3, s3, 8
	s_add_i32 s18, s18, 32
	s_cmp_eq_u32 s2, s3
	ds_load_2addr_b32 v[2:3], v8 offset1:1
	ds_load_2addr_b32 v[4:5], v8 offset0:2 offset1:3
	ds_load_2addr_b32 v[6:7], v8 offset0:4 offset1:5
	;; [unrolled: 1-line block ×3, first 2 shown]
	s_waitcnt lgkmcnt(3)
	v_add_f32_e32 v1, v1, v2
	s_delay_alu instid0(VALU_DEP_1) | instskip(SKIP_1) | instid1(VALU_DEP_1)
	v_add_f32_e32 v1, v1, v3
	s_waitcnt lgkmcnt(2)
	v_add_f32_e32 v1, v1, v4
	s_delay_alu instid0(VALU_DEP_1) | instskip(SKIP_1) | instid1(VALU_DEP_1)
	v_add_f32_e32 v1, v1, v5
	;; [unrolled: 4-line block ×3, first 2 shown]
	s_waitcnt lgkmcnt(0)
	v_add_f32_e32 v1, v1, v8
	s_delay_alu instid0(VALU_DEP_1)
	v_add_f32_e32 v1, v1, v9
	s_cbranch_scc0 .LBB251_37
; %bb.38:
	s_and_b32 s0, s0, 7
	s_delay_alu instid0(SALU_CYCLE_1)
	s_cmp_eq_u32 s0, 0
	s_cbranch_scc0 .LBB251_43
	s_branch .LBB251_45
.LBB251_39:
                                        ; implicit-def: $sgpr18_sgpr19
                                        ; implicit-def: $sgpr16_sgpr17
                                        ; implicit-def: $vgpr8
                                        ; implicit-def: $sgpr2_sgpr3
	s_cbranch_execnz .LBB251_5
	s_branch .LBB251_6
.LBB251_40:
                                        ; implicit-def: $vgpr2_vgpr3
	s_branch .LBB251_8
.LBB251_41:
                                        ; implicit-def: $sgpr2_sgpr3
                                        ; implicit-def: $sgpr20
                                        ; implicit-def: $vgpr8
                                        ; implicit-def: $sgpr16_sgpr17
	s_cbranch_execnz .LBB251_21
	s_branch .LBB251_22
.LBB251_42:
	s_mov_b32 s2, 0
	s_and_b32 s0, s0, 7
	s_delay_alu instid0(SALU_CYCLE_1)
	s_cmp_eq_u32 s0, 0
	s_cbranch_scc1 .LBB251_45
.LBB251_43:
	s_lshl_b32 s2, s2, 2
	s_delay_alu instid0(SALU_CYCLE_1)
	s_add_i32 s2, s2, 0
.LBB251_44:                             ; =>This Inner Loop Header: Depth=1
	s_delay_alu instid0(SALU_CYCLE_1)
	v_mov_b32_e32 v2, s2
	s_add_i32 s0, s0, -1
	s_add_i32 s2, s2, 4
	s_cmp_lg_u32 s0, 0
	ds_load_b32 v2, v2
	s_waitcnt lgkmcnt(0)
	v_add_f32_e32 v1, v1, v2
	s_cbranch_scc1 .LBB251_44
.LBB251_45:
	v_mov_b32_e32 v2, 0
	ds_store_b32 v2, v1
.LBB251_46:
	s_or_b32 exec_lo, exec_lo, s1
	v_mov_b32_e32 v1, 0
	s_waitcnt lgkmcnt(0)
	s_barrier
	buffer_gl0_inv
	s_add_u32 s18, s4, s26
	ds_load_b32 v8, v1
	s_addc_u32 s19, s5, s27
	s_add_u32 s20, s6, s26
	s_mov_b32 s25, 0
	s_addc_u32 s21, s7, s27
	s_bfe_u32 s24, s18, 0x20002
	s_bfe_u32 s0, s20, 0x20002
	s_mov_b32 s1, s25
	s_delay_alu instid0(SALU_CYCLE_1) | instskip(SKIP_3) | instid1(SALU_CYCLE_1)
	s_cmp_eq_u64 s[24:25], s[0:1]
	s_cselect_b32 s0, -1, 0
	s_cmp_eq_u64 s[24:25], s[28:29]
	s_cselect_b32 s1, -1, 0
	s_and_b32 s0, s0, s1
	s_delay_alu instid0(SALU_CYCLE_1)
	s_and_not1_b32 vcc_lo, exec_lo, s0
	s_mov_b32 s0, -1
	s_cbranch_vccz .LBB251_65
; %bb.47:
	s_and_b32 vcc_lo, exec_lo, s14
	s_cbranch_vccz .LBB251_56
; %bb.48:
	s_lshl_b32 s23, s22, 2
	s_mov_b32 s40, 0
	v_cvt_f32_u32_e32 v1, s23
	s_sub_i32 s1, 0, s23
	s_mov_b32 s33, exec_lo
	s_delay_alu instid0(VALU_DEP_1) | instskip(SKIP_2) | instid1(VALU_DEP_1)
	v_rcp_iflag_f32_e32 v1, v1
	s_waitcnt_depctr 0xfff
	v_mul_f32_e32 v1, 0x4f7ffffe, v1
	v_cvt_u32_f32_e32 v1, v1
	s_delay_alu instid0(VALU_DEP_1) | instskip(SKIP_1) | instid1(VALU_DEP_2)
	v_readfirstlane_b32 s0, v1
	v_mov_b32_e32 v1, 0
	s_mul_i32 s1, s1, s0
	s_delay_alu instid0(VALU_DEP_1) | instskip(SKIP_1) | instid1(SALU_CYCLE_1)
	v_dual_mov_b32 v3, v1 :: v_dual_mov_b32 v2, v0
	s_mul_hi_u32 s1, s0, s1
	s_add_i32 s0, s0, s1
	s_delay_alu instid0(SALU_CYCLE_1) | instskip(NEXT) | instid1(SALU_CYCLE_1)
	s_mul_hi_u32 s0, s10, s0
	s_mul_i32 s0, s0, s23
	s_delay_alu instid0(SALU_CYCLE_1) | instskip(NEXT) | instid1(SALU_CYCLE_1)
	s_sub_i32 s0, s10, s0
	s_sub_i32 s1, s0, s23
	s_cmp_ge_u32 s0, s23
	s_cselect_b32 s0, s1, s0
	s_delay_alu instid0(SALU_CYCLE_1) | instskip(SKIP_3) | instid1(SALU_CYCLE_1)
	s_sub_i32 s1, s0, s23
	s_cmp_ge_u32 s0, s23
	s_cselect_b32 s0, s1, s0
	s_bfe_i64 s[28:29], s[10:11], 0x200000
	s_sub_u32 s30, s28, s0
	s_subb_u32 s31, s29, 0
	s_delay_alu instid0(SALU_CYCLE_1)
	v_cmpx_gt_i64_e64 s[30:31], v[0:1]
	s_cbranch_execz .LBB251_52
; %bb.49:
	s_lshl_b32 s41, s22, 4
	s_add_u32 s0, s26, s23
	s_addc_u32 s1, s27, 0
	s_add_u32 s42, s6, s0
	s_addc_u32 s43, s7, s1
	s_lshl_b32 s2, s22, 3
	s_mul_i32 s34, s22, 12
	s_add_u32 s2, s26, s2
	s_addc_u32 s3, s27, 0
	s_add_u32 s44, s6, s2
	s_addc_u32 s45, s7, s3
	;; [unrolled: 2-line block ×7, first 2 shown]
	s_add_u32 s54, s4, s0
	v_lshlrev_b64 v[4:5], 2, v[0:1]
	s_addc_u32 s55, s5, s1
	s_add_u32 s56, s4, s2
	v_dual_mov_b32 v3, v1 :: v_dual_mov_b32 v2, v0
	s_addc_u32 s57, s5, s3
	s_add_u32 s58, s4, s34
	s_addc_u32 s59, s5, s35
	s_mov_b64 s[34:35], s[18:19]
	s_mov_b64 s[36:37], s[12:13]
	;; [unrolled: 1-line block ×3, first 2 shown]
.LBB251_50:                             ; =>This Inner Loop Header: Depth=1
	s_delay_alu instid0(SALU_CYCLE_1)
	v_add_co_u32 v6, vcc_lo, s38, v4
	v_add_co_ci_u32_e32 v7, vcc_lo, s39, v5, vcc_lo
	v_add_co_u32 v9, vcc_lo, s42, v4
	v_add_co_ci_u32_e32 v10, vcc_lo, s43, v5, vcc_lo
	;; [unrolled: 2-line block ×4, first 2 shown]
	global_load_b32 v1, v[6:7], off
	global_load_b32 v15, v[9:10], off
	;; [unrolled: 1-line block ×4, first 2 shown]
	v_add_co_u32 v6, vcc_lo, s36, v4
	v_add_co_ci_u32_e32 v7, vcc_lo, s37, v5, vcc_lo
	v_add_co_u32 v9, vcc_lo, s48, v4
	v_add_co_ci_u32_e32 v10, vcc_lo, s49, v5, vcc_lo
	;; [unrolled: 2-line block ×4, first 2 shown]
	global_load_b32 v18, v[6:7], off
	global_load_b32 v19, v[9:10], off
	;; [unrolled: 1-line block ×4, first 2 shown]
	v_add_co_u32 v6, vcc_lo, s34, v4
	s_add_u32 s38, s38, s41
	v_add_co_ci_u32_e32 v7, vcc_lo, s35, v5, vcc_lo
	s_addc_u32 s39, s39, 0
	v_add_co_u32 v9, vcc_lo, s54, v4
	s_add_u32 s42, s42, s41
	s_addc_u32 s43, s43, 0
	v_add_co_ci_u32_e32 v10, vcc_lo, s55, v5, vcc_lo
	s_add_u32 s44, s44, s41
	v_add_co_u32 v11, vcc_lo, s56, v4
	s_addc_u32 s45, s45, 0
	s_add_u32 s46, s46, s41
	v_add_co_ci_u32_e32 v12, vcc_lo, s57, v5, vcc_lo
	s_addc_u32 s47, s47, 0
	v_add_co_u32 v13, vcc_lo, s58, v4
	s_add_u32 s36, s36, s41
	s_addc_u32 s37, s37, 0
	v_add_co_ci_u32_e32 v14, vcc_lo, s59, v5, vcc_lo
	s_add_u32 s48, s48, s41
	v_add_co_u32 v2, vcc_lo, v2, s23
	s_addc_u32 s49, s49, 0
	s_add_u32 s50, s50, s41
	v_add_co_ci_u32_e32 v3, vcc_lo, 0, v3, vcc_lo
	s_addc_u32 s51, s51, 0
	s_add_u32 s52, s52, s41
	s_addc_u32 s53, s53, 0
	s_add_u32 s34, s34, s41
	s_addc_u32 s35, s35, 0
	v_cmp_le_i64_e32 vcc_lo, s[30:31], v[2:3]
	s_add_u32 s54, s54, s41
	s_addc_u32 s55, s55, 0
	s_add_u32 s56, s56, s41
	s_addc_u32 s57, s57, 0
	;; [unrolled: 2-line block ×3, first 2 shown]
	s_or_b32 s40, vcc_lo, s40
	s_waitcnt vmcnt(6)
	v_dual_mul_f32 v22, 0x3fb8aa3b, v1 :: v_dual_mul_f32 v23, 0x3fb8aa3b, v15
	s_waitcnt vmcnt(4)
	v_dual_mul_f32 v24, 0x3fb8aa3b, v16 :: v_dual_mul_f32 v25, 0x3fb8aa3b, v17
	v_cmp_ngt_f32_e64 s3, 0xc2ce8ed0, v1
	s_delay_alu instid0(VALU_DEP_3)
	v_fma_f32 v26, 0x3fb8aa3b, v1, -v22
	v_rndne_f32_e32 v27, v22
	v_fma_f32 v28, 0x3fb8aa3b, v15, -v23
	v_rndne_f32_e32 v29, v23
	v_rndne_f32_e32 v33, v25
	v_fma_f32 v30, 0x3fb8aa3b, v16, -v24
	v_rndne_f32_e32 v31, v24
	v_fma_f32 v32, 0x3fb8aa3b, v17, -v25
	v_dual_sub_f32 v22, v22, v27 :: v_dual_sub_f32 v23, v23, v29
	v_dual_fmac_f32 v28, 0x32a5705f, v15 :: v_dual_sub_f32 v25, v25, v33
	v_fmac_f32_e32 v26, 0x32a5705f, v1
	v_fmac_f32_e32 v30, 0x32a5705f, v16
	s_delay_alu instid0(VALU_DEP_3) | instskip(SKIP_1) | instid1(VALU_DEP_4)
	v_dual_fmac_f32 v32, 0x32a5705f, v17 :: v_dual_add_f32 v23, v23, v28
	v_sub_f32_e32 v24, v24, v31
	v_add_f32_e32 v22, v22, v26
	v_cvt_i32_f32_e32 v27, v27
	s_delay_alu instid0(VALU_DEP_4)
	v_add_f32_e32 v25, v25, v32
	v_exp_f32_e32 v23, v23
	v_add_f32_e32 v24, v24, v30
	v_exp_f32_e32 v22, v22
	v_cvt_i32_f32_e32 v29, v29
	v_exp_f32_e32 v25, v25
	v_cvt_i32_f32_e32 v31, v31
	;; [unrolled: 2-line block ×3, first 2 shown]
	v_cmp_ngt_f32_e64 s0, 0xc2ce8ed0, v15
	v_cmp_ngt_f32_e64 s1, 0xc2ce8ed0, v16
	v_ldexp_f32 v23, v23, v29
	v_cmp_ngt_f32_e64 s2, 0xc2ce8ed0, v17
	v_ldexp_f32 v22, v22, v27
	s_delay_alu instid0(TRANS32_DEP_2) | instskip(NEXT) | instid1(VALU_DEP_4)
	v_ldexp_f32 v25, v25, v33
	v_cndmask_b32_e64 v23, 0, v23, s0
	s_delay_alu instid0(TRANS32_DEP_1) | instskip(NEXT) | instid1(VALU_DEP_4)
	v_ldexp_f32 v24, v24, v31
	v_cndmask_b32_e64 v22, 0, v22, s3
	v_cmp_nlt_f32_e64 s3, 0x42b17218, v1
	v_cmp_nlt_f32_e64 s0, 0x42b17218, v15
	s_delay_alu instid0(VALU_DEP_4)
	v_cndmask_b32_e64 v15, 0, v24, s1
	v_cmp_nlt_f32_e64 s1, 0x42b17218, v16
	v_cndmask_b32_e64 v16, 0, v25, s2
	v_cmp_nlt_f32_e64 s2, 0x42b17218, v17
	v_cndmask_b32_e64 v1, 0x7f800000, v22, s3
	v_cndmask_b32_e64 v17, 0x7f800000, v23, s0
	;; [unrolled: 1-line block ×3, first 2 shown]
	s_delay_alu instid0(VALU_DEP_4)
	v_cndmask_b32_e64 v16, 0x7f800000, v16, s2
	s_waitcnt vmcnt(3) lgkmcnt(0)
	v_fma_f32 v1, -v8, v1, v18
	s_waitcnt vmcnt(2)
	v_fma_f32 v17, -v8, v17, v19
	s_waitcnt vmcnt(1)
	;; [unrolled: 2-line block ×3, first 2 shown]
	v_fma_f32 v16, -v8, v16, v21
	global_store_b32 v[6:7], v1, off
	global_store_b32 v[9:10], v17, off
	;; [unrolled: 1-line block ×4, first 2 shown]
	s_and_not1_b32 exec_lo, exec_lo, s40
	s_cbranch_execnz .LBB251_50
; %bb.51:
	s_or_b32 exec_lo, exec_lo, s40
.LBB251_52:
	s_delay_alu instid0(SALU_CYCLE_1) | instskip(NEXT) | instid1(SALU_CYCLE_1)
	s_or_b32 exec_lo, exec_lo, s33
	s_mov_b32 s1, exec_lo
	v_cmpx_gt_i64_e64 s[28:29], v[2:3]
	s_cbranch_execz .LBB251_55
; %bb.53:
	v_lshlrev_b64 v[4:5], 2, v[2:3]
	s_mov_b32 s2, 0
	s_delay_alu instid0(VALU_DEP_1) | instskip(NEXT) | instid1(VALU_DEP_2)
	v_add_co_u32 v1, vcc_lo, s26, v4
	v_add_co_ci_u32_e32 v4, vcc_lo, s27, v5, vcc_lo
.LBB251_54:                             ; =>This Inner Loop Header: Depth=1
	s_delay_alu instid0(VALU_DEP_2) | instskip(NEXT) | instid1(VALU_DEP_2)
	v_add_co_u32 v5, vcc_lo, s6, v1
	v_add_co_ci_u32_e32 v6, vcc_lo, s7, v4, vcc_lo
	v_add_co_u32 v2, s0, v2, s22
	s_delay_alu instid0(VALU_DEP_1)
	v_add_co_ci_u32_e64 v3, s0, 0, v3, s0
	global_load_b32 v7, v[5:6], off
	v_add_co_u32 v5, vcc_lo, s8, v1
	v_add_co_ci_u32_e32 v6, vcc_lo, s9, v4, vcc_lo
	global_load_b32 v9, v[5:6], off
	s_waitcnt vmcnt(1)
	v_mul_f32_e32 v5, 0x3fb8aa3b, v7
	v_cmp_ngt_f32_e64 s0, 0xc2ce8ed0, v7
	s_delay_alu instid0(VALU_DEP_2) | instskip(SKIP_1) | instid1(VALU_DEP_1)
	v_fma_f32 v6, 0x3fb8aa3b, v7, -v5
	v_rndne_f32_e32 v10, v5
	v_dual_fmac_f32 v6, 0x32a5705f, v7 :: v_dual_sub_f32 v5, v5, v10
	v_cvt_i32_f32_e32 v10, v10
	s_delay_alu instid0(VALU_DEP_2) | instskip(NEXT) | instid1(VALU_DEP_1)
	v_add_f32_e32 v5, v5, v6
	v_exp_f32_e32 v6, v5
	v_add_co_u32 v5, vcc_lo, s4, v1
	s_waitcnt_depctr 0xfff
	v_ldexp_f32 v6, v6, v10
	s_delay_alu instid0(VALU_DEP_1) | instskip(SKIP_3) | instid1(VALU_DEP_1)
	v_cndmask_b32_e64 v10, 0, v6, s0
	v_add_co_ci_u32_e32 v6, vcc_lo, s5, v4, vcc_lo
	v_cmp_nlt_f32_e32 vcc_lo, 0x42b17218, v7
	v_add_co_u32 v1, s0, v1, s23
	v_add_co_ci_u32_e64 v4, s0, 0, v4, s0
	v_cndmask_b32_e32 v7, 0x7f800000, v10, vcc_lo
	v_cmp_le_i64_e32 vcc_lo, s[28:29], v[2:3]
	s_waitcnt vmcnt(0) lgkmcnt(0)
	s_delay_alu instid0(VALU_DEP_2)
	v_fma_f32 v7, -v8, v7, v9
	s_or_b32 s2, vcc_lo, s2
	global_store_b32 v[5:6], v7, off
	s_and_not1_b32 exec_lo, exec_lo, s2
	s_cbranch_execnz .LBB251_54
.LBB251_55:
	s_or_b32 exec_lo, exec_lo, s1
	s_mov_b32 s0, 0
.LBB251_56:
	s_delay_alu instid0(SALU_CYCLE_1)
	s_and_b32 vcc_lo, exec_lo, s0
	s_cbranch_vccz .LBB251_92
; %bb.57:
	s_lshl_b32 s0, s22, 2
	s_mov_b32 s7, 0
	v_cvt_f32_u32_e32 v1, s0
	s_sub_i32 s2, 0, s0
	s_mov_b32 s5, exec_lo
	s_delay_alu instid0(VALU_DEP_1) | instskip(SKIP_2) | instid1(VALU_DEP_1)
	v_rcp_iflag_f32_e32 v1, v1
	s_waitcnt_depctr 0xfff
	v_mul_f32_e32 v1, 0x4f7ffffe, v1
	v_cvt_u32_f32_e32 v1, v1
	s_delay_alu instid0(VALU_DEP_1) | instskip(SKIP_1) | instid1(VALU_DEP_2)
	v_readfirstlane_b32 s1, v1
	v_mov_b32_e32 v1, v0
	s_mul_i32 s2, s2, s1
	s_delay_alu instid0(SALU_CYCLE_1) | instskip(NEXT) | instid1(SALU_CYCLE_1)
	s_mul_hi_u32 s2, s1, s2
	s_add_i32 s1, s1, s2
	s_delay_alu instid0(SALU_CYCLE_1) | instskip(NEXT) | instid1(SALU_CYCLE_1)
	s_mul_hi_u32 s1, s10, s1
	s_mul_i32 s1, s1, s0
	s_delay_alu instid0(SALU_CYCLE_1) | instskip(NEXT) | instid1(SALU_CYCLE_1)
	s_sub_i32 s1, s10, s1
	s_sub_i32 s2, s1, s0
	s_cmp_ge_u32 s1, s0
	s_cselect_b32 s1, s2, s1
	s_delay_alu instid0(SALU_CYCLE_1) | instskip(SKIP_2) | instid1(SALU_CYCLE_1)
	s_sub_i32 s2, s1, s0
	s_cmp_ge_u32 s1, s0
	s_cselect_b32 s0, s2, s1
	s_sub_i32 s6, s10, s0
	s_delay_alu instid0(SALU_CYCLE_1)
	v_cmpx_gt_i32_e64 s6, v0
	s_cbranch_execz .LBB251_61
; %bb.58:
	v_dual_mov_b32 v2, 0 :: v_dual_mov_b32 v1, v0
	s_lshl_b32 s8, s22, 1
	s_mul_i32 s9, s22, 3
	s_add_i32 s23, s22, s22
.LBB251_59:                             ; =>This Inner Loop Header: Depth=1
	s_delay_alu instid0(VALU_DEP_1) | instskip(SKIP_3) | instid1(VALU_DEP_4)
	v_lshlrev_b64 v[3:4], 2, v[1:2]
	v_dual_mov_b32 v6, v2 :: v_dual_add_nc_u32 v5, s22, v1
	v_dual_mov_b32 v10, v2 :: v_dual_add_nc_u32 v9, s8, v1
	v_add_nc_u32_e32 v1, s9, v1
	v_add_co_u32 v13, vcc_lo, s20, v3
	s_delay_alu instid0(VALU_DEP_4)
	v_lshlrev_b64 v[6:7], 2, v[5:6]
	v_add_co_ci_u32_e32 v14, vcc_lo, s21, v4, vcc_lo
	v_lshlrev_b64 v[9:10], 2, v[9:10]
	v_lshlrev_b64 v[11:12], 2, v[1:2]
	v_add3_u32 v1, s23, s22, v5
	global_load_b32 v21, v[13:14], off
	v_add_co_u32 v13, vcc_lo, s20, v6
	v_add_co_ci_u32_e32 v14, vcc_lo, s21, v7, vcc_lo
	v_add_co_u32 v15, vcc_lo, s20, v9
	v_add_co_ci_u32_e32 v16, vcc_lo, s21, v10, vcc_lo
	;; [unrolled: 2-line block ×3, first 2 shown]
	s_clause 0x2
	global_load_b32 v22, v[13:14], off
	global_load_b32 v23, v[15:16], off
	;; [unrolled: 1-line block ×3, first 2 shown]
	v_add_co_u32 v13, vcc_lo, s12, v3
	v_add_co_ci_u32_e32 v14, vcc_lo, s13, v4, vcc_lo
	v_add_co_u32 v15, vcc_lo, s12, v6
	v_add_co_ci_u32_e32 v16, vcc_lo, s13, v7, vcc_lo
	;; [unrolled: 2-line block ×4, first 2 shown]
	s_clause 0x3
	global_load_b32 v13, v[13:14], off
	global_load_b32 v14, v[15:16], off
	;; [unrolled: 1-line block ×4, first 2 shown]
	v_add_co_u32 v5, s0, s18, v6
	s_delay_alu instid0(VALU_DEP_1) | instskip(SKIP_4) | instid1(VALU_DEP_1)
	v_add_co_ci_u32_e64 v6, s0, s19, v7, s0
	v_add_co_u32 v3, vcc_lo, s18, v3
	v_add_co_ci_u32_e32 v4, vcc_lo, s19, v4, vcc_lo
	v_cmp_le_i32_e32 vcc_lo, s6, v1
	v_add_co_u32 v9, s0, s18, v9
	v_add_co_ci_u32_e64 v10, s0, s19, v10, s0
	v_add_co_u32 v11, s0, s18, v11
	s_delay_alu instid0(VALU_DEP_1)
	v_add_co_ci_u32_e64 v12, s0, s19, v12, s0
	s_or_b32 s7, vcc_lo, s7
	s_waitcnt vmcnt(7)
	v_cmp_ngt_f32_e64 s1, 0xc2ce8ed0, v21
	v_cmp_nlt_f32_e64 s4, 0x42b17218, v21
	s_waitcnt vmcnt(4)
	v_dual_mul_f32 v20, 0x3fb8aa3b, v23 :: v_dual_mul_f32 v25, 0x3fb8aa3b, v24
	v_cmp_ngt_f32_e64 s3, 0xc2ce8ed0, v24
	v_cmp_ngt_f32_e64 s2, 0xc2ce8ed0, v23
	s_delay_alu instid0(VALU_DEP_3)
	v_fma_f32 v28, 0x3fb8aa3b, v23, -v20
	v_rndne_f32_e32 v29, v20
	v_mul_f32_e32 v19, 0x3fb8aa3b, v22
	v_fma_f32 v30, 0x3fb8aa3b, v24, -v25
	v_rndne_f32_e32 v31, v25
	v_fmac_f32_e32 v28, 0x32a5705f, v23
	v_sub_f32_e32 v20, v20, v29
	v_mul_f32_e32 v7, 0x3fb8aa3b, v21
	v_fma_f32 v26, 0x3fb8aa3b, v22, -v19
	v_rndne_f32_e32 v27, v19
	s_delay_alu instid0(VALU_DEP_4) | instskip(NEXT) | instid1(VALU_DEP_4)
	v_dual_sub_f32 v25, v25, v31 :: v_dual_add_f32 v20, v20, v28
	v_fma_f32 v17, 0x3fb8aa3b, v21, -v7
	v_rndne_f32_e32 v18, v7
	v_fmac_f32_e32 v26, 0x32a5705f, v22
	v_fmac_f32_e32 v30, 0x32a5705f, v24
	v_exp_f32_e32 v20, v20
	v_fmac_f32_e32 v17, 0x32a5705f, v21
	v_sub_f32_e32 v7, v7, v18
	v_cvt_i32_f32_e32 v18, v18
	v_add_f32_e32 v25, v25, v30
	s_delay_alu instid0(VALU_DEP_3) | instskip(SKIP_1) | instid1(VALU_DEP_3)
	v_add_f32_e32 v7, v7, v17
	v_sub_f32_e32 v17, v19, v27
	v_exp_f32_e32 v25, v25
	v_cvt_i32_f32_e32 v19, v27
	v_cvt_i32_f32_e32 v27, v29
	v_exp_f32_e32 v7, v7
	v_add_f32_e32 v17, v17, v26
	v_cvt_i32_f32_e32 v29, v31
	s_delay_alu instid0(VALU_DEP_2) | instskip(SKIP_3) | instid1(VALU_DEP_2)
	v_exp_f32_e32 v17, v17
	s_waitcnt_depctr 0xfff
	v_ldexp_f32 v7, v7, v18
	v_ldexp_f32 v18, v20, v27
	v_cndmask_b32_e64 v7, 0, v7, s1
	v_ldexp_f32 v17, v17, v19
	v_cmp_ngt_f32_e64 s1, 0xc2ce8ed0, v22
	v_ldexp_f32 v19, v25, v29
	v_cndmask_b32_e64 v18, 0, v18, s2
	v_cmp_nlt_f32_e64 s2, 0x42b17218, v24
	v_cndmask_b32_e64 v7, 0x7f800000, v7, s4
	v_cndmask_b32_e64 v17, 0, v17, s1
	;; [unrolled: 1-line block ×3, first 2 shown]
	v_cmp_nlt_f32_e64 s3, 0x42b17218, v22
	v_cmp_nlt_f32_e64 s1, 0x42b17218, v23
	s_waitcnt vmcnt(3) lgkmcnt(0)
	v_fma_f32 v7, -v8, v7, v13
	v_cndmask_b32_e64 v19, 0x7f800000, v19, s2
	v_cndmask_b32_e64 v17, 0x7f800000, v17, s3
	;; [unrolled: 1-line block ×3, first 2 shown]
	s_waitcnt vmcnt(2)
	s_delay_alu instid0(VALU_DEP_2) | instskip(SKIP_1) | instid1(VALU_DEP_2)
	v_fma_f32 v13, -v8, v17, v14
	s_waitcnt vmcnt(1)
	v_fma_f32 v14, -v8, v18, v15
	s_waitcnt vmcnt(0)
	v_fma_f32 v15, -v8, v19, v16
	s_clause 0x3
	global_store_b32 v[3:4], v7, off
	global_store_b32 v[5:6], v13, off
	;; [unrolled: 1-line block ×4, first 2 shown]
	s_and_not1_b32 exec_lo, exec_lo, s7
	s_cbranch_execnz .LBB251_59
; %bb.60:
	s_or_b32 exec_lo, exec_lo, s7
.LBB251_61:
	s_delay_alu instid0(SALU_CYCLE_1) | instskip(NEXT) | instid1(SALU_CYCLE_1)
	s_or_b32 exec_lo, exec_lo, s5
	s_mov_b32 s1, exec_lo
	v_cmpx_gt_i32_e64 s10, v1
	s_cbranch_execz .LBB251_64
; %bb.62:
	s_mov_b32 s2, 0
	s_set_inst_prefetch_distance 0x1
	.p2align	6
.LBB251_63:                             ; =>This Inner Loop Header: Depth=1
	v_ashrrev_i32_e32 v2, 31, v1
	s_delay_alu instid0(VALU_DEP_1) | instskip(SKIP_1) | instid1(VALU_DEP_2)
	v_lshlrev_b64 v[2:3], 2, v[1:2]
	v_add_nc_u32_e32 v1, s22, v1
	v_add_co_u32 v4, vcc_lo, s20, v2
	s_delay_alu instid0(VALU_DEP_3) | instskip(SKIP_4) | instid1(VALU_DEP_1)
	v_add_co_ci_u32_e32 v5, vcc_lo, s21, v3, vcc_lo
	global_load_b32 v6, v[4:5], off
	v_add_co_u32 v4, vcc_lo, s12, v2
	v_add_co_ci_u32_e32 v5, vcc_lo, s13, v3, vcc_lo
	v_add_co_u32 v2, s0, s18, v2
	v_add_co_ci_u32_e64 v3, s0, s19, v3, s0
	global_load_b32 v4, v[4:5], off
	s_waitcnt vmcnt(1)
	v_mul_f32_e32 v5, 0x3fb8aa3b, v6
	v_cmp_ngt_f32_e32 vcc_lo, 0xc2ce8ed0, v6
	s_delay_alu instid0(VALU_DEP_2) | instskip(SKIP_1) | instid1(VALU_DEP_2)
	v_fma_f32 v7, 0x3fb8aa3b, v6, -v5
	v_rndne_f32_e32 v9, v5
	v_fmac_f32_e32 v7, 0x32a5705f, v6
	s_delay_alu instid0(VALU_DEP_2) | instskip(NEXT) | instid1(VALU_DEP_1)
	v_sub_f32_e32 v5, v5, v9
	v_add_f32_e32 v5, v5, v7
	v_cvt_i32_f32_e32 v7, v9
	s_delay_alu instid0(VALU_DEP_2) | instskip(SKIP_2) | instid1(VALU_DEP_1)
	v_exp_f32_e32 v5, v5
	s_waitcnt_depctr 0xfff
	v_ldexp_f32 v5, v5, v7
	v_cndmask_b32_e32 v5, 0, v5, vcc_lo
	v_cmp_nlt_f32_e32 vcc_lo, 0x42b17218, v6
	s_delay_alu instid0(VALU_DEP_2) | instskip(SKIP_2) | instid1(VALU_DEP_2)
	v_cndmask_b32_e32 v5, 0x7f800000, v5, vcc_lo
	v_cmp_le_i32_e32 vcc_lo, s10, v1
	s_waitcnt vmcnt(0) lgkmcnt(0)
	v_fma_f32 v4, -v8, v5, v4
	s_or_b32 s2, vcc_lo, s2
	global_store_b32 v[2:3], v4, off
	s_and_not1_b32 exec_lo, exec_lo, s2
	s_cbranch_execnz .LBB251_63
.LBB251_64:
	s_set_inst_prefetch_distance 0x2
	s_or_b32 exec_lo, exec_lo, s1
	s_mov_b32 s0, 0
.LBB251_65:
	s_delay_alu instid0(SALU_CYCLE_1)
	s_and_not1_b32 vcc_lo, exec_lo, s0
	s_cbranch_vccnz .LBB251_93
.LBB251_66:
	s_cmp_lg_u64 s[24:25], 0
	s_mov_b32 s1, -1
	s_cselect_b32 s33, -1, 0
	s_and_b32 vcc_lo, exec_lo, s14
	v_cndmask_b32_e64 v1, 0, 1, s33
	s_delay_alu instid0(VALU_DEP_1)
	v_cmp_ne_u32_e64 s0, 1, v1
	s_cbranch_vccz .LBB251_81
; %bb.67:
	v_mov_b32_e32 v1, 0
	s_delay_alu instid0(VALU_DEP_2)
	s_and_b32 vcc_lo, exec_lo, s0
	s_mov_b64 s[4:5], s[10:11]
	s_mov_b64 s[6:7], s[18:19]
	;; [unrolled: 1-line block ×4, first 2 shown]
	s_cbranch_vccnz .LBB251_71
; %bb.68:
	s_lshl_b32 s2, s24, 2
	s_mov_b32 s23, 0
	s_sub_u32 s0, s18, s2
	s_subb_u32 s1, s19, 0
	s_sub_u32 s8, s20, s2
	s_subb_u32 s9, s21, 0
	;; [unrolled: 2-line block ×3, first 2 shown]
	s_mov_b32 s4, exec_lo
	v_cmpx_le_u64_e64 s[24:25], v[0:1]
	s_cbranch_execz .LBB251_70
; %bb.69:
	v_lshlrev_b64 v[2:3], 2, v[0:1]
	s_delay_alu instid0(VALU_DEP_1) | instskip(NEXT) | instid1(VALU_DEP_2)
	v_add_co_u32 v4, vcc_lo, s8, v2
	v_add_co_ci_u32_e32 v5, vcc_lo, s9, v3, vcc_lo
	global_load_b32 v6, v[4:5], off
	v_add_co_u32 v4, vcc_lo, s2, v2
	v_add_co_ci_u32_e32 v5, vcc_lo, s3, v3, vcc_lo
	global_load_b32 v4, v[4:5], off
	s_waitcnt vmcnt(1)
	v_mul_f32_e32 v5, 0x3fb8aa3b, v6
	v_cmp_ngt_f32_e32 vcc_lo, 0xc2ce8ed0, v6
	s_delay_alu instid0(VALU_DEP_2) | instskip(SKIP_1) | instid1(VALU_DEP_2)
	v_fma_f32 v7, 0x3fb8aa3b, v6, -v5
	v_rndne_f32_e32 v9, v5
	v_fmamk_f32 v7, v6, 0x32a5705f, v7
	s_delay_alu instid0(VALU_DEP_2) | instskip(NEXT) | instid1(VALU_DEP_1)
	v_sub_f32_e32 v5, v5, v9
	v_add_f32_e32 v5, v5, v7
	v_cvt_i32_f32_e32 v7, v9
	s_delay_alu instid0(VALU_DEP_2) | instskip(SKIP_2) | instid1(VALU_DEP_1)
	v_exp_f32_e32 v5, v5
	s_waitcnt_depctr 0xfff
	v_ldexp_f32 v5, v5, v7
	v_cndmask_b32_e32 v5, 0, v5, vcc_lo
	v_cmp_nlt_f32_e32 vcc_lo, 0x42b17218, v6
	s_delay_alu instid0(VALU_DEP_2) | instskip(SKIP_3) | instid1(VALU_DEP_3)
	v_cndmask_b32_e32 v5, 0x7f800000, v5, vcc_lo
	v_add_co_u32 v2, vcc_lo, s0, v2
	v_add_co_ci_u32_e32 v3, vcc_lo, s1, v3, vcc_lo
	s_waitcnt vmcnt(0) lgkmcnt(0)
	v_fma_f32 v4, -v8, v5, v4
	global_store_b32 v[2:3], v4, off
.LBB251_70:
	s_or_b32 exec_lo, exec_lo, s4
	s_add_u32 s4, s24, s10
	s_addc_u32 s5, 0, s11
	s_delay_alu instid0(SALU_CYCLE_1) | instskip(NEXT) | instid1(VALU_DEP_1)
	v_cmp_lt_i64_e64 s6, s[4:5], s[22:23]
	s_and_b32 s6, s6, exec_lo
	s_cselect_b32 s6, s4, s22
	s_cselect_b32 s7, s5, 0
	s_sub_u32 s4, s4, s6
	s_subb_u32 s5, s5, s7
	s_lshl_b32 s11, s22, 2
	s_delay_alu instid0(SALU_CYCLE_1)
	s_add_u32 s6, s0, s11
	s_addc_u32 s7, s1, 0
	s_add_u32 s8, s8, s11
	s_addc_u32 s9, s9, 0
	;; [unrolled: 2-line block ×3, first 2 shown]
.LBB251_71:
	s_load_b32 s0, s[16:17], 0x0
	v_mov_b32_e32 v2, 0
	s_mov_b32 s2, 0
	s_mov_b32 s3, s5
	s_waitcnt lgkmcnt(0)
	s_cmp_lt_u32 s15, s0
	s_cselect_b32 s0, 12, 18
	s_delay_alu instid0(SALU_CYCLE_1) | instskip(SKIP_4) | instid1(VALU_DEP_1)
	s_add_u32 s0, s16, s0
	s_addc_u32 s1, s17, 0
	global_load_u16 v2, v2, s[0:1]
	s_waitcnt vmcnt(0)
	v_readfirstlane_b32 s0, v2
	s_and_b32 s11, s0, 0xffff
	s_delay_alu instid0(SALU_CYCLE_1)
	s_lshl_b32 s14, s11, 2
	s_cmp_lg_u64 s[2:3], 0
	s_cbranch_scc0 .LBB251_94
; %bb.72:
	v_cvt_f32_ubyte0_e32 v2, 0
	v_cvt_f32_u32_e32 v3, s14
	s_sub_u32 s3, 0, s14
	s_subb_u32 s23, 0, 0
	s_delay_alu instid0(VALU_DEP_1) | instskip(NEXT) | instid1(VALU_DEP_1)
	v_fmamk_f32 v2, v2, 0x4f800000, v3
	v_rcp_f32_e32 v2, v2
	s_waitcnt_depctr 0xfff
	v_mul_f32_e32 v2, 0x5f7ffffc, v2
	s_delay_alu instid0(VALU_DEP_1) | instskip(NEXT) | instid1(VALU_DEP_1)
	v_mul_f32_e32 v3, 0x2f800000, v2
	v_trunc_f32_e32 v3, v3
	s_delay_alu instid0(VALU_DEP_1) | instskip(SKIP_1) | instid1(VALU_DEP_2)
	v_fmamk_f32 v2, v3, 0xcf800000, v2
	v_cvt_u32_f32_e32 v3, v3
	v_cvt_u32_f32_e32 v2, v2
	s_delay_alu instid0(VALU_DEP_2) | instskip(NEXT) | instid1(VALU_DEP_2)
	v_readfirstlane_b32 s0, v3
	v_readfirstlane_b32 s1, v2
	s_delay_alu instid0(VALU_DEP_2) | instskip(NEXT) | instid1(VALU_DEP_1)
	s_mul_i32 s25, s3, s0
	s_mul_hi_u32 s29, s3, s1
	s_mul_i32 s28, s23, s1
	s_add_i32 s25, s29, s25
	s_mul_i32 s30, s3, s1
	s_add_i32 s25, s25, s28
	s_mul_hi_u32 s29, s1, s30
	s_mul_hi_u32 s31, s0, s30
	s_mul_i32 s28, s0, s30
	s_mul_hi_u32 s30, s1, s25
	s_mul_i32 s1, s1, s25
	s_mul_hi_u32 s34, s0, s25
	s_add_u32 s1, s29, s1
	s_addc_u32 s29, 0, s30
	s_add_u32 s1, s1, s28
	s_mul_i32 s25, s0, s25
	s_addc_u32 s1, s29, s31
	s_addc_u32 s28, s34, 0
	s_add_u32 s1, s1, s25
	s_addc_u32 s25, 0, s28
	v_add_co_u32 v2, s1, v2, s1
	s_delay_alu instid0(VALU_DEP_1) | instskip(SKIP_1) | instid1(VALU_DEP_1)
	s_cmp_lg_u32 s1, 0
	s_addc_u32 s0, s0, s25
	v_readfirstlane_b32 s1, v2
	s_mul_i32 s25, s3, s0
	s_delay_alu instid0(VALU_DEP_1)
	s_mul_hi_u32 s28, s3, s1
	s_mul_i32 s23, s23, s1
	s_add_i32 s25, s28, s25
	s_mul_i32 s3, s3, s1
	s_add_i32 s25, s25, s23
	s_mul_hi_u32 s28, s0, s3
	s_mul_i32 s29, s0, s3
	s_mul_hi_u32 s3, s1, s3
	s_mul_hi_u32 s30, s1, s25
	s_mul_i32 s1, s1, s25
	s_mul_hi_u32 s23, s0, s25
	s_add_u32 s1, s3, s1
	s_addc_u32 s3, 0, s30
	s_add_u32 s1, s1, s29
	s_mul_i32 s25, s0, s25
	s_addc_u32 s1, s3, s28
	s_addc_u32 s3, s23, 0
	s_add_u32 s1, s1, s25
	s_addc_u32 s3, 0, s3
	v_add_co_u32 v2, s1, v2, s1
	s_delay_alu instid0(VALU_DEP_1) | instskip(SKIP_2) | instid1(VALU_DEP_1)
	s_cmp_lg_u32 s1, 0
	s_addc_u32 s3, s0, s3
	s_ashr_i32 s28, s5, 31
	v_readfirstlane_b32 s23, v2
	s_add_u32 s0, s4, s28
	s_mov_b32 s29, s28
	s_addc_u32 s1, s5, s28
	s_delay_alu instid0(SALU_CYCLE_1) | instskip(NEXT) | instid1(SALU_CYCLE_1)
	s_xor_b64 s[0:1], s[0:1], s[28:29]
	s_mul_i32 s29, s0, s3
	s_mul_hi_u32 s30, s0, s23
	s_mul_hi_u32 s25, s0, s3
	;; [unrolled: 1-line block ×3, first 2 shown]
	s_mul_i32 s23, s1, s23
	s_add_u32 s29, s30, s29
	s_addc_u32 s25, 0, s25
	s_mul_hi_u32 s31, s1, s3
	s_add_u32 s23, s29, s23
	s_mul_i32 s3, s1, s3
	s_addc_u32 s23, s25, s34
	s_addc_u32 s25, s31, 0
	s_add_u32 s3, s23, s3
	s_addc_u32 s23, 0, s25
	s_mul_hi_u32 s25, s14, s3
	s_mul_i32 s3, s14, s3
	s_mul_i32 s23, s14, s23
	v_sub_co_u32 v2, s0, s0, s3
	s_add_i32 s25, s25, s23
	s_cmp_lg_u32 s0, 0
	s_delay_alu instid0(VALU_DEP_1) | instskip(SKIP_2) | instid1(VALU_DEP_1)
	v_sub_co_u32 v3, s0, v2, s14
	s_subb_u32 s1, s1, s25
	s_cmp_lg_u32 s0, 0
	v_cmp_le_u32_e32 vcc_lo, s14, v3
	v_sub_co_u32 v4, s0, v3, s14
	s_subb_u32 s3, s1, 0
	s_cmp_lg_u32 s0, 0
	v_cndmask_b32_e64 v5, 0, -1, vcc_lo
	s_subb_u32 s0, s3, 0
	s_cmp_eq_u32 s3, 0
	v_mov_b32_e32 v7, s0
	s_cselect_b32 vcc_lo, -1, 0
	s_cmp_eq_u32 s1, 0
	v_cndmask_b32_e32 v5, -1, v5, vcc_lo
	v_cmp_le_u32_e32 vcc_lo, s14, v2
	s_cselect_b32 s0, -1, 0
	v_cndmask_b32_e64 v6, 0, -1, vcc_lo
	s_delay_alu instid0(VALU_DEP_3) | instskip(NEXT) | instid1(VALU_DEP_2)
	v_cmp_ne_u32_e32 vcc_lo, 0, v5
	v_cndmask_b32_e64 v5, -1, v6, s0
	v_cndmask_b32_e32 v6, s3, v7, vcc_lo
	v_cndmask_b32_e32 v3, v3, v4, vcc_lo
	s_delay_alu instid0(VALU_DEP_3) | instskip(NEXT) | instid1(VALU_DEP_2)
	v_cmp_ne_u32_e32 vcc_lo, 0, v5
	v_cndmask_b32_e32 v2, v2, v3, vcc_lo
	s_delay_alu instid0(VALU_DEP_4) | instskip(NEXT) | instid1(VALU_DEP_2)
	v_cndmask_b32_e32 v4, s1, v6, vcc_lo
	v_xor_b32_e32 v2, s28, v2
	s_delay_alu instid0(VALU_DEP_2) | instskip(NEXT) | instid1(VALU_DEP_2)
	v_xor_b32_e32 v3, s28, v4
	v_sub_co_u32 v2, vcc_lo, v2, s28
	s_delay_alu instid0(VALU_DEP_2)
	v_subrev_co_ci_u32_e32 v3, vcc_lo, s28, v3, vcc_lo
	s_and_not1_b32 vcc_lo, exec_lo, s2
	s_cbranch_vccnz .LBB251_74
.LBB251_73:
	v_cvt_f32_u32_e32 v2, s14
	s_sub_i32 s0, 0, s14
	s_delay_alu instid0(VALU_DEP_1) | instskip(SKIP_2) | instid1(VALU_DEP_1)
	v_rcp_iflag_f32_e32 v2, v2
	s_waitcnt_depctr 0xfff
	v_mul_f32_e32 v2, 0x4f7ffffe, v2
	v_cvt_u32_f32_e32 v2, v2
	s_delay_alu instid0(VALU_DEP_1) | instskip(NEXT) | instid1(VALU_DEP_1)
	v_mul_lo_u32 v3, s0, v2
	v_mul_hi_u32 v3, v2, v3
	s_delay_alu instid0(VALU_DEP_1) | instskip(NEXT) | instid1(VALU_DEP_1)
	v_add_nc_u32_e32 v2, v2, v3
	v_mul_hi_u32 v2, s4, v2
	s_delay_alu instid0(VALU_DEP_1) | instskip(NEXT) | instid1(VALU_DEP_1)
	v_mul_lo_u32 v2, v2, s14
	v_sub_nc_u32_e32 v2, s4, v2
	s_delay_alu instid0(VALU_DEP_1) | instskip(SKIP_1) | instid1(VALU_DEP_2)
	v_subrev_nc_u32_e32 v3, s14, v2
	v_cmp_le_u32_e32 vcc_lo, s14, v2
	v_cndmask_b32_e32 v2, v2, v3, vcc_lo
	s_delay_alu instid0(VALU_DEP_1) | instskip(SKIP_1) | instid1(VALU_DEP_2)
	v_subrev_nc_u32_e32 v3, s14, v2
	v_cmp_le_u32_e32 vcc_lo, s14, v2
	v_dual_cndmask_b32 v2, v2, v3 :: v_dual_mov_b32 v3, 0
.LBB251_74:
	s_delay_alu instid0(VALU_DEP_1) | instskip(SKIP_1) | instid1(VALU_DEP_3)
	v_sub_co_u32 v2, vcc_lo, s4, v2
	v_lshlrev_b64 v[4:5], 2, v[0:1]
	v_sub_co_ci_u32_e32 v3, vcc_lo, s5, v3, vcc_lo
	s_mov_b32 s3, exec_lo
	s_delay_alu instid0(VALU_DEP_1)
	v_cmpx_lt_i64_e64 v[4:5], v[2:3]
	s_cbranch_execz .LBB251_77
; %bb.75:
	v_lshlrev_b64 v[4:5], 4, v[0:1]
	v_dual_mov_b32 v7, v1 :: v_dual_mov_b32 v6, v0
	s_lshl_b32 s23, s11, 4
	s_mov_b32 s25, 0
	s_mov_b64 s[28:29], s[26:27]
	s_mov_b64 s[30:31], s[8:9]
	;; [unrolled: 1-line block ×3, first 2 shown]
.LBB251_76:                             ; =>This Inner Loop Header: Depth=1
	v_add_co_u32 v9, vcc_lo, s30, v4
	v_add_co_ci_u32_e32 v10, vcc_lo, s31, v5, vcc_lo
	v_add_co_u32 v13, vcc_lo, s28, v4
	v_add_co_ci_u32_e32 v14, vcc_lo, s29, v5, vcc_lo
	global_load_b128 v[9:12], v[9:10], off
	v_add_co_u32 v17, vcc_lo, s34, v4
	global_load_b128 v[13:16], v[13:14], off
	v_add_co_ci_u32_e32 v18, vcc_lo, s35, v5, vcc_lo
	v_add_co_u32 v6, vcc_lo, v6, s11
	v_add_co_ci_u32_e32 v7, vcc_lo, 0, v7, vcc_lo
	s_add_u32 s34, s34, s23
	s_addc_u32 s35, s35, 0
	s_add_u32 s30, s30, s23
	s_delay_alu instid0(VALU_DEP_1)
	v_lshlrev_b64 v[19:20], 2, v[6:7]
	s_addc_u32 s31, s31, 0
	s_add_u32 s28, s28, s23
	s_addc_u32 s29, s29, 0
	s_waitcnt vmcnt(1)
	v_dual_mul_f32 v1, 0x3fb8aa3b, v9 :: v_dual_mul_f32 v22, 0x3fb8aa3b, v11
	v_mul_f32_e32 v23, 0x3fb8aa3b, v12
	v_cmp_ngt_f32_e32 vcc_lo, 0xc2ce8ed0, v10
	v_cmp_ngt_f32_e64 s0, 0xc2ce8ed0, v11
	s_delay_alu instid0(VALU_DEP_4)
	v_fma_f32 v24, 0x3fb8aa3b, v9, -v1
	v_rndne_f32_e32 v29, v22
	v_mul_f32_e32 v21, 0x3fb8aa3b, v10
	v_rndne_f32_e32 v25, v1
	v_fma_f32 v28, 0x3fb8aa3b, v11, -v22
	v_fma_f32 v30, 0x3fb8aa3b, v12, -v23
	v_sub_f32_e32 v22, v22, v29
	v_fma_f32 v26, 0x3fb8aa3b, v10, -v21
	v_rndne_f32_e32 v27, v21
	v_fmac_f32_e32 v24, 0x32a5705f, v9
	v_sub_f32_e32 v1, v1, v25
	v_rndne_f32_e32 v31, v23
	s_delay_alu instid0(VALU_DEP_4) | instskip(NEXT) | instid1(VALU_DEP_3)
	v_dual_fmac_f32 v26, 0x32a5705f, v10 :: v_dual_sub_f32 v21, v21, v27
	v_dual_fmac_f32 v28, 0x32a5705f, v11 :: v_dual_add_f32 v1, v1, v24
	v_cvt_i32_f32_e32 v27, v27
	s_delay_alu instid0(VALU_DEP_4) | instskip(NEXT) | instid1(VALU_DEP_3)
	v_dual_fmac_f32 v30, 0x32a5705f, v12 :: v_dual_sub_f32 v23, v23, v31
	v_dual_add_f32 v21, v21, v26 :: v_dual_add_f32 v22, v22, v28
	s_delay_alu instid0(VALU_DEP_4) | instskip(SKIP_2) | instid1(VALU_DEP_3)
	v_exp_f32_e32 v1, v1
	v_cvt_i32_f32_e32 v25, v25
	v_cvt_i32_f32_e32 v29, v29
	v_exp_f32_e32 v21, v21
	v_exp_f32_e32 v22, v22
	v_cvt_i32_f32_e32 v31, v31
	v_cmp_ngt_f32_e64 s1, 0xc2ce8ed0, v12
	v_cmp_ngt_f32_e64 s2, 0xc2ce8ed0, v9
	s_delay_alu instid0(TRANS32_DEP_3)
	v_ldexp_f32 v1, v1, v25
	s_waitcnt_depctr 0xfff
	v_ldexp_f32 v21, v21, v27
	v_ldexp_f32 v22, v22, v29
	v_cndmask_b32_e64 v1, 0, v1, s2
	v_cmp_nlt_f32_e64 s2, 0x42b17218, v9
	s_delay_alu instid0(VALU_DEP_4)
	v_cndmask_b32_e32 v21, 0, v21, vcc_lo
	v_cmp_nlt_f32_e32 vcc_lo, 0x42b17218, v10
	v_add_f32_e32 v23, v23, v30
	v_cndmask_b32_e64 v10, 0, v22, s0
	v_cmp_nlt_f32_e64 s0, 0x42b17218, v11
	v_cndmask_b32_e64 v1, 0x7f800000, v1, s2
	s_delay_alu instid0(VALU_DEP_4) | instskip(SKIP_1) | instid1(VALU_DEP_1)
	v_exp_f32_e32 v23, v23
	s_waitcnt vmcnt(0)
	v_fma_f32 v9, -v8, v1, v13
	s_waitcnt_depctr 0xfff
	v_ldexp_f32 v23, v23, v31
	s_delay_alu instid0(VALU_DEP_1) | instskip(SKIP_4) | instid1(VALU_DEP_4)
	v_cndmask_b32_e64 v11, 0, v23, s1
	v_cmp_nlt_f32_e64 s1, 0x42b17218, v12
	v_cndmask_b32_e32 v12, 0x7f800000, v21, vcc_lo
	v_cndmask_b32_e64 v21, 0x7f800000, v10, s0
	v_cmp_ge_i64_e32 vcc_lo, v[19:20], v[2:3]
	v_cndmask_b32_e64 v22, 0x7f800000, v11, s1
	s_delay_alu instid0(VALU_DEP_4) | instskip(NEXT) | instid1(VALU_DEP_4)
	v_fma_f32 v10, -v8, v12, v14
	v_fma_f32 v11, -v8, v21, v15
	s_or_b32 s25, vcc_lo, s25
	s_delay_alu instid0(VALU_DEP_3)
	v_fma_f32 v12, -v8, v22, v16
	global_store_b128 v[17:18], v[9:12], off
	s_and_not1_b32 exec_lo, exec_lo, s25
	s_cbranch_execnz .LBB251_76
.LBB251_77:
	s_or_b32 exec_lo, exec_lo, s3
	v_add_co_u32 v1, vcc_lo, v2, v0
	v_add_co_ci_u32_e32 v2, vcc_lo, 0, v3, vcc_lo
	s_mov_b32 s1, exec_lo
	s_delay_alu instid0(VALU_DEP_1)
	v_cmpx_gt_i64_e64 s[4:5], v[1:2]
	s_cbranch_execz .LBB251_80
; %bb.78:
	v_lshlrev_b64 v[3:4], 2, v[1:2]
	s_mov_b32 s2, 0
.LBB251_79:                             ; =>This Inner Loop Header: Depth=1
	s_delay_alu instid0(VALU_DEP_1) | instskip(NEXT) | instid1(VALU_DEP_2)
	v_add_co_u32 v5, vcc_lo, s8, v3
	v_add_co_ci_u32_e32 v6, vcc_lo, s9, v4, vcc_lo
	v_add_co_u32 v1, s0, v1, s11
	s_delay_alu instid0(VALU_DEP_1)
	v_add_co_ci_u32_e64 v2, s0, 0, v2, s0
	global_load_b32 v7, v[5:6], off
	v_add_co_u32 v5, vcc_lo, s26, v3
	v_add_co_ci_u32_e32 v6, vcc_lo, s27, v4, vcc_lo
	global_load_b32 v9, v[5:6], off
	s_waitcnt vmcnt(1)
	v_mul_f32_e32 v5, 0x3fb8aa3b, v7
	v_cmp_ngt_f32_e64 s0, 0xc2ce8ed0, v7
	s_delay_alu instid0(VALU_DEP_2) | instskip(SKIP_1) | instid1(VALU_DEP_1)
	v_fma_f32 v6, 0x3fb8aa3b, v7, -v5
	v_rndne_f32_e32 v10, v5
	v_dual_fmac_f32 v6, 0x32a5705f, v7 :: v_dual_sub_f32 v5, v5, v10
	v_cvt_i32_f32_e32 v10, v10
	s_delay_alu instid0(VALU_DEP_2) | instskip(NEXT) | instid1(VALU_DEP_1)
	v_add_f32_e32 v5, v5, v6
	v_exp_f32_e32 v6, v5
	v_add_co_u32 v5, vcc_lo, s6, v3
	s_waitcnt_depctr 0xfff
	v_ldexp_f32 v6, v6, v10
	s_delay_alu instid0(VALU_DEP_1) | instskip(SKIP_3) | instid1(VALU_DEP_1)
	v_cndmask_b32_e64 v10, 0, v6, s0
	v_add_co_ci_u32_e32 v6, vcc_lo, s7, v4, vcc_lo
	v_cmp_nlt_f32_e32 vcc_lo, 0x42b17218, v7
	v_add_co_u32 v3, s0, v3, s14
	v_add_co_ci_u32_e64 v4, s0, 0, v4, s0
	v_cndmask_b32_e32 v7, 0x7f800000, v10, vcc_lo
	v_cmp_le_i64_e32 vcc_lo, s[4:5], v[1:2]
	s_waitcnt vmcnt(0)
	s_delay_alu instid0(VALU_DEP_2)
	v_fma_f32 v7, -v8, v7, v9
	s_or_b32 s2, vcc_lo, s2
	global_store_b32 v[5:6], v7, off
	s_and_not1_b32 exec_lo, exec_lo, s2
	s_cbranch_execnz .LBB251_79
.LBB251_80:
	s_or_b32 exec_lo, exec_lo, s1
	s_mov_b32 s1, 0
.LBB251_81:
	s_delay_alu instid0(SALU_CYCLE_1)
	s_and_b32 vcc_lo, exec_lo, s1
	s_cbranch_vccz .LBB251_93
; %bb.82:
	s_and_not1_b32 vcc_lo, exec_lo, s33
	s_cbranch_vccnz .LBB251_86
; %bb.83:
	s_lshl_b32 s1, s24, 2
	s_mov_b32 s6, exec_lo
	s_sub_u32 s3, s18, s1
	s_subb_u32 s4, s19, 0
	s_sub_u32 s0, s20, s1
	s_subb_u32 s5, s21, 0
	s_sub_u32 s1, s12, s1
	s_subb_u32 s2, s13, 0
	v_cmpx_le_u32_e64 s24, v0
	s_cbranch_execz .LBB251_85
; %bb.84:
	v_mov_b32_e32 v1, 0
	s_delay_alu instid0(VALU_DEP_1) | instskip(NEXT) | instid1(VALU_DEP_1)
	v_lshlrev_b64 v[1:2], 2, v[0:1]
	v_add_co_u32 v3, vcc_lo, s0, v1
	s_delay_alu instid0(VALU_DEP_2)
	v_add_co_ci_u32_e32 v4, vcc_lo, s5, v2, vcc_lo
	global_load_b32 v5, v[3:4], off
	v_add_co_u32 v3, vcc_lo, s1, v1
	v_add_co_ci_u32_e32 v4, vcc_lo, s2, v2, vcc_lo
	global_load_b32 v3, v[3:4], off
	s_waitcnt vmcnt(1)
	v_mul_f32_e32 v4, 0x3fb8aa3b, v5
	v_cmp_ngt_f32_e32 vcc_lo, 0xc2ce8ed0, v5
	s_delay_alu instid0(VALU_DEP_2) | instskip(SKIP_1) | instid1(VALU_DEP_2)
	v_fma_f32 v6, 0x3fb8aa3b, v5, -v4
	v_rndne_f32_e32 v7, v4
	v_fmamk_f32 v6, v5, 0x32a5705f, v6
	s_delay_alu instid0(VALU_DEP_2) | instskip(NEXT) | instid1(VALU_DEP_1)
	v_sub_f32_e32 v4, v4, v7
	v_add_f32_e32 v4, v4, v6
	v_cvt_i32_f32_e32 v6, v7
	s_delay_alu instid0(VALU_DEP_2) | instskip(SKIP_2) | instid1(VALU_DEP_1)
	v_exp_f32_e32 v4, v4
	s_waitcnt_depctr 0xfff
	v_ldexp_f32 v4, v4, v6
	v_cndmask_b32_e32 v4, 0, v4, vcc_lo
	v_cmp_nlt_f32_e32 vcc_lo, 0x42b17218, v5
	s_delay_alu instid0(VALU_DEP_2) | instskip(SKIP_3) | instid1(VALU_DEP_3)
	v_cndmask_b32_e32 v4, 0x7f800000, v4, vcc_lo
	v_add_co_u32 v1, vcc_lo, s3, v1
	v_add_co_ci_u32_e32 v2, vcc_lo, s4, v2, vcc_lo
	s_waitcnt vmcnt(0) lgkmcnt(0)
	v_fma_f32 v3, -v8, v4, v3
	global_store_b32 v[1:2], v3, off
.LBB251_85:
	s_or_b32 exec_lo, exec_lo, s6
	s_add_i32 s6, s24, s10
	s_delay_alu instid0(SALU_CYCLE_1) | instskip(SKIP_1) | instid1(SALU_CYCLE_1)
	v_sub_nc_u32_e64 v1, s6, s22 clamp
	s_lshl_b32 s6, s22, 2
	s_add_u32 s18, s3, s6
	s_addc_u32 s19, s4, 0
	s_delay_alu instid0(VALU_DEP_1)
	v_readfirstlane_b32 s10, v1
	s_add_u32 s20, s0, s6
	s_addc_u32 s21, s5, 0
	s_add_u32 s12, s1, s6
	s_addc_u32 s13, s2, 0
.LBB251_86:
	s_load_b32 s0, s[16:17], 0x0
	v_mov_b32_e32 v1, 0
	s_mov_b32 s3, 0
	s_waitcnt lgkmcnt(0)
	s_cmp_lt_u32 s15, s0
	s_cselect_b32 s0, 12, 18
	s_delay_alu instid0(SALU_CYCLE_1) | instskip(SKIP_4) | instid1(VALU_DEP_1)
	s_add_u32 s0, s16, s0
	s_addc_u32 s1, s17, 0
	global_load_u16 v3, v1, s[0:1]
	s_waitcnt vmcnt(0)
	v_readfirstlane_b32 s0, v3
	s_lshl_b32 s0, s0, 2
	s_delay_alu instid0(SALU_CYCLE_1) | instskip(SKIP_1) | instid1(VALU_DEP_1)
	v_cvt_f32_u32_e32 v1, s0
	s_sub_i32 s2, 0, s0
	v_rcp_iflag_f32_e32 v1, v1
	s_waitcnt_depctr 0xfff
	v_mul_f32_e32 v1, 0x4f7ffffe, v1
	s_delay_alu instid0(VALU_DEP_1) | instskip(NEXT) | instid1(VALU_DEP_1)
	v_cvt_u32_f32_e32 v1, v1
	v_readfirstlane_b32 s1, v1
	v_lshlrev_b32_e32 v1, 2, v0
	s_delay_alu instid0(VALU_DEP_2) | instskip(NEXT) | instid1(SALU_CYCLE_1)
	s_mul_i32 s2, s2, s1
	s_mul_hi_u32 s2, s1, s2
	s_delay_alu instid0(SALU_CYCLE_1) | instskip(NEXT) | instid1(SALU_CYCLE_1)
	s_add_i32 s1, s1, s2
	s_mul_hi_u32 s1, s10, s1
	s_delay_alu instid0(SALU_CYCLE_1) | instskip(NEXT) | instid1(SALU_CYCLE_1)
	s_mul_i32 s1, s1, s0
	s_sub_i32 s1, s10, s1
	s_delay_alu instid0(SALU_CYCLE_1) | instskip(SKIP_2) | instid1(SALU_CYCLE_1)
	s_sub_i32 s2, s1, s0
	s_cmp_ge_u32 s1, s0
	s_cselect_b32 s1, s2, s1
	s_sub_i32 s2, s1, s0
	s_cmp_ge_u32 s1, s0
	s_cselect_b32 s0, s2, s1
	s_mov_b32 s2, exec_lo
	s_sub_i32 s1, s10, s0
	s_delay_alu instid0(SALU_CYCLE_1)
	v_cmpx_gt_i32_e64 s1, v1
	s_cbranch_execz .LBB251_89
; %bb.87:
	v_mov_b32_e32 v1, v0
.LBB251_88:                             ; =>This Inner Loop Header: Depth=1
	s_delay_alu instid0(VALU_DEP_1) | instskip(NEXT) | instid1(VALU_DEP_1)
	v_ashrrev_i32_e32 v2, 31, v1
	v_lshlrev_b64 v[13:14], 4, v[1:2]
	v_add_nc_u32_e32 v1, v1, v3
	s_delay_alu instid0(VALU_DEP_2) | instskip(NEXT) | instid1(VALU_DEP_3)
	v_add_co_u32 v4, vcc_lo, s20, v13
	v_add_co_ci_u32_e32 v5, vcc_lo, s21, v14, vcc_lo
	v_add_co_u32 v9, vcc_lo, s12, v13
	v_add_co_ci_u32_e32 v10, vcc_lo, s13, v14, vcc_lo
	global_load_b128 v[4:7], v[4:5], off
	global_load_b128 v[9:12], v[9:10], off
	s_waitcnt vmcnt(1)
	v_dual_mul_f32 v2, 0x3fb8aa3b, v4 :: v_dual_mul_f32 v15, 0x3fb8aa3b, v5
	v_dual_mul_f32 v16, 0x3fb8aa3b, v6 :: v_dual_mul_f32 v17, 0x3fb8aa3b, v7
	v_cmp_ngt_f32_e32 vcc_lo, 0xc2ce8ed0, v4
	s_delay_alu instid0(VALU_DEP_3)
	v_fma_f32 v18, 0x3fb8aa3b, v4, -v2
	v_rndne_f32_e32 v19, v2
	v_fma_f32 v20, 0x3fb8aa3b, v5, -v15
	v_fma_f32 v24, 0x3fb8aa3b, v7, -v17
	v_rndne_f32_e32 v25, v17
	v_rndne_f32_e32 v21, v15
	v_fmac_f32_e32 v18, 0x32a5705f, v4
	v_sub_f32_e32 v2, v2, v19
	s_delay_alu instid0(VALU_DEP_4) | instskip(SKIP_2) | instid1(VALU_DEP_4)
	v_dual_fmac_f32 v24, 0x32a5705f, v7 :: v_dual_sub_f32 v17, v17, v25
	v_fma_f32 v22, 0x3fb8aa3b, v6, -v16
	v_fmac_f32_e32 v20, 0x32a5705f, v5
	v_dual_sub_f32 v15, v15, v21 :: v_dual_add_f32 v2, v2, v18
	s_delay_alu instid0(VALU_DEP_3) | instskip(SKIP_1) | instid1(VALU_DEP_3)
	v_dual_add_f32 v17, v17, v24 :: v_dual_fmac_f32 v22, 0x32a5705f, v6
	v_rndne_f32_e32 v23, v16
	v_add_f32_e32 v15, v15, v20
	s_delay_alu instid0(VALU_DEP_4) | instskip(NEXT) | instid1(VALU_DEP_3)
	v_exp_f32_e32 v2, v2
	v_exp_f32_e32 v17, v17
	v_cvt_i32_f32_e32 v18, v19
	v_cvt_i32_f32_e32 v19, v21
	v_exp_f32_e32 v15, v15
	v_cvt_i32_f32_e32 v21, v25
	v_cvt_i32_f32_e32 v20, v23
	s_delay_alu instid0(TRANS32_DEP_3)
	v_ldexp_f32 v2, v2, v18
	s_delay_alu instid0(TRANS32_DEP_2) | instid1(VALU_DEP_3)
	v_ldexp_f32 v17, v17, v21
	v_sub_f32_e32 v16, v16, v23
	s_waitcnt_depctr 0xfff
	v_ldexp_f32 v15, v15, v19
	v_cndmask_b32_e32 v2, 0, v2, vcc_lo
	v_cmp_ngt_f32_e32 vcc_lo, 0xc2ce8ed0, v5
	s_delay_alu instid0(VALU_DEP_3) | instskip(NEXT) | instid1(VALU_DEP_1)
	v_dual_add_f32 v16, v16, v22 :: v_dual_cndmask_b32 v15, 0, v15
	v_exp_f32_e32 v16, v16
	v_cmp_ngt_f32_e32 vcc_lo, 0xc2ce8ed0, v6
	s_waitcnt_depctr 0xfff
	v_ldexp_f32 v16, v16, v20
	s_delay_alu instid0(VALU_DEP_1)
	v_cndmask_b32_e32 v16, 0, v16, vcc_lo
	v_cmp_ngt_f32_e32 vcc_lo, 0xc2ce8ed0, v7
	v_cndmask_b32_e32 v17, 0, v17, vcc_lo
	v_cmp_nlt_f32_e32 vcc_lo, 0x42b17218, v4
	v_cndmask_b32_e32 v2, 0x7f800000, v2, vcc_lo
	v_cmp_nlt_f32_e32 vcc_lo, 0x42b17218, v5
	v_lshlrev_b32_e32 v22, 2, v1
	s_waitcnt vmcnt(0)
	s_delay_alu instid0(VALU_DEP_3) | instskip(SKIP_3) | instid1(VALU_DEP_3)
	v_fma_f32 v4, -v8, v2, v9
	v_cndmask_b32_e32 v5, 0x7f800000, v15, vcc_lo
	v_cmp_nlt_f32_e32 vcc_lo, 0x42b17218, v6
	v_add_co_u32 v9, s0, s18, v13
	v_fma_f32 v5, -v8, v5, v10
	v_cndmask_b32_e32 v6, 0x7f800000, v16, vcc_lo
	v_cmp_nlt_f32_e32 vcc_lo, 0x42b17218, v7
	v_add_co_ci_u32_e64 v10, s0, s19, v14, s0
	s_delay_alu instid0(VALU_DEP_3) | instskip(SKIP_2) | instid1(VALU_DEP_2)
	v_fma_f32 v6, -v8, v6, v11
	v_cndmask_b32_e32 v7, 0x7f800000, v17, vcc_lo
	v_cmp_le_i32_e32 vcc_lo, s1, v22
	v_fma_f32 v7, -v8, v7, v12
	s_or_b32 s3, vcc_lo, s3
	global_store_b128 v[9:10], v[4:7], off
	s_and_not1_b32 exec_lo, exec_lo, s3
	s_cbranch_execnz .LBB251_88
.LBB251_89:
	s_or_b32 exec_lo, exec_lo, s2
	v_add_nc_u32_e32 v0, s1, v0
	s_mov_b32 s0, exec_lo
	s_delay_alu instid0(VALU_DEP_1)
	v_cmpx_gt_i32_e64 s10, v0
	s_cbranch_execz .LBB251_93
; %bb.90:
	s_mov_b32 s1, 0
	s_set_inst_prefetch_distance 0x1
	.p2align	6
.LBB251_91:                             ; =>This Inner Loop Header: Depth=1
	v_ashrrev_i32_e32 v1, 31, v0
	s_delay_alu instid0(VALU_DEP_1) | instskip(SKIP_1) | instid1(VALU_DEP_2)
	v_lshlrev_b64 v[1:2], 2, v[0:1]
	v_add_nc_u32_e32 v0, v0, v3
	v_add_co_u32 v4, vcc_lo, s20, v1
	s_delay_alu instid0(VALU_DEP_3) | instskip(SKIP_4) | instid1(VALU_DEP_1)
	v_add_co_ci_u32_e32 v5, vcc_lo, s21, v2, vcc_lo
	global_load_b32 v6, v[4:5], off
	v_add_co_u32 v4, vcc_lo, s12, v1
	v_add_co_ci_u32_e32 v5, vcc_lo, s13, v2, vcc_lo
	v_add_co_u32 v1, s0, s18, v1
	v_add_co_ci_u32_e64 v2, s0, s19, v2, s0
	global_load_b32 v4, v[4:5], off
	s_waitcnt vmcnt(1)
	v_mul_f32_e32 v5, 0x3fb8aa3b, v6
	v_cmp_ngt_f32_e32 vcc_lo, 0xc2ce8ed0, v6
	s_delay_alu instid0(VALU_DEP_2) | instskip(SKIP_1) | instid1(VALU_DEP_2)
	v_fma_f32 v7, 0x3fb8aa3b, v6, -v5
	v_rndne_f32_e32 v9, v5
	v_fmac_f32_e32 v7, 0x32a5705f, v6
	s_delay_alu instid0(VALU_DEP_2) | instskip(NEXT) | instid1(VALU_DEP_1)
	v_sub_f32_e32 v5, v5, v9
	v_add_f32_e32 v5, v5, v7
	v_cvt_i32_f32_e32 v7, v9
	s_delay_alu instid0(VALU_DEP_2) | instskip(SKIP_2) | instid1(VALU_DEP_1)
	v_exp_f32_e32 v5, v5
	s_waitcnt_depctr 0xfff
	v_ldexp_f32 v5, v5, v7
	v_cndmask_b32_e32 v5, 0, v5, vcc_lo
	v_cmp_nlt_f32_e32 vcc_lo, 0x42b17218, v6
	s_delay_alu instid0(VALU_DEP_2) | instskip(SKIP_2) | instid1(VALU_DEP_2)
	v_cndmask_b32_e32 v5, 0x7f800000, v5, vcc_lo
	v_cmp_le_i32_e32 vcc_lo, s10, v0
	s_waitcnt vmcnt(0)
	v_fma_f32 v4, -v8, v5, v4
	s_or_b32 s1, vcc_lo, s1
	global_store_b32 v[1:2], v4, off
	s_and_not1_b32 exec_lo, exec_lo, s1
	s_cbranch_execnz .LBB251_91
	s_branch .LBB251_93
.LBB251_92:
	s_cbranch_execz .LBB251_66
.LBB251_93:
	s_set_inst_prefetch_distance 0x2
	s_nop 0
	s_sendmsg sendmsg(MSG_DEALLOC_VGPRS)
	s_endpgm
.LBB251_94:
                                        ; implicit-def: $vgpr2_vgpr3
	s_branch .LBB251_73
	.section	.rodata,"a",@progbits
	.p2align	6, 0x0
	.amdhsa_kernel _ZN2at6native12_GLOBAL__N_120cunn_SoftMaxBackwardILi4EfffNS1_26LogSoftMaxBackwardEpilogueEEEvPT0_PKT2_S8_l
		.amdhsa_group_segment_fixed_size 0
		.amdhsa_private_segment_fixed_size 0
		.amdhsa_kernarg_size 288
		.amdhsa_user_sgpr_count 15
		.amdhsa_user_sgpr_dispatch_ptr 0
		.amdhsa_user_sgpr_queue_ptr 0
		.amdhsa_user_sgpr_kernarg_segment_ptr 1
		.amdhsa_user_sgpr_dispatch_id 0
		.amdhsa_user_sgpr_private_segment_size 0
		.amdhsa_wavefront_size32 1
		.amdhsa_uses_dynamic_stack 0
		.amdhsa_enable_private_segment 0
		.amdhsa_system_sgpr_workgroup_id_x 1
		.amdhsa_system_sgpr_workgroup_id_y 0
		.amdhsa_system_sgpr_workgroup_id_z 0
		.amdhsa_system_sgpr_workgroup_info 0
		.amdhsa_system_vgpr_workitem_id 0
		.amdhsa_next_free_vgpr 34
		.amdhsa_next_free_sgpr 60
		.amdhsa_reserve_vcc 1
		.amdhsa_float_round_mode_32 0
		.amdhsa_float_round_mode_16_64 0
		.amdhsa_float_denorm_mode_32 3
		.amdhsa_float_denorm_mode_16_64 3
		.amdhsa_dx10_clamp 1
		.amdhsa_ieee_mode 1
		.amdhsa_fp16_overflow 0
		.amdhsa_workgroup_processor_mode 1
		.amdhsa_memory_ordered 1
		.amdhsa_forward_progress 0
		.amdhsa_shared_vgpr_count 0
		.amdhsa_exception_fp_ieee_invalid_op 0
		.amdhsa_exception_fp_denorm_src 0
		.amdhsa_exception_fp_ieee_div_zero 0
		.amdhsa_exception_fp_ieee_overflow 0
		.amdhsa_exception_fp_ieee_underflow 0
		.amdhsa_exception_fp_ieee_inexact 0
		.amdhsa_exception_int_div_zero 0
	.end_amdhsa_kernel
	.section	.text._ZN2at6native12_GLOBAL__N_120cunn_SoftMaxBackwardILi4EfffNS1_26LogSoftMaxBackwardEpilogueEEEvPT0_PKT2_S8_l,"axG",@progbits,_ZN2at6native12_GLOBAL__N_120cunn_SoftMaxBackwardILi4EfffNS1_26LogSoftMaxBackwardEpilogueEEEvPT0_PKT2_S8_l,comdat
.Lfunc_end251:
	.size	_ZN2at6native12_GLOBAL__N_120cunn_SoftMaxBackwardILi4EfffNS1_26LogSoftMaxBackwardEpilogueEEEvPT0_PKT2_S8_l, .Lfunc_end251-_ZN2at6native12_GLOBAL__N_120cunn_SoftMaxBackwardILi4EfffNS1_26LogSoftMaxBackwardEpilogueEEEvPT0_PKT2_S8_l
                                        ; -- End function
	.section	.AMDGPU.csdata,"",@progbits
; Kernel info:
; codeLenInByte = 8996
; NumSgprs: 62
; NumVgprs: 34
; ScratchSize: 0
; MemoryBound: 0
; FloatMode: 240
; IeeeMode: 1
; LDSByteSize: 0 bytes/workgroup (compile time only)
; SGPRBlocks: 7
; VGPRBlocks: 4
; NumSGPRsForWavesPerEU: 62
; NumVGPRsForWavesPerEU: 34
; Occupancy: 16
; WaveLimiterHint : 0
; COMPUTE_PGM_RSRC2:SCRATCH_EN: 0
; COMPUTE_PGM_RSRC2:USER_SGPR: 15
; COMPUTE_PGM_RSRC2:TRAP_HANDLER: 0
; COMPUTE_PGM_RSRC2:TGID_X_EN: 1
; COMPUTE_PGM_RSRC2:TGID_Y_EN: 0
; COMPUTE_PGM_RSRC2:TGID_Z_EN: 0
; COMPUTE_PGM_RSRC2:TIDIG_COMP_CNT: 0
	.section	.text._ZN12_GLOBAL__N_121softmax_warp_backwardIN3c104HalfES2_fLi0ELb1ELb0ELi64EEEvPT0_PKT_S7_iiiPKb,"axG",@progbits,_ZN12_GLOBAL__N_121softmax_warp_backwardIN3c104HalfES2_fLi0ELb1ELb0ELi64EEEvPT0_PKT_S7_iiiPKb,comdat
	.globl	_ZN12_GLOBAL__N_121softmax_warp_backwardIN3c104HalfES2_fLi0ELb1ELb0ELi64EEEvPT0_PKT_S7_iiiPKb ; -- Begin function _ZN12_GLOBAL__N_121softmax_warp_backwardIN3c104HalfES2_fLi0ELb1ELb0ELi64EEEvPT0_PKT_S7_iiiPKb
	.p2align	8
	.type	_ZN12_GLOBAL__N_121softmax_warp_backwardIN3c104HalfES2_fLi0ELb1ELb0ELi64EEEvPT0_PKT_S7_iiiPKb,@function
_ZN12_GLOBAL__N_121softmax_warp_backwardIN3c104HalfES2_fLi0ELb1ELb0ELi64EEEvPT0_PKT_S7_iiiPKb: ; @_ZN12_GLOBAL__N_121softmax_warp_backwardIN3c104HalfES2_fLi0ELb1ELb0ELi64EEEvPT0_PKT_S7_iiiPKb
; %bb.0:
	s_clause 0x1
	s_load_b32 s2, s[0:1], 0x3c
	s_load_b128 s[4:7], s[0:1], 0x18
	v_bfe_u32 v0, v0, 10, 10
	s_load_b128 s[8:11], s[0:1], 0x0
	v_dual_mov_b32 v6, 0 :: v_dual_mov_b32 v9, 0
	v_mov_b32_e32 v8, 0
	s_waitcnt lgkmcnt(0)
	s_lshr_b32 s2, s2, 16
	s_cmp_gt_i32 s6, 0
	s_mul_i32 s15, s15, s2
	s_load_b64 s[2:3], s[0:1], 0x10
	v_add_lshl_u32 v2, s15, v0, 1
	s_cselect_b32 s1, -1, 0
	s_delay_alu instid0(VALU_DEP_1) | instskip(SKIP_1) | instid1(VALU_DEP_1)
	v_mul_lo_u32 v0, v2, s5
	v_sub_nc_u32_e32 v7, s4, v2
	v_cmp_lt_i32_e32 vcc_lo, 0, v7
	s_delay_alu instid0(VALU_DEP_3) | instskip(NEXT) | instid1(VALU_DEP_1)
	v_ashrrev_i32_e32 v1, 31, v0
	v_lshlrev_b64 v[0:1], 1, v[0:1]
	s_delay_alu instid0(VALU_DEP_1) | instskip(NEXT) | instid1(VALU_DEP_1)
	v_add_co_u32 v4, s0, s10, v0
	v_add_co_ci_u32_e64 v5, s0, s11, v1, s0
	s_waitcnt lgkmcnt(0)
	v_add_co_u32 v2, s0, s2, v0
	s_delay_alu instid0(VALU_DEP_1) | instskip(SKIP_1) | instid1(SALU_CYCLE_1)
	v_add_co_ci_u32_e64 v3, s0, s3, v1, s0
	s_and_b32 s2, s1, vcc_lo
	s_and_saveexec_b32 s0, s2
	s_cbranch_execz .LBB252_2
; %bb.1:
	global_load_u16 v8, v[4:5], off
	global_load_u16 v9, v[2:3], off
	s_waitcnt vmcnt(1)
	v_cvt_f32_f16_e32 v8, v8
	s_waitcnt vmcnt(0)
	v_cvt_f32_f16_e32 v9, v9
.LBB252_2:
	s_or_b32 exec_lo, exec_lo, s0
	v_cmp_lt_i32_e64 s0, 1, v7
	v_mov_b32_e32 v10, 0
	s_mov_b32 s7, 0
	s_delay_alu instid0(VALU_DEP_2) | instskip(NEXT) | instid1(SALU_CYCLE_1)
	s_and_b32 s0, s1, s0
	s_and_saveexec_b32 s2, s0
	s_cbranch_execz .LBB252_4
; %bb.3:
	s_lshl_b64 s[4:5], s[6:7], 1
	s_delay_alu instid0(SALU_CYCLE_1) | instskip(NEXT) | instid1(VALU_DEP_1)
	v_add_co_u32 v4, s0, v4, s4
	v_add_co_ci_u32_e64 v5, s0, s5, v5, s0
	v_add_co_u32 v2, s0, v2, s4
	s_delay_alu instid0(VALU_DEP_1)
	v_add_co_ci_u32_e64 v3, s0, s5, v3, s0
	global_load_u16 v4, v[4:5], off
	global_load_u16 v2, v[2:3], off
	s_waitcnt vmcnt(1)
	v_cvt_f32_f16_e32 v6, v4
	s_waitcnt vmcnt(0)
	v_cvt_f32_f16_e32 v10, v2
.LBB252_4:
	s_or_b32 exec_lo, exec_lo, s2
	s_and_saveexec_b32 s0, vcc_lo
	s_cbranch_execz .LBB252_10
; %bb.5:
	v_add_co_u32 v0, vcc_lo, s8, v0
	v_cndmask_b32_e64 v2, 0, 1, s1
	v_add_co_ci_u32_e32 v1, vcc_lo, s9, v1, vcc_lo
	s_and_not1_b32 vcc_lo, exec_lo, s1
	s_cbranch_vccnz .LBB252_7
; %bb.6:
	v_mul_f32_e32 v3, 0x3fb8aa3b, v9
	v_cmp_ngt_f32_e32 vcc_lo, 0xc2ce8ed0, v9
	s_delay_alu instid0(VALU_DEP_2) | instskip(SKIP_1) | instid1(VALU_DEP_2)
	v_rndne_f32_e32 v4, v3
	v_fma_f32 v5, 0x3fb8aa3b, v9, -v3
	v_sub_f32_e32 v3, v3, v4
	s_delay_alu instid0(VALU_DEP_2) | instskip(SKIP_1) | instid1(VALU_DEP_2)
	v_fmamk_f32 v5, v9, 0x32a5705f, v5
	v_cvt_i32_f32_e32 v4, v4
	v_add_f32_e32 v3, v3, v5
	s_delay_alu instid0(VALU_DEP_1) | instskip(SKIP_2) | instid1(VALU_DEP_1)
	v_exp_f32_e32 v3, v3
	s_waitcnt_depctr 0xfff
	v_ldexp_f32 v3, v3, v4
	v_dual_add_f32 v4, 0, v8 :: v_dual_cndmask_b32 v3, 0, v3
	v_cmp_nlt_f32_e32 vcc_lo, 0x42b17218, v9
	s_delay_alu instid0(VALU_DEP_2) | instskip(NEXT) | instid1(VALU_DEP_1)
	v_cndmask_b32_e32 v3, 0x7f800000, v3, vcc_lo
	v_fma_mixlo_f16 v3, -v4, v3, v8
	global_store_b16 v[0:1], v3, off
.LBB252_7:
	v_cmp_ne_u32_e32 vcc_lo, 1, v7
	s_and_b32 exec_lo, exec_lo, vcc_lo
	s_cbranch_execz .LBB252_10
; %bb.8:
	v_cmp_ne_u32_e32 vcc_lo, 1, v2
	s_cbranch_vccnz .LBB252_10
; %bb.9:
	v_mul_f32_e32 v2, 0x3fb8aa3b, v10
	v_cmp_ngt_f32_e32 vcc_lo, 0xc2ce8ed0, v10
	s_lshl_b64 s[0:1], s[6:7], 1
	s_delay_alu instid0(VALU_DEP_2) | instskip(SKIP_1) | instid1(VALU_DEP_2)
	v_rndne_f32_e32 v3, v2
	v_fma_f32 v4, 0x3fb8aa3b, v10, -v2
	v_sub_f32_e32 v2, v2, v3
	s_delay_alu instid0(VALU_DEP_2) | instskip(SKIP_1) | instid1(VALU_DEP_2)
	v_fmamk_f32 v4, v10, 0x32a5705f, v4
	v_cvt_i32_f32_e32 v3, v3
	v_add_f32_e32 v2, v2, v4
	s_delay_alu instid0(VALU_DEP_1) | instskip(SKIP_3) | instid1(VALU_DEP_2)
	v_exp_f32_e32 v2, v2
	s_waitcnt_depctr 0xfff
	v_ldexp_f32 v2, v2, v3
	v_add_f32_e32 v3, 0, v6
	v_cndmask_b32_e32 v2, 0, v2, vcc_lo
	v_cmp_nlt_f32_e32 vcc_lo, 0x42b17218, v10
	s_delay_alu instid0(VALU_DEP_2) | instskip(SKIP_2) | instid1(VALU_DEP_3)
	v_cndmask_b32_e32 v2, 0x7f800000, v2, vcc_lo
	v_add_co_u32 v0, vcc_lo, v0, s0
	v_add_co_ci_u32_e32 v1, vcc_lo, s1, v1, vcc_lo
	v_fma_mixlo_f16 v2, -v3, v2, v6
	global_store_b16 v[0:1], v2, off
.LBB252_10:
	s_nop 0
	s_sendmsg sendmsg(MSG_DEALLOC_VGPRS)
	s_endpgm
	.section	.rodata,"a",@progbits
	.p2align	6, 0x0
	.amdhsa_kernel _ZN12_GLOBAL__N_121softmax_warp_backwardIN3c104HalfES2_fLi0ELb1ELb0ELi64EEEvPT0_PKT_S7_iiiPKb
		.amdhsa_group_segment_fixed_size 0
		.amdhsa_private_segment_fixed_size 0
		.amdhsa_kernarg_size 304
		.amdhsa_user_sgpr_count 15
		.amdhsa_user_sgpr_dispatch_ptr 0
		.amdhsa_user_sgpr_queue_ptr 0
		.amdhsa_user_sgpr_kernarg_segment_ptr 1
		.amdhsa_user_sgpr_dispatch_id 0
		.amdhsa_user_sgpr_private_segment_size 0
		.amdhsa_wavefront_size32 1
		.amdhsa_uses_dynamic_stack 0
		.amdhsa_enable_private_segment 0
		.amdhsa_system_sgpr_workgroup_id_x 1
		.amdhsa_system_sgpr_workgroup_id_y 0
		.amdhsa_system_sgpr_workgroup_id_z 0
		.amdhsa_system_sgpr_workgroup_info 0
		.amdhsa_system_vgpr_workitem_id 1
		.amdhsa_next_free_vgpr 11
		.amdhsa_next_free_sgpr 16
		.amdhsa_reserve_vcc 1
		.amdhsa_float_round_mode_32 0
		.amdhsa_float_round_mode_16_64 0
		.amdhsa_float_denorm_mode_32 3
		.amdhsa_float_denorm_mode_16_64 3
		.amdhsa_dx10_clamp 1
		.amdhsa_ieee_mode 1
		.amdhsa_fp16_overflow 0
		.amdhsa_workgroup_processor_mode 1
		.amdhsa_memory_ordered 1
		.amdhsa_forward_progress 0
		.amdhsa_shared_vgpr_count 0
		.amdhsa_exception_fp_ieee_invalid_op 0
		.amdhsa_exception_fp_denorm_src 0
		.amdhsa_exception_fp_ieee_div_zero 0
		.amdhsa_exception_fp_ieee_overflow 0
		.amdhsa_exception_fp_ieee_underflow 0
		.amdhsa_exception_fp_ieee_inexact 0
		.amdhsa_exception_int_div_zero 0
	.end_amdhsa_kernel
	.section	.text._ZN12_GLOBAL__N_121softmax_warp_backwardIN3c104HalfES2_fLi0ELb1ELb0ELi64EEEvPT0_PKT_S7_iiiPKb,"axG",@progbits,_ZN12_GLOBAL__N_121softmax_warp_backwardIN3c104HalfES2_fLi0ELb1ELb0ELi64EEEvPT0_PKT_S7_iiiPKb,comdat
.Lfunc_end252:
	.size	_ZN12_GLOBAL__N_121softmax_warp_backwardIN3c104HalfES2_fLi0ELb1ELb0ELi64EEEvPT0_PKT_S7_iiiPKb, .Lfunc_end252-_ZN12_GLOBAL__N_121softmax_warp_backwardIN3c104HalfES2_fLi0ELb1ELb0ELi64EEEvPT0_PKT_S7_iiiPKb
                                        ; -- End function
	.section	.AMDGPU.csdata,"",@progbits
; Kernel info:
; codeLenInByte = 656
; NumSgprs: 18
; NumVgprs: 11
; ScratchSize: 0
; MemoryBound: 0
; FloatMode: 240
; IeeeMode: 1
; LDSByteSize: 0 bytes/workgroup (compile time only)
; SGPRBlocks: 2
; VGPRBlocks: 1
; NumSGPRsForWavesPerEU: 18
; NumVGPRsForWavesPerEU: 11
; Occupancy: 16
; WaveLimiterHint : 0
; COMPUTE_PGM_RSRC2:SCRATCH_EN: 0
; COMPUTE_PGM_RSRC2:USER_SGPR: 15
; COMPUTE_PGM_RSRC2:TRAP_HANDLER: 0
; COMPUTE_PGM_RSRC2:TGID_X_EN: 1
; COMPUTE_PGM_RSRC2:TGID_Y_EN: 0
; COMPUTE_PGM_RSRC2:TGID_Z_EN: 0
; COMPUTE_PGM_RSRC2:TIDIG_COMP_CNT: 1
	.section	.text._ZN12_GLOBAL__N_121softmax_warp_backwardIN3c104HalfES2_fLi0ELb1ELb0ELi32EEEvPT0_PKT_S7_iiiPKb,"axG",@progbits,_ZN12_GLOBAL__N_121softmax_warp_backwardIN3c104HalfES2_fLi0ELb1ELb0ELi32EEEvPT0_PKT_S7_iiiPKb,comdat
	.globl	_ZN12_GLOBAL__N_121softmax_warp_backwardIN3c104HalfES2_fLi0ELb1ELb0ELi32EEEvPT0_PKT_S7_iiiPKb ; -- Begin function _ZN12_GLOBAL__N_121softmax_warp_backwardIN3c104HalfES2_fLi0ELb1ELb0ELi32EEEvPT0_PKT_S7_iiiPKb
	.p2align	8
	.type	_ZN12_GLOBAL__N_121softmax_warp_backwardIN3c104HalfES2_fLi0ELb1ELb0ELi32EEEvPT0_PKT_S7_iiiPKb,@function
_ZN12_GLOBAL__N_121softmax_warp_backwardIN3c104HalfES2_fLi0ELb1ELb0ELi32EEEvPT0_PKT_S7_iiiPKb: ; @_ZN12_GLOBAL__N_121softmax_warp_backwardIN3c104HalfES2_fLi0ELb1ELb0ELi32EEEvPT0_PKT_S7_iiiPKb
; %bb.0:
	s_clause 0x1
	s_load_b32 s2, s[0:1], 0x3c
	s_load_b128 s[4:7], s[0:1], 0x18
	v_bfe_u32 v0, v0, 10, 10
	s_load_b128 s[8:11], s[0:1], 0x0
	v_dual_mov_b32 v6, 0 :: v_dual_mov_b32 v9, 0
	v_mov_b32_e32 v8, 0
	s_waitcnt lgkmcnt(0)
	s_lshr_b32 s2, s2, 16
	s_cmp_gt_i32 s6, 0
	s_mul_i32 s15, s15, s2
	s_load_b64 s[2:3], s[0:1], 0x10
	v_add_lshl_u32 v2, s15, v0, 1
	s_cselect_b32 s1, -1, 0
	s_delay_alu instid0(VALU_DEP_1) | instskip(SKIP_1) | instid1(VALU_DEP_1)
	v_mul_lo_u32 v0, v2, s5
	v_sub_nc_u32_e32 v7, s4, v2
	v_cmp_lt_i32_e32 vcc_lo, 0, v7
	s_delay_alu instid0(VALU_DEP_3) | instskip(NEXT) | instid1(VALU_DEP_1)
	v_ashrrev_i32_e32 v1, 31, v0
	v_lshlrev_b64 v[0:1], 1, v[0:1]
	s_delay_alu instid0(VALU_DEP_1) | instskip(NEXT) | instid1(VALU_DEP_1)
	v_add_co_u32 v4, s0, s10, v0
	v_add_co_ci_u32_e64 v5, s0, s11, v1, s0
	s_waitcnt lgkmcnt(0)
	v_add_co_u32 v2, s0, s2, v0
	s_delay_alu instid0(VALU_DEP_1) | instskip(SKIP_1) | instid1(SALU_CYCLE_1)
	v_add_co_ci_u32_e64 v3, s0, s3, v1, s0
	s_and_b32 s2, s1, vcc_lo
	s_and_saveexec_b32 s0, s2
	s_cbranch_execz .LBB253_2
; %bb.1:
	global_load_u16 v8, v[4:5], off
	global_load_u16 v9, v[2:3], off
	s_waitcnt vmcnt(1)
	v_cvt_f32_f16_e32 v8, v8
	s_waitcnt vmcnt(0)
	v_cvt_f32_f16_e32 v9, v9
.LBB253_2:
	s_or_b32 exec_lo, exec_lo, s0
	v_cmp_lt_i32_e64 s0, 1, v7
	v_mov_b32_e32 v10, 0
	s_mov_b32 s7, 0
	s_delay_alu instid0(VALU_DEP_2) | instskip(NEXT) | instid1(SALU_CYCLE_1)
	s_and_b32 s0, s1, s0
	s_and_saveexec_b32 s2, s0
	s_cbranch_execz .LBB253_4
; %bb.3:
	s_lshl_b64 s[4:5], s[6:7], 1
	s_delay_alu instid0(SALU_CYCLE_1) | instskip(NEXT) | instid1(VALU_DEP_1)
	v_add_co_u32 v4, s0, v4, s4
	v_add_co_ci_u32_e64 v5, s0, s5, v5, s0
	v_add_co_u32 v2, s0, v2, s4
	s_delay_alu instid0(VALU_DEP_1)
	v_add_co_ci_u32_e64 v3, s0, s5, v3, s0
	global_load_u16 v4, v[4:5], off
	global_load_u16 v2, v[2:3], off
	s_waitcnt vmcnt(1)
	v_cvt_f32_f16_e32 v6, v4
	s_waitcnt vmcnt(0)
	v_cvt_f32_f16_e32 v10, v2
.LBB253_4:
	s_or_b32 exec_lo, exec_lo, s2
	s_and_saveexec_b32 s0, vcc_lo
	s_cbranch_execz .LBB253_10
; %bb.5:
	v_add_co_u32 v0, vcc_lo, s8, v0
	v_cndmask_b32_e64 v2, 0, 1, s1
	v_add_co_ci_u32_e32 v1, vcc_lo, s9, v1, vcc_lo
	s_and_not1_b32 vcc_lo, exec_lo, s1
	s_cbranch_vccnz .LBB253_7
; %bb.6:
	v_mul_f32_e32 v3, 0x3fb8aa3b, v9
	v_cmp_ngt_f32_e32 vcc_lo, 0xc2ce8ed0, v9
	s_delay_alu instid0(VALU_DEP_2) | instskip(SKIP_1) | instid1(VALU_DEP_2)
	v_rndne_f32_e32 v4, v3
	v_fma_f32 v5, 0x3fb8aa3b, v9, -v3
	v_sub_f32_e32 v3, v3, v4
	s_delay_alu instid0(VALU_DEP_2) | instskip(SKIP_1) | instid1(VALU_DEP_2)
	v_fmamk_f32 v5, v9, 0x32a5705f, v5
	v_cvt_i32_f32_e32 v4, v4
	v_add_f32_e32 v3, v3, v5
	s_delay_alu instid0(VALU_DEP_1) | instskip(SKIP_2) | instid1(VALU_DEP_1)
	v_exp_f32_e32 v3, v3
	s_waitcnt_depctr 0xfff
	v_ldexp_f32 v3, v3, v4
	v_dual_add_f32 v4, 0, v8 :: v_dual_cndmask_b32 v3, 0, v3
	v_cmp_nlt_f32_e32 vcc_lo, 0x42b17218, v9
	s_delay_alu instid0(VALU_DEP_2) | instskip(NEXT) | instid1(VALU_DEP_1)
	v_cndmask_b32_e32 v3, 0x7f800000, v3, vcc_lo
	v_fma_mixlo_f16 v3, -v4, v3, v8
	global_store_b16 v[0:1], v3, off
.LBB253_7:
	v_cmp_ne_u32_e32 vcc_lo, 1, v7
	s_and_b32 exec_lo, exec_lo, vcc_lo
	s_cbranch_execz .LBB253_10
; %bb.8:
	v_cmp_ne_u32_e32 vcc_lo, 1, v2
	s_cbranch_vccnz .LBB253_10
; %bb.9:
	v_mul_f32_e32 v2, 0x3fb8aa3b, v10
	v_cmp_ngt_f32_e32 vcc_lo, 0xc2ce8ed0, v10
	s_lshl_b64 s[0:1], s[6:7], 1
	s_delay_alu instid0(VALU_DEP_2) | instskip(SKIP_1) | instid1(VALU_DEP_2)
	v_rndne_f32_e32 v3, v2
	v_fma_f32 v4, 0x3fb8aa3b, v10, -v2
	v_sub_f32_e32 v2, v2, v3
	s_delay_alu instid0(VALU_DEP_2) | instskip(SKIP_1) | instid1(VALU_DEP_2)
	v_fmamk_f32 v4, v10, 0x32a5705f, v4
	v_cvt_i32_f32_e32 v3, v3
	v_add_f32_e32 v2, v2, v4
	s_delay_alu instid0(VALU_DEP_1) | instskip(SKIP_3) | instid1(VALU_DEP_2)
	v_exp_f32_e32 v2, v2
	s_waitcnt_depctr 0xfff
	v_ldexp_f32 v2, v2, v3
	v_add_f32_e32 v3, 0, v6
	v_cndmask_b32_e32 v2, 0, v2, vcc_lo
	v_cmp_nlt_f32_e32 vcc_lo, 0x42b17218, v10
	s_delay_alu instid0(VALU_DEP_2) | instskip(SKIP_2) | instid1(VALU_DEP_3)
	v_cndmask_b32_e32 v2, 0x7f800000, v2, vcc_lo
	v_add_co_u32 v0, vcc_lo, v0, s0
	v_add_co_ci_u32_e32 v1, vcc_lo, s1, v1, vcc_lo
	v_fma_mixlo_f16 v2, -v3, v2, v6
	global_store_b16 v[0:1], v2, off
.LBB253_10:
	s_nop 0
	s_sendmsg sendmsg(MSG_DEALLOC_VGPRS)
	s_endpgm
	.section	.rodata,"a",@progbits
	.p2align	6, 0x0
	.amdhsa_kernel _ZN12_GLOBAL__N_121softmax_warp_backwardIN3c104HalfES2_fLi0ELb1ELb0ELi32EEEvPT0_PKT_S7_iiiPKb
		.amdhsa_group_segment_fixed_size 0
		.amdhsa_private_segment_fixed_size 0
		.amdhsa_kernarg_size 304
		.amdhsa_user_sgpr_count 15
		.amdhsa_user_sgpr_dispatch_ptr 0
		.amdhsa_user_sgpr_queue_ptr 0
		.amdhsa_user_sgpr_kernarg_segment_ptr 1
		.amdhsa_user_sgpr_dispatch_id 0
		.amdhsa_user_sgpr_private_segment_size 0
		.amdhsa_wavefront_size32 1
		.amdhsa_uses_dynamic_stack 0
		.amdhsa_enable_private_segment 0
		.amdhsa_system_sgpr_workgroup_id_x 1
		.amdhsa_system_sgpr_workgroup_id_y 0
		.amdhsa_system_sgpr_workgroup_id_z 0
		.amdhsa_system_sgpr_workgroup_info 0
		.amdhsa_system_vgpr_workitem_id 1
		.amdhsa_next_free_vgpr 11
		.amdhsa_next_free_sgpr 16
		.amdhsa_reserve_vcc 1
		.amdhsa_float_round_mode_32 0
		.amdhsa_float_round_mode_16_64 0
		.amdhsa_float_denorm_mode_32 3
		.amdhsa_float_denorm_mode_16_64 3
		.amdhsa_dx10_clamp 1
		.amdhsa_ieee_mode 1
		.amdhsa_fp16_overflow 0
		.amdhsa_workgroup_processor_mode 1
		.amdhsa_memory_ordered 1
		.amdhsa_forward_progress 0
		.amdhsa_shared_vgpr_count 0
		.amdhsa_exception_fp_ieee_invalid_op 0
		.amdhsa_exception_fp_denorm_src 0
		.amdhsa_exception_fp_ieee_div_zero 0
		.amdhsa_exception_fp_ieee_overflow 0
		.amdhsa_exception_fp_ieee_underflow 0
		.amdhsa_exception_fp_ieee_inexact 0
		.amdhsa_exception_int_div_zero 0
	.end_amdhsa_kernel
	.section	.text._ZN12_GLOBAL__N_121softmax_warp_backwardIN3c104HalfES2_fLi0ELb1ELb0ELi32EEEvPT0_PKT_S7_iiiPKb,"axG",@progbits,_ZN12_GLOBAL__N_121softmax_warp_backwardIN3c104HalfES2_fLi0ELb1ELb0ELi32EEEvPT0_PKT_S7_iiiPKb,comdat
.Lfunc_end253:
	.size	_ZN12_GLOBAL__N_121softmax_warp_backwardIN3c104HalfES2_fLi0ELb1ELb0ELi32EEEvPT0_PKT_S7_iiiPKb, .Lfunc_end253-_ZN12_GLOBAL__N_121softmax_warp_backwardIN3c104HalfES2_fLi0ELb1ELb0ELi32EEEvPT0_PKT_S7_iiiPKb
                                        ; -- End function
	.section	.AMDGPU.csdata,"",@progbits
; Kernel info:
; codeLenInByte = 656
; NumSgprs: 18
; NumVgprs: 11
; ScratchSize: 0
; MemoryBound: 0
; FloatMode: 240
; IeeeMode: 1
; LDSByteSize: 0 bytes/workgroup (compile time only)
; SGPRBlocks: 2
; VGPRBlocks: 1
; NumSGPRsForWavesPerEU: 18
; NumVGPRsForWavesPerEU: 11
; Occupancy: 16
; WaveLimiterHint : 0
; COMPUTE_PGM_RSRC2:SCRATCH_EN: 0
; COMPUTE_PGM_RSRC2:USER_SGPR: 15
; COMPUTE_PGM_RSRC2:TRAP_HANDLER: 0
; COMPUTE_PGM_RSRC2:TGID_X_EN: 1
; COMPUTE_PGM_RSRC2:TGID_Y_EN: 0
; COMPUTE_PGM_RSRC2:TGID_Z_EN: 0
; COMPUTE_PGM_RSRC2:TIDIG_COMP_CNT: 1
	.section	.text._ZN12_GLOBAL__N_121softmax_warp_backwardIN3c104HalfES2_fLi1ELb1ELb0ELi64EEEvPT0_PKT_S7_iiiPKb,"axG",@progbits,_ZN12_GLOBAL__N_121softmax_warp_backwardIN3c104HalfES2_fLi1ELb1ELb0ELi64EEEvPT0_PKT_S7_iiiPKb,comdat
	.globl	_ZN12_GLOBAL__N_121softmax_warp_backwardIN3c104HalfES2_fLi1ELb1ELb0ELi64EEEvPT0_PKT_S7_iiiPKb ; -- Begin function _ZN12_GLOBAL__N_121softmax_warp_backwardIN3c104HalfES2_fLi1ELb1ELb0ELi64EEEvPT0_PKT_S7_iiiPKb
	.p2align	8
	.type	_ZN12_GLOBAL__N_121softmax_warp_backwardIN3c104HalfES2_fLi1ELb1ELb0ELi64EEEvPT0_PKT_S7_iiiPKb,@function
_ZN12_GLOBAL__N_121softmax_warp_backwardIN3c104HalfES2_fLi1ELb1ELb0ELi64EEEvPT0_PKT_S7_iiiPKb: ; @_ZN12_GLOBAL__N_121softmax_warp_backwardIN3c104HalfES2_fLi1ELb1ELb0ELi64EEEvPT0_PKT_S7_iiiPKb
; %bb.0:
	s_clause 0x1
	s_load_b32 s2, s[0:1], 0x3c
	s_load_b128 s[4:7], s[0:1], 0x18
	v_bfe_u32 v1, v0, 10, 10
	v_dual_mov_b32 v6, 0 :: v_dual_and_b32 v3, 1, v0
	v_dual_mov_b32 v8, 0 :: v_dual_mov_b32 v9, 0
	s_waitcnt lgkmcnt(0)
	s_lshr_b32 s2, s2, 16
	s_delay_alu instid0(VALU_DEP_2)
	v_cmp_gt_i32_e32 vcc_lo, s6, v3
	s_mul_i32 s15, s15, s2
	s_clause 0x1
	s_load_b128 s[8:11], s[0:1], 0x0
	s_load_b64 s[2:3], s[0:1], 0x10
	v_add_lshl_u32 v2, s15, v1, 1
	s_delay_alu instid0(VALU_DEP_1) | instskip(SKIP_1) | instid1(VALU_DEP_1)
	v_mul_lo_u32 v1, v2, s5
	v_sub_nc_u32_e32 v7, s4, v2
	v_cmp_lt_i32_e64 s0, 0, v7
	s_delay_alu instid0(VALU_DEP_3) | instskip(NEXT) | instid1(VALU_DEP_1)
	v_or_b32_e32 v0, v1, v3
	v_ashrrev_i32_e32 v1, 31, v0
	s_delay_alu instid0(VALU_DEP_1) | instskip(SKIP_1) | instid1(VALU_DEP_1)
	v_lshlrev_b64 v[0:1], 1, v[0:1]
	s_waitcnt lgkmcnt(0)
	v_add_co_u32 v4, s1, s10, v0
	s_delay_alu instid0(VALU_DEP_1) | instskip(SKIP_1) | instid1(VALU_DEP_1)
	v_add_co_ci_u32_e64 v5, s1, s11, v1, s1
	v_add_co_u32 v2, s1, s2, v0
	v_add_co_ci_u32_e64 v3, s1, s3, v1, s1
	s_and_b32 s2, vcc_lo, s0
	s_delay_alu instid0(SALU_CYCLE_1)
	s_and_saveexec_b32 s1, s2
	s_cbranch_execz .LBB254_2
; %bb.1:
	global_load_u16 v8, v[4:5], off
	global_load_u16 v9, v[2:3], off
	s_waitcnt vmcnt(1)
	v_cvt_f32_f16_e32 v8, v8
	s_waitcnt vmcnt(0)
	v_cvt_f32_f16_e32 v9, v9
.LBB254_2:
	s_or_b32 exec_lo, exec_lo, s1
	v_cmp_lt_i32_e64 s1, 1, v7
	v_mov_b32_e32 v10, 0
	s_mov_b32 s7, 0
	s_delay_alu instid0(VALU_DEP_2) | instskip(NEXT) | instid1(SALU_CYCLE_1)
	s_and_b32 s1, vcc_lo, s1
	s_and_saveexec_b32 s2, s1
	s_cbranch_execz .LBB254_4
; %bb.3:
	s_lshl_b64 s[4:5], s[6:7], 1
	s_delay_alu instid0(SALU_CYCLE_1) | instskip(NEXT) | instid1(VALU_DEP_1)
	v_add_co_u32 v4, s1, v4, s4
	v_add_co_ci_u32_e64 v5, s1, s5, v5, s1
	v_add_co_u32 v2, s1, v2, s4
	s_delay_alu instid0(VALU_DEP_1)
	v_add_co_ci_u32_e64 v3, s1, s5, v3, s1
	global_load_u16 v4, v[4:5], off
	global_load_u16 v2, v[2:3], off
	s_waitcnt vmcnt(1)
	v_cvt_f32_f16_e32 v6, v4
	s_waitcnt vmcnt(0)
	v_cvt_f32_f16_e32 v10, v2
.LBB254_4:
	s_or_b32 exec_lo, exec_lo, s2
	v_mbcnt_lo_u32_b32 v2, -1, 0
	s_delay_alu instid0(VALU_DEP_1) | instskip(SKIP_1) | instid1(VALU_DEP_2)
	v_and_b32_e32 v3, 30, v2
	v_xor_b32_e32 v4, 1, v2
	v_add_nc_u32_e32 v3, 2, v3
	s_delay_alu instid0(VALU_DEP_1) | instskip(NEXT) | instid1(VALU_DEP_1)
	v_cmp_lt_i32_e64 s1, v4, v3
	v_cndmask_b32_e64 v2, v2, v4, s1
	s_delay_alu instid0(VALU_DEP_1)
	v_dual_add_f32 v4, 0, v8 :: v_dual_lshlrev_b32 v3, 2, v2
	v_add_f32_e32 v2, 0, v6
	ds_bpermute_b32 v5, v3, v4
	ds_bpermute_b32 v3, v3, v2
	s_and_saveexec_b32 s1, s0
	s_cbranch_execz .LBB254_10
; %bb.5:
	v_add_co_u32 v0, s0, s8, v0
	s_delay_alu instid0(VALU_DEP_1)
	v_add_co_ci_u32_e64 v1, s0, s9, v1, s0
	s_and_saveexec_b32 s1, vcc_lo
	s_cbranch_execz .LBB254_7
; %bb.6:
	v_mul_f32_e32 v11, 0x3fb8aa3b, v9
	v_cmp_ngt_f32_e64 s0, 0xc2ce8ed0, v9
	s_waitcnt lgkmcnt(1)
	v_add_f32_e32 v4, v4, v5
	s_delay_alu instid0(VALU_DEP_3) | instskip(SKIP_1) | instid1(VALU_DEP_2)
	v_rndne_f32_e32 v12, v11
	v_fma_f32 v13, 0x3fb8aa3b, v9, -v11
	v_sub_f32_e32 v11, v11, v12
	s_delay_alu instid0(VALU_DEP_2) | instskip(SKIP_1) | instid1(VALU_DEP_2)
	v_fmamk_f32 v13, v9, 0x32a5705f, v13
	v_cvt_i32_f32_e32 v12, v12
	v_add_f32_e32 v11, v11, v13
	s_delay_alu instid0(VALU_DEP_1) | instskip(SKIP_2) | instid1(VALU_DEP_1)
	v_exp_f32_e32 v11, v11
	s_waitcnt_depctr 0xfff
	v_ldexp_f32 v11, v11, v12
	v_cndmask_b32_e64 v11, 0, v11, s0
	v_cmp_nlt_f32_e64 s0, 0x42b17218, v9
	s_delay_alu instid0(VALU_DEP_1) | instskip(NEXT) | instid1(VALU_DEP_1)
	v_cndmask_b32_e64 v5, 0x7f800000, v11, s0
	v_fma_mixlo_f16 v4, -v4, v5, v8
	global_store_b16 v[0:1], v4, off
.LBB254_7:
	s_or_b32 exec_lo, exec_lo, s1
	v_cmp_ne_u32_e64 s0, 1, v7
	s_delay_alu instid0(VALU_DEP_1)
	s_and_b32 exec_lo, exec_lo, s0
	s_cbranch_execz .LBB254_10
; %bb.8:
	s_and_b32 exec_lo, exec_lo, vcc_lo
	s_cbranch_execz .LBB254_10
; %bb.9:
	v_mul_f32_e32 v4, 0x3fb8aa3b, v10
	v_cmp_ngt_f32_e32 vcc_lo, 0xc2ce8ed0, v10
	s_lshl_b64 s[0:1], s[6:7], 1
	s_waitcnt lgkmcnt(1)
	s_delay_alu instid0(VALU_DEP_2) | instskip(SKIP_1) | instid1(VALU_DEP_1)
	v_rndne_f32_e32 v5, v4
	v_fma_f32 v7, 0x3fb8aa3b, v10, -v4
	v_dual_sub_f32 v4, v4, v5 :: v_dual_fmamk_f32 v7, v10, 0x32a5705f, v7
	v_cvt_i32_f32_e32 v5, v5
	s_delay_alu instid0(VALU_DEP_2) | instskip(NEXT) | instid1(VALU_DEP_1)
	v_add_f32_e32 v4, v4, v7
	v_exp_f32_e32 v4, v4
	s_waitcnt_depctr 0xfff
	v_ldexp_f32 v4, v4, v5
	s_delay_alu instid0(VALU_DEP_1) | instskip(SKIP_2) | instid1(VALU_DEP_2)
	v_cndmask_b32_e32 v4, 0, v4, vcc_lo
	v_cmp_nlt_f32_e32 vcc_lo, 0x42b17218, v10
	s_waitcnt lgkmcnt(0)
	v_dual_add_f32 v2, v2, v3 :: v_dual_cndmask_b32 v3, 0x7f800000, v4
	v_add_co_u32 v0, vcc_lo, v0, s0
	v_add_co_ci_u32_e32 v1, vcc_lo, s1, v1, vcc_lo
	s_delay_alu instid0(VALU_DEP_3)
	v_fma_mixlo_f16 v2, -v2, v3, v6
	global_store_b16 v[0:1], v2, off
.LBB254_10:
	s_nop 0
	s_sendmsg sendmsg(MSG_DEALLOC_VGPRS)
	s_endpgm
	.section	.rodata,"a",@progbits
	.p2align	6, 0x0
	.amdhsa_kernel _ZN12_GLOBAL__N_121softmax_warp_backwardIN3c104HalfES2_fLi1ELb1ELb0ELi64EEEvPT0_PKT_S7_iiiPKb
		.amdhsa_group_segment_fixed_size 0
		.amdhsa_private_segment_fixed_size 0
		.amdhsa_kernarg_size 304
		.amdhsa_user_sgpr_count 15
		.amdhsa_user_sgpr_dispatch_ptr 0
		.amdhsa_user_sgpr_queue_ptr 0
		.amdhsa_user_sgpr_kernarg_segment_ptr 1
		.amdhsa_user_sgpr_dispatch_id 0
		.amdhsa_user_sgpr_private_segment_size 0
		.amdhsa_wavefront_size32 1
		.amdhsa_uses_dynamic_stack 0
		.amdhsa_enable_private_segment 0
		.amdhsa_system_sgpr_workgroup_id_x 1
		.amdhsa_system_sgpr_workgroup_id_y 0
		.amdhsa_system_sgpr_workgroup_id_z 0
		.amdhsa_system_sgpr_workgroup_info 0
		.amdhsa_system_vgpr_workitem_id 1
		.amdhsa_next_free_vgpr 14
		.amdhsa_next_free_sgpr 16
		.amdhsa_reserve_vcc 1
		.amdhsa_float_round_mode_32 0
		.amdhsa_float_round_mode_16_64 0
		.amdhsa_float_denorm_mode_32 3
		.amdhsa_float_denorm_mode_16_64 3
		.amdhsa_dx10_clamp 1
		.amdhsa_ieee_mode 1
		.amdhsa_fp16_overflow 0
		.amdhsa_workgroup_processor_mode 1
		.amdhsa_memory_ordered 1
		.amdhsa_forward_progress 0
		.amdhsa_shared_vgpr_count 0
		.amdhsa_exception_fp_ieee_invalid_op 0
		.amdhsa_exception_fp_denorm_src 0
		.amdhsa_exception_fp_ieee_div_zero 0
		.amdhsa_exception_fp_ieee_overflow 0
		.amdhsa_exception_fp_ieee_underflow 0
		.amdhsa_exception_fp_ieee_inexact 0
		.amdhsa_exception_int_div_zero 0
	.end_amdhsa_kernel
	.section	.text._ZN12_GLOBAL__N_121softmax_warp_backwardIN3c104HalfES2_fLi1ELb1ELb0ELi64EEEvPT0_PKT_S7_iiiPKb,"axG",@progbits,_ZN12_GLOBAL__N_121softmax_warp_backwardIN3c104HalfES2_fLi1ELb1ELb0ELi64EEEvPT0_PKT_S7_iiiPKb,comdat
.Lfunc_end254:
	.size	_ZN12_GLOBAL__N_121softmax_warp_backwardIN3c104HalfES2_fLi1ELb1ELb0ELi64EEEvPT0_PKT_S7_iiiPKb, .Lfunc_end254-_ZN12_GLOBAL__N_121softmax_warp_backwardIN3c104HalfES2_fLi1ELb1ELb0ELi64EEEvPT0_PKT_S7_iiiPKb
                                        ; -- End function
	.section	.AMDGPU.csdata,"",@progbits
; Kernel info:
; codeLenInByte = 792
; NumSgprs: 18
; NumVgprs: 14
; ScratchSize: 0
; MemoryBound: 0
; FloatMode: 240
; IeeeMode: 1
; LDSByteSize: 0 bytes/workgroup (compile time only)
; SGPRBlocks: 2
; VGPRBlocks: 1
; NumSGPRsForWavesPerEU: 18
; NumVGPRsForWavesPerEU: 14
; Occupancy: 16
; WaveLimiterHint : 0
; COMPUTE_PGM_RSRC2:SCRATCH_EN: 0
; COMPUTE_PGM_RSRC2:USER_SGPR: 15
; COMPUTE_PGM_RSRC2:TRAP_HANDLER: 0
; COMPUTE_PGM_RSRC2:TGID_X_EN: 1
; COMPUTE_PGM_RSRC2:TGID_Y_EN: 0
; COMPUTE_PGM_RSRC2:TGID_Z_EN: 0
; COMPUTE_PGM_RSRC2:TIDIG_COMP_CNT: 1
	.section	.text._ZN12_GLOBAL__N_121softmax_warp_backwardIN3c104HalfES2_fLi1ELb1ELb0ELi32EEEvPT0_PKT_S7_iiiPKb,"axG",@progbits,_ZN12_GLOBAL__N_121softmax_warp_backwardIN3c104HalfES2_fLi1ELb1ELb0ELi32EEEvPT0_PKT_S7_iiiPKb,comdat
	.globl	_ZN12_GLOBAL__N_121softmax_warp_backwardIN3c104HalfES2_fLi1ELb1ELb0ELi32EEEvPT0_PKT_S7_iiiPKb ; -- Begin function _ZN12_GLOBAL__N_121softmax_warp_backwardIN3c104HalfES2_fLi1ELb1ELb0ELi32EEEvPT0_PKT_S7_iiiPKb
	.p2align	8
	.type	_ZN12_GLOBAL__N_121softmax_warp_backwardIN3c104HalfES2_fLi1ELb1ELb0ELi32EEEvPT0_PKT_S7_iiiPKb,@function
_ZN12_GLOBAL__N_121softmax_warp_backwardIN3c104HalfES2_fLi1ELb1ELb0ELi32EEEvPT0_PKT_S7_iiiPKb: ; @_ZN12_GLOBAL__N_121softmax_warp_backwardIN3c104HalfES2_fLi1ELb1ELb0ELi32EEEvPT0_PKT_S7_iiiPKb
; %bb.0:
	s_clause 0x1
	s_load_b32 s2, s[0:1], 0x3c
	s_load_b128 s[4:7], s[0:1], 0x18
	v_bfe_u32 v1, v0, 10, 10
	v_dual_mov_b32 v6, 0 :: v_dual_and_b32 v3, 1, v0
	v_dual_mov_b32 v8, 0 :: v_dual_mov_b32 v9, 0
	s_waitcnt lgkmcnt(0)
	s_lshr_b32 s2, s2, 16
	s_delay_alu instid0(VALU_DEP_2)
	v_cmp_gt_i32_e32 vcc_lo, s6, v3
	s_mul_i32 s15, s15, s2
	s_clause 0x1
	s_load_b128 s[8:11], s[0:1], 0x0
	s_load_b64 s[2:3], s[0:1], 0x10
	v_add_lshl_u32 v2, s15, v1, 1
	s_delay_alu instid0(VALU_DEP_1) | instskip(SKIP_1) | instid1(VALU_DEP_1)
	v_mul_lo_u32 v1, v2, s5
	v_sub_nc_u32_e32 v7, s4, v2
	v_cmp_lt_i32_e64 s0, 0, v7
	s_delay_alu instid0(VALU_DEP_3) | instskip(NEXT) | instid1(VALU_DEP_1)
	v_or_b32_e32 v0, v1, v3
	v_ashrrev_i32_e32 v1, 31, v0
	s_delay_alu instid0(VALU_DEP_1) | instskip(SKIP_1) | instid1(VALU_DEP_1)
	v_lshlrev_b64 v[0:1], 1, v[0:1]
	s_waitcnt lgkmcnt(0)
	v_add_co_u32 v4, s1, s10, v0
	s_delay_alu instid0(VALU_DEP_1) | instskip(SKIP_1) | instid1(VALU_DEP_1)
	v_add_co_ci_u32_e64 v5, s1, s11, v1, s1
	v_add_co_u32 v2, s1, s2, v0
	v_add_co_ci_u32_e64 v3, s1, s3, v1, s1
	s_and_b32 s2, vcc_lo, s0
	s_delay_alu instid0(SALU_CYCLE_1)
	s_and_saveexec_b32 s1, s2
	s_cbranch_execz .LBB255_2
; %bb.1:
	global_load_u16 v8, v[4:5], off
	global_load_u16 v9, v[2:3], off
	s_waitcnt vmcnt(1)
	v_cvt_f32_f16_e32 v8, v8
	s_waitcnt vmcnt(0)
	v_cvt_f32_f16_e32 v9, v9
.LBB255_2:
	s_or_b32 exec_lo, exec_lo, s1
	v_cmp_lt_i32_e64 s1, 1, v7
	v_mov_b32_e32 v10, 0
	s_mov_b32 s7, 0
	s_delay_alu instid0(VALU_DEP_2) | instskip(NEXT) | instid1(SALU_CYCLE_1)
	s_and_b32 s1, vcc_lo, s1
	s_and_saveexec_b32 s2, s1
	s_cbranch_execz .LBB255_4
; %bb.3:
	s_lshl_b64 s[4:5], s[6:7], 1
	s_delay_alu instid0(SALU_CYCLE_1) | instskip(NEXT) | instid1(VALU_DEP_1)
	v_add_co_u32 v4, s1, v4, s4
	v_add_co_ci_u32_e64 v5, s1, s5, v5, s1
	v_add_co_u32 v2, s1, v2, s4
	s_delay_alu instid0(VALU_DEP_1)
	v_add_co_ci_u32_e64 v3, s1, s5, v3, s1
	global_load_u16 v4, v[4:5], off
	global_load_u16 v2, v[2:3], off
	s_waitcnt vmcnt(1)
	v_cvt_f32_f16_e32 v6, v4
	s_waitcnt vmcnt(0)
	v_cvt_f32_f16_e32 v10, v2
.LBB255_4:
	s_or_b32 exec_lo, exec_lo, s2
	v_mbcnt_lo_u32_b32 v2, -1, 0
	s_delay_alu instid0(VALU_DEP_1) | instskip(SKIP_1) | instid1(VALU_DEP_2)
	v_and_b32_e32 v3, 30, v2
	v_xor_b32_e32 v4, 1, v2
	v_add_nc_u32_e32 v3, 2, v3
	s_delay_alu instid0(VALU_DEP_1) | instskip(NEXT) | instid1(VALU_DEP_1)
	v_cmp_lt_i32_e64 s1, v4, v3
	v_cndmask_b32_e64 v2, v2, v4, s1
	s_delay_alu instid0(VALU_DEP_1)
	v_dual_add_f32 v4, 0, v8 :: v_dual_lshlrev_b32 v3, 2, v2
	v_add_f32_e32 v2, 0, v6
	ds_bpermute_b32 v5, v3, v4
	ds_bpermute_b32 v3, v3, v2
	s_and_saveexec_b32 s1, s0
	s_cbranch_execz .LBB255_10
; %bb.5:
	v_add_co_u32 v0, s0, s8, v0
	s_delay_alu instid0(VALU_DEP_1)
	v_add_co_ci_u32_e64 v1, s0, s9, v1, s0
	s_and_saveexec_b32 s1, vcc_lo
	s_cbranch_execz .LBB255_7
; %bb.6:
	v_mul_f32_e32 v11, 0x3fb8aa3b, v9
	v_cmp_ngt_f32_e64 s0, 0xc2ce8ed0, v9
	s_waitcnt lgkmcnt(1)
	v_add_f32_e32 v4, v4, v5
	s_delay_alu instid0(VALU_DEP_3) | instskip(SKIP_1) | instid1(VALU_DEP_2)
	v_rndne_f32_e32 v12, v11
	v_fma_f32 v13, 0x3fb8aa3b, v9, -v11
	v_sub_f32_e32 v11, v11, v12
	s_delay_alu instid0(VALU_DEP_2) | instskip(SKIP_1) | instid1(VALU_DEP_2)
	v_fmamk_f32 v13, v9, 0x32a5705f, v13
	v_cvt_i32_f32_e32 v12, v12
	v_add_f32_e32 v11, v11, v13
	s_delay_alu instid0(VALU_DEP_1) | instskip(SKIP_2) | instid1(VALU_DEP_1)
	v_exp_f32_e32 v11, v11
	s_waitcnt_depctr 0xfff
	v_ldexp_f32 v11, v11, v12
	v_cndmask_b32_e64 v11, 0, v11, s0
	v_cmp_nlt_f32_e64 s0, 0x42b17218, v9
	s_delay_alu instid0(VALU_DEP_1) | instskip(NEXT) | instid1(VALU_DEP_1)
	v_cndmask_b32_e64 v5, 0x7f800000, v11, s0
	v_fma_mixlo_f16 v4, -v4, v5, v8
	global_store_b16 v[0:1], v4, off
.LBB255_7:
	s_or_b32 exec_lo, exec_lo, s1
	v_cmp_ne_u32_e64 s0, 1, v7
	s_delay_alu instid0(VALU_DEP_1)
	s_and_b32 exec_lo, exec_lo, s0
	s_cbranch_execz .LBB255_10
; %bb.8:
	s_and_b32 exec_lo, exec_lo, vcc_lo
	s_cbranch_execz .LBB255_10
; %bb.9:
	v_mul_f32_e32 v4, 0x3fb8aa3b, v10
	v_cmp_ngt_f32_e32 vcc_lo, 0xc2ce8ed0, v10
	s_lshl_b64 s[0:1], s[6:7], 1
	s_waitcnt lgkmcnt(1)
	s_delay_alu instid0(VALU_DEP_2) | instskip(SKIP_1) | instid1(VALU_DEP_1)
	v_rndne_f32_e32 v5, v4
	v_fma_f32 v7, 0x3fb8aa3b, v10, -v4
	v_dual_sub_f32 v4, v4, v5 :: v_dual_fmamk_f32 v7, v10, 0x32a5705f, v7
	v_cvt_i32_f32_e32 v5, v5
	s_delay_alu instid0(VALU_DEP_2) | instskip(NEXT) | instid1(VALU_DEP_1)
	v_add_f32_e32 v4, v4, v7
	v_exp_f32_e32 v4, v4
	s_waitcnt_depctr 0xfff
	v_ldexp_f32 v4, v4, v5
	s_delay_alu instid0(VALU_DEP_1) | instskip(SKIP_2) | instid1(VALU_DEP_2)
	v_cndmask_b32_e32 v4, 0, v4, vcc_lo
	v_cmp_nlt_f32_e32 vcc_lo, 0x42b17218, v10
	s_waitcnt lgkmcnt(0)
	v_dual_add_f32 v2, v2, v3 :: v_dual_cndmask_b32 v3, 0x7f800000, v4
	v_add_co_u32 v0, vcc_lo, v0, s0
	v_add_co_ci_u32_e32 v1, vcc_lo, s1, v1, vcc_lo
	s_delay_alu instid0(VALU_DEP_3)
	v_fma_mixlo_f16 v2, -v2, v3, v6
	global_store_b16 v[0:1], v2, off
.LBB255_10:
	s_nop 0
	s_sendmsg sendmsg(MSG_DEALLOC_VGPRS)
	s_endpgm
	.section	.rodata,"a",@progbits
	.p2align	6, 0x0
	.amdhsa_kernel _ZN12_GLOBAL__N_121softmax_warp_backwardIN3c104HalfES2_fLi1ELb1ELb0ELi32EEEvPT0_PKT_S7_iiiPKb
		.amdhsa_group_segment_fixed_size 0
		.amdhsa_private_segment_fixed_size 0
		.amdhsa_kernarg_size 304
		.amdhsa_user_sgpr_count 15
		.amdhsa_user_sgpr_dispatch_ptr 0
		.amdhsa_user_sgpr_queue_ptr 0
		.amdhsa_user_sgpr_kernarg_segment_ptr 1
		.amdhsa_user_sgpr_dispatch_id 0
		.amdhsa_user_sgpr_private_segment_size 0
		.amdhsa_wavefront_size32 1
		.amdhsa_uses_dynamic_stack 0
		.amdhsa_enable_private_segment 0
		.amdhsa_system_sgpr_workgroup_id_x 1
		.amdhsa_system_sgpr_workgroup_id_y 0
		.amdhsa_system_sgpr_workgroup_id_z 0
		.amdhsa_system_sgpr_workgroup_info 0
		.amdhsa_system_vgpr_workitem_id 1
		.amdhsa_next_free_vgpr 14
		.amdhsa_next_free_sgpr 16
		.amdhsa_reserve_vcc 1
		.amdhsa_float_round_mode_32 0
		.amdhsa_float_round_mode_16_64 0
		.amdhsa_float_denorm_mode_32 3
		.amdhsa_float_denorm_mode_16_64 3
		.amdhsa_dx10_clamp 1
		.amdhsa_ieee_mode 1
		.amdhsa_fp16_overflow 0
		.amdhsa_workgroup_processor_mode 1
		.amdhsa_memory_ordered 1
		.amdhsa_forward_progress 0
		.amdhsa_shared_vgpr_count 0
		.amdhsa_exception_fp_ieee_invalid_op 0
		.amdhsa_exception_fp_denorm_src 0
		.amdhsa_exception_fp_ieee_div_zero 0
		.amdhsa_exception_fp_ieee_overflow 0
		.amdhsa_exception_fp_ieee_underflow 0
		.amdhsa_exception_fp_ieee_inexact 0
		.amdhsa_exception_int_div_zero 0
	.end_amdhsa_kernel
	.section	.text._ZN12_GLOBAL__N_121softmax_warp_backwardIN3c104HalfES2_fLi1ELb1ELb0ELi32EEEvPT0_PKT_S7_iiiPKb,"axG",@progbits,_ZN12_GLOBAL__N_121softmax_warp_backwardIN3c104HalfES2_fLi1ELb1ELb0ELi32EEEvPT0_PKT_S7_iiiPKb,comdat
.Lfunc_end255:
	.size	_ZN12_GLOBAL__N_121softmax_warp_backwardIN3c104HalfES2_fLi1ELb1ELb0ELi32EEEvPT0_PKT_S7_iiiPKb, .Lfunc_end255-_ZN12_GLOBAL__N_121softmax_warp_backwardIN3c104HalfES2_fLi1ELb1ELb0ELi32EEEvPT0_PKT_S7_iiiPKb
                                        ; -- End function
	.section	.AMDGPU.csdata,"",@progbits
; Kernel info:
; codeLenInByte = 792
; NumSgprs: 18
; NumVgprs: 14
; ScratchSize: 0
; MemoryBound: 0
; FloatMode: 240
; IeeeMode: 1
; LDSByteSize: 0 bytes/workgroup (compile time only)
; SGPRBlocks: 2
; VGPRBlocks: 1
; NumSGPRsForWavesPerEU: 18
; NumVGPRsForWavesPerEU: 14
; Occupancy: 16
; WaveLimiterHint : 0
; COMPUTE_PGM_RSRC2:SCRATCH_EN: 0
; COMPUTE_PGM_RSRC2:USER_SGPR: 15
; COMPUTE_PGM_RSRC2:TRAP_HANDLER: 0
; COMPUTE_PGM_RSRC2:TGID_X_EN: 1
; COMPUTE_PGM_RSRC2:TGID_Y_EN: 0
; COMPUTE_PGM_RSRC2:TGID_Z_EN: 0
; COMPUTE_PGM_RSRC2:TIDIG_COMP_CNT: 1
	.section	.text._ZN12_GLOBAL__N_121softmax_warp_backwardIN3c104HalfES2_fLi2ELb1ELb0ELi64EEEvPT0_PKT_S7_iiiPKb,"axG",@progbits,_ZN12_GLOBAL__N_121softmax_warp_backwardIN3c104HalfES2_fLi2ELb1ELb0ELi64EEEvPT0_PKT_S7_iiiPKb,comdat
	.globl	_ZN12_GLOBAL__N_121softmax_warp_backwardIN3c104HalfES2_fLi2ELb1ELb0ELi64EEEvPT0_PKT_S7_iiiPKb ; -- Begin function _ZN12_GLOBAL__N_121softmax_warp_backwardIN3c104HalfES2_fLi2ELb1ELb0ELi64EEEvPT0_PKT_S7_iiiPKb
	.p2align	8
	.type	_ZN12_GLOBAL__N_121softmax_warp_backwardIN3c104HalfES2_fLi2ELb1ELb0ELi64EEEvPT0_PKT_S7_iiiPKb,@function
_ZN12_GLOBAL__N_121softmax_warp_backwardIN3c104HalfES2_fLi2ELb1ELb0ELi64EEEvPT0_PKT_S7_iiiPKb: ; @_ZN12_GLOBAL__N_121softmax_warp_backwardIN3c104HalfES2_fLi2ELb1ELb0ELi64EEEvPT0_PKT_S7_iiiPKb
; %bb.0:
	s_clause 0x1
	s_load_b32 s2, s[0:1], 0x3c
	s_load_b128 s[4:7], s[0:1], 0x18
	v_bfe_u32 v1, v0, 10, 10
	v_dual_mov_b32 v9, 0 :: v_dual_and_b32 v2, 3, v0
	s_load_b128 s[8:11], s[0:1], 0x0
	v_mov_b32_e32 v6, 0
	v_mov_b32_e32 v8, 0
	s_waitcnt lgkmcnt(0)
	s_lshr_b32 s2, s2, 16
	v_cmp_gt_i32_e32 vcc_lo, s6, v2
	s_mul_i32 s15, s15, s2
	s_load_b64 s[2:3], s[0:1], 0x10
	v_add_lshl_u32 v3, s15, v1, 1
	s_delay_alu instid0(VALU_DEP_1) | instskip(SKIP_1) | instid1(VALU_DEP_1)
	v_mad_u64_u32 v[0:1], null, v3, s5, v[2:3]
	v_sub_nc_u32_e32 v7, s4, v3
	v_cmp_lt_i32_e64 s0, 0, v7
	s_delay_alu instid0(VALU_DEP_3) | instskip(NEXT) | instid1(VALU_DEP_1)
	v_ashrrev_i32_e32 v1, 31, v0
	v_lshlrev_b64 v[0:1], 1, v[0:1]
	s_delay_alu instid0(VALU_DEP_1) | instskip(NEXT) | instid1(VALU_DEP_1)
	v_add_co_u32 v4, s1, s10, v0
	v_add_co_ci_u32_e64 v5, s1, s11, v1, s1
	s_waitcnt lgkmcnt(0)
	v_add_co_u32 v2, s1, s2, v0
	s_delay_alu instid0(VALU_DEP_1) | instskip(SKIP_1) | instid1(SALU_CYCLE_1)
	v_add_co_ci_u32_e64 v3, s1, s3, v1, s1
	s_and_b32 s2, vcc_lo, s0
	s_and_saveexec_b32 s1, s2
	s_cbranch_execz .LBB256_2
; %bb.1:
	global_load_u16 v8, v[4:5], off
	global_load_u16 v9, v[2:3], off
	s_waitcnt vmcnt(1)
	v_cvt_f32_f16_e32 v8, v8
	s_waitcnt vmcnt(0)
	v_cvt_f32_f16_e32 v9, v9
.LBB256_2:
	s_or_b32 exec_lo, exec_lo, s1
	v_cmp_lt_i32_e64 s1, 1, v7
	v_mov_b32_e32 v10, 0
	s_mov_b32 s7, 0
	s_delay_alu instid0(VALU_DEP_2) | instskip(NEXT) | instid1(SALU_CYCLE_1)
	s_and_b32 s1, vcc_lo, s1
	s_and_saveexec_b32 s2, s1
	s_cbranch_execz .LBB256_4
; %bb.3:
	s_lshl_b64 s[4:5], s[6:7], 1
	s_delay_alu instid0(SALU_CYCLE_1) | instskip(NEXT) | instid1(VALU_DEP_1)
	v_add_co_u32 v4, s1, v4, s4
	v_add_co_ci_u32_e64 v5, s1, s5, v5, s1
	v_add_co_u32 v2, s1, v2, s4
	s_delay_alu instid0(VALU_DEP_1)
	v_add_co_ci_u32_e64 v3, s1, s5, v3, s1
	global_load_u16 v4, v[4:5], off
	global_load_u16 v2, v[2:3], off
	s_waitcnt vmcnt(1)
	v_cvt_f32_f16_e32 v6, v4
	s_waitcnt vmcnt(0)
	v_cvt_f32_f16_e32 v10, v2
.LBB256_4:
	s_or_b32 exec_lo, exec_lo, s2
	v_mbcnt_lo_u32_b32 v2, -1, 0
	v_add_f32_e32 v5, 0, v8
	v_add_f32_e32 v11, 0, v6
	s_delay_alu instid0(VALU_DEP_3) | instskip(SKIP_1) | instid1(VALU_DEP_2)
	v_and_b32_e32 v3, 28, v2
	v_xor_b32_e32 v4, 2, v2
	v_add_nc_u32_e32 v3, 4, v3
	s_delay_alu instid0(VALU_DEP_1) | instskip(NEXT) | instid1(VALU_DEP_1)
	v_cmp_lt_i32_e64 s1, v4, v3
	v_cndmask_b32_e64 v4, v2, v4, s1
	s_delay_alu instid0(VALU_DEP_1) | instskip(SKIP_3) | instid1(VALU_DEP_1)
	v_lshlrev_b32_e32 v4, 2, v4
	ds_bpermute_b32 v12, v4, v5
	ds_bpermute_b32 v13, v4, v11
	v_xor_b32_e32 v4, 1, v2
	v_cmp_lt_i32_e64 s1, v4, v3
	s_delay_alu instid0(VALU_DEP_1) | instskip(SKIP_1) | instid1(VALU_DEP_1)
	v_cndmask_b32_e64 v2, v2, v4, s1
	s_waitcnt lgkmcnt(1)
	v_dual_add_f32 v4, v5, v12 :: v_dual_lshlrev_b32 v3, 2, v2
	s_waitcnt lgkmcnt(0)
	v_add_f32_e32 v2, v11, v13
	ds_bpermute_b32 v5, v3, v4
	ds_bpermute_b32 v3, v3, v2
	s_and_saveexec_b32 s1, s0
	s_cbranch_execz .LBB256_10
; %bb.5:
	v_add_co_u32 v0, s0, s8, v0
	s_delay_alu instid0(VALU_DEP_1)
	v_add_co_ci_u32_e64 v1, s0, s9, v1, s0
	s_and_saveexec_b32 s1, vcc_lo
	s_cbranch_execz .LBB256_7
; %bb.6:
	v_mul_f32_e32 v11, 0x3fb8aa3b, v9
	v_cmp_ngt_f32_e64 s0, 0xc2ce8ed0, v9
	s_waitcnt lgkmcnt(1)
	v_add_f32_e32 v4, v4, v5
	s_delay_alu instid0(VALU_DEP_3) | instskip(SKIP_1) | instid1(VALU_DEP_2)
	v_rndne_f32_e32 v12, v11
	v_fma_f32 v13, 0x3fb8aa3b, v9, -v11
	v_sub_f32_e32 v11, v11, v12
	s_delay_alu instid0(VALU_DEP_2) | instskip(SKIP_1) | instid1(VALU_DEP_2)
	v_fmamk_f32 v13, v9, 0x32a5705f, v13
	v_cvt_i32_f32_e32 v12, v12
	v_add_f32_e32 v11, v11, v13
	s_delay_alu instid0(VALU_DEP_1) | instskip(SKIP_2) | instid1(VALU_DEP_1)
	v_exp_f32_e32 v11, v11
	s_waitcnt_depctr 0xfff
	v_ldexp_f32 v11, v11, v12
	v_cndmask_b32_e64 v11, 0, v11, s0
	v_cmp_nlt_f32_e64 s0, 0x42b17218, v9
	s_delay_alu instid0(VALU_DEP_1) | instskip(NEXT) | instid1(VALU_DEP_1)
	v_cndmask_b32_e64 v5, 0x7f800000, v11, s0
	v_fma_mixlo_f16 v4, -v4, v5, v8
	global_store_b16 v[0:1], v4, off
.LBB256_7:
	s_or_b32 exec_lo, exec_lo, s1
	v_cmp_ne_u32_e64 s0, 1, v7
	s_delay_alu instid0(VALU_DEP_1)
	s_and_b32 exec_lo, exec_lo, s0
	s_cbranch_execz .LBB256_10
; %bb.8:
	s_and_b32 exec_lo, exec_lo, vcc_lo
	s_cbranch_execz .LBB256_10
; %bb.9:
	v_mul_f32_e32 v4, 0x3fb8aa3b, v10
	v_cmp_ngt_f32_e32 vcc_lo, 0xc2ce8ed0, v10
	s_lshl_b64 s[0:1], s[6:7], 1
	s_waitcnt lgkmcnt(1)
	s_delay_alu instid0(VALU_DEP_2) | instskip(SKIP_1) | instid1(VALU_DEP_1)
	v_rndne_f32_e32 v5, v4
	v_fma_f32 v7, 0x3fb8aa3b, v10, -v4
	v_dual_sub_f32 v4, v4, v5 :: v_dual_fmamk_f32 v7, v10, 0x32a5705f, v7
	v_cvt_i32_f32_e32 v5, v5
	s_delay_alu instid0(VALU_DEP_2) | instskip(NEXT) | instid1(VALU_DEP_1)
	v_add_f32_e32 v4, v4, v7
	v_exp_f32_e32 v4, v4
	s_waitcnt_depctr 0xfff
	v_ldexp_f32 v4, v4, v5
	s_delay_alu instid0(VALU_DEP_1) | instskip(SKIP_2) | instid1(VALU_DEP_2)
	v_cndmask_b32_e32 v4, 0, v4, vcc_lo
	v_cmp_nlt_f32_e32 vcc_lo, 0x42b17218, v10
	s_waitcnt lgkmcnt(0)
	v_dual_add_f32 v2, v2, v3 :: v_dual_cndmask_b32 v3, 0x7f800000, v4
	v_add_co_u32 v0, vcc_lo, v0, s0
	v_add_co_ci_u32_e32 v1, vcc_lo, s1, v1, vcc_lo
	s_delay_alu instid0(VALU_DEP_3)
	v_fma_mixlo_f16 v2, -v2, v3, v6
	global_store_b16 v[0:1], v2, off
.LBB256_10:
	s_nop 0
	s_sendmsg sendmsg(MSG_DEALLOC_VGPRS)
	s_endpgm
	.section	.rodata,"a",@progbits
	.p2align	6, 0x0
	.amdhsa_kernel _ZN12_GLOBAL__N_121softmax_warp_backwardIN3c104HalfES2_fLi2ELb1ELb0ELi64EEEvPT0_PKT_S7_iiiPKb
		.amdhsa_group_segment_fixed_size 0
		.amdhsa_private_segment_fixed_size 0
		.amdhsa_kernarg_size 304
		.amdhsa_user_sgpr_count 15
		.amdhsa_user_sgpr_dispatch_ptr 0
		.amdhsa_user_sgpr_queue_ptr 0
		.amdhsa_user_sgpr_kernarg_segment_ptr 1
		.amdhsa_user_sgpr_dispatch_id 0
		.amdhsa_user_sgpr_private_segment_size 0
		.amdhsa_wavefront_size32 1
		.amdhsa_uses_dynamic_stack 0
		.amdhsa_enable_private_segment 0
		.amdhsa_system_sgpr_workgroup_id_x 1
		.amdhsa_system_sgpr_workgroup_id_y 0
		.amdhsa_system_sgpr_workgroup_id_z 0
		.amdhsa_system_sgpr_workgroup_info 0
		.amdhsa_system_vgpr_workitem_id 1
		.amdhsa_next_free_vgpr 14
		.amdhsa_next_free_sgpr 16
		.amdhsa_reserve_vcc 1
		.amdhsa_float_round_mode_32 0
		.amdhsa_float_round_mode_16_64 0
		.amdhsa_float_denorm_mode_32 3
		.amdhsa_float_denorm_mode_16_64 3
		.amdhsa_dx10_clamp 1
		.amdhsa_ieee_mode 1
		.amdhsa_fp16_overflow 0
		.amdhsa_workgroup_processor_mode 1
		.amdhsa_memory_ordered 1
		.amdhsa_forward_progress 0
		.amdhsa_shared_vgpr_count 0
		.amdhsa_exception_fp_ieee_invalid_op 0
		.amdhsa_exception_fp_denorm_src 0
		.amdhsa_exception_fp_ieee_div_zero 0
		.amdhsa_exception_fp_ieee_overflow 0
		.amdhsa_exception_fp_ieee_underflow 0
		.amdhsa_exception_fp_ieee_inexact 0
		.amdhsa_exception_int_div_zero 0
	.end_amdhsa_kernel
	.section	.text._ZN12_GLOBAL__N_121softmax_warp_backwardIN3c104HalfES2_fLi2ELb1ELb0ELi64EEEvPT0_PKT_S7_iiiPKb,"axG",@progbits,_ZN12_GLOBAL__N_121softmax_warp_backwardIN3c104HalfES2_fLi2ELb1ELb0ELi64EEEvPT0_PKT_S7_iiiPKb,comdat
.Lfunc_end256:
	.size	_ZN12_GLOBAL__N_121softmax_warp_backwardIN3c104HalfES2_fLi2ELb1ELb0ELi64EEEvPT0_PKT_S7_iiiPKb, .Lfunc_end256-_ZN12_GLOBAL__N_121softmax_warp_backwardIN3c104HalfES2_fLi2ELb1ELb0ELi64EEEvPT0_PKT_S7_iiiPKb
                                        ; -- End function
	.section	.AMDGPU.csdata,"",@progbits
; Kernel info:
; codeLenInByte = 836
; NumSgprs: 18
; NumVgprs: 14
; ScratchSize: 0
; MemoryBound: 0
; FloatMode: 240
; IeeeMode: 1
; LDSByteSize: 0 bytes/workgroup (compile time only)
; SGPRBlocks: 2
; VGPRBlocks: 1
; NumSGPRsForWavesPerEU: 18
; NumVGPRsForWavesPerEU: 14
; Occupancy: 16
; WaveLimiterHint : 0
; COMPUTE_PGM_RSRC2:SCRATCH_EN: 0
; COMPUTE_PGM_RSRC2:USER_SGPR: 15
; COMPUTE_PGM_RSRC2:TRAP_HANDLER: 0
; COMPUTE_PGM_RSRC2:TGID_X_EN: 1
; COMPUTE_PGM_RSRC2:TGID_Y_EN: 0
; COMPUTE_PGM_RSRC2:TGID_Z_EN: 0
; COMPUTE_PGM_RSRC2:TIDIG_COMP_CNT: 1
	.section	.text._ZN12_GLOBAL__N_121softmax_warp_backwardIN3c104HalfES2_fLi2ELb1ELb0ELi32EEEvPT0_PKT_S7_iiiPKb,"axG",@progbits,_ZN12_GLOBAL__N_121softmax_warp_backwardIN3c104HalfES2_fLi2ELb1ELb0ELi32EEEvPT0_PKT_S7_iiiPKb,comdat
	.globl	_ZN12_GLOBAL__N_121softmax_warp_backwardIN3c104HalfES2_fLi2ELb1ELb0ELi32EEEvPT0_PKT_S7_iiiPKb ; -- Begin function _ZN12_GLOBAL__N_121softmax_warp_backwardIN3c104HalfES2_fLi2ELb1ELb0ELi32EEEvPT0_PKT_S7_iiiPKb
	.p2align	8
	.type	_ZN12_GLOBAL__N_121softmax_warp_backwardIN3c104HalfES2_fLi2ELb1ELb0ELi32EEEvPT0_PKT_S7_iiiPKb,@function
_ZN12_GLOBAL__N_121softmax_warp_backwardIN3c104HalfES2_fLi2ELb1ELb0ELi32EEEvPT0_PKT_S7_iiiPKb: ; @_ZN12_GLOBAL__N_121softmax_warp_backwardIN3c104HalfES2_fLi2ELb1ELb0ELi32EEEvPT0_PKT_S7_iiiPKb
; %bb.0:
	s_clause 0x1
	s_load_b32 s2, s[0:1], 0x3c
	s_load_b128 s[4:7], s[0:1], 0x18
	v_bfe_u32 v1, v0, 10, 10
	v_dual_mov_b32 v9, 0 :: v_dual_and_b32 v2, 3, v0
	s_load_b128 s[8:11], s[0:1], 0x0
	v_mov_b32_e32 v6, 0
	v_mov_b32_e32 v8, 0
	s_waitcnt lgkmcnt(0)
	s_lshr_b32 s2, s2, 16
	v_cmp_gt_i32_e32 vcc_lo, s6, v2
	s_mul_i32 s15, s15, s2
	s_load_b64 s[2:3], s[0:1], 0x10
	v_add_lshl_u32 v3, s15, v1, 1
	s_delay_alu instid0(VALU_DEP_1) | instskip(SKIP_1) | instid1(VALU_DEP_1)
	v_mad_u64_u32 v[0:1], null, v3, s5, v[2:3]
	v_sub_nc_u32_e32 v7, s4, v3
	v_cmp_lt_i32_e64 s0, 0, v7
	s_delay_alu instid0(VALU_DEP_3) | instskip(NEXT) | instid1(VALU_DEP_1)
	v_ashrrev_i32_e32 v1, 31, v0
	v_lshlrev_b64 v[0:1], 1, v[0:1]
	s_delay_alu instid0(VALU_DEP_1) | instskip(NEXT) | instid1(VALU_DEP_1)
	v_add_co_u32 v4, s1, s10, v0
	v_add_co_ci_u32_e64 v5, s1, s11, v1, s1
	s_waitcnt lgkmcnt(0)
	v_add_co_u32 v2, s1, s2, v0
	s_delay_alu instid0(VALU_DEP_1) | instskip(SKIP_1) | instid1(SALU_CYCLE_1)
	v_add_co_ci_u32_e64 v3, s1, s3, v1, s1
	s_and_b32 s2, vcc_lo, s0
	s_and_saveexec_b32 s1, s2
	s_cbranch_execz .LBB257_2
; %bb.1:
	global_load_u16 v8, v[4:5], off
	global_load_u16 v9, v[2:3], off
	s_waitcnt vmcnt(1)
	v_cvt_f32_f16_e32 v8, v8
	s_waitcnt vmcnt(0)
	v_cvt_f32_f16_e32 v9, v9
.LBB257_2:
	s_or_b32 exec_lo, exec_lo, s1
	v_cmp_lt_i32_e64 s1, 1, v7
	v_mov_b32_e32 v10, 0
	s_mov_b32 s7, 0
	s_delay_alu instid0(VALU_DEP_2) | instskip(NEXT) | instid1(SALU_CYCLE_1)
	s_and_b32 s1, vcc_lo, s1
	s_and_saveexec_b32 s2, s1
	s_cbranch_execz .LBB257_4
; %bb.3:
	s_lshl_b64 s[4:5], s[6:7], 1
	s_delay_alu instid0(SALU_CYCLE_1) | instskip(NEXT) | instid1(VALU_DEP_1)
	v_add_co_u32 v4, s1, v4, s4
	v_add_co_ci_u32_e64 v5, s1, s5, v5, s1
	v_add_co_u32 v2, s1, v2, s4
	s_delay_alu instid0(VALU_DEP_1)
	v_add_co_ci_u32_e64 v3, s1, s5, v3, s1
	global_load_u16 v4, v[4:5], off
	global_load_u16 v2, v[2:3], off
	s_waitcnt vmcnt(1)
	v_cvt_f32_f16_e32 v6, v4
	s_waitcnt vmcnt(0)
	v_cvt_f32_f16_e32 v10, v2
.LBB257_4:
	s_or_b32 exec_lo, exec_lo, s2
	v_mbcnt_lo_u32_b32 v2, -1, 0
	v_add_f32_e32 v5, 0, v8
	v_add_f32_e32 v11, 0, v6
	s_delay_alu instid0(VALU_DEP_3) | instskip(SKIP_1) | instid1(VALU_DEP_2)
	v_and_b32_e32 v3, 28, v2
	v_xor_b32_e32 v4, 2, v2
	v_add_nc_u32_e32 v3, 4, v3
	s_delay_alu instid0(VALU_DEP_1) | instskip(NEXT) | instid1(VALU_DEP_1)
	v_cmp_lt_i32_e64 s1, v4, v3
	v_cndmask_b32_e64 v4, v2, v4, s1
	s_delay_alu instid0(VALU_DEP_1) | instskip(SKIP_3) | instid1(VALU_DEP_1)
	v_lshlrev_b32_e32 v4, 2, v4
	ds_bpermute_b32 v12, v4, v5
	ds_bpermute_b32 v13, v4, v11
	v_xor_b32_e32 v4, 1, v2
	v_cmp_lt_i32_e64 s1, v4, v3
	s_delay_alu instid0(VALU_DEP_1) | instskip(SKIP_1) | instid1(VALU_DEP_1)
	v_cndmask_b32_e64 v2, v2, v4, s1
	s_waitcnt lgkmcnt(1)
	v_dual_add_f32 v4, v5, v12 :: v_dual_lshlrev_b32 v3, 2, v2
	s_waitcnt lgkmcnt(0)
	v_add_f32_e32 v2, v11, v13
	ds_bpermute_b32 v5, v3, v4
	ds_bpermute_b32 v3, v3, v2
	s_and_saveexec_b32 s1, s0
	s_cbranch_execz .LBB257_10
; %bb.5:
	v_add_co_u32 v0, s0, s8, v0
	s_delay_alu instid0(VALU_DEP_1)
	v_add_co_ci_u32_e64 v1, s0, s9, v1, s0
	s_and_saveexec_b32 s1, vcc_lo
	s_cbranch_execz .LBB257_7
; %bb.6:
	v_mul_f32_e32 v11, 0x3fb8aa3b, v9
	v_cmp_ngt_f32_e64 s0, 0xc2ce8ed0, v9
	s_waitcnt lgkmcnt(1)
	v_add_f32_e32 v4, v4, v5
	s_delay_alu instid0(VALU_DEP_3) | instskip(SKIP_1) | instid1(VALU_DEP_2)
	v_rndne_f32_e32 v12, v11
	v_fma_f32 v13, 0x3fb8aa3b, v9, -v11
	v_sub_f32_e32 v11, v11, v12
	s_delay_alu instid0(VALU_DEP_2) | instskip(SKIP_1) | instid1(VALU_DEP_2)
	v_fmamk_f32 v13, v9, 0x32a5705f, v13
	v_cvt_i32_f32_e32 v12, v12
	v_add_f32_e32 v11, v11, v13
	s_delay_alu instid0(VALU_DEP_1) | instskip(SKIP_2) | instid1(VALU_DEP_1)
	v_exp_f32_e32 v11, v11
	s_waitcnt_depctr 0xfff
	v_ldexp_f32 v11, v11, v12
	v_cndmask_b32_e64 v11, 0, v11, s0
	v_cmp_nlt_f32_e64 s0, 0x42b17218, v9
	s_delay_alu instid0(VALU_DEP_1) | instskip(NEXT) | instid1(VALU_DEP_1)
	v_cndmask_b32_e64 v5, 0x7f800000, v11, s0
	v_fma_mixlo_f16 v4, -v4, v5, v8
	global_store_b16 v[0:1], v4, off
.LBB257_7:
	s_or_b32 exec_lo, exec_lo, s1
	v_cmp_ne_u32_e64 s0, 1, v7
	s_delay_alu instid0(VALU_DEP_1)
	s_and_b32 exec_lo, exec_lo, s0
	s_cbranch_execz .LBB257_10
; %bb.8:
	s_and_b32 exec_lo, exec_lo, vcc_lo
	s_cbranch_execz .LBB257_10
; %bb.9:
	v_mul_f32_e32 v4, 0x3fb8aa3b, v10
	v_cmp_ngt_f32_e32 vcc_lo, 0xc2ce8ed0, v10
	s_lshl_b64 s[0:1], s[6:7], 1
	s_waitcnt lgkmcnt(1)
	s_delay_alu instid0(VALU_DEP_2) | instskip(SKIP_1) | instid1(VALU_DEP_1)
	v_rndne_f32_e32 v5, v4
	v_fma_f32 v7, 0x3fb8aa3b, v10, -v4
	v_dual_sub_f32 v4, v4, v5 :: v_dual_fmamk_f32 v7, v10, 0x32a5705f, v7
	v_cvt_i32_f32_e32 v5, v5
	s_delay_alu instid0(VALU_DEP_2) | instskip(NEXT) | instid1(VALU_DEP_1)
	v_add_f32_e32 v4, v4, v7
	v_exp_f32_e32 v4, v4
	s_waitcnt_depctr 0xfff
	v_ldexp_f32 v4, v4, v5
	s_delay_alu instid0(VALU_DEP_1) | instskip(SKIP_2) | instid1(VALU_DEP_2)
	v_cndmask_b32_e32 v4, 0, v4, vcc_lo
	v_cmp_nlt_f32_e32 vcc_lo, 0x42b17218, v10
	s_waitcnt lgkmcnt(0)
	v_dual_add_f32 v2, v2, v3 :: v_dual_cndmask_b32 v3, 0x7f800000, v4
	v_add_co_u32 v0, vcc_lo, v0, s0
	v_add_co_ci_u32_e32 v1, vcc_lo, s1, v1, vcc_lo
	s_delay_alu instid0(VALU_DEP_3)
	v_fma_mixlo_f16 v2, -v2, v3, v6
	global_store_b16 v[0:1], v2, off
.LBB257_10:
	s_nop 0
	s_sendmsg sendmsg(MSG_DEALLOC_VGPRS)
	s_endpgm
	.section	.rodata,"a",@progbits
	.p2align	6, 0x0
	.amdhsa_kernel _ZN12_GLOBAL__N_121softmax_warp_backwardIN3c104HalfES2_fLi2ELb1ELb0ELi32EEEvPT0_PKT_S7_iiiPKb
		.amdhsa_group_segment_fixed_size 0
		.amdhsa_private_segment_fixed_size 0
		.amdhsa_kernarg_size 304
		.amdhsa_user_sgpr_count 15
		.amdhsa_user_sgpr_dispatch_ptr 0
		.amdhsa_user_sgpr_queue_ptr 0
		.amdhsa_user_sgpr_kernarg_segment_ptr 1
		.amdhsa_user_sgpr_dispatch_id 0
		.amdhsa_user_sgpr_private_segment_size 0
		.amdhsa_wavefront_size32 1
		.amdhsa_uses_dynamic_stack 0
		.amdhsa_enable_private_segment 0
		.amdhsa_system_sgpr_workgroup_id_x 1
		.amdhsa_system_sgpr_workgroup_id_y 0
		.amdhsa_system_sgpr_workgroup_id_z 0
		.amdhsa_system_sgpr_workgroup_info 0
		.amdhsa_system_vgpr_workitem_id 1
		.amdhsa_next_free_vgpr 14
		.amdhsa_next_free_sgpr 16
		.amdhsa_reserve_vcc 1
		.amdhsa_float_round_mode_32 0
		.amdhsa_float_round_mode_16_64 0
		.amdhsa_float_denorm_mode_32 3
		.amdhsa_float_denorm_mode_16_64 3
		.amdhsa_dx10_clamp 1
		.amdhsa_ieee_mode 1
		.amdhsa_fp16_overflow 0
		.amdhsa_workgroup_processor_mode 1
		.amdhsa_memory_ordered 1
		.amdhsa_forward_progress 0
		.amdhsa_shared_vgpr_count 0
		.amdhsa_exception_fp_ieee_invalid_op 0
		.amdhsa_exception_fp_denorm_src 0
		.amdhsa_exception_fp_ieee_div_zero 0
		.amdhsa_exception_fp_ieee_overflow 0
		.amdhsa_exception_fp_ieee_underflow 0
		.amdhsa_exception_fp_ieee_inexact 0
		.amdhsa_exception_int_div_zero 0
	.end_amdhsa_kernel
	.section	.text._ZN12_GLOBAL__N_121softmax_warp_backwardIN3c104HalfES2_fLi2ELb1ELb0ELi32EEEvPT0_PKT_S7_iiiPKb,"axG",@progbits,_ZN12_GLOBAL__N_121softmax_warp_backwardIN3c104HalfES2_fLi2ELb1ELb0ELi32EEEvPT0_PKT_S7_iiiPKb,comdat
.Lfunc_end257:
	.size	_ZN12_GLOBAL__N_121softmax_warp_backwardIN3c104HalfES2_fLi2ELb1ELb0ELi32EEEvPT0_PKT_S7_iiiPKb, .Lfunc_end257-_ZN12_GLOBAL__N_121softmax_warp_backwardIN3c104HalfES2_fLi2ELb1ELb0ELi32EEEvPT0_PKT_S7_iiiPKb
                                        ; -- End function
	.section	.AMDGPU.csdata,"",@progbits
; Kernel info:
; codeLenInByte = 836
; NumSgprs: 18
; NumVgprs: 14
; ScratchSize: 0
; MemoryBound: 0
; FloatMode: 240
; IeeeMode: 1
; LDSByteSize: 0 bytes/workgroup (compile time only)
; SGPRBlocks: 2
; VGPRBlocks: 1
; NumSGPRsForWavesPerEU: 18
; NumVGPRsForWavesPerEU: 14
; Occupancy: 16
; WaveLimiterHint : 0
; COMPUTE_PGM_RSRC2:SCRATCH_EN: 0
; COMPUTE_PGM_RSRC2:USER_SGPR: 15
; COMPUTE_PGM_RSRC2:TRAP_HANDLER: 0
; COMPUTE_PGM_RSRC2:TGID_X_EN: 1
; COMPUTE_PGM_RSRC2:TGID_Y_EN: 0
; COMPUTE_PGM_RSRC2:TGID_Z_EN: 0
; COMPUTE_PGM_RSRC2:TIDIG_COMP_CNT: 1
	.section	.text._ZN12_GLOBAL__N_121softmax_warp_backwardIN3c104HalfES2_fLi3ELb1ELb0ELi64EEEvPT0_PKT_S7_iiiPKb,"axG",@progbits,_ZN12_GLOBAL__N_121softmax_warp_backwardIN3c104HalfES2_fLi3ELb1ELb0ELi64EEEvPT0_PKT_S7_iiiPKb,comdat
	.globl	_ZN12_GLOBAL__N_121softmax_warp_backwardIN3c104HalfES2_fLi3ELb1ELb0ELi64EEEvPT0_PKT_S7_iiiPKb ; -- Begin function _ZN12_GLOBAL__N_121softmax_warp_backwardIN3c104HalfES2_fLi3ELb1ELb0ELi64EEEvPT0_PKT_S7_iiiPKb
	.p2align	8
	.type	_ZN12_GLOBAL__N_121softmax_warp_backwardIN3c104HalfES2_fLi3ELb1ELb0ELi64EEEvPT0_PKT_S7_iiiPKb,@function
_ZN12_GLOBAL__N_121softmax_warp_backwardIN3c104HalfES2_fLi3ELb1ELb0ELi64EEEvPT0_PKT_S7_iiiPKb: ; @_ZN12_GLOBAL__N_121softmax_warp_backwardIN3c104HalfES2_fLi3ELb1ELb0ELi64EEEvPT0_PKT_S7_iiiPKb
; %bb.0:
	s_clause 0x1
	s_load_b32 s2, s[0:1], 0x3c
	s_load_b128 s[4:7], s[0:1], 0x18
	v_bfe_u32 v1, v0, 10, 10
	v_dual_mov_b32 v9, 0 :: v_dual_and_b32 v2, 7, v0
	s_load_b128 s[8:11], s[0:1], 0x0
	v_mov_b32_e32 v6, 0
	v_mov_b32_e32 v8, 0
	s_waitcnt lgkmcnt(0)
	s_lshr_b32 s2, s2, 16
	v_cmp_gt_i32_e32 vcc_lo, s6, v2
	s_mul_i32 s15, s15, s2
	s_load_b64 s[2:3], s[0:1], 0x10
	v_add_lshl_u32 v3, s15, v1, 1
	s_delay_alu instid0(VALU_DEP_1) | instskip(SKIP_1) | instid1(VALU_DEP_1)
	v_mad_u64_u32 v[0:1], null, v3, s5, v[2:3]
	v_sub_nc_u32_e32 v7, s4, v3
	v_cmp_lt_i32_e64 s0, 0, v7
	s_delay_alu instid0(VALU_DEP_3) | instskip(NEXT) | instid1(VALU_DEP_1)
	v_ashrrev_i32_e32 v1, 31, v0
	v_lshlrev_b64 v[0:1], 1, v[0:1]
	s_delay_alu instid0(VALU_DEP_1) | instskip(NEXT) | instid1(VALU_DEP_1)
	v_add_co_u32 v4, s1, s10, v0
	v_add_co_ci_u32_e64 v5, s1, s11, v1, s1
	s_waitcnt lgkmcnt(0)
	v_add_co_u32 v2, s1, s2, v0
	s_delay_alu instid0(VALU_DEP_1) | instskip(SKIP_1) | instid1(SALU_CYCLE_1)
	v_add_co_ci_u32_e64 v3, s1, s3, v1, s1
	s_and_b32 s2, vcc_lo, s0
	s_and_saveexec_b32 s1, s2
	s_cbranch_execz .LBB258_2
; %bb.1:
	global_load_u16 v8, v[4:5], off
	global_load_u16 v9, v[2:3], off
	s_waitcnt vmcnt(1)
	v_cvt_f32_f16_e32 v8, v8
	s_waitcnt vmcnt(0)
	v_cvt_f32_f16_e32 v9, v9
.LBB258_2:
	s_or_b32 exec_lo, exec_lo, s1
	v_cmp_lt_i32_e64 s1, 1, v7
	v_mov_b32_e32 v10, 0
	s_mov_b32 s7, 0
	s_delay_alu instid0(VALU_DEP_2) | instskip(NEXT) | instid1(SALU_CYCLE_1)
	s_and_b32 s1, vcc_lo, s1
	s_and_saveexec_b32 s2, s1
	s_cbranch_execz .LBB258_4
; %bb.3:
	s_lshl_b64 s[4:5], s[6:7], 1
	s_delay_alu instid0(SALU_CYCLE_1) | instskip(NEXT) | instid1(VALU_DEP_1)
	v_add_co_u32 v4, s1, v4, s4
	v_add_co_ci_u32_e64 v5, s1, s5, v5, s1
	v_add_co_u32 v2, s1, v2, s4
	s_delay_alu instid0(VALU_DEP_1)
	v_add_co_ci_u32_e64 v3, s1, s5, v3, s1
	global_load_u16 v4, v[4:5], off
	global_load_u16 v2, v[2:3], off
	s_waitcnt vmcnt(1)
	v_cvt_f32_f16_e32 v6, v4
	s_waitcnt vmcnt(0)
	v_cvt_f32_f16_e32 v10, v2
.LBB258_4:
	s_or_b32 exec_lo, exec_lo, s2
	v_mbcnt_lo_u32_b32 v2, -1, 0
	v_add_f32_e32 v5, 0, v8
	v_add_f32_e32 v11, 0, v6
	s_delay_alu instid0(VALU_DEP_3) | instskip(SKIP_2) | instid1(VALU_DEP_3)
	v_and_b32_e32 v3, 24, v2
	v_xor_b32_e32 v4, 4, v2
	v_xor_b32_e32 v13, 2, v2
	v_add_nc_u32_e32 v3, 8, v3
	s_delay_alu instid0(VALU_DEP_1) | instskip(NEXT) | instid1(VALU_DEP_1)
	v_cmp_lt_i32_e64 s1, v4, v3
	v_cndmask_b32_e64 v4, v2, v4, s1
	s_delay_alu instid0(VALU_DEP_4) | instskip(NEXT) | instid1(VALU_DEP_2)
	v_cmp_lt_i32_e64 s1, v13, v3
	v_lshlrev_b32_e32 v4, 2, v4
	s_delay_alu instid0(VALU_DEP_2)
	v_cndmask_b32_e64 v13, v2, v13, s1
	ds_bpermute_b32 v12, v4, v5
	ds_bpermute_b32 v4, v4, v11
	v_lshlrev_b32_e32 v13, 2, v13
	s_waitcnt lgkmcnt(1)
	v_add_f32_e32 v5, v5, v12
	s_waitcnt lgkmcnt(0)
	v_add_f32_e32 v11, v11, v4
	ds_bpermute_b32 v4, v13, v5
	ds_bpermute_b32 v12, v13, v11
	v_xor_b32_e32 v13, 1, v2
	s_delay_alu instid0(VALU_DEP_1) | instskip(NEXT) | instid1(VALU_DEP_1)
	v_cmp_lt_i32_e64 s1, v13, v3
	v_cndmask_b32_e64 v2, v2, v13, s1
	s_waitcnt lgkmcnt(1)
	s_delay_alu instid0(VALU_DEP_1)
	v_dual_add_f32 v4, v5, v4 :: v_dual_lshlrev_b32 v3, 2, v2
	s_waitcnt lgkmcnt(0)
	v_add_f32_e32 v2, v11, v12
	ds_bpermute_b32 v5, v3, v4
	ds_bpermute_b32 v3, v3, v2
	s_and_saveexec_b32 s1, s0
	s_cbranch_execz .LBB258_10
; %bb.5:
	v_add_co_u32 v0, s0, s8, v0
	s_delay_alu instid0(VALU_DEP_1)
	v_add_co_ci_u32_e64 v1, s0, s9, v1, s0
	s_and_saveexec_b32 s1, vcc_lo
	s_cbranch_execz .LBB258_7
; %bb.6:
	v_mul_f32_e32 v11, 0x3fb8aa3b, v9
	v_cmp_ngt_f32_e64 s0, 0xc2ce8ed0, v9
	s_waitcnt lgkmcnt(1)
	v_add_f32_e32 v4, v4, v5
	s_delay_alu instid0(VALU_DEP_3) | instskip(SKIP_1) | instid1(VALU_DEP_2)
	v_rndne_f32_e32 v12, v11
	v_fma_f32 v13, 0x3fb8aa3b, v9, -v11
	v_sub_f32_e32 v11, v11, v12
	s_delay_alu instid0(VALU_DEP_2) | instskip(SKIP_1) | instid1(VALU_DEP_2)
	v_fmamk_f32 v13, v9, 0x32a5705f, v13
	v_cvt_i32_f32_e32 v12, v12
	v_add_f32_e32 v11, v11, v13
	s_delay_alu instid0(VALU_DEP_1) | instskip(SKIP_2) | instid1(VALU_DEP_1)
	v_exp_f32_e32 v11, v11
	s_waitcnt_depctr 0xfff
	v_ldexp_f32 v11, v11, v12
	v_cndmask_b32_e64 v11, 0, v11, s0
	v_cmp_nlt_f32_e64 s0, 0x42b17218, v9
	s_delay_alu instid0(VALU_DEP_1) | instskip(NEXT) | instid1(VALU_DEP_1)
	v_cndmask_b32_e64 v5, 0x7f800000, v11, s0
	v_fma_mixlo_f16 v4, -v4, v5, v8
	global_store_b16 v[0:1], v4, off
.LBB258_7:
	s_or_b32 exec_lo, exec_lo, s1
	v_cmp_ne_u32_e64 s0, 1, v7
	s_delay_alu instid0(VALU_DEP_1)
	s_and_b32 exec_lo, exec_lo, s0
	s_cbranch_execz .LBB258_10
; %bb.8:
	s_and_b32 exec_lo, exec_lo, vcc_lo
	s_cbranch_execz .LBB258_10
; %bb.9:
	v_mul_f32_e32 v4, 0x3fb8aa3b, v10
	v_cmp_ngt_f32_e32 vcc_lo, 0xc2ce8ed0, v10
	s_lshl_b64 s[0:1], s[6:7], 1
	s_waitcnt lgkmcnt(1)
	s_delay_alu instid0(VALU_DEP_2) | instskip(SKIP_1) | instid1(VALU_DEP_1)
	v_rndne_f32_e32 v5, v4
	v_fma_f32 v7, 0x3fb8aa3b, v10, -v4
	v_dual_sub_f32 v4, v4, v5 :: v_dual_fmamk_f32 v7, v10, 0x32a5705f, v7
	v_cvt_i32_f32_e32 v5, v5
	s_delay_alu instid0(VALU_DEP_2) | instskip(NEXT) | instid1(VALU_DEP_1)
	v_add_f32_e32 v4, v4, v7
	v_exp_f32_e32 v4, v4
	s_waitcnt_depctr 0xfff
	v_ldexp_f32 v4, v4, v5
	s_delay_alu instid0(VALU_DEP_1) | instskip(SKIP_2) | instid1(VALU_DEP_2)
	v_cndmask_b32_e32 v4, 0, v4, vcc_lo
	v_cmp_nlt_f32_e32 vcc_lo, 0x42b17218, v10
	s_waitcnt lgkmcnt(0)
	v_dual_add_f32 v2, v2, v3 :: v_dual_cndmask_b32 v3, 0x7f800000, v4
	v_add_co_u32 v0, vcc_lo, v0, s0
	v_add_co_ci_u32_e32 v1, vcc_lo, s1, v1, vcc_lo
	s_delay_alu instid0(VALU_DEP_3)
	v_fma_mixlo_f16 v2, -v2, v3, v6
	global_store_b16 v[0:1], v2, off
.LBB258_10:
	s_nop 0
	s_sendmsg sendmsg(MSG_DEALLOC_VGPRS)
	s_endpgm
	.section	.rodata,"a",@progbits
	.p2align	6, 0x0
	.amdhsa_kernel _ZN12_GLOBAL__N_121softmax_warp_backwardIN3c104HalfES2_fLi3ELb1ELb0ELi64EEEvPT0_PKT_S7_iiiPKb
		.amdhsa_group_segment_fixed_size 0
		.amdhsa_private_segment_fixed_size 0
		.amdhsa_kernarg_size 304
		.amdhsa_user_sgpr_count 15
		.amdhsa_user_sgpr_dispatch_ptr 0
		.amdhsa_user_sgpr_queue_ptr 0
		.amdhsa_user_sgpr_kernarg_segment_ptr 1
		.amdhsa_user_sgpr_dispatch_id 0
		.amdhsa_user_sgpr_private_segment_size 0
		.amdhsa_wavefront_size32 1
		.amdhsa_uses_dynamic_stack 0
		.amdhsa_enable_private_segment 0
		.amdhsa_system_sgpr_workgroup_id_x 1
		.amdhsa_system_sgpr_workgroup_id_y 0
		.amdhsa_system_sgpr_workgroup_id_z 0
		.amdhsa_system_sgpr_workgroup_info 0
		.amdhsa_system_vgpr_workitem_id 1
		.amdhsa_next_free_vgpr 14
		.amdhsa_next_free_sgpr 16
		.amdhsa_reserve_vcc 1
		.amdhsa_float_round_mode_32 0
		.amdhsa_float_round_mode_16_64 0
		.amdhsa_float_denorm_mode_32 3
		.amdhsa_float_denorm_mode_16_64 3
		.amdhsa_dx10_clamp 1
		.amdhsa_ieee_mode 1
		.amdhsa_fp16_overflow 0
		.amdhsa_workgroup_processor_mode 1
		.amdhsa_memory_ordered 1
		.amdhsa_forward_progress 0
		.amdhsa_shared_vgpr_count 0
		.amdhsa_exception_fp_ieee_invalid_op 0
		.amdhsa_exception_fp_denorm_src 0
		.amdhsa_exception_fp_ieee_div_zero 0
		.amdhsa_exception_fp_ieee_overflow 0
		.amdhsa_exception_fp_ieee_underflow 0
		.amdhsa_exception_fp_ieee_inexact 0
		.amdhsa_exception_int_div_zero 0
	.end_amdhsa_kernel
	.section	.text._ZN12_GLOBAL__N_121softmax_warp_backwardIN3c104HalfES2_fLi3ELb1ELb0ELi64EEEvPT0_PKT_S7_iiiPKb,"axG",@progbits,_ZN12_GLOBAL__N_121softmax_warp_backwardIN3c104HalfES2_fLi3ELb1ELb0ELi64EEEvPT0_PKT_S7_iiiPKb,comdat
.Lfunc_end258:
	.size	_ZN12_GLOBAL__N_121softmax_warp_backwardIN3c104HalfES2_fLi3ELb1ELb0ELi64EEEvPT0_PKT_S7_iiiPKb, .Lfunc_end258-_ZN12_GLOBAL__N_121softmax_warp_backwardIN3c104HalfES2_fLi3ELb1ELb0ELi64EEEvPT0_PKT_S7_iiiPKb
                                        ; -- End function
	.section	.AMDGPU.csdata,"",@progbits
; Kernel info:
; codeLenInByte = 900
; NumSgprs: 18
; NumVgprs: 14
; ScratchSize: 0
; MemoryBound: 0
; FloatMode: 240
; IeeeMode: 1
; LDSByteSize: 0 bytes/workgroup (compile time only)
; SGPRBlocks: 2
; VGPRBlocks: 1
; NumSGPRsForWavesPerEU: 18
; NumVGPRsForWavesPerEU: 14
; Occupancy: 16
; WaveLimiterHint : 0
; COMPUTE_PGM_RSRC2:SCRATCH_EN: 0
; COMPUTE_PGM_RSRC2:USER_SGPR: 15
; COMPUTE_PGM_RSRC2:TRAP_HANDLER: 0
; COMPUTE_PGM_RSRC2:TGID_X_EN: 1
; COMPUTE_PGM_RSRC2:TGID_Y_EN: 0
; COMPUTE_PGM_RSRC2:TGID_Z_EN: 0
; COMPUTE_PGM_RSRC2:TIDIG_COMP_CNT: 1
	.section	.text._ZN12_GLOBAL__N_121softmax_warp_backwardIN3c104HalfES2_fLi3ELb1ELb0ELi32EEEvPT0_PKT_S7_iiiPKb,"axG",@progbits,_ZN12_GLOBAL__N_121softmax_warp_backwardIN3c104HalfES2_fLi3ELb1ELb0ELi32EEEvPT0_PKT_S7_iiiPKb,comdat
	.globl	_ZN12_GLOBAL__N_121softmax_warp_backwardIN3c104HalfES2_fLi3ELb1ELb0ELi32EEEvPT0_PKT_S7_iiiPKb ; -- Begin function _ZN12_GLOBAL__N_121softmax_warp_backwardIN3c104HalfES2_fLi3ELb1ELb0ELi32EEEvPT0_PKT_S7_iiiPKb
	.p2align	8
	.type	_ZN12_GLOBAL__N_121softmax_warp_backwardIN3c104HalfES2_fLi3ELb1ELb0ELi32EEEvPT0_PKT_S7_iiiPKb,@function
_ZN12_GLOBAL__N_121softmax_warp_backwardIN3c104HalfES2_fLi3ELb1ELb0ELi32EEEvPT0_PKT_S7_iiiPKb: ; @_ZN12_GLOBAL__N_121softmax_warp_backwardIN3c104HalfES2_fLi3ELb1ELb0ELi32EEEvPT0_PKT_S7_iiiPKb
; %bb.0:
	s_clause 0x1
	s_load_b32 s2, s[0:1], 0x3c
	s_load_b128 s[4:7], s[0:1], 0x18
	v_bfe_u32 v1, v0, 10, 10
	v_dual_mov_b32 v9, 0 :: v_dual_and_b32 v2, 7, v0
	s_load_b128 s[8:11], s[0:1], 0x0
	v_mov_b32_e32 v6, 0
	v_mov_b32_e32 v8, 0
	s_waitcnt lgkmcnt(0)
	s_lshr_b32 s2, s2, 16
	v_cmp_gt_i32_e32 vcc_lo, s6, v2
	s_mul_i32 s15, s15, s2
	s_load_b64 s[2:3], s[0:1], 0x10
	v_add_lshl_u32 v3, s15, v1, 1
	s_delay_alu instid0(VALU_DEP_1) | instskip(SKIP_1) | instid1(VALU_DEP_1)
	v_mad_u64_u32 v[0:1], null, v3, s5, v[2:3]
	v_sub_nc_u32_e32 v7, s4, v3
	v_cmp_lt_i32_e64 s0, 0, v7
	s_delay_alu instid0(VALU_DEP_3) | instskip(NEXT) | instid1(VALU_DEP_1)
	v_ashrrev_i32_e32 v1, 31, v0
	v_lshlrev_b64 v[0:1], 1, v[0:1]
	s_delay_alu instid0(VALU_DEP_1) | instskip(NEXT) | instid1(VALU_DEP_1)
	v_add_co_u32 v4, s1, s10, v0
	v_add_co_ci_u32_e64 v5, s1, s11, v1, s1
	s_waitcnt lgkmcnt(0)
	v_add_co_u32 v2, s1, s2, v0
	s_delay_alu instid0(VALU_DEP_1) | instskip(SKIP_1) | instid1(SALU_CYCLE_1)
	v_add_co_ci_u32_e64 v3, s1, s3, v1, s1
	s_and_b32 s2, vcc_lo, s0
	s_and_saveexec_b32 s1, s2
	s_cbranch_execz .LBB259_2
; %bb.1:
	global_load_u16 v8, v[4:5], off
	global_load_u16 v9, v[2:3], off
	s_waitcnt vmcnt(1)
	v_cvt_f32_f16_e32 v8, v8
	s_waitcnt vmcnt(0)
	v_cvt_f32_f16_e32 v9, v9
.LBB259_2:
	s_or_b32 exec_lo, exec_lo, s1
	v_cmp_lt_i32_e64 s1, 1, v7
	v_mov_b32_e32 v10, 0
	s_mov_b32 s7, 0
	s_delay_alu instid0(VALU_DEP_2) | instskip(NEXT) | instid1(SALU_CYCLE_1)
	s_and_b32 s1, vcc_lo, s1
	s_and_saveexec_b32 s2, s1
	s_cbranch_execz .LBB259_4
; %bb.3:
	s_lshl_b64 s[4:5], s[6:7], 1
	s_delay_alu instid0(SALU_CYCLE_1) | instskip(NEXT) | instid1(VALU_DEP_1)
	v_add_co_u32 v4, s1, v4, s4
	v_add_co_ci_u32_e64 v5, s1, s5, v5, s1
	v_add_co_u32 v2, s1, v2, s4
	s_delay_alu instid0(VALU_DEP_1)
	v_add_co_ci_u32_e64 v3, s1, s5, v3, s1
	global_load_u16 v4, v[4:5], off
	global_load_u16 v2, v[2:3], off
	s_waitcnt vmcnt(1)
	v_cvt_f32_f16_e32 v6, v4
	s_waitcnt vmcnt(0)
	v_cvt_f32_f16_e32 v10, v2
.LBB259_4:
	s_or_b32 exec_lo, exec_lo, s2
	v_mbcnt_lo_u32_b32 v2, -1, 0
	v_add_f32_e32 v5, 0, v8
	v_add_f32_e32 v11, 0, v6
	s_delay_alu instid0(VALU_DEP_3) | instskip(SKIP_2) | instid1(VALU_DEP_3)
	v_and_b32_e32 v3, 24, v2
	v_xor_b32_e32 v4, 4, v2
	v_xor_b32_e32 v13, 2, v2
	v_add_nc_u32_e32 v3, 8, v3
	s_delay_alu instid0(VALU_DEP_1) | instskip(NEXT) | instid1(VALU_DEP_1)
	v_cmp_lt_i32_e64 s1, v4, v3
	v_cndmask_b32_e64 v4, v2, v4, s1
	s_delay_alu instid0(VALU_DEP_4) | instskip(NEXT) | instid1(VALU_DEP_2)
	v_cmp_lt_i32_e64 s1, v13, v3
	v_lshlrev_b32_e32 v4, 2, v4
	s_delay_alu instid0(VALU_DEP_2)
	v_cndmask_b32_e64 v13, v2, v13, s1
	ds_bpermute_b32 v12, v4, v5
	ds_bpermute_b32 v4, v4, v11
	v_lshlrev_b32_e32 v13, 2, v13
	s_waitcnt lgkmcnt(1)
	v_add_f32_e32 v5, v5, v12
	s_waitcnt lgkmcnt(0)
	v_add_f32_e32 v11, v11, v4
	ds_bpermute_b32 v4, v13, v5
	ds_bpermute_b32 v12, v13, v11
	v_xor_b32_e32 v13, 1, v2
	s_delay_alu instid0(VALU_DEP_1) | instskip(NEXT) | instid1(VALU_DEP_1)
	v_cmp_lt_i32_e64 s1, v13, v3
	v_cndmask_b32_e64 v2, v2, v13, s1
	s_waitcnt lgkmcnt(1)
	s_delay_alu instid0(VALU_DEP_1)
	v_dual_add_f32 v4, v5, v4 :: v_dual_lshlrev_b32 v3, 2, v2
	s_waitcnt lgkmcnt(0)
	v_add_f32_e32 v2, v11, v12
	ds_bpermute_b32 v5, v3, v4
	ds_bpermute_b32 v3, v3, v2
	s_and_saveexec_b32 s1, s0
	s_cbranch_execz .LBB259_10
; %bb.5:
	v_add_co_u32 v0, s0, s8, v0
	s_delay_alu instid0(VALU_DEP_1)
	v_add_co_ci_u32_e64 v1, s0, s9, v1, s0
	s_and_saveexec_b32 s1, vcc_lo
	s_cbranch_execz .LBB259_7
; %bb.6:
	v_mul_f32_e32 v11, 0x3fb8aa3b, v9
	v_cmp_ngt_f32_e64 s0, 0xc2ce8ed0, v9
	s_waitcnt lgkmcnt(1)
	v_add_f32_e32 v4, v4, v5
	s_delay_alu instid0(VALU_DEP_3) | instskip(SKIP_1) | instid1(VALU_DEP_2)
	v_rndne_f32_e32 v12, v11
	v_fma_f32 v13, 0x3fb8aa3b, v9, -v11
	v_sub_f32_e32 v11, v11, v12
	s_delay_alu instid0(VALU_DEP_2) | instskip(SKIP_1) | instid1(VALU_DEP_2)
	v_fmamk_f32 v13, v9, 0x32a5705f, v13
	v_cvt_i32_f32_e32 v12, v12
	v_add_f32_e32 v11, v11, v13
	s_delay_alu instid0(VALU_DEP_1) | instskip(SKIP_2) | instid1(VALU_DEP_1)
	v_exp_f32_e32 v11, v11
	s_waitcnt_depctr 0xfff
	v_ldexp_f32 v11, v11, v12
	v_cndmask_b32_e64 v11, 0, v11, s0
	v_cmp_nlt_f32_e64 s0, 0x42b17218, v9
	s_delay_alu instid0(VALU_DEP_1) | instskip(NEXT) | instid1(VALU_DEP_1)
	v_cndmask_b32_e64 v5, 0x7f800000, v11, s0
	v_fma_mixlo_f16 v4, -v4, v5, v8
	global_store_b16 v[0:1], v4, off
.LBB259_7:
	s_or_b32 exec_lo, exec_lo, s1
	v_cmp_ne_u32_e64 s0, 1, v7
	s_delay_alu instid0(VALU_DEP_1)
	s_and_b32 exec_lo, exec_lo, s0
	s_cbranch_execz .LBB259_10
; %bb.8:
	s_and_b32 exec_lo, exec_lo, vcc_lo
	s_cbranch_execz .LBB259_10
; %bb.9:
	v_mul_f32_e32 v4, 0x3fb8aa3b, v10
	v_cmp_ngt_f32_e32 vcc_lo, 0xc2ce8ed0, v10
	s_lshl_b64 s[0:1], s[6:7], 1
	s_waitcnt lgkmcnt(1)
	s_delay_alu instid0(VALU_DEP_2) | instskip(SKIP_1) | instid1(VALU_DEP_1)
	v_rndne_f32_e32 v5, v4
	v_fma_f32 v7, 0x3fb8aa3b, v10, -v4
	v_dual_sub_f32 v4, v4, v5 :: v_dual_fmamk_f32 v7, v10, 0x32a5705f, v7
	v_cvt_i32_f32_e32 v5, v5
	s_delay_alu instid0(VALU_DEP_2) | instskip(NEXT) | instid1(VALU_DEP_1)
	v_add_f32_e32 v4, v4, v7
	v_exp_f32_e32 v4, v4
	s_waitcnt_depctr 0xfff
	v_ldexp_f32 v4, v4, v5
	s_delay_alu instid0(VALU_DEP_1) | instskip(SKIP_2) | instid1(VALU_DEP_2)
	v_cndmask_b32_e32 v4, 0, v4, vcc_lo
	v_cmp_nlt_f32_e32 vcc_lo, 0x42b17218, v10
	s_waitcnt lgkmcnt(0)
	v_dual_add_f32 v2, v2, v3 :: v_dual_cndmask_b32 v3, 0x7f800000, v4
	v_add_co_u32 v0, vcc_lo, v0, s0
	v_add_co_ci_u32_e32 v1, vcc_lo, s1, v1, vcc_lo
	s_delay_alu instid0(VALU_DEP_3)
	v_fma_mixlo_f16 v2, -v2, v3, v6
	global_store_b16 v[0:1], v2, off
.LBB259_10:
	s_nop 0
	s_sendmsg sendmsg(MSG_DEALLOC_VGPRS)
	s_endpgm
	.section	.rodata,"a",@progbits
	.p2align	6, 0x0
	.amdhsa_kernel _ZN12_GLOBAL__N_121softmax_warp_backwardIN3c104HalfES2_fLi3ELb1ELb0ELi32EEEvPT0_PKT_S7_iiiPKb
		.amdhsa_group_segment_fixed_size 0
		.amdhsa_private_segment_fixed_size 0
		.amdhsa_kernarg_size 304
		.amdhsa_user_sgpr_count 15
		.amdhsa_user_sgpr_dispatch_ptr 0
		.amdhsa_user_sgpr_queue_ptr 0
		.amdhsa_user_sgpr_kernarg_segment_ptr 1
		.amdhsa_user_sgpr_dispatch_id 0
		.amdhsa_user_sgpr_private_segment_size 0
		.amdhsa_wavefront_size32 1
		.amdhsa_uses_dynamic_stack 0
		.amdhsa_enable_private_segment 0
		.amdhsa_system_sgpr_workgroup_id_x 1
		.amdhsa_system_sgpr_workgroup_id_y 0
		.amdhsa_system_sgpr_workgroup_id_z 0
		.amdhsa_system_sgpr_workgroup_info 0
		.amdhsa_system_vgpr_workitem_id 1
		.amdhsa_next_free_vgpr 14
		.amdhsa_next_free_sgpr 16
		.amdhsa_reserve_vcc 1
		.amdhsa_float_round_mode_32 0
		.amdhsa_float_round_mode_16_64 0
		.amdhsa_float_denorm_mode_32 3
		.amdhsa_float_denorm_mode_16_64 3
		.amdhsa_dx10_clamp 1
		.amdhsa_ieee_mode 1
		.amdhsa_fp16_overflow 0
		.amdhsa_workgroup_processor_mode 1
		.amdhsa_memory_ordered 1
		.amdhsa_forward_progress 0
		.amdhsa_shared_vgpr_count 0
		.amdhsa_exception_fp_ieee_invalid_op 0
		.amdhsa_exception_fp_denorm_src 0
		.amdhsa_exception_fp_ieee_div_zero 0
		.amdhsa_exception_fp_ieee_overflow 0
		.amdhsa_exception_fp_ieee_underflow 0
		.amdhsa_exception_fp_ieee_inexact 0
		.amdhsa_exception_int_div_zero 0
	.end_amdhsa_kernel
	.section	.text._ZN12_GLOBAL__N_121softmax_warp_backwardIN3c104HalfES2_fLi3ELb1ELb0ELi32EEEvPT0_PKT_S7_iiiPKb,"axG",@progbits,_ZN12_GLOBAL__N_121softmax_warp_backwardIN3c104HalfES2_fLi3ELb1ELb0ELi32EEEvPT0_PKT_S7_iiiPKb,comdat
.Lfunc_end259:
	.size	_ZN12_GLOBAL__N_121softmax_warp_backwardIN3c104HalfES2_fLi3ELb1ELb0ELi32EEEvPT0_PKT_S7_iiiPKb, .Lfunc_end259-_ZN12_GLOBAL__N_121softmax_warp_backwardIN3c104HalfES2_fLi3ELb1ELb0ELi32EEEvPT0_PKT_S7_iiiPKb
                                        ; -- End function
	.section	.AMDGPU.csdata,"",@progbits
; Kernel info:
; codeLenInByte = 900
; NumSgprs: 18
; NumVgprs: 14
; ScratchSize: 0
; MemoryBound: 0
; FloatMode: 240
; IeeeMode: 1
; LDSByteSize: 0 bytes/workgroup (compile time only)
; SGPRBlocks: 2
; VGPRBlocks: 1
; NumSGPRsForWavesPerEU: 18
; NumVGPRsForWavesPerEU: 14
; Occupancy: 16
; WaveLimiterHint : 0
; COMPUTE_PGM_RSRC2:SCRATCH_EN: 0
; COMPUTE_PGM_RSRC2:USER_SGPR: 15
; COMPUTE_PGM_RSRC2:TRAP_HANDLER: 0
; COMPUTE_PGM_RSRC2:TGID_X_EN: 1
; COMPUTE_PGM_RSRC2:TGID_Y_EN: 0
; COMPUTE_PGM_RSRC2:TGID_Z_EN: 0
; COMPUTE_PGM_RSRC2:TIDIG_COMP_CNT: 1
	.section	.text._ZN12_GLOBAL__N_121softmax_warp_backwardIN3c104HalfES2_fLi4ELb1ELb0ELi64EEEvPT0_PKT_S7_iiiPKb,"axG",@progbits,_ZN12_GLOBAL__N_121softmax_warp_backwardIN3c104HalfES2_fLi4ELb1ELb0ELi64EEEvPT0_PKT_S7_iiiPKb,comdat
	.globl	_ZN12_GLOBAL__N_121softmax_warp_backwardIN3c104HalfES2_fLi4ELb1ELb0ELi64EEEvPT0_PKT_S7_iiiPKb ; -- Begin function _ZN12_GLOBAL__N_121softmax_warp_backwardIN3c104HalfES2_fLi4ELb1ELb0ELi64EEEvPT0_PKT_S7_iiiPKb
	.p2align	8
	.type	_ZN12_GLOBAL__N_121softmax_warp_backwardIN3c104HalfES2_fLi4ELb1ELb0ELi64EEEvPT0_PKT_S7_iiiPKb,@function
_ZN12_GLOBAL__N_121softmax_warp_backwardIN3c104HalfES2_fLi4ELb1ELb0ELi64EEEvPT0_PKT_S7_iiiPKb: ; @_ZN12_GLOBAL__N_121softmax_warp_backwardIN3c104HalfES2_fLi4ELb1ELb0ELi64EEEvPT0_PKT_S7_iiiPKb
; %bb.0:
	s_clause 0x1
	s_load_b32 s2, s[0:1], 0x3c
	s_load_b128 s[4:7], s[0:1], 0x18
	v_bfe_u32 v1, v0, 10, 10
	v_dual_mov_b32 v9, 0 :: v_dual_and_b32 v2, 15, v0
	s_load_b128 s[8:11], s[0:1], 0x0
	v_mov_b32_e32 v6, 0
	v_mov_b32_e32 v8, 0
	s_waitcnt lgkmcnt(0)
	s_lshr_b32 s2, s2, 16
	v_cmp_gt_i32_e32 vcc_lo, s6, v2
	s_mul_i32 s15, s15, s2
	s_load_b64 s[2:3], s[0:1], 0x10
	v_add_lshl_u32 v3, s15, v1, 1
	s_delay_alu instid0(VALU_DEP_1) | instskip(SKIP_1) | instid1(VALU_DEP_1)
	v_mad_u64_u32 v[0:1], null, v3, s5, v[2:3]
	v_sub_nc_u32_e32 v7, s4, v3
	v_cmp_lt_i32_e64 s0, 0, v7
	s_delay_alu instid0(VALU_DEP_3) | instskip(NEXT) | instid1(VALU_DEP_1)
	v_ashrrev_i32_e32 v1, 31, v0
	v_lshlrev_b64 v[0:1], 1, v[0:1]
	s_delay_alu instid0(VALU_DEP_1) | instskip(NEXT) | instid1(VALU_DEP_1)
	v_add_co_u32 v4, s1, s10, v0
	v_add_co_ci_u32_e64 v5, s1, s11, v1, s1
	s_waitcnt lgkmcnt(0)
	v_add_co_u32 v2, s1, s2, v0
	s_delay_alu instid0(VALU_DEP_1) | instskip(SKIP_1) | instid1(SALU_CYCLE_1)
	v_add_co_ci_u32_e64 v3, s1, s3, v1, s1
	s_and_b32 s2, vcc_lo, s0
	s_and_saveexec_b32 s1, s2
	s_cbranch_execz .LBB260_2
; %bb.1:
	global_load_u16 v8, v[4:5], off
	global_load_u16 v9, v[2:3], off
	s_waitcnt vmcnt(1)
	v_cvt_f32_f16_e32 v8, v8
	s_waitcnt vmcnt(0)
	v_cvt_f32_f16_e32 v9, v9
.LBB260_2:
	s_or_b32 exec_lo, exec_lo, s1
	v_cmp_lt_i32_e64 s1, 1, v7
	v_mov_b32_e32 v10, 0
	s_mov_b32 s7, 0
	s_delay_alu instid0(VALU_DEP_2) | instskip(NEXT) | instid1(SALU_CYCLE_1)
	s_and_b32 s1, vcc_lo, s1
	s_and_saveexec_b32 s2, s1
	s_cbranch_execz .LBB260_4
; %bb.3:
	s_lshl_b64 s[4:5], s[6:7], 1
	s_delay_alu instid0(SALU_CYCLE_1) | instskip(NEXT) | instid1(VALU_DEP_1)
	v_add_co_u32 v4, s1, v4, s4
	v_add_co_ci_u32_e64 v5, s1, s5, v5, s1
	v_add_co_u32 v2, s1, v2, s4
	s_delay_alu instid0(VALU_DEP_1)
	v_add_co_ci_u32_e64 v3, s1, s5, v3, s1
	global_load_u16 v4, v[4:5], off
	global_load_u16 v2, v[2:3], off
	s_waitcnt vmcnt(1)
	v_cvt_f32_f16_e32 v6, v4
	s_waitcnt vmcnt(0)
	v_cvt_f32_f16_e32 v10, v2
.LBB260_4:
	s_or_b32 exec_lo, exec_lo, s2
	v_mbcnt_lo_u32_b32 v2, -1, 0
	v_add_f32_e32 v11, 0, v6
	v_add_f32_e32 v5, 0, v8
	s_delay_alu instid0(VALU_DEP_3) | instskip(SKIP_2) | instid1(VALU_DEP_3)
	v_and_b32_e32 v3, 16, v2
	v_xor_b32_e32 v4, 8, v2
	v_xor_b32_e32 v13, 4, v2
	v_add_nc_u32_e32 v3, 16, v3
	s_delay_alu instid0(VALU_DEP_1) | instskip(NEXT) | instid1(VALU_DEP_1)
	v_cmp_lt_i32_e64 s1, v4, v3
	v_cndmask_b32_e64 v4, v2, v4, s1
	s_delay_alu instid0(VALU_DEP_4) | instskip(NEXT) | instid1(VALU_DEP_2)
	v_cmp_lt_i32_e64 s1, v13, v3
	v_lshlrev_b32_e32 v4, 2, v4
	s_delay_alu instid0(VALU_DEP_2)
	v_cndmask_b32_e64 v13, v2, v13, s1
	ds_bpermute_b32 v12, v4, v5
	ds_bpermute_b32 v4, v4, v11
	v_lshlrev_b32_e32 v13, 2, v13
	s_waitcnt lgkmcnt(1)
	v_add_f32_e32 v5, v5, v12
	s_waitcnt lgkmcnt(0)
	v_add_f32_e32 v4, v11, v4
	ds_bpermute_b32 v11, v13, v5
	ds_bpermute_b32 v12, v13, v4
	v_xor_b32_e32 v13, 2, v2
	s_delay_alu instid0(VALU_DEP_1) | instskip(NEXT) | instid1(VALU_DEP_1)
	v_cmp_lt_i32_e64 s1, v13, v3
	v_cndmask_b32_e64 v13, v2, v13, s1
	s_delay_alu instid0(VALU_DEP_1)
	v_lshlrev_b32_e32 v13, 2, v13
	s_waitcnt lgkmcnt(1)
	v_add_f32_e32 v5, v5, v11
	s_waitcnt lgkmcnt(0)
	v_add_f32_e32 v11, v4, v12
	ds_bpermute_b32 v4, v13, v5
	ds_bpermute_b32 v12, v13, v11
	v_xor_b32_e32 v13, 1, v2
	s_waitcnt lgkmcnt(1)
	v_add_f32_e32 v4, v5, v4
	s_delay_alu instid0(VALU_DEP_2) | instskip(NEXT) | instid1(VALU_DEP_1)
	v_cmp_lt_i32_e64 s1, v13, v3
	v_cndmask_b32_e64 v2, v2, v13, s1
	s_waitcnt lgkmcnt(0)
	s_delay_alu instid0(VALU_DEP_1)
	v_dual_add_f32 v2, v11, v12 :: v_dual_lshlrev_b32 v3, 2, v2
	ds_bpermute_b32 v5, v3, v4
	ds_bpermute_b32 v3, v3, v2
	s_and_saveexec_b32 s1, s0
	s_cbranch_execz .LBB260_10
; %bb.5:
	v_add_co_u32 v0, s0, s8, v0
	s_delay_alu instid0(VALU_DEP_1)
	v_add_co_ci_u32_e64 v1, s0, s9, v1, s0
	s_and_saveexec_b32 s1, vcc_lo
	s_cbranch_execz .LBB260_7
; %bb.6:
	v_mul_f32_e32 v11, 0x3fb8aa3b, v9
	v_cmp_ngt_f32_e64 s0, 0xc2ce8ed0, v9
	s_waitcnt lgkmcnt(1)
	v_add_f32_e32 v4, v4, v5
	s_delay_alu instid0(VALU_DEP_3) | instskip(SKIP_1) | instid1(VALU_DEP_2)
	v_rndne_f32_e32 v12, v11
	v_fma_f32 v13, 0x3fb8aa3b, v9, -v11
	v_sub_f32_e32 v11, v11, v12
	s_delay_alu instid0(VALU_DEP_2) | instskip(SKIP_1) | instid1(VALU_DEP_2)
	v_fmamk_f32 v13, v9, 0x32a5705f, v13
	v_cvt_i32_f32_e32 v12, v12
	v_add_f32_e32 v11, v11, v13
	s_delay_alu instid0(VALU_DEP_1) | instskip(SKIP_2) | instid1(VALU_DEP_1)
	v_exp_f32_e32 v11, v11
	s_waitcnt_depctr 0xfff
	v_ldexp_f32 v11, v11, v12
	v_cndmask_b32_e64 v11, 0, v11, s0
	v_cmp_nlt_f32_e64 s0, 0x42b17218, v9
	s_delay_alu instid0(VALU_DEP_1) | instskip(NEXT) | instid1(VALU_DEP_1)
	v_cndmask_b32_e64 v5, 0x7f800000, v11, s0
	v_fma_mixlo_f16 v4, -v4, v5, v8
	global_store_b16 v[0:1], v4, off
.LBB260_7:
	s_or_b32 exec_lo, exec_lo, s1
	v_cmp_ne_u32_e64 s0, 1, v7
	s_delay_alu instid0(VALU_DEP_1)
	s_and_b32 exec_lo, exec_lo, s0
	s_cbranch_execz .LBB260_10
; %bb.8:
	s_and_b32 exec_lo, exec_lo, vcc_lo
	s_cbranch_execz .LBB260_10
; %bb.9:
	v_mul_f32_e32 v4, 0x3fb8aa3b, v10
	v_cmp_ngt_f32_e32 vcc_lo, 0xc2ce8ed0, v10
	s_lshl_b64 s[0:1], s[6:7], 1
	s_waitcnt lgkmcnt(1)
	s_delay_alu instid0(VALU_DEP_2) | instskip(SKIP_1) | instid1(VALU_DEP_1)
	v_rndne_f32_e32 v5, v4
	v_fma_f32 v7, 0x3fb8aa3b, v10, -v4
	v_dual_sub_f32 v4, v4, v5 :: v_dual_fmamk_f32 v7, v10, 0x32a5705f, v7
	v_cvt_i32_f32_e32 v5, v5
	s_delay_alu instid0(VALU_DEP_2) | instskip(NEXT) | instid1(VALU_DEP_1)
	v_add_f32_e32 v4, v4, v7
	v_exp_f32_e32 v4, v4
	s_waitcnt_depctr 0xfff
	v_ldexp_f32 v4, v4, v5
	s_delay_alu instid0(VALU_DEP_1) | instskip(SKIP_2) | instid1(VALU_DEP_2)
	v_cndmask_b32_e32 v4, 0, v4, vcc_lo
	v_cmp_nlt_f32_e32 vcc_lo, 0x42b17218, v10
	s_waitcnt lgkmcnt(0)
	v_dual_add_f32 v2, v2, v3 :: v_dual_cndmask_b32 v3, 0x7f800000, v4
	v_add_co_u32 v0, vcc_lo, v0, s0
	v_add_co_ci_u32_e32 v1, vcc_lo, s1, v1, vcc_lo
	s_delay_alu instid0(VALU_DEP_3)
	v_fma_mixlo_f16 v2, -v2, v3, v6
	global_store_b16 v[0:1], v2, off
.LBB260_10:
	s_nop 0
	s_sendmsg sendmsg(MSG_DEALLOC_VGPRS)
	s_endpgm
	.section	.rodata,"a",@progbits
	.p2align	6, 0x0
	.amdhsa_kernel _ZN12_GLOBAL__N_121softmax_warp_backwardIN3c104HalfES2_fLi4ELb1ELb0ELi64EEEvPT0_PKT_S7_iiiPKb
		.amdhsa_group_segment_fixed_size 0
		.amdhsa_private_segment_fixed_size 0
		.amdhsa_kernarg_size 304
		.amdhsa_user_sgpr_count 15
		.amdhsa_user_sgpr_dispatch_ptr 0
		.amdhsa_user_sgpr_queue_ptr 0
		.amdhsa_user_sgpr_kernarg_segment_ptr 1
		.amdhsa_user_sgpr_dispatch_id 0
		.amdhsa_user_sgpr_private_segment_size 0
		.amdhsa_wavefront_size32 1
		.amdhsa_uses_dynamic_stack 0
		.amdhsa_enable_private_segment 0
		.amdhsa_system_sgpr_workgroup_id_x 1
		.amdhsa_system_sgpr_workgroup_id_y 0
		.amdhsa_system_sgpr_workgroup_id_z 0
		.amdhsa_system_sgpr_workgroup_info 0
		.amdhsa_system_vgpr_workitem_id 1
		.amdhsa_next_free_vgpr 14
		.amdhsa_next_free_sgpr 16
		.amdhsa_reserve_vcc 1
		.amdhsa_float_round_mode_32 0
		.amdhsa_float_round_mode_16_64 0
		.amdhsa_float_denorm_mode_32 3
		.amdhsa_float_denorm_mode_16_64 3
		.amdhsa_dx10_clamp 1
		.amdhsa_ieee_mode 1
		.amdhsa_fp16_overflow 0
		.amdhsa_workgroup_processor_mode 1
		.amdhsa_memory_ordered 1
		.amdhsa_forward_progress 0
		.amdhsa_shared_vgpr_count 0
		.amdhsa_exception_fp_ieee_invalid_op 0
		.amdhsa_exception_fp_denorm_src 0
		.amdhsa_exception_fp_ieee_div_zero 0
		.amdhsa_exception_fp_ieee_overflow 0
		.amdhsa_exception_fp_ieee_underflow 0
		.amdhsa_exception_fp_ieee_inexact 0
		.amdhsa_exception_int_div_zero 0
	.end_amdhsa_kernel
	.section	.text._ZN12_GLOBAL__N_121softmax_warp_backwardIN3c104HalfES2_fLi4ELb1ELb0ELi64EEEvPT0_PKT_S7_iiiPKb,"axG",@progbits,_ZN12_GLOBAL__N_121softmax_warp_backwardIN3c104HalfES2_fLi4ELb1ELb0ELi64EEEvPT0_PKT_S7_iiiPKb,comdat
.Lfunc_end260:
	.size	_ZN12_GLOBAL__N_121softmax_warp_backwardIN3c104HalfES2_fLi4ELb1ELb0ELi64EEEvPT0_PKT_S7_iiiPKb, .Lfunc_end260-_ZN12_GLOBAL__N_121softmax_warp_backwardIN3c104HalfES2_fLi4ELb1ELb0ELi64EEEvPT0_PKT_S7_iiiPKb
                                        ; -- End function
	.section	.AMDGPU.csdata,"",@progbits
; Kernel info:
; codeLenInByte = 964
; NumSgprs: 18
; NumVgprs: 14
; ScratchSize: 0
; MemoryBound: 0
; FloatMode: 240
; IeeeMode: 1
; LDSByteSize: 0 bytes/workgroup (compile time only)
; SGPRBlocks: 2
; VGPRBlocks: 1
; NumSGPRsForWavesPerEU: 18
; NumVGPRsForWavesPerEU: 14
; Occupancy: 16
; WaveLimiterHint : 0
; COMPUTE_PGM_RSRC2:SCRATCH_EN: 0
; COMPUTE_PGM_RSRC2:USER_SGPR: 15
; COMPUTE_PGM_RSRC2:TRAP_HANDLER: 0
; COMPUTE_PGM_RSRC2:TGID_X_EN: 1
; COMPUTE_PGM_RSRC2:TGID_Y_EN: 0
; COMPUTE_PGM_RSRC2:TGID_Z_EN: 0
; COMPUTE_PGM_RSRC2:TIDIG_COMP_CNT: 1
	.section	.text._ZN12_GLOBAL__N_121softmax_warp_backwardIN3c104HalfES2_fLi4ELb1ELb0ELi32EEEvPT0_PKT_S7_iiiPKb,"axG",@progbits,_ZN12_GLOBAL__N_121softmax_warp_backwardIN3c104HalfES2_fLi4ELb1ELb0ELi32EEEvPT0_PKT_S7_iiiPKb,comdat
	.globl	_ZN12_GLOBAL__N_121softmax_warp_backwardIN3c104HalfES2_fLi4ELb1ELb0ELi32EEEvPT0_PKT_S7_iiiPKb ; -- Begin function _ZN12_GLOBAL__N_121softmax_warp_backwardIN3c104HalfES2_fLi4ELb1ELb0ELi32EEEvPT0_PKT_S7_iiiPKb
	.p2align	8
	.type	_ZN12_GLOBAL__N_121softmax_warp_backwardIN3c104HalfES2_fLi4ELb1ELb0ELi32EEEvPT0_PKT_S7_iiiPKb,@function
_ZN12_GLOBAL__N_121softmax_warp_backwardIN3c104HalfES2_fLi4ELb1ELb0ELi32EEEvPT0_PKT_S7_iiiPKb: ; @_ZN12_GLOBAL__N_121softmax_warp_backwardIN3c104HalfES2_fLi4ELb1ELb0ELi32EEEvPT0_PKT_S7_iiiPKb
; %bb.0:
	s_clause 0x1
	s_load_b32 s2, s[0:1], 0x3c
	s_load_b128 s[4:7], s[0:1], 0x18
	v_bfe_u32 v1, v0, 10, 10
	v_dual_mov_b32 v9, 0 :: v_dual_and_b32 v2, 15, v0
	s_load_b128 s[8:11], s[0:1], 0x0
	v_mov_b32_e32 v6, 0
	v_mov_b32_e32 v8, 0
	s_waitcnt lgkmcnt(0)
	s_lshr_b32 s2, s2, 16
	v_cmp_gt_i32_e32 vcc_lo, s6, v2
	s_mul_i32 s15, s15, s2
	s_load_b64 s[2:3], s[0:1], 0x10
	v_add_lshl_u32 v3, s15, v1, 1
	s_delay_alu instid0(VALU_DEP_1) | instskip(SKIP_1) | instid1(VALU_DEP_1)
	v_mad_u64_u32 v[0:1], null, v3, s5, v[2:3]
	v_sub_nc_u32_e32 v7, s4, v3
	v_cmp_lt_i32_e64 s0, 0, v7
	s_delay_alu instid0(VALU_DEP_3) | instskip(NEXT) | instid1(VALU_DEP_1)
	v_ashrrev_i32_e32 v1, 31, v0
	v_lshlrev_b64 v[0:1], 1, v[0:1]
	s_delay_alu instid0(VALU_DEP_1) | instskip(NEXT) | instid1(VALU_DEP_1)
	v_add_co_u32 v4, s1, s10, v0
	v_add_co_ci_u32_e64 v5, s1, s11, v1, s1
	s_waitcnt lgkmcnt(0)
	v_add_co_u32 v2, s1, s2, v0
	s_delay_alu instid0(VALU_DEP_1) | instskip(SKIP_1) | instid1(SALU_CYCLE_1)
	v_add_co_ci_u32_e64 v3, s1, s3, v1, s1
	s_and_b32 s2, vcc_lo, s0
	s_and_saveexec_b32 s1, s2
	s_cbranch_execz .LBB261_2
; %bb.1:
	global_load_u16 v8, v[4:5], off
	global_load_u16 v9, v[2:3], off
	s_waitcnt vmcnt(1)
	v_cvt_f32_f16_e32 v8, v8
	s_waitcnt vmcnt(0)
	v_cvt_f32_f16_e32 v9, v9
.LBB261_2:
	s_or_b32 exec_lo, exec_lo, s1
	v_cmp_lt_i32_e64 s1, 1, v7
	v_mov_b32_e32 v10, 0
	s_mov_b32 s7, 0
	s_delay_alu instid0(VALU_DEP_2) | instskip(NEXT) | instid1(SALU_CYCLE_1)
	s_and_b32 s1, vcc_lo, s1
	s_and_saveexec_b32 s2, s1
	s_cbranch_execz .LBB261_4
; %bb.3:
	s_lshl_b64 s[4:5], s[6:7], 1
	s_delay_alu instid0(SALU_CYCLE_1) | instskip(NEXT) | instid1(VALU_DEP_1)
	v_add_co_u32 v4, s1, v4, s4
	v_add_co_ci_u32_e64 v5, s1, s5, v5, s1
	v_add_co_u32 v2, s1, v2, s4
	s_delay_alu instid0(VALU_DEP_1)
	v_add_co_ci_u32_e64 v3, s1, s5, v3, s1
	global_load_u16 v4, v[4:5], off
	global_load_u16 v2, v[2:3], off
	s_waitcnt vmcnt(1)
	v_cvt_f32_f16_e32 v6, v4
	s_waitcnt vmcnt(0)
	v_cvt_f32_f16_e32 v10, v2
.LBB261_4:
	s_or_b32 exec_lo, exec_lo, s2
	v_mbcnt_lo_u32_b32 v2, -1, 0
	v_add_f32_e32 v11, 0, v6
	v_add_f32_e32 v5, 0, v8
	s_delay_alu instid0(VALU_DEP_3) | instskip(SKIP_2) | instid1(VALU_DEP_3)
	v_and_b32_e32 v3, 16, v2
	v_xor_b32_e32 v4, 8, v2
	v_xor_b32_e32 v13, 4, v2
	v_add_nc_u32_e32 v3, 16, v3
	s_delay_alu instid0(VALU_DEP_1) | instskip(NEXT) | instid1(VALU_DEP_1)
	v_cmp_lt_i32_e64 s1, v4, v3
	v_cndmask_b32_e64 v4, v2, v4, s1
	s_delay_alu instid0(VALU_DEP_4) | instskip(NEXT) | instid1(VALU_DEP_2)
	v_cmp_lt_i32_e64 s1, v13, v3
	v_lshlrev_b32_e32 v4, 2, v4
	s_delay_alu instid0(VALU_DEP_2)
	v_cndmask_b32_e64 v13, v2, v13, s1
	ds_bpermute_b32 v12, v4, v5
	ds_bpermute_b32 v4, v4, v11
	v_lshlrev_b32_e32 v13, 2, v13
	s_waitcnt lgkmcnt(1)
	v_add_f32_e32 v5, v5, v12
	s_waitcnt lgkmcnt(0)
	v_add_f32_e32 v4, v11, v4
	ds_bpermute_b32 v11, v13, v5
	ds_bpermute_b32 v12, v13, v4
	v_xor_b32_e32 v13, 2, v2
	s_delay_alu instid0(VALU_DEP_1) | instskip(NEXT) | instid1(VALU_DEP_1)
	v_cmp_lt_i32_e64 s1, v13, v3
	v_cndmask_b32_e64 v13, v2, v13, s1
	s_delay_alu instid0(VALU_DEP_1)
	v_lshlrev_b32_e32 v13, 2, v13
	s_waitcnt lgkmcnt(1)
	v_add_f32_e32 v5, v5, v11
	s_waitcnt lgkmcnt(0)
	v_add_f32_e32 v11, v4, v12
	ds_bpermute_b32 v4, v13, v5
	ds_bpermute_b32 v12, v13, v11
	v_xor_b32_e32 v13, 1, v2
	s_waitcnt lgkmcnt(1)
	v_add_f32_e32 v4, v5, v4
	s_delay_alu instid0(VALU_DEP_2) | instskip(NEXT) | instid1(VALU_DEP_1)
	v_cmp_lt_i32_e64 s1, v13, v3
	v_cndmask_b32_e64 v2, v2, v13, s1
	s_waitcnt lgkmcnt(0)
	s_delay_alu instid0(VALU_DEP_1)
	v_dual_add_f32 v2, v11, v12 :: v_dual_lshlrev_b32 v3, 2, v2
	ds_bpermute_b32 v5, v3, v4
	ds_bpermute_b32 v3, v3, v2
	s_and_saveexec_b32 s1, s0
	s_cbranch_execz .LBB261_10
; %bb.5:
	v_add_co_u32 v0, s0, s8, v0
	s_delay_alu instid0(VALU_DEP_1)
	v_add_co_ci_u32_e64 v1, s0, s9, v1, s0
	s_and_saveexec_b32 s1, vcc_lo
	s_cbranch_execz .LBB261_7
; %bb.6:
	v_mul_f32_e32 v11, 0x3fb8aa3b, v9
	v_cmp_ngt_f32_e64 s0, 0xc2ce8ed0, v9
	s_waitcnt lgkmcnt(1)
	v_add_f32_e32 v4, v4, v5
	s_delay_alu instid0(VALU_DEP_3) | instskip(SKIP_1) | instid1(VALU_DEP_2)
	v_rndne_f32_e32 v12, v11
	v_fma_f32 v13, 0x3fb8aa3b, v9, -v11
	v_sub_f32_e32 v11, v11, v12
	s_delay_alu instid0(VALU_DEP_2) | instskip(SKIP_1) | instid1(VALU_DEP_2)
	v_fmamk_f32 v13, v9, 0x32a5705f, v13
	v_cvt_i32_f32_e32 v12, v12
	v_add_f32_e32 v11, v11, v13
	s_delay_alu instid0(VALU_DEP_1) | instskip(SKIP_2) | instid1(VALU_DEP_1)
	v_exp_f32_e32 v11, v11
	s_waitcnt_depctr 0xfff
	v_ldexp_f32 v11, v11, v12
	v_cndmask_b32_e64 v11, 0, v11, s0
	v_cmp_nlt_f32_e64 s0, 0x42b17218, v9
	s_delay_alu instid0(VALU_DEP_1) | instskip(NEXT) | instid1(VALU_DEP_1)
	v_cndmask_b32_e64 v5, 0x7f800000, v11, s0
	v_fma_mixlo_f16 v4, -v4, v5, v8
	global_store_b16 v[0:1], v4, off
.LBB261_7:
	s_or_b32 exec_lo, exec_lo, s1
	v_cmp_ne_u32_e64 s0, 1, v7
	s_delay_alu instid0(VALU_DEP_1)
	s_and_b32 exec_lo, exec_lo, s0
	s_cbranch_execz .LBB261_10
; %bb.8:
	s_and_b32 exec_lo, exec_lo, vcc_lo
	s_cbranch_execz .LBB261_10
; %bb.9:
	v_mul_f32_e32 v4, 0x3fb8aa3b, v10
	v_cmp_ngt_f32_e32 vcc_lo, 0xc2ce8ed0, v10
	s_lshl_b64 s[0:1], s[6:7], 1
	s_waitcnt lgkmcnt(1)
	s_delay_alu instid0(VALU_DEP_2) | instskip(SKIP_1) | instid1(VALU_DEP_1)
	v_rndne_f32_e32 v5, v4
	v_fma_f32 v7, 0x3fb8aa3b, v10, -v4
	v_dual_sub_f32 v4, v4, v5 :: v_dual_fmamk_f32 v7, v10, 0x32a5705f, v7
	v_cvt_i32_f32_e32 v5, v5
	s_delay_alu instid0(VALU_DEP_2) | instskip(NEXT) | instid1(VALU_DEP_1)
	v_add_f32_e32 v4, v4, v7
	v_exp_f32_e32 v4, v4
	s_waitcnt_depctr 0xfff
	v_ldexp_f32 v4, v4, v5
	s_delay_alu instid0(VALU_DEP_1) | instskip(SKIP_2) | instid1(VALU_DEP_2)
	v_cndmask_b32_e32 v4, 0, v4, vcc_lo
	v_cmp_nlt_f32_e32 vcc_lo, 0x42b17218, v10
	s_waitcnt lgkmcnt(0)
	v_dual_add_f32 v2, v2, v3 :: v_dual_cndmask_b32 v3, 0x7f800000, v4
	v_add_co_u32 v0, vcc_lo, v0, s0
	v_add_co_ci_u32_e32 v1, vcc_lo, s1, v1, vcc_lo
	s_delay_alu instid0(VALU_DEP_3)
	v_fma_mixlo_f16 v2, -v2, v3, v6
	global_store_b16 v[0:1], v2, off
.LBB261_10:
	s_nop 0
	s_sendmsg sendmsg(MSG_DEALLOC_VGPRS)
	s_endpgm
	.section	.rodata,"a",@progbits
	.p2align	6, 0x0
	.amdhsa_kernel _ZN12_GLOBAL__N_121softmax_warp_backwardIN3c104HalfES2_fLi4ELb1ELb0ELi32EEEvPT0_PKT_S7_iiiPKb
		.amdhsa_group_segment_fixed_size 0
		.amdhsa_private_segment_fixed_size 0
		.amdhsa_kernarg_size 304
		.amdhsa_user_sgpr_count 15
		.amdhsa_user_sgpr_dispatch_ptr 0
		.amdhsa_user_sgpr_queue_ptr 0
		.amdhsa_user_sgpr_kernarg_segment_ptr 1
		.amdhsa_user_sgpr_dispatch_id 0
		.amdhsa_user_sgpr_private_segment_size 0
		.amdhsa_wavefront_size32 1
		.amdhsa_uses_dynamic_stack 0
		.amdhsa_enable_private_segment 0
		.amdhsa_system_sgpr_workgroup_id_x 1
		.amdhsa_system_sgpr_workgroup_id_y 0
		.amdhsa_system_sgpr_workgroup_id_z 0
		.amdhsa_system_sgpr_workgroup_info 0
		.amdhsa_system_vgpr_workitem_id 1
		.amdhsa_next_free_vgpr 14
		.amdhsa_next_free_sgpr 16
		.amdhsa_reserve_vcc 1
		.amdhsa_float_round_mode_32 0
		.amdhsa_float_round_mode_16_64 0
		.amdhsa_float_denorm_mode_32 3
		.amdhsa_float_denorm_mode_16_64 3
		.amdhsa_dx10_clamp 1
		.amdhsa_ieee_mode 1
		.amdhsa_fp16_overflow 0
		.amdhsa_workgroup_processor_mode 1
		.amdhsa_memory_ordered 1
		.amdhsa_forward_progress 0
		.amdhsa_shared_vgpr_count 0
		.amdhsa_exception_fp_ieee_invalid_op 0
		.amdhsa_exception_fp_denorm_src 0
		.amdhsa_exception_fp_ieee_div_zero 0
		.amdhsa_exception_fp_ieee_overflow 0
		.amdhsa_exception_fp_ieee_underflow 0
		.amdhsa_exception_fp_ieee_inexact 0
		.amdhsa_exception_int_div_zero 0
	.end_amdhsa_kernel
	.section	.text._ZN12_GLOBAL__N_121softmax_warp_backwardIN3c104HalfES2_fLi4ELb1ELb0ELi32EEEvPT0_PKT_S7_iiiPKb,"axG",@progbits,_ZN12_GLOBAL__N_121softmax_warp_backwardIN3c104HalfES2_fLi4ELb1ELb0ELi32EEEvPT0_PKT_S7_iiiPKb,comdat
.Lfunc_end261:
	.size	_ZN12_GLOBAL__N_121softmax_warp_backwardIN3c104HalfES2_fLi4ELb1ELb0ELi32EEEvPT0_PKT_S7_iiiPKb, .Lfunc_end261-_ZN12_GLOBAL__N_121softmax_warp_backwardIN3c104HalfES2_fLi4ELb1ELb0ELi32EEEvPT0_PKT_S7_iiiPKb
                                        ; -- End function
	.section	.AMDGPU.csdata,"",@progbits
; Kernel info:
; codeLenInByte = 964
; NumSgprs: 18
; NumVgprs: 14
; ScratchSize: 0
; MemoryBound: 0
; FloatMode: 240
; IeeeMode: 1
; LDSByteSize: 0 bytes/workgroup (compile time only)
; SGPRBlocks: 2
; VGPRBlocks: 1
; NumSGPRsForWavesPerEU: 18
; NumVGPRsForWavesPerEU: 14
; Occupancy: 16
; WaveLimiterHint : 0
; COMPUTE_PGM_RSRC2:SCRATCH_EN: 0
; COMPUTE_PGM_RSRC2:USER_SGPR: 15
; COMPUTE_PGM_RSRC2:TRAP_HANDLER: 0
; COMPUTE_PGM_RSRC2:TGID_X_EN: 1
; COMPUTE_PGM_RSRC2:TGID_Y_EN: 0
; COMPUTE_PGM_RSRC2:TGID_Z_EN: 0
; COMPUTE_PGM_RSRC2:TIDIG_COMP_CNT: 1
	.section	.text._ZN12_GLOBAL__N_121softmax_warp_backwardIN3c104HalfES2_fLi5ELb1ELb0ELi64EEEvPT0_PKT_S7_iiiPKb,"axG",@progbits,_ZN12_GLOBAL__N_121softmax_warp_backwardIN3c104HalfES2_fLi5ELb1ELb0ELi64EEEvPT0_PKT_S7_iiiPKb,comdat
	.globl	_ZN12_GLOBAL__N_121softmax_warp_backwardIN3c104HalfES2_fLi5ELb1ELb0ELi64EEEvPT0_PKT_S7_iiiPKb ; -- Begin function _ZN12_GLOBAL__N_121softmax_warp_backwardIN3c104HalfES2_fLi5ELb1ELb0ELi64EEEvPT0_PKT_S7_iiiPKb
	.p2align	8
	.type	_ZN12_GLOBAL__N_121softmax_warp_backwardIN3c104HalfES2_fLi5ELb1ELb0ELi64EEEvPT0_PKT_S7_iiiPKb,@function
_ZN12_GLOBAL__N_121softmax_warp_backwardIN3c104HalfES2_fLi5ELb1ELb0ELi64EEEvPT0_PKT_S7_iiiPKb: ; @_ZN12_GLOBAL__N_121softmax_warp_backwardIN3c104HalfES2_fLi5ELb1ELb0ELi64EEEvPT0_PKT_S7_iiiPKb
; %bb.0:
	s_clause 0x1
	s_load_b32 s2, s[0:1], 0x3c
	s_load_b128 s[4:7], s[0:1], 0x18
	v_bfe_u32 v1, v0, 10, 10
	v_dual_mov_b32 v9, 0 :: v_dual_and_b32 v2, 31, v0
	s_load_b128 s[8:11], s[0:1], 0x0
	v_mov_b32_e32 v6, 0
	v_mov_b32_e32 v8, 0
	s_waitcnt lgkmcnt(0)
	s_lshr_b32 s2, s2, 16
	v_cmp_gt_i32_e32 vcc_lo, s6, v2
	s_mul_i32 s15, s15, s2
	s_load_b64 s[2:3], s[0:1], 0x10
	v_add_lshl_u32 v3, s15, v1, 1
	s_delay_alu instid0(VALU_DEP_1) | instskip(SKIP_1) | instid1(VALU_DEP_1)
	v_mad_u64_u32 v[0:1], null, v3, s5, v[2:3]
	v_sub_nc_u32_e32 v7, s4, v3
	v_cmp_lt_i32_e64 s0, 0, v7
	s_delay_alu instid0(VALU_DEP_3) | instskip(NEXT) | instid1(VALU_DEP_1)
	v_ashrrev_i32_e32 v1, 31, v0
	v_lshlrev_b64 v[0:1], 1, v[0:1]
	s_delay_alu instid0(VALU_DEP_1) | instskip(NEXT) | instid1(VALU_DEP_1)
	v_add_co_u32 v4, s1, s10, v0
	v_add_co_ci_u32_e64 v5, s1, s11, v1, s1
	s_waitcnt lgkmcnt(0)
	v_add_co_u32 v2, s1, s2, v0
	s_delay_alu instid0(VALU_DEP_1) | instskip(SKIP_1) | instid1(SALU_CYCLE_1)
	v_add_co_ci_u32_e64 v3, s1, s3, v1, s1
	s_and_b32 s2, vcc_lo, s0
	s_and_saveexec_b32 s1, s2
	s_cbranch_execz .LBB262_2
; %bb.1:
	global_load_u16 v8, v[4:5], off
	global_load_u16 v9, v[2:3], off
	s_waitcnt vmcnt(1)
	v_cvt_f32_f16_e32 v8, v8
	s_waitcnt vmcnt(0)
	v_cvt_f32_f16_e32 v9, v9
.LBB262_2:
	s_or_b32 exec_lo, exec_lo, s1
	v_cmp_lt_i32_e64 s1, 1, v7
	v_mov_b32_e32 v10, 0
	s_mov_b32 s7, 0
	s_delay_alu instid0(VALU_DEP_2) | instskip(NEXT) | instid1(SALU_CYCLE_1)
	s_and_b32 s1, vcc_lo, s1
	s_and_saveexec_b32 s2, s1
	s_cbranch_execz .LBB262_4
; %bb.3:
	s_lshl_b64 s[4:5], s[6:7], 1
	s_delay_alu instid0(SALU_CYCLE_1) | instskip(NEXT) | instid1(VALU_DEP_1)
	v_add_co_u32 v4, s1, v4, s4
	v_add_co_ci_u32_e64 v5, s1, s5, v5, s1
	v_add_co_u32 v2, s1, v2, s4
	s_delay_alu instid0(VALU_DEP_1)
	v_add_co_ci_u32_e64 v3, s1, s5, v3, s1
	global_load_u16 v4, v[4:5], off
	global_load_u16 v2, v[2:3], off
	s_waitcnt vmcnt(1)
	v_cvt_f32_f16_e32 v6, v4
	s_waitcnt vmcnt(0)
	v_cvt_f32_f16_e32 v10, v2
.LBB262_4:
	s_or_b32 exec_lo, exec_lo, s2
	v_mbcnt_lo_u32_b32 v2, -1, 0
	s_delay_alu instid0(VALU_DEP_1) | instskip(SKIP_1) | instid1(VALU_DEP_2)
	v_xor_b32_e32 v3, 16, v2
	v_xor_b32_e32 v12, 8, v2
	v_cmp_gt_i32_e64 s1, 32, v3
	s_delay_alu instid0(VALU_DEP_1) | instskip(NEXT) | instid1(VALU_DEP_3)
	v_cndmask_b32_e64 v3, v2, v3, s1
	v_cmp_gt_i32_e64 s1, 32, v12
	s_delay_alu instid0(VALU_DEP_2) | instskip(NEXT) | instid1(VALU_DEP_2)
	v_dual_add_f32 v4, 0, v8 :: v_dual_lshlrev_b32 v3, 2, v3
	v_cndmask_b32_e64 v12, v2, v12, s1
	v_add_f32_e32 v5, 0, v6
	ds_bpermute_b32 v11, v3, v4
	v_lshlrev_b32_e32 v12, 2, v12
	ds_bpermute_b32 v3, v3, v5
	s_waitcnt lgkmcnt(1)
	v_add_f32_e32 v4, v4, v11
	s_waitcnt lgkmcnt(0)
	v_add_f32_e32 v3, v5, v3
	ds_bpermute_b32 v5, v12, v4
	ds_bpermute_b32 v11, v12, v3
	v_xor_b32_e32 v12, 4, v2
	s_delay_alu instid0(VALU_DEP_1) | instskip(NEXT) | instid1(VALU_DEP_1)
	v_cmp_gt_i32_e64 s1, 32, v12
	v_cndmask_b32_e64 v12, v2, v12, s1
	s_delay_alu instid0(VALU_DEP_1)
	v_lshlrev_b32_e32 v12, 2, v12
	s_waitcnt lgkmcnt(0)
	v_dual_add_f32 v4, v4, v5 :: v_dual_add_f32 v3, v3, v11
	ds_bpermute_b32 v5, v12, v4
	ds_bpermute_b32 v11, v12, v3
	v_xor_b32_e32 v12, 2, v2
	s_delay_alu instid0(VALU_DEP_1) | instskip(NEXT) | instid1(VALU_DEP_1)
	v_cmp_gt_i32_e64 s1, 32, v12
	v_cndmask_b32_e64 v12, v2, v12, s1
	s_delay_alu instid0(VALU_DEP_1)
	v_lshlrev_b32_e32 v12, 2, v12
	s_waitcnt lgkmcnt(0)
	v_dual_add_f32 v4, v4, v5 :: v_dual_add_f32 v3, v3, v11
	ds_bpermute_b32 v5, v12, v4
	ds_bpermute_b32 v11, v12, v3
	v_xor_b32_e32 v12, 1, v2
	s_delay_alu instid0(VALU_DEP_1) | instskip(NEXT) | instid1(VALU_DEP_1)
	v_cmp_gt_i32_e64 s1, 32, v12
	v_cndmask_b32_e64 v2, v2, v12, s1
	s_delay_alu instid0(VALU_DEP_1)
	v_lshlrev_b32_e32 v12, 2, v2
	s_waitcnt lgkmcnt(1)
	v_add_f32_e32 v4, v4, v5
	s_waitcnt lgkmcnt(0)
	v_add_f32_e32 v2, v3, v11
	ds_bpermute_b32 v5, v12, v4
	ds_bpermute_b32 v3, v12, v2
	s_and_saveexec_b32 s1, s0
	s_cbranch_execz .LBB262_10
; %bb.5:
	v_add_co_u32 v0, s0, s8, v0
	s_delay_alu instid0(VALU_DEP_1)
	v_add_co_ci_u32_e64 v1, s0, s9, v1, s0
	s_and_saveexec_b32 s1, vcc_lo
	s_cbranch_execz .LBB262_7
; %bb.6:
	v_mul_f32_e32 v11, 0x3fb8aa3b, v9
	v_cmp_ngt_f32_e64 s0, 0xc2ce8ed0, v9
	s_waitcnt lgkmcnt(1)
	v_add_f32_e32 v4, v4, v5
	s_delay_alu instid0(VALU_DEP_3) | instskip(SKIP_1) | instid1(VALU_DEP_2)
	v_rndne_f32_e32 v12, v11
	v_fma_f32 v13, 0x3fb8aa3b, v9, -v11
	v_sub_f32_e32 v11, v11, v12
	s_delay_alu instid0(VALU_DEP_2) | instskip(SKIP_1) | instid1(VALU_DEP_2)
	v_fmamk_f32 v13, v9, 0x32a5705f, v13
	v_cvt_i32_f32_e32 v12, v12
	v_add_f32_e32 v11, v11, v13
	s_delay_alu instid0(VALU_DEP_1) | instskip(SKIP_2) | instid1(VALU_DEP_1)
	v_exp_f32_e32 v11, v11
	s_waitcnt_depctr 0xfff
	v_ldexp_f32 v11, v11, v12
	v_cndmask_b32_e64 v11, 0, v11, s0
	v_cmp_nlt_f32_e64 s0, 0x42b17218, v9
	s_delay_alu instid0(VALU_DEP_1) | instskip(NEXT) | instid1(VALU_DEP_1)
	v_cndmask_b32_e64 v5, 0x7f800000, v11, s0
	v_fma_mixlo_f16 v4, -v4, v5, v8
	global_store_b16 v[0:1], v4, off
.LBB262_7:
	s_or_b32 exec_lo, exec_lo, s1
	v_cmp_ne_u32_e64 s0, 1, v7
	s_delay_alu instid0(VALU_DEP_1)
	s_and_b32 exec_lo, exec_lo, s0
	s_cbranch_execz .LBB262_10
; %bb.8:
	s_and_b32 exec_lo, exec_lo, vcc_lo
	s_cbranch_execz .LBB262_10
; %bb.9:
	v_mul_f32_e32 v4, 0x3fb8aa3b, v10
	v_cmp_ngt_f32_e32 vcc_lo, 0xc2ce8ed0, v10
	s_lshl_b64 s[0:1], s[6:7], 1
	s_waitcnt lgkmcnt(1)
	s_delay_alu instid0(VALU_DEP_2) | instskip(SKIP_1) | instid1(VALU_DEP_1)
	v_rndne_f32_e32 v5, v4
	v_fma_f32 v7, 0x3fb8aa3b, v10, -v4
	v_dual_sub_f32 v4, v4, v5 :: v_dual_fmamk_f32 v7, v10, 0x32a5705f, v7
	v_cvt_i32_f32_e32 v5, v5
	s_delay_alu instid0(VALU_DEP_2) | instskip(NEXT) | instid1(VALU_DEP_1)
	v_add_f32_e32 v4, v4, v7
	v_exp_f32_e32 v4, v4
	s_waitcnt_depctr 0xfff
	v_ldexp_f32 v4, v4, v5
	s_delay_alu instid0(VALU_DEP_1) | instskip(SKIP_2) | instid1(VALU_DEP_2)
	v_cndmask_b32_e32 v4, 0, v4, vcc_lo
	v_cmp_nlt_f32_e32 vcc_lo, 0x42b17218, v10
	s_waitcnt lgkmcnt(0)
	v_dual_add_f32 v2, v2, v3 :: v_dual_cndmask_b32 v3, 0x7f800000, v4
	v_add_co_u32 v0, vcc_lo, v0, s0
	v_add_co_ci_u32_e32 v1, vcc_lo, s1, v1, vcc_lo
	s_delay_alu instid0(VALU_DEP_3)
	v_fma_mixlo_f16 v2, -v2, v3, v6
	global_store_b16 v[0:1], v2, off
.LBB262_10:
	s_nop 0
	s_sendmsg sendmsg(MSG_DEALLOC_VGPRS)
	s_endpgm
	.section	.rodata,"a",@progbits
	.p2align	6, 0x0
	.amdhsa_kernel _ZN12_GLOBAL__N_121softmax_warp_backwardIN3c104HalfES2_fLi5ELb1ELb0ELi64EEEvPT0_PKT_S7_iiiPKb
		.amdhsa_group_segment_fixed_size 0
		.amdhsa_private_segment_fixed_size 0
		.amdhsa_kernarg_size 304
		.amdhsa_user_sgpr_count 15
		.amdhsa_user_sgpr_dispatch_ptr 0
		.amdhsa_user_sgpr_queue_ptr 0
		.amdhsa_user_sgpr_kernarg_segment_ptr 1
		.amdhsa_user_sgpr_dispatch_id 0
		.amdhsa_user_sgpr_private_segment_size 0
		.amdhsa_wavefront_size32 1
		.amdhsa_uses_dynamic_stack 0
		.amdhsa_enable_private_segment 0
		.amdhsa_system_sgpr_workgroup_id_x 1
		.amdhsa_system_sgpr_workgroup_id_y 0
		.amdhsa_system_sgpr_workgroup_id_z 0
		.amdhsa_system_sgpr_workgroup_info 0
		.amdhsa_system_vgpr_workitem_id 1
		.amdhsa_next_free_vgpr 14
		.amdhsa_next_free_sgpr 16
		.amdhsa_reserve_vcc 1
		.amdhsa_float_round_mode_32 0
		.amdhsa_float_round_mode_16_64 0
		.amdhsa_float_denorm_mode_32 3
		.amdhsa_float_denorm_mode_16_64 3
		.amdhsa_dx10_clamp 1
		.amdhsa_ieee_mode 1
		.amdhsa_fp16_overflow 0
		.amdhsa_workgroup_processor_mode 1
		.amdhsa_memory_ordered 1
		.amdhsa_forward_progress 0
		.amdhsa_shared_vgpr_count 0
		.amdhsa_exception_fp_ieee_invalid_op 0
		.amdhsa_exception_fp_denorm_src 0
		.amdhsa_exception_fp_ieee_div_zero 0
		.amdhsa_exception_fp_ieee_overflow 0
		.amdhsa_exception_fp_ieee_underflow 0
		.amdhsa_exception_fp_ieee_inexact 0
		.amdhsa_exception_int_div_zero 0
	.end_amdhsa_kernel
	.section	.text._ZN12_GLOBAL__N_121softmax_warp_backwardIN3c104HalfES2_fLi5ELb1ELb0ELi64EEEvPT0_PKT_S7_iiiPKb,"axG",@progbits,_ZN12_GLOBAL__N_121softmax_warp_backwardIN3c104HalfES2_fLi5ELb1ELb0ELi64EEEvPT0_PKT_S7_iiiPKb,comdat
.Lfunc_end262:
	.size	_ZN12_GLOBAL__N_121softmax_warp_backwardIN3c104HalfES2_fLi5ELb1ELb0ELi64EEEvPT0_PKT_S7_iiiPKb, .Lfunc_end262-_ZN12_GLOBAL__N_121softmax_warp_backwardIN3c104HalfES2_fLi5ELb1ELb0ELi64EEEvPT0_PKT_S7_iiiPKb
                                        ; -- End function
	.section	.AMDGPU.csdata,"",@progbits
; Kernel info:
; codeLenInByte = 1008
; NumSgprs: 18
; NumVgprs: 14
; ScratchSize: 0
; MemoryBound: 0
; FloatMode: 240
; IeeeMode: 1
; LDSByteSize: 0 bytes/workgroup (compile time only)
; SGPRBlocks: 2
; VGPRBlocks: 1
; NumSGPRsForWavesPerEU: 18
; NumVGPRsForWavesPerEU: 14
; Occupancy: 16
; WaveLimiterHint : 0
; COMPUTE_PGM_RSRC2:SCRATCH_EN: 0
; COMPUTE_PGM_RSRC2:USER_SGPR: 15
; COMPUTE_PGM_RSRC2:TRAP_HANDLER: 0
; COMPUTE_PGM_RSRC2:TGID_X_EN: 1
; COMPUTE_PGM_RSRC2:TGID_Y_EN: 0
; COMPUTE_PGM_RSRC2:TGID_Z_EN: 0
; COMPUTE_PGM_RSRC2:TIDIG_COMP_CNT: 1
	.section	.text._ZN12_GLOBAL__N_121softmax_warp_backwardIN3c104HalfES2_fLi5ELb1ELb0ELi32EEEvPT0_PKT_S7_iiiPKb,"axG",@progbits,_ZN12_GLOBAL__N_121softmax_warp_backwardIN3c104HalfES2_fLi5ELb1ELb0ELi32EEEvPT0_PKT_S7_iiiPKb,comdat
	.globl	_ZN12_GLOBAL__N_121softmax_warp_backwardIN3c104HalfES2_fLi5ELb1ELb0ELi32EEEvPT0_PKT_S7_iiiPKb ; -- Begin function _ZN12_GLOBAL__N_121softmax_warp_backwardIN3c104HalfES2_fLi5ELb1ELb0ELi32EEEvPT0_PKT_S7_iiiPKb
	.p2align	8
	.type	_ZN12_GLOBAL__N_121softmax_warp_backwardIN3c104HalfES2_fLi5ELb1ELb0ELi32EEEvPT0_PKT_S7_iiiPKb,@function
_ZN12_GLOBAL__N_121softmax_warp_backwardIN3c104HalfES2_fLi5ELb1ELb0ELi32EEEvPT0_PKT_S7_iiiPKb: ; @_ZN12_GLOBAL__N_121softmax_warp_backwardIN3c104HalfES2_fLi5ELb1ELb0ELi32EEEvPT0_PKT_S7_iiiPKb
; %bb.0:
	s_clause 0x1
	s_load_b32 s2, s[0:1], 0x3c
	s_load_b128 s[4:7], s[0:1], 0x18
	v_bfe_u32 v1, v0, 10, 10
	v_dual_mov_b32 v9, 0 :: v_dual_and_b32 v2, 31, v0
	s_load_b128 s[8:11], s[0:1], 0x0
	v_mov_b32_e32 v6, 0
	v_mov_b32_e32 v8, 0
	s_waitcnt lgkmcnt(0)
	s_lshr_b32 s2, s2, 16
	v_cmp_gt_i32_e32 vcc_lo, s6, v2
	s_mul_i32 s15, s15, s2
	s_load_b64 s[2:3], s[0:1], 0x10
	v_add_lshl_u32 v3, s15, v1, 1
	s_delay_alu instid0(VALU_DEP_1) | instskip(SKIP_1) | instid1(VALU_DEP_1)
	v_mad_u64_u32 v[0:1], null, v3, s5, v[2:3]
	v_sub_nc_u32_e32 v7, s4, v3
	v_cmp_lt_i32_e64 s0, 0, v7
	s_delay_alu instid0(VALU_DEP_3) | instskip(NEXT) | instid1(VALU_DEP_1)
	v_ashrrev_i32_e32 v1, 31, v0
	v_lshlrev_b64 v[0:1], 1, v[0:1]
	s_delay_alu instid0(VALU_DEP_1) | instskip(NEXT) | instid1(VALU_DEP_1)
	v_add_co_u32 v4, s1, s10, v0
	v_add_co_ci_u32_e64 v5, s1, s11, v1, s1
	s_waitcnt lgkmcnt(0)
	v_add_co_u32 v2, s1, s2, v0
	s_delay_alu instid0(VALU_DEP_1) | instskip(SKIP_1) | instid1(SALU_CYCLE_1)
	v_add_co_ci_u32_e64 v3, s1, s3, v1, s1
	s_and_b32 s2, vcc_lo, s0
	s_and_saveexec_b32 s1, s2
	s_cbranch_execz .LBB263_2
; %bb.1:
	global_load_u16 v8, v[4:5], off
	global_load_u16 v9, v[2:3], off
	s_waitcnt vmcnt(1)
	v_cvt_f32_f16_e32 v8, v8
	s_waitcnt vmcnt(0)
	v_cvt_f32_f16_e32 v9, v9
.LBB263_2:
	s_or_b32 exec_lo, exec_lo, s1
	v_cmp_lt_i32_e64 s1, 1, v7
	v_mov_b32_e32 v10, 0
	s_mov_b32 s7, 0
	s_delay_alu instid0(VALU_DEP_2) | instskip(NEXT) | instid1(SALU_CYCLE_1)
	s_and_b32 s1, vcc_lo, s1
	s_and_saveexec_b32 s2, s1
	s_cbranch_execz .LBB263_4
; %bb.3:
	s_lshl_b64 s[4:5], s[6:7], 1
	s_delay_alu instid0(SALU_CYCLE_1) | instskip(NEXT) | instid1(VALU_DEP_1)
	v_add_co_u32 v4, s1, v4, s4
	v_add_co_ci_u32_e64 v5, s1, s5, v5, s1
	v_add_co_u32 v2, s1, v2, s4
	s_delay_alu instid0(VALU_DEP_1)
	v_add_co_ci_u32_e64 v3, s1, s5, v3, s1
	global_load_u16 v4, v[4:5], off
	global_load_u16 v2, v[2:3], off
	s_waitcnt vmcnt(1)
	v_cvt_f32_f16_e32 v6, v4
	s_waitcnt vmcnt(0)
	v_cvt_f32_f16_e32 v10, v2
.LBB263_4:
	s_or_b32 exec_lo, exec_lo, s2
	v_mbcnt_lo_u32_b32 v2, -1, 0
	s_delay_alu instid0(VALU_DEP_1) | instskip(SKIP_1) | instid1(VALU_DEP_2)
	v_xor_b32_e32 v3, 16, v2
	v_xor_b32_e32 v12, 8, v2
	v_cmp_gt_i32_e64 s1, 32, v3
	s_delay_alu instid0(VALU_DEP_1) | instskip(NEXT) | instid1(VALU_DEP_3)
	v_cndmask_b32_e64 v3, v2, v3, s1
	v_cmp_gt_i32_e64 s1, 32, v12
	s_delay_alu instid0(VALU_DEP_2) | instskip(NEXT) | instid1(VALU_DEP_2)
	v_dual_add_f32 v4, 0, v8 :: v_dual_lshlrev_b32 v3, 2, v3
	v_cndmask_b32_e64 v12, v2, v12, s1
	v_add_f32_e32 v5, 0, v6
	ds_bpermute_b32 v11, v3, v4
	v_lshlrev_b32_e32 v12, 2, v12
	ds_bpermute_b32 v3, v3, v5
	s_waitcnt lgkmcnt(1)
	v_add_f32_e32 v4, v4, v11
	s_waitcnt lgkmcnt(0)
	v_add_f32_e32 v3, v5, v3
	ds_bpermute_b32 v5, v12, v4
	ds_bpermute_b32 v11, v12, v3
	v_xor_b32_e32 v12, 4, v2
	s_delay_alu instid0(VALU_DEP_1) | instskip(NEXT) | instid1(VALU_DEP_1)
	v_cmp_gt_i32_e64 s1, 32, v12
	v_cndmask_b32_e64 v12, v2, v12, s1
	s_delay_alu instid0(VALU_DEP_1)
	v_lshlrev_b32_e32 v12, 2, v12
	s_waitcnt lgkmcnt(0)
	v_dual_add_f32 v4, v4, v5 :: v_dual_add_f32 v3, v3, v11
	ds_bpermute_b32 v5, v12, v4
	ds_bpermute_b32 v11, v12, v3
	v_xor_b32_e32 v12, 2, v2
	s_delay_alu instid0(VALU_DEP_1) | instskip(NEXT) | instid1(VALU_DEP_1)
	v_cmp_gt_i32_e64 s1, 32, v12
	v_cndmask_b32_e64 v12, v2, v12, s1
	s_delay_alu instid0(VALU_DEP_1)
	v_lshlrev_b32_e32 v12, 2, v12
	s_waitcnt lgkmcnt(0)
	v_dual_add_f32 v4, v4, v5 :: v_dual_add_f32 v3, v3, v11
	ds_bpermute_b32 v5, v12, v4
	ds_bpermute_b32 v11, v12, v3
	v_xor_b32_e32 v12, 1, v2
	s_delay_alu instid0(VALU_DEP_1) | instskip(NEXT) | instid1(VALU_DEP_1)
	v_cmp_gt_i32_e64 s1, 32, v12
	v_cndmask_b32_e64 v2, v2, v12, s1
	s_delay_alu instid0(VALU_DEP_1)
	v_lshlrev_b32_e32 v12, 2, v2
	s_waitcnt lgkmcnt(1)
	v_add_f32_e32 v4, v4, v5
	s_waitcnt lgkmcnt(0)
	v_add_f32_e32 v2, v3, v11
	ds_bpermute_b32 v5, v12, v4
	ds_bpermute_b32 v3, v12, v2
	s_and_saveexec_b32 s1, s0
	s_cbranch_execz .LBB263_10
; %bb.5:
	v_add_co_u32 v0, s0, s8, v0
	s_delay_alu instid0(VALU_DEP_1)
	v_add_co_ci_u32_e64 v1, s0, s9, v1, s0
	s_and_saveexec_b32 s1, vcc_lo
	s_cbranch_execz .LBB263_7
; %bb.6:
	v_mul_f32_e32 v11, 0x3fb8aa3b, v9
	v_cmp_ngt_f32_e64 s0, 0xc2ce8ed0, v9
	s_waitcnt lgkmcnt(1)
	v_add_f32_e32 v4, v4, v5
	s_delay_alu instid0(VALU_DEP_3) | instskip(SKIP_1) | instid1(VALU_DEP_2)
	v_rndne_f32_e32 v12, v11
	v_fma_f32 v13, 0x3fb8aa3b, v9, -v11
	v_sub_f32_e32 v11, v11, v12
	s_delay_alu instid0(VALU_DEP_2) | instskip(SKIP_1) | instid1(VALU_DEP_2)
	v_fmamk_f32 v13, v9, 0x32a5705f, v13
	v_cvt_i32_f32_e32 v12, v12
	v_add_f32_e32 v11, v11, v13
	s_delay_alu instid0(VALU_DEP_1) | instskip(SKIP_2) | instid1(VALU_DEP_1)
	v_exp_f32_e32 v11, v11
	s_waitcnt_depctr 0xfff
	v_ldexp_f32 v11, v11, v12
	v_cndmask_b32_e64 v11, 0, v11, s0
	v_cmp_nlt_f32_e64 s0, 0x42b17218, v9
	s_delay_alu instid0(VALU_DEP_1) | instskip(NEXT) | instid1(VALU_DEP_1)
	v_cndmask_b32_e64 v5, 0x7f800000, v11, s0
	v_fma_mixlo_f16 v4, -v4, v5, v8
	global_store_b16 v[0:1], v4, off
.LBB263_7:
	s_or_b32 exec_lo, exec_lo, s1
	v_cmp_ne_u32_e64 s0, 1, v7
	s_delay_alu instid0(VALU_DEP_1)
	s_and_b32 exec_lo, exec_lo, s0
	s_cbranch_execz .LBB263_10
; %bb.8:
	s_and_b32 exec_lo, exec_lo, vcc_lo
	s_cbranch_execz .LBB263_10
; %bb.9:
	v_mul_f32_e32 v4, 0x3fb8aa3b, v10
	v_cmp_ngt_f32_e32 vcc_lo, 0xc2ce8ed0, v10
	s_lshl_b64 s[0:1], s[6:7], 1
	s_waitcnt lgkmcnt(1)
	s_delay_alu instid0(VALU_DEP_2) | instskip(SKIP_1) | instid1(VALU_DEP_1)
	v_rndne_f32_e32 v5, v4
	v_fma_f32 v7, 0x3fb8aa3b, v10, -v4
	v_dual_sub_f32 v4, v4, v5 :: v_dual_fmamk_f32 v7, v10, 0x32a5705f, v7
	v_cvt_i32_f32_e32 v5, v5
	s_delay_alu instid0(VALU_DEP_2) | instskip(NEXT) | instid1(VALU_DEP_1)
	v_add_f32_e32 v4, v4, v7
	v_exp_f32_e32 v4, v4
	s_waitcnt_depctr 0xfff
	v_ldexp_f32 v4, v4, v5
	s_delay_alu instid0(VALU_DEP_1) | instskip(SKIP_2) | instid1(VALU_DEP_2)
	v_cndmask_b32_e32 v4, 0, v4, vcc_lo
	v_cmp_nlt_f32_e32 vcc_lo, 0x42b17218, v10
	s_waitcnt lgkmcnt(0)
	v_dual_add_f32 v2, v2, v3 :: v_dual_cndmask_b32 v3, 0x7f800000, v4
	v_add_co_u32 v0, vcc_lo, v0, s0
	v_add_co_ci_u32_e32 v1, vcc_lo, s1, v1, vcc_lo
	s_delay_alu instid0(VALU_DEP_3)
	v_fma_mixlo_f16 v2, -v2, v3, v6
	global_store_b16 v[0:1], v2, off
.LBB263_10:
	s_nop 0
	s_sendmsg sendmsg(MSG_DEALLOC_VGPRS)
	s_endpgm
	.section	.rodata,"a",@progbits
	.p2align	6, 0x0
	.amdhsa_kernel _ZN12_GLOBAL__N_121softmax_warp_backwardIN3c104HalfES2_fLi5ELb1ELb0ELi32EEEvPT0_PKT_S7_iiiPKb
		.amdhsa_group_segment_fixed_size 0
		.amdhsa_private_segment_fixed_size 0
		.amdhsa_kernarg_size 304
		.amdhsa_user_sgpr_count 15
		.amdhsa_user_sgpr_dispatch_ptr 0
		.amdhsa_user_sgpr_queue_ptr 0
		.amdhsa_user_sgpr_kernarg_segment_ptr 1
		.amdhsa_user_sgpr_dispatch_id 0
		.amdhsa_user_sgpr_private_segment_size 0
		.amdhsa_wavefront_size32 1
		.amdhsa_uses_dynamic_stack 0
		.amdhsa_enable_private_segment 0
		.amdhsa_system_sgpr_workgroup_id_x 1
		.amdhsa_system_sgpr_workgroup_id_y 0
		.amdhsa_system_sgpr_workgroup_id_z 0
		.amdhsa_system_sgpr_workgroup_info 0
		.amdhsa_system_vgpr_workitem_id 1
		.amdhsa_next_free_vgpr 14
		.amdhsa_next_free_sgpr 16
		.amdhsa_reserve_vcc 1
		.amdhsa_float_round_mode_32 0
		.amdhsa_float_round_mode_16_64 0
		.amdhsa_float_denorm_mode_32 3
		.amdhsa_float_denorm_mode_16_64 3
		.amdhsa_dx10_clamp 1
		.amdhsa_ieee_mode 1
		.amdhsa_fp16_overflow 0
		.amdhsa_workgroup_processor_mode 1
		.amdhsa_memory_ordered 1
		.amdhsa_forward_progress 0
		.amdhsa_shared_vgpr_count 0
		.amdhsa_exception_fp_ieee_invalid_op 0
		.amdhsa_exception_fp_denorm_src 0
		.amdhsa_exception_fp_ieee_div_zero 0
		.amdhsa_exception_fp_ieee_overflow 0
		.amdhsa_exception_fp_ieee_underflow 0
		.amdhsa_exception_fp_ieee_inexact 0
		.amdhsa_exception_int_div_zero 0
	.end_amdhsa_kernel
	.section	.text._ZN12_GLOBAL__N_121softmax_warp_backwardIN3c104HalfES2_fLi5ELb1ELb0ELi32EEEvPT0_PKT_S7_iiiPKb,"axG",@progbits,_ZN12_GLOBAL__N_121softmax_warp_backwardIN3c104HalfES2_fLi5ELb1ELb0ELi32EEEvPT0_PKT_S7_iiiPKb,comdat
.Lfunc_end263:
	.size	_ZN12_GLOBAL__N_121softmax_warp_backwardIN3c104HalfES2_fLi5ELb1ELb0ELi32EEEvPT0_PKT_S7_iiiPKb, .Lfunc_end263-_ZN12_GLOBAL__N_121softmax_warp_backwardIN3c104HalfES2_fLi5ELb1ELb0ELi32EEEvPT0_PKT_S7_iiiPKb
                                        ; -- End function
	.section	.AMDGPU.csdata,"",@progbits
; Kernel info:
; codeLenInByte = 1008
; NumSgprs: 18
; NumVgprs: 14
; ScratchSize: 0
; MemoryBound: 0
; FloatMode: 240
; IeeeMode: 1
; LDSByteSize: 0 bytes/workgroup (compile time only)
; SGPRBlocks: 2
; VGPRBlocks: 1
; NumSGPRsForWavesPerEU: 18
; NumVGPRsForWavesPerEU: 14
; Occupancy: 16
; WaveLimiterHint : 0
; COMPUTE_PGM_RSRC2:SCRATCH_EN: 0
; COMPUTE_PGM_RSRC2:USER_SGPR: 15
; COMPUTE_PGM_RSRC2:TRAP_HANDLER: 0
; COMPUTE_PGM_RSRC2:TGID_X_EN: 1
; COMPUTE_PGM_RSRC2:TGID_Y_EN: 0
; COMPUTE_PGM_RSRC2:TGID_Z_EN: 0
; COMPUTE_PGM_RSRC2:TIDIG_COMP_CNT: 1
	.section	.text._ZN12_GLOBAL__N_121softmax_warp_backwardIN3c104HalfES2_fLi6ELb1ELb0ELi64EEEvPT0_PKT_S7_iiiPKb,"axG",@progbits,_ZN12_GLOBAL__N_121softmax_warp_backwardIN3c104HalfES2_fLi6ELb1ELb0ELi64EEEvPT0_PKT_S7_iiiPKb,comdat
	.globl	_ZN12_GLOBAL__N_121softmax_warp_backwardIN3c104HalfES2_fLi6ELb1ELb0ELi64EEEvPT0_PKT_S7_iiiPKb ; -- Begin function _ZN12_GLOBAL__N_121softmax_warp_backwardIN3c104HalfES2_fLi6ELb1ELb0ELi64EEEvPT0_PKT_S7_iiiPKb
	.p2align	8
	.type	_ZN12_GLOBAL__N_121softmax_warp_backwardIN3c104HalfES2_fLi6ELb1ELb0ELi64EEEvPT0_PKT_S7_iiiPKb,@function
_ZN12_GLOBAL__N_121softmax_warp_backwardIN3c104HalfES2_fLi6ELb1ELb0ELi64EEEvPT0_PKT_S7_iiiPKb: ; @_ZN12_GLOBAL__N_121softmax_warp_backwardIN3c104HalfES2_fLi6ELb1ELb0ELi64EEEvPT0_PKT_S7_iiiPKb
; %bb.0:
	s_clause 0x1
	s_load_b32 s2, s[0:1], 0x3c
	s_load_b128 s[4:7], s[0:1], 0x18
	v_bfe_u32 v1, v0, 10, 10
	v_dual_mov_b32 v9, 0 :: v_dual_and_b32 v2, 63, v0
	s_load_b128 s[8:11], s[0:1], 0x0
	v_mov_b32_e32 v6, 0
	v_mov_b32_e32 v8, 0
	s_waitcnt lgkmcnt(0)
	s_lshr_b32 s2, s2, 16
	v_cmp_gt_i32_e32 vcc_lo, s6, v2
	s_mul_i32 s15, s15, s2
	s_load_b64 s[2:3], s[0:1], 0x10
	v_add_lshl_u32 v3, s15, v1, 1
	s_delay_alu instid0(VALU_DEP_1) | instskip(SKIP_1) | instid1(VALU_DEP_1)
	v_mad_u64_u32 v[0:1], null, v3, s5, v[2:3]
	v_sub_nc_u32_e32 v7, s4, v3
	v_cmp_lt_i32_e64 s0, 0, v7
	s_delay_alu instid0(VALU_DEP_3) | instskip(NEXT) | instid1(VALU_DEP_1)
	v_ashrrev_i32_e32 v1, 31, v0
	v_lshlrev_b64 v[0:1], 1, v[0:1]
	s_delay_alu instid0(VALU_DEP_1) | instskip(NEXT) | instid1(VALU_DEP_1)
	v_add_co_u32 v4, s1, s10, v0
	v_add_co_ci_u32_e64 v5, s1, s11, v1, s1
	s_waitcnt lgkmcnt(0)
	v_add_co_u32 v2, s1, s2, v0
	s_delay_alu instid0(VALU_DEP_1) | instskip(SKIP_1) | instid1(SALU_CYCLE_1)
	v_add_co_ci_u32_e64 v3, s1, s3, v1, s1
	s_and_b32 s2, vcc_lo, s0
	s_and_saveexec_b32 s1, s2
	s_cbranch_execz .LBB264_2
; %bb.1:
	global_load_u16 v8, v[4:5], off
	global_load_u16 v9, v[2:3], off
	s_waitcnt vmcnt(1)
	v_cvt_f32_f16_e32 v8, v8
	s_waitcnt vmcnt(0)
	v_cvt_f32_f16_e32 v9, v9
.LBB264_2:
	s_or_b32 exec_lo, exec_lo, s1
	v_cmp_lt_i32_e64 s1, 1, v7
	v_mov_b32_e32 v10, 0
	s_mov_b32 s7, 0
	s_delay_alu instid0(VALU_DEP_2) | instskip(NEXT) | instid1(SALU_CYCLE_1)
	s_and_b32 s1, vcc_lo, s1
	s_and_saveexec_b32 s2, s1
	s_cbranch_execz .LBB264_4
; %bb.3:
	s_lshl_b64 s[4:5], s[6:7], 1
	s_delay_alu instid0(SALU_CYCLE_1) | instskip(NEXT) | instid1(VALU_DEP_1)
	v_add_co_u32 v4, s1, v4, s4
	v_add_co_ci_u32_e64 v5, s1, s5, v5, s1
	v_add_co_u32 v2, s1, v2, s4
	s_delay_alu instid0(VALU_DEP_1)
	v_add_co_ci_u32_e64 v3, s1, s5, v3, s1
	global_load_u16 v4, v[4:5], off
	global_load_u16 v2, v[2:3], off
	s_waitcnt vmcnt(1)
	v_cvt_f32_f16_e32 v6, v4
	s_waitcnt vmcnt(0)
	v_cvt_f32_f16_e32 v10, v2
.LBB264_4:
	s_or_b32 exec_lo, exec_lo, s2
	v_mbcnt_lo_u32_b32 v2, -1, 0
	s_delay_alu instid0(VALU_DEP_1) | instskip(SKIP_1) | instid1(VALU_DEP_2)
	v_or_b32_e32 v3, 32, v2
	v_xor_b32_e32 v12, 16, v2
	v_cmp_gt_i32_e64 s1, 64, v3
	s_delay_alu instid0(VALU_DEP_1) | instskip(NEXT) | instid1(VALU_DEP_3)
	v_cndmask_b32_e64 v3, v2, v3, s1
	v_cmp_gt_i32_e64 s1, 64, v12
	s_delay_alu instid0(VALU_DEP_2) | instskip(NEXT) | instid1(VALU_DEP_2)
	v_dual_add_f32 v4, 0, v8 :: v_dual_lshlrev_b32 v3, 2, v3
	v_cndmask_b32_e64 v12, v2, v12, s1
	v_add_f32_e32 v5, 0, v6
	ds_bpermute_b32 v11, v3, v4
	v_lshlrev_b32_e32 v12, 2, v12
	ds_bpermute_b32 v3, v3, v5
	s_waitcnt lgkmcnt(1)
	v_add_f32_e32 v4, v4, v11
	s_waitcnt lgkmcnt(0)
	v_add_f32_e32 v3, v5, v3
	ds_bpermute_b32 v5, v12, v4
	ds_bpermute_b32 v11, v12, v3
	v_xor_b32_e32 v12, 8, v2
	s_delay_alu instid0(VALU_DEP_1) | instskip(NEXT) | instid1(VALU_DEP_1)
	v_cmp_gt_i32_e64 s1, 64, v12
	v_cndmask_b32_e64 v12, v2, v12, s1
	s_delay_alu instid0(VALU_DEP_1)
	v_lshlrev_b32_e32 v12, 2, v12
	s_waitcnt lgkmcnt(0)
	v_dual_add_f32 v4, v4, v5 :: v_dual_add_f32 v3, v3, v11
	ds_bpermute_b32 v5, v12, v4
	ds_bpermute_b32 v11, v12, v3
	v_xor_b32_e32 v12, 4, v2
	s_delay_alu instid0(VALU_DEP_1) | instskip(NEXT) | instid1(VALU_DEP_1)
	v_cmp_gt_i32_e64 s1, 64, v12
	v_cndmask_b32_e64 v12, v2, v12, s1
	s_waitcnt lgkmcnt(0)
	s_delay_alu instid0(VALU_DEP_1)
	v_dual_add_f32 v3, v3, v11 :: v_dual_lshlrev_b32 v12, 2, v12
	ds_bpermute_b32 v11, v12, v3
	s_waitcnt lgkmcnt(0)
	v_dual_add_f32 v4, v4, v5 :: v_dual_add_f32 v3, v3, v11
	ds_bpermute_b32 v5, v12, v4
	v_xor_b32_e32 v12, 2, v2
	s_delay_alu instid0(VALU_DEP_1) | instskip(NEXT) | instid1(VALU_DEP_1)
	v_cmp_gt_i32_e64 s1, 64, v12
	v_cndmask_b32_e64 v12, v2, v12, s1
	s_delay_alu instid0(VALU_DEP_1)
	v_lshlrev_b32_e32 v12, 2, v12
	s_waitcnt lgkmcnt(0)
	v_add_f32_e32 v4, v4, v5
	ds_bpermute_b32 v11, v12, v3
	ds_bpermute_b32 v5, v12, v4
	v_xor_b32_e32 v12, 1, v2
	s_delay_alu instid0(VALU_DEP_1) | instskip(NEXT) | instid1(VALU_DEP_1)
	v_cmp_gt_i32_e64 s1, 64, v12
	v_cndmask_b32_e64 v2, v2, v12, s1
	s_delay_alu instid0(VALU_DEP_1)
	v_lshlrev_b32_e32 v12, 2, v2
	s_waitcnt lgkmcnt(1)
	v_add_f32_e32 v2, v3, v11
	s_waitcnt lgkmcnt(0)
	v_add_f32_e32 v4, v4, v5
	ds_bpermute_b32 v3, v12, v2
	ds_bpermute_b32 v5, v12, v4
	s_and_saveexec_b32 s1, s0
	s_cbranch_execz .LBB264_10
; %bb.5:
	v_add_co_u32 v0, s0, s8, v0
	s_delay_alu instid0(VALU_DEP_1)
	v_add_co_ci_u32_e64 v1, s0, s9, v1, s0
	s_and_saveexec_b32 s1, vcc_lo
	s_cbranch_execz .LBB264_7
; %bb.6:
	v_mul_f32_e32 v11, 0x3fb8aa3b, v9
	v_cmp_ngt_f32_e64 s0, 0xc2ce8ed0, v9
	s_waitcnt lgkmcnt(0)
	v_add_f32_e32 v4, v4, v5
	s_delay_alu instid0(VALU_DEP_3) | instskip(SKIP_1) | instid1(VALU_DEP_2)
	v_rndne_f32_e32 v12, v11
	v_fma_f32 v13, 0x3fb8aa3b, v9, -v11
	v_sub_f32_e32 v11, v11, v12
	s_delay_alu instid0(VALU_DEP_2) | instskip(SKIP_1) | instid1(VALU_DEP_2)
	v_fmamk_f32 v13, v9, 0x32a5705f, v13
	v_cvt_i32_f32_e32 v12, v12
	v_add_f32_e32 v11, v11, v13
	s_delay_alu instid0(VALU_DEP_1) | instskip(SKIP_2) | instid1(VALU_DEP_1)
	v_exp_f32_e32 v11, v11
	s_waitcnt_depctr 0xfff
	v_ldexp_f32 v11, v11, v12
	v_cndmask_b32_e64 v11, 0, v11, s0
	v_cmp_nlt_f32_e64 s0, 0x42b17218, v9
	s_delay_alu instid0(VALU_DEP_1) | instskip(NEXT) | instid1(VALU_DEP_1)
	v_cndmask_b32_e64 v5, 0x7f800000, v11, s0
	v_fma_mixlo_f16 v4, -v4, v5, v8
	global_store_b16 v[0:1], v4, off
.LBB264_7:
	s_or_b32 exec_lo, exec_lo, s1
	v_cmp_ne_u32_e64 s0, 1, v7
	s_delay_alu instid0(VALU_DEP_1)
	s_and_b32 exec_lo, exec_lo, s0
	s_cbranch_execz .LBB264_10
; %bb.8:
	s_and_b32 exec_lo, exec_lo, vcc_lo
	s_cbranch_execz .LBB264_10
; %bb.9:
	v_mul_f32_e32 v4, 0x3fb8aa3b, v10
	v_cmp_ngt_f32_e32 vcc_lo, 0xc2ce8ed0, v10
	s_lshl_b64 s[0:1], s[6:7], 1
	s_waitcnt lgkmcnt(0)
	s_delay_alu instid0(VALU_DEP_2) | instskip(SKIP_1) | instid1(VALU_DEP_1)
	v_rndne_f32_e32 v5, v4
	v_fma_f32 v7, 0x3fb8aa3b, v10, -v4
	v_dual_sub_f32 v4, v4, v5 :: v_dual_fmamk_f32 v7, v10, 0x32a5705f, v7
	v_cvt_i32_f32_e32 v5, v5
	s_delay_alu instid0(VALU_DEP_2) | instskip(NEXT) | instid1(VALU_DEP_1)
	v_add_f32_e32 v4, v4, v7
	v_exp_f32_e32 v4, v4
	s_waitcnt_depctr 0xfff
	v_ldexp_f32 v4, v4, v5
	s_delay_alu instid0(VALU_DEP_1) | instskip(SKIP_1) | instid1(VALU_DEP_2)
	v_cndmask_b32_e32 v4, 0, v4, vcc_lo
	v_cmp_nlt_f32_e32 vcc_lo, 0x42b17218, v10
	v_dual_add_f32 v2, v2, v3 :: v_dual_cndmask_b32 v3, 0x7f800000, v4
	v_add_co_u32 v0, vcc_lo, v0, s0
	v_add_co_ci_u32_e32 v1, vcc_lo, s1, v1, vcc_lo
	s_delay_alu instid0(VALU_DEP_3)
	v_fma_mixlo_f16 v2, -v2, v3, v6
	global_store_b16 v[0:1], v2, off
.LBB264_10:
	s_nop 0
	s_sendmsg sendmsg(MSG_DEALLOC_VGPRS)
	s_endpgm
	.section	.rodata,"a",@progbits
	.p2align	6, 0x0
	.amdhsa_kernel _ZN12_GLOBAL__N_121softmax_warp_backwardIN3c104HalfES2_fLi6ELb1ELb0ELi64EEEvPT0_PKT_S7_iiiPKb
		.amdhsa_group_segment_fixed_size 0
		.amdhsa_private_segment_fixed_size 0
		.amdhsa_kernarg_size 304
		.amdhsa_user_sgpr_count 15
		.amdhsa_user_sgpr_dispatch_ptr 0
		.amdhsa_user_sgpr_queue_ptr 0
		.amdhsa_user_sgpr_kernarg_segment_ptr 1
		.amdhsa_user_sgpr_dispatch_id 0
		.amdhsa_user_sgpr_private_segment_size 0
		.amdhsa_wavefront_size32 1
		.amdhsa_uses_dynamic_stack 0
		.amdhsa_enable_private_segment 0
		.amdhsa_system_sgpr_workgroup_id_x 1
		.amdhsa_system_sgpr_workgroup_id_y 0
		.amdhsa_system_sgpr_workgroup_id_z 0
		.amdhsa_system_sgpr_workgroup_info 0
		.amdhsa_system_vgpr_workitem_id 1
		.amdhsa_next_free_vgpr 14
		.amdhsa_next_free_sgpr 16
		.amdhsa_reserve_vcc 1
		.amdhsa_float_round_mode_32 0
		.amdhsa_float_round_mode_16_64 0
		.amdhsa_float_denorm_mode_32 3
		.amdhsa_float_denorm_mode_16_64 3
		.amdhsa_dx10_clamp 1
		.amdhsa_ieee_mode 1
		.amdhsa_fp16_overflow 0
		.amdhsa_workgroup_processor_mode 1
		.amdhsa_memory_ordered 1
		.amdhsa_forward_progress 0
		.amdhsa_shared_vgpr_count 0
		.amdhsa_exception_fp_ieee_invalid_op 0
		.amdhsa_exception_fp_denorm_src 0
		.amdhsa_exception_fp_ieee_div_zero 0
		.amdhsa_exception_fp_ieee_overflow 0
		.amdhsa_exception_fp_ieee_underflow 0
		.amdhsa_exception_fp_ieee_inexact 0
		.amdhsa_exception_int_div_zero 0
	.end_amdhsa_kernel
	.section	.text._ZN12_GLOBAL__N_121softmax_warp_backwardIN3c104HalfES2_fLi6ELb1ELb0ELi64EEEvPT0_PKT_S7_iiiPKb,"axG",@progbits,_ZN12_GLOBAL__N_121softmax_warp_backwardIN3c104HalfES2_fLi6ELb1ELb0ELi64EEEvPT0_PKT_S7_iiiPKb,comdat
.Lfunc_end264:
	.size	_ZN12_GLOBAL__N_121softmax_warp_backwardIN3c104HalfES2_fLi6ELb1ELb0ELi64EEEvPT0_PKT_S7_iiiPKb, .Lfunc_end264-_ZN12_GLOBAL__N_121softmax_warp_backwardIN3c104HalfES2_fLi6ELb1ELb0ELi64EEEvPT0_PKT_S7_iiiPKb
                                        ; -- End function
	.section	.AMDGPU.csdata,"",@progbits
; Kernel info:
; codeLenInByte = 1068
; NumSgprs: 18
; NumVgprs: 14
; ScratchSize: 0
; MemoryBound: 0
; FloatMode: 240
; IeeeMode: 1
; LDSByteSize: 0 bytes/workgroup (compile time only)
; SGPRBlocks: 2
; VGPRBlocks: 1
; NumSGPRsForWavesPerEU: 18
; NumVGPRsForWavesPerEU: 14
; Occupancy: 16
; WaveLimiterHint : 0
; COMPUTE_PGM_RSRC2:SCRATCH_EN: 0
; COMPUTE_PGM_RSRC2:USER_SGPR: 15
; COMPUTE_PGM_RSRC2:TRAP_HANDLER: 0
; COMPUTE_PGM_RSRC2:TGID_X_EN: 1
; COMPUTE_PGM_RSRC2:TGID_Y_EN: 0
; COMPUTE_PGM_RSRC2:TGID_Z_EN: 0
; COMPUTE_PGM_RSRC2:TIDIG_COMP_CNT: 1
	.section	.text._ZN12_GLOBAL__N_121softmax_warp_backwardIN3c104HalfES2_fLi6ELb1ELb0ELi32EEEvPT0_PKT_S7_iiiPKb,"axG",@progbits,_ZN12_GLOBAL__N_121softmax_warp_backwardIN3c104HalfES2_fLi6ELb1ELb0ELi32EEEvPT0_PKT_S7_iiiPKb,comdat
	.globl	_ZN12_GLOBAL__N_121softmax_warp_backwardIN3c104HalfES2_fLi6ELb1ELb0ELi32EEEvPT0_PKT_S7_iiiPKb ; -- Begin function _ZN12_GLOBAL__N_121softmax_warp_backwardIN3c104HalfES2_fLi6ELb1ELb0ELi32EEEvPT0_PKT_S7_iiiPKb
	.p2align	8
	.type	_ZN12_GLOBAL__N_121softmax_warp_backwardIN3c104HalfES2_fLi6ELb1ELb0ELi32EEEvPT0_PKT_S7_iiiPKb,@function
_ZN12_GLOBAL__N_121softmax_warp_backwardIN3c104HalfES2_fLi6ELb1ELb0ELi32EEEvPT0_PKT_S7_iiiPKb: ; @_ZN12_GLOBAL__N_121softmax_warp_backwardIN3c104HalfES2_fLi6ELb1ELb0ELi32EEEvPT0_PKT_S7_iiiPKb
; %bb.0:
	s_clause 0x1
	s_load_b32 s2, s[0:1], 0x3c
	s_load_b128 s[4:7], s[0:1], 0x18
	v_bfe_u32 v1, v0, 10, 10
	v_dual_mov_b32 v9, 0 :: v_dual_and_b32 v6, 31, v0
	s_load_b128 s[8:11], s[0:1], 0x0
	v_mov_b32_e32 v8, 0
	v_mov_b32_e32 v12, 0
	s_waitcnt lgkmcnt(0)
	s_lshr_b32 s2, s2, 16
	s_delay_alu instid0(SALU_CYCLE_1) | instskip(SKIP_3) | instid1(VALU_DEP_2)
	s_mul_i32 s15, s15, s2
	s_load_b64 s[2:3], s[0:1], 0x10
	v_add_lshl_u32 v2, s15, v1, 1
	v_cmp_gt_i32_e64 s0, s6, v6
	v_mad_u64_u32 v[0:1], null, v2, s5, v[6:7]
	v_sub_nc_u32_e32 v7, s4, v2
	s_delay_alu instid0(VALU_DEP_1) | instskip(NEXT) | instid1(VALU_DEP_3)
	v_cmp_lt_i32_e64 s1, 0, v7
	v_ashrrev_i32_e32 v1, 31, v0
	s_delay_alu instid0(VALU_DEP_1) | instskip(NEXT) | instid1(VALU_DEP_1)
	v_lshlrev_b64 v[0:1], 1, v[0:1]
	v_add_co_u32 v4, vcc_lo, s10, v0
	s_delay_alu instid0(VALU_DEP_2) | instskip(SKIP_4) | instid1(SALU_CYCLE_1)
	v_add_co_ci_u32_e32 v5, vcc_lo, s11, v1, vcc_lo
	s_waitcnt lgkmcnt(0)
	v_add_co_u32 v2, vcc_lo, s2, v0
	v_add_co_ci_u32_e32 v3, vcc_lo, s3, v1, vcc_lo
	s_and_b32 s3, s1, s0
	s_and_saveexec_b32 s2, s3
	s_cbranch_execz .LBB265_2
; %bb.1:
	global_load_u16 v9, v[4:5], off
	global_load_u16 v10, v[2:3], off
	s_waitcnt vmcnt(1)
	v_cvt_f32_f16_e32 v9, v9
	s_waitcnt vmcnt(0)
	v_cvt_f32_f16_e32 v12, v10
.LBB265_2:
	s_or_b32 exec_lo, exec_lo, s2
	v_or_b32_e32 v6, 32, v6
	v_mov_b32_e32 v11, 0
	s_delay_alu instid0(VALU_DEP_2) | instskip(SKIP_1) | instid1(SALU_CYCLE_1)
	v_cmp_gt_i32_e32 vcc_lo, s6, v6
	s_and_b32 s3, s1, vcc_lo
	s_and_saveexec_b32 s2, s3
	s_cbranch_execz .LBB265_4
; %bb.3:
	global_load_u16 v6, v[4:5], off offset:64
	global_load_u16 v10, v[2:3], off offset:64
	s_waitcnt vmcnt(1)
	v_cvt_f32_f16_e32 v8, v6
	s_waitcnt vmcnt(0)
	v_cvt_f32_f16_e32 v11, v10
.LBB265_4:
	s_or_b32 exec_lo, exec_lo, s2
	v_cmp_lt_i32_e64 s2, 1, v7
	v_dual_mov_b32 v6, 0 :: v_dual_mov_b32 v13, 0
	v_mov_b32_e32 v10, 0
	s_mov_b32 s7, 0
	s_delay_alu instid0(VALU_DEP_3) | instskip(NEXT) | instid1(SALU_CYCLE_1)
	s_and_b32 s3, s2, s0
	s_and_saveexec_b32 s4, s3
	s_cbranch_execz .LBB265_6
; %bb.5:
	s_lshl_b64 s[10:11], s[6:7], 1
	s_delay_alu instid0(SALU_CYCLE_1) | instskip(NEXT) | instid1(VALU_DEP_1)
	v_add_co_u32 v13, s3, v4, s10
	v_add_co_ci_u32_e64 v14, s3, s11, v5, s3
	v_add_co_u32 v15, s3, v2, s10
	s_delay_alu instid0(VALU_DEP_1)
	v_add_co_ci_u32_e64 v16, s3, s11, v3, s3
	global_load_u16 v10, v[13:14], off
	global_load_u16 v13, v[15:16], off
	s_waitcnt vmcnt(1)
	v_cvt_f32_f16_e32 v10, v10
	s_waitcnt vmcnt(0)
	v_cvt_f32_f16_e32 v13, v13
.LBB265_6:
	s_or_b32 exec_lo, exec_lo, s4
	v_mov_b32_e32 v14, 0
	s_and_b32 s2, s2, vcc_lo
	s_delay_alu instid0(SALU_CYCLE_1)
	s_and_saveexec_b32 s3, s2
	s_cbranch_execz .LBB265_8
; %bb.7:
	s_lshl_b64 s[4:5], s[6:7], 1
	s_delay_alu instid0(SALU_CYCLE_1) | instskip(NEXT) | instid1(VALU_DEP_1)
	v_add_co_u32 v4, s2, v4, s4
	v_add_co_ci_u32_e64 v5, s2, s5, v5, s2
	v_add_co_u32 v2, s2, v2, s4
	s_delay_alu instid0(VALU_DEP_1)
	v_add_co_ci_u32_e64 v3, s2, s5, v3, s2
	global_load_u16 v4, v[4:5], off offset:64
	global_load_u16 v2, v[2:3], off offset:64
	s_waitcnt vmcnt(1)
	v_cvt_f32_f16_e32 v6, v4
	s_waitcnt vmcnt(0)
	v_cvt_f32_f16_e32 v14, v2
.LBB265_8:
	s_or_b32 exec_lo, exec_lo, s3
	v_mbcnt_lo_u32_b32 v2, -1, 0
	v_dual_add_f32 v4, 0, v9 :: v_dual_add_f32 v5, 0, v10
	s_delay_alu instid0(VALU_DEP_2) | instskip(SKIP_1) | instid1(VALU_DEP_2)
	v_xor_b32_e32 v3, 16, v2
	v_xor_b32_e32 v16, 8, v2
	v_cmp_gt_i32_e64 s2, 32, v3
	s_delay_alu instid0(VALU_DEP_1) | instskip(NEXT) | instid1(VALU_DEP_3)
	v_cndmask_b32_e64 v3, v2, v3, s2
	v_cmp_gt_i32_e64 s2, 32, v16
	s_delay_alu instid0(VALU_DEP_2) | instskip(NEXT) | instid1(VALU_DEP_2)
	v_dual_add_f32 v4, v4, v8 :: v_dual_lshlrev_b32 v3, 2, v3
	v_cndmask_b32_e64 v16, v2, v16, s2
	v_add_f32_e32 v5, v5, v6
	ds_bpermute_b32 v15, v3, v4
	v_lshlrev_b32_e32 v16, 2, v16
	ds_bpermute_b32 v3, v3, v5
	s_waitcnt lgkmcnt(1)
	v_add_f32_e32 v4, v4, v15
	s_waitcnt lgkmcnt(0)
	v_add_f32_e32 v3, v5, v3
	ds_bpermute_b32 v5, v16, v4
	ds_bpermute_b32 v15, v16, v3
	v_xor_b32_e32 v16, 4, v2
	s_delay_alu instid0(VALU_DEP_1) | instskip(NEXT) | instid1(VALU_DEP_1)
	v_cmp_gt_i32_e64 s2, 32, v16
	v_cndmask_b32_e64 v16, v2, v16, s2
	s_delay_alu instid0(VALU_DEP_1)
	v_lshlrev_b32_e32 v16, 2, v16
	s_waitcnt lgkmcnt(0)
	v_dual_add_f32 v4, v4, v5 :: v_dual_add_f32 v3, v3, v15
	ds_bpermute_b32 v5, v16, v4
	ds_bpermute_b32 v15, v16, v3
	v_xor_b32_e32 v16, 2, v2
	s_delay_alu instid0(VALU_DEP_1) | instskip(NEXT) | instid1(VALU_DEP_1)
	v_cmp_gt_i32_e64 s2, 32, v16
	v_cndmask_b32_e64 v16, v2, v16, s2
	s_delay_alu instid0(VALU_DEP_1)
	v_lshlrev_b32_e32 v16, 2, v16
	s_waitcnt lgkmcnt(0)
	v_dual_add_f32 v4, v4, v5 :: v_dual_add_f32 v3, v3, v15
	ds_bpermute_b32 v5, v16, v4
	ds_bpermute_b32 v15, v16, v3
	v_xor_b32_e32 v16, 1, v2
	s_delay_alu instid0(VALU_DEP_1) | instskip(NEXT) | instid1(VALU_DEP_1)
	v_cmp_gt_i32_e64 s2, 32, v16
	v_cndmask_b32_e64 v2, v2, v16, s2
	s_delay_alu instid0(VALU_DEP_1)
	v_lshlrev_b32_e32 v16, 2, v2
	s_waitcnt lgkmcnt(1)
	v_add_f32_e32 v4, v4, v5
	s_waitcnt lgkmcnt(0)
	v_add_f32_e32 v2, v3, v15
	ds_bpermute_b32 v5, v16, v4
	ds_bpermute_b32 v3, v16, v2
	s_and_saveexec_b32 s2, s1
	s_cbranch_execz .LBB265_12
; %bb.9:
	v_add_co_u32 v0, s1, s8, v0
	s_delay_alu instid0(VALU_DEP_1)
	v_add_co_ci_u32_e64 v1, s1, s9, v1, s1
	s_waitcnt lgkmcnt(1)
	v_add_f32_e32 v4, v4, v5
	s_and_saveexec_b32 s2, s0
	s_cbranch_execnz .LBB265_13
; %bb.10:
	s_or_b32 exec_lo, exec_lo, s2
	s_and_saveexec_b32 s2, vcc_lo
	s_cbranch_execnz .LBB265_14
.LBB265_11:
	s_or_b32 exec_lo, exec_lo, s2
	v_cmp_ne_u32_e64 s1, 1, v7
	s_delay_alu instid0(VALU_DEP_1)
	s_and_b32 exec_lo, exec_lo, s1
	s_cbranch_execnz .LBB265_15
.LBB265_12:
	s_nop 0
	s_sendmsg sendmsg(MSG_DEALLOC_VGPRS)
	s_endpgm
.LBB265_13:
	v_mul_f32_e32 v5, 0x3fb8aa3b, v12
	v_cmp_ngt_f32_e64 s1, 0xc2ce8ed0, v12
	s_delay_alu instid0(VALU_DEP_2) | instskip(SKIP_1) | instid1(VALU_DEP_1)
	v_rndne_f32_e32 v15, v5
	v_fma_f32 v16, 0x3fb8aa3b, v12, -v5
	v_dual_sub_f32 v5, v5, v15 :: v_dual_fmamk_f32 v16, v12, 0x32a5705f, v16
	v_cvt_i32_f32_e32 v15, v15
	s_delay_alu instid0(VALU_DEP_2) | instskip(NEXT) | instid1(VALU_DEP_1)
	v_add_f32_e32 v5, v5, v16
	v_exp_f32_e32 v5, v5
	s_waitcnt_depctr 0xfff
	v_ldexp_f32 v5, v5, v15
	s_delay_alu instid0(VALU_DEP_1) | instskip(SKIP_1) | instid1(VALU_DEP_1)
	v_cndmask_b32_e64 v5, 0, v5, s1
	v_cmp_nlt_f32_e64 s1, 0x42b17218, v12
	v_cndmask_b32_e64 v5, 0x7f800000, v5, s1
	s_delay_alu instid0(VALU_DEP_1)
	v_fma_mixlo_f16 v5, -v4, v5, v9
	global_store_b16 v[0:1], v5, off
	s_or_b32 exec_lo, exec_lo, s2
	s_and_saveexec_b32 s2, vcc_lo
	s_cbranch_execz .LBB265_11
.LBB265_14:
	v_mul_f32_e32 v5, 0x3fb8aa3b, v11
	v_cmp_ngt_f32_e64 s1, 0xc2ce8ed0, v11
	s_delay_alu instid0(VALU_DEP_2) | instskip(SKIP_1) | instid1(VALU_DEP_1)
	v_rndne_f32_e32 v9, v5
	v_fma_f32 v12, 0x3fb8aa3b, v11, -v5
	v_dual_sub_f32 v5, v5, v9 :: v_dual_fmamk_f32 v12, v11, 0x32a5705f, v12
	v_cvt_i32_f32_e32 v9, v9
	s_delay_alu instid0(VALU_DEP_2) | instskip(NEXT) | instid1(VALU_DEP_1)
	v_add_f32_e32 v5, v5, v12
	v_exp_f32_e32 v5, v5
	s_waitcnt_depctr 0xfff
	v_ldexp_f32 v5, v5, v9
	s_delay_alu instid0(VALU_DEP_1) | instskip(SKIP_1) | instid1(VALU_DEP_1)
	v_cndmask_b32_e64 v5, 0, v5, s1
	v_cmp_nlt_f32_e64 s1, 0x42b17218, v11
	v_cndmask_b32_e64 v5, 0x7f800000, v5, s1
	s_delay_alu instid0(VALU_DEP_1) | instskip(SKIP_3) | instid1(VALU_DEP_1)
	v_fma_mixlo_f16 v4, -v4, v5, v8
	global_store_b16 v[0:1], v4, off offset:64
	s_or_b32 exec_lo, exec_lo, s2
	v_cmp_ne_u32_e64 s1, 1, v7
	s_and_b32 exec_lo, exec_lo, s1
	s_cbranch_execz .LBB265_12
.LBB265_15:
	s_waitcnt lgkmcnt(0)
	v_add_f32_e32 v2, v2, v3
	s_and_saveexec_b32 s1, s0
	s_cbranch_execz .LBB265_17
; %bb.16:
	v_mul_f32_e32 v3, 0x3fb8aa3b, v13
	v_cmp_ngt_f32_e64 s0, 0xc2ce8ed0, v13
	s_lshl_b64 s[2:3], s[6:7], 1
	s_delay_alu instid0(VALU_DEP_2) | instskip(SKIP_1) | instid1(VALU_DEP_2)
	v_rndne_f32_e32 v4, v3
	v_fma_f32 v5, 0x3fb8aa3b, v13, -v3
	v_sub_f32_e32 v3, v3, v4
	s_delay_alu instid0(VALU_DEP_2) | instskip(SKIP_1) | instid1(VALU_DEP_2)
	v_fmamk_f32 v5, v13, 0x32a5705f, v5
	v_cvt_i32_f32_e32 v4, v4
	v_add_f32_e32 v3, v3, v5
	s_delay_alu instid0(VALU_DEP_1) | instskip(SKIP_2) | instid1(VALU_DEP_1)
	v_exp_f32_e32 v3, v3
	s_waitcnt_depctr 0xfff
	v_ldexp_f32 v3, v3, v4
	v_cndmask_b32_e64 v3, 0, v3, s0
	v_cmp_nlt_f32_e64 s0, 0x42b17218, v13
	s_delay_alu instid0(VALU_DEP_1) | instskip(NEXT) | instid1(VALU_DEP_1)
	v_cndmask_b32_e64 v3, 0x7f800000, v3, s0
	v_fma_mixlo_f16 v5, -v2, v3, v10
	v_add_co_u32 v3, s0, v0, s2
	s_delay_alu instid0(VALU_DEP_1)
	v_add_co_ci_u32_e64 v4, s0, s3, v1, s0
	global_store_b16 v[3:4], v5, off
.LBB265_17:
	s_or_b32 exec_lo, exec_lo, s1
	s_delay_alu instid0(SALU_CYCLE_1)
	s_and_b32 exec_lo, exec_lo, vcc_lo
	s_cbranch_execz .LBB265_12
; %bb.18:
	v_mul_f32_e32 v3, 0x3fb8aa3b, v14
	v_cmp_ngt_f32_e32 vcc_lo, 0xc2ce8ed0, v14
	s_ashr_i32 s7, s6, 31
	s_delay_alu instid0(SALU_CYCLE_1) | instskip(NEXT) | instid1(VALU_DEP_2)
	s_lshl_b64 s[0:1], s[6:7], 1
	v_rndne_f32_e32 v4, v3
	v_fma_f32 v5, 0x3fb8aa3b, v14, -v3
	s_delay_alu instid0(VALU_DEP_2) | instskip(NEXT) | instid1(VALU_DEP_2)
	v_sub_f32_e32 v3, v3, v4
	v_fmamk_f32 v5, v14, 0x32a5705f, v5
	v_cvt_i32_f32_e32 v4, v4
	s_delay_alu instid0(VALU_DEP_2) | instskip(NEXT) | instid1(VALU_DEP_1)
	v_add_f32_e32 v3, v3, v5
	v_exp_f32_e32 v3, v3
	s_waitcnt_depctr 0xfff
	v_ldexp_f32 v3, v3, v4
	s_delay_alu instid0(VALU_DEP_1) | instskip(SKIP_1) | instid1(VALU_DEP_2)
	v_cndmask_b32_e32 v3, 0, v3, vcc_lo
	v_cmp_nlt_f32_e32 vcc_lo, 0x42b17218, v14
	v_cndmask_b32_e32 v3, 0x7f800000, v3, vcc_lo
	v_add_co_u32 v0, vcc_lo, v0, s0
	v_add_co_ci_u32_e32 v1, vcc_lo, s1, v1, vcc_lo
	s_delay_alu instid0(VALU_DEP_3)
	v_fma_mixlo_f16 v2, -v2, v3, v6
	global_store_b16 v[0:1], v2, off offset:64
	s_nop 0
	s_sendmsg sendmsg(MSG_DEALLOC_VGPRS)
	s_endpgm
	.section	.rodata,"a",@progbits
	.p2align	6, 0x0
	.amdhsa_kernel _ZN12_GLOBAL__N_121softmax_warp_backwardIN3c104HalfES2_fLi6ELb1ELb0ELi32EEEvPT0_PKT_S7_iiiPKb
		.amdhsa_group_segment_fixed_size 0
		.amdhsa_private_segment_fixed_size 0
		.amdhsa_kernarg_size 304
		.amdhsa_user_sgpr_count 15
		.amdhsa_user_sgpr_dispatch_ptr 0
		.amdhsa_user_sgpr_queue_ptr 0
		.amdhsa_user_sgpr_kernarg_segment_ptr 1
		.amdhsa_user_sgpr_dispatch_id 0
		.amdhsa_user_sgpr_private_segment_size 0
		.amdhsa_wavefront_size32 1
		.amdhsa_uses_dynamic_stack 0
		.amdhsa_enable_private_segment 0
		.amdhsa_system_sgpr_workgroup_id_x 1
		.amdhsa_system_sgpr_workgroup_id_y 0
		.amdhsa_system_sgpr_workgroup_id_z 0
		.amdhsa_system_sgpr_workgroup_info 0
		.amdhsa_system_vgpr_workitem_id 1
		.amdhsa_next_free_vgpr 17
		.amdhsa_next_free_sgpr 16
		.amdhsa_reserve_vcc 1
		.amdhsa_float_round_mode_32 0
		.amdhsa_float_round_mode_16_64 0
		.amdhsa_float_denorm_mode_32 3
		.amdhsa_float_denorm_mode_16_64 3
		.amdhsa_dx10_clamp 1
		.amdhsa_ieee_mode 1
		.amdhsa_fp16_overflow 0
		.amdhsa_workgroup_processor_mode 1
		.amdhsa_memory_ordered 1
		.amdhsa_forward_progress 0
		.amdhsa_shared_vgpr_count 0
		.amdhsa_exception_fp_ieee_invalid_op 0
		.amdhsa_exception_fp_denorm_src 0
		.amdhsa_exception_fp_ieee_div_zero 0
		.amdhsa_exception_fp_ieee_overflow 0
		.amdhsa_exception_fp_ieee_underflow 0
		.amdhsa_exception_fp_ieee_inexact 0
		.amdhsa_exception_int_div_zero 0
	.end_amdhsa_kernel
	.section	.text._ZN12_GLOBAL__N_121softmax_warp_backwardIN3c104HalfES2_fLi6ELb1ELb0ELi32EEEvPT0_PKT_S7_iiiPKb,"axG",@progbits,_ZN12_GLOBAL__N_121softmax_warp_backwardIN3c104HalfES2_fLi6ELb1ELb0ELi32EEEvPT0_PKT_S7_iiiPKb,comdat
.Lfunc_end265:
	.size	_ZN12_GLOBAL__N_121softmax_warp_backwardIN3c104HalfES2_fLi6ELb1ELb0ELi32EEEvPT0_PKT_S7_iiiPKb, .Lfunc_end265-_ZN12_GLOBAL__N_121softmax_warp_backwardIN3c104HalfES2_fLi6ELb1ELb0ELi32EEEvPT0_PKT_S7_iiiPKb
                                        ; -- End function
	.section	.AMDGPU.csdata,"",@progbits
; Kernel info:
; codeLenInByte = 1556
; NumSgprs: 18
; NumVgprs: 17
; ScratchSize: 0
; MemoryBound: 0
; FloatMode: 240
; IeeeMode: 1
; LDSByteSize: 0 bytes/workgroup (compile time only)
; SGPRBlocks: 2
; VGPRBlocks: 2
; NumSGPRsForWavesPerEU: 18
; NumVGPRsForWavesPerEU: 17
; Occupancy: 16
; WaveLimiterHint : 0
; COMPUTE_PGM_RSRC2:SCRATCH_EN: 0
; COMPUTE_PGM_RSRC2:USER_SGPR: 15
; COMPUTE_PGM_RSRC2:TRAP_HANDLER: 0
; COMPUTE_PGM_RSRC2:TGID_X_EN: 1
; COMPUTE_PGM_RSRC2:TGID_Y_EN: 0
; COMPUTE_PGM_RSRC2:TGID_Z_EN: 0
; COMPUTE_PGM_RSRC2:TIDIG_COMP_CNT: 1
	.section	.text._ZN12_GLOBAL__N_121softmax_warp_backwardIN3c104HalfES2_fLi7ELb1ELb0ELi64EEEvPT0_PKT_S7_iiiPKb,"axG",@progbits,_ZN12_GLOBAL__N_121softmax_warp_backwardIN3c104HalfES2_fLi7ELb1ELb0ELi64EEEvPT0_PKT_S7_iiiPKb,comdat
	.globl	_ZN12_GLOBAL__N_121softmax_warp_backwardIN3c104HalfES2_fLi7ELb1ELb0ELi64EEEvPT0_PKT_S7_iiiPKb ; -- Begin function _ZN12_GLOBAL__N_121softmax_warp_backwardIN3c104HalfES2_fLi7ELb1ELb0ELi64EEEvPT0_PKT_S7_iiiPKb
	.p2align	8
	.type	_ZN12_GLOBAL__N_121softmax_warp_backwardIN3c104HalfES2_fLi7ELb1ELb0ELi64EEEvPT0_PKT_S7_iiiPKb,@function
_ZN12_GLOBAL__N_121softmax_warp_backwardIN3c104HalfES2_fLi7ELb1ELb0ELi64EEEvPT0_PKT_S7_iiiPKb: ; @_ZN12_GLOBAL__N_121softmax_warp_backwardIN3c104HalfES2_fLi7ELb1ELb0ELi64EEEvPT0_PKT_S7_iiiPKb
; %bb.0:
	s_clause 0x1
	s_load_b32 s2, s[0:1], 0x3c
	s_load_b128 s[4:7], s[0:1], 0x18
	v_bfe_u32 v1, v0, 10, 10
	v_dual_mov_b32 v9, 0 :: v_dual_and_b32 v6, 63, v0
	s_load_b128 s[8:11], s[0:1], 0x0
	v_mov_b32_e32 v8, 0
	v_mov_b32_e32 v12, 0
	s_waitcnt lgkmcnt(0)
	s_lshr_b32 s2, s2, 16
	s_delay_alu instid0(SALU_CYCLE_1) | instskip(SKIP_3) | instid1(VALU_DEP_2)
	s_mul_i32 s15, s15, s2
	s_load_b64 s[2:3], s[0:1], 0x10
	v_add_lshl_u32 v2, s15, v1, 1
	v_cmp_gt_i32_e64 s0, s6, v6
	v_mad_u64_u32 v[0:1], null, v2, s5, v[6:7]
	v_sub_nc_u32_e32 v7, s4, v2
	s_delay_alu instid0(VALU_DEP_1) | instskip(NEXT) | instid1(VALU_DEP_3)
	v_cmp_lt_i32_e64 s1, 0, v7
	v_ashrrev_i32_e32 v1, 31, v0
	s_delay_alu instid0(VALU_DEP_1) | instskip(NEXT) | instid1(VALU_DEP_1)
	v_lshlrev_b64 v[0:1], 1, v[0:1]
	v_add_co_u32 v4, vcc_lo, s10, v0
	s_delay_alu instid0(VALU_DEP_2) | instskip(SKIP_4) | instid1(SALU_CYCLE_1)
	v_add_co_ci_u32_e32 v5, vcc_lo, s11, v1, vcc_lo
	s_waitcnt lgkmcnt(0)
	v_add_co_u32 v2, vcc_lo, s2, v0
	v_add_co_ci_u32_e32 v3, vcc_lo, s3, v1, vcc_lo
	s_and_b32 s3, s1, s0
	s_and_saveexec_b32 s2, s3
	s_cbranch_execz .LBB266_2
; %bb.1:
	global_load_u16 v9, v[4:5], off
	global_load_u16 v10, v[2:3], off
	s_waitcnt vmcnt(1)
	v_cvt_f32_f16_e32 v9, v9
	s_waitcnt vmcnt(0)
	v_cvt_f32_f16_e32 v12, v10
.LBB266_2:
	s_or_b32 exec_lo, exec_lo, s2
	v_or_b32_e32 v6, 64, v6
	v_mov_b32_e32 v11, 0
	s_delay_alu instid0(VALU_DEP_2) | instskip(SKIP_1) | instid1(SALU_CYCLE_1)
	v_cmp_gt_i32_e32 vcc_lo, s6, v6
	s_and_b32 s3, s1, vcc_lo
	s_and_saveexec_b32 s2, s3
	s_cbranch_execz .LBB266_4
; %bb.3:
	global_load_u16 v6, v[4:5], off offset:128
	global_load_u16 v10, v[2:3], off offset:128
	s_waitcnt vmcnt(1)
	v_cvt_f32_f16_e32 v8, v6
	s_waitcnt vmcnt(0)
	v_cvt_f32_f16_e32 v11, v10
.LBB266_4:
	s_or_b32 exec_lo, exec_lo, s2
	v_cmp_lt_i32_e64 s2, 1, v7
	v_dual_mov_b32 v6, 0 :: v_dual_mov_b32 v13, 0
	v_mov_b32_e32 v10, 0
	s_mov_b32 s7, 0
	s_delay_alu instid0(VALU_DEP_3) | instskip(NEXT) | instid1(SALU_CYCLE_1)
	s_and_b32 s3, s2, s0
	s_and_saveexec_b32 s4, s3
	s_cbranch_execz .LBB266_6
; %bb.5:
	s_lshl_b64 s[10:11], s[6:7], 1
	s_delay_alu instid0(SALU_CYCLE_1) | instskip(NEXT) | instid1(VALU_DEP_1)
	v_add_co_u32 v13, s3, v4, s10
	v_add_co_ci_u32_e64 v14, s3, s11, v5, s3
	v_add_co_u32 v15, s3, v2, s10
	s_delay_alu instid0(VALU_DEP_1)
	v_add_co_ci_u32_e64 v16, s3, s11, v3, s3
	global_load_u16 v10, v[13:14], off
	global_load_u16 v13, v[15:16], off
	s_waitcnt vmcnt(1)
	v_cvt_f32_f16_e32 v10, v10
	s_waitcnt vmcnt(0)
	v_cvt_f32_f16_e32 v13, v13
.LBB266_6:
	s_or_b32 exec_lo, exec_lo, s4
	v_mov_b32_e32 v14, 0
	s_and_b32 s2, s2, vcc_lo
	s_delay_alu instid0(SALU_CYCLE_1)
	s_and_saveexec_b32 s3, s2
	s_cbranch_execz .LBB266_8
; %bb.7:
	s_lshl_b64 s[4:5], s[6:7], 1
	s_delay_alu instid0(SALU_CYCLE_1) | instskip(NEXT) | instid1(VALU_DEP_1)
	v_add_co_u32 v4, s2, v4, s4
	v_add_co_ci_u32_e64 v5, s2, s5, v5, s2
	v_add_co_u32 v2, s2, v2, s4
	s_delay_alu instid0(VALU_DEP_1)
	v_add_co_ci_u32_e64 v3, s2, s5, v3, s2
	global_load_u16 v4, v[4:5], off offset:128
	global_load_u16 v2, v[2:3], off offset:128
	s_waitcnt vmcnt(1)
	v_cvt_f32_f16_e32 v6, v4
	s_waitcnt vmcnt(0)
	v_cvt_f32_f16_e32 v14, v2
.LBB266_8:
	s_or_b32 exec_lo, exec_lo, s3
	v_mbcnt_lo_u32_b32 v2, -1, 0
	v_dual_add_f32 v4, 0, v9 :: v_dual_add_f32 v5, 0, v10
	s_delay_alu instid0(VALU_DEP_2) | instskip(SKIP_1) | instid1(VALU_DEP_2)
	v_or_b32_e32 v3, 32, v2
	v_xor_b32_e32 v16, 16, v2
	v_cmp_gt_i32_e64 s2, 64, v3
	s_delay_alu instid0(VALU_DEP_1) | instskip(NEXT) | instid1(VALU_DEP_3)
	v_cndmask_b32_e64 v3, v2, v3, s2
	v_cmp_gt_i32_e64 s2, 64, v16
	s_delay_alu instid0(VALU_DEP_2) | instskip(NEXT) | instid1(VALU_DEP_2)
	v_dual_add_f32 v4, v4, v8 :: v_dual_lshlrev_b32 v3, 2, v3
	v_cndmask_b32_e64 v16, v2, v16, s2
	v_add_f32_e32 v5, v5, v6
	ds_bpermute_b32 v15, v3, v4
	v_lshlrev_b32_e32 v16, 2, v16
	ds_bpermute_b32 v3, v3, v5
	s_waitcnt lgkmcnt(1)
	v_add_f32_e32 v4, v4, v15
	s_waitcnt lgkmcnt(0)
	v_add_f32_e32 v3, v5, v3
	ds_bpermute_b32 v5, v16, v4
	ds_bpermute_b32 v15, v16, v3
	v_xor_b32_e32 v16, 8, v2
	s_delay_alu instid0(VALU_DEP_1) | instskip(NEXT) | instid1(VALU_DEP_1)
	v_cmp_gt_i32_e64 s2, 64, v16
	v_cndmask_b32_e64 v16, v2, v16, s2
	s_delay_alu instid0(VALU_DEP_1)
	v_lshlrev_b32_e32 v16, 2, v16
	s_waitcnt lgkmcnt(0)
	v_dual_add_f32 v4, v4, v5 :: v_dual_add_f32 v3, v3, v15
	ds_bpermute_b32 v5, v16, v4
	ds_bpermute_b32 v15, v16, v3
	v_xor_b32_e32 v16, 4, v2
	s_delay_alu instid0(VALU_DEP_1) | instskip(NEXT) | instid1(VALU_DEP_1)
	v_cmp_gt_i32_e64 s2, 64, v16
	v_cndmask_b32_e64 v16, v2, v16, s2
	s_waitcnt lgkmcnt(0)
	s_delay_alu instid0(VALU_DEP_1)
	v_dual_add_f32 v3, v3, v15 :: v_dual_lshlrev_b32 v16, 2, v16
	ds_bpermute_b32 v15, v16, v3
	s_waitcnt lgkmcnt(0)
	v_dual_add_f32 v4, v4, v5 :: v_dual_add_f32 v3, v3, v15
	ds_bpermute_b32 v5, v16, v4
	v_xor_b32_e32 v16, 2, v2
	s_delay_alu instid0(VALU_DEP_1) | instskip(NEXT) | instid1(VALU_DEP_1)
	v_cmp_gt_i32_e64 s2, 64, v16
	v_cndmask_b32_e64 v16, v2, v16, s2
	s_delay_alu instid0(VALU_DEP_1)
	v_lshlrev_b32_e32 v16, 2, v16
	s_waitcnt lgkmcnt(0)
	v_add_f32_e32 v4, v4, v5
	ds_bpermute_b32 v15, v16, v3
	ds_bpermute_b32 v5, v16, v4
	v_xor_b32_e32 v16, 1, v2
	s_delay_alu instid0(VALU_DEP_1) | instskip(NEXT) | instid1(VALU_DEP_1)
	v_cmp_gt_i32_e64 s2, 64, v16
	v_cndmask_b32_e64 v2, v2, v16, s2
	s_delay_alu instid0(VALU_DEP_1)
	v_lshlrev_b32_e32 v16, 2, v2
	s_waitcnt lgkmcnt(1)
	v_add_f32_e32 v2, v3, v15
	s_waitcnt lgkmcnt(0)
	v_add_f32_e32 v4, v4, v5
	ds_bpermute_b32 v3, v16, v2
	ds_bpermute_b32 v5, v16, v4
	s_and_saveexec_b32 s2, s1
	s_cbranch_execz .LBB266_12
; %bb.9:
	v_add_co_u32 v0, s1, s8, v0
	s_delay_alu instid0(VALU_DEP_1)
	v_add_co_ci_u32_e64 v1, s1, s9, v1, s1
	s_waitcnt lgkmcnt(0)
	v_add_f32_e32 v4, v4, v5
	s_and_saveexec_b32 s2, s0
	s_cbranch_execnz .LBB266_13
; %bb.10:
	s_or_b32 exec_lo, exec_lo, s2
	s_and_saveexec_b32 s2, vcc_lo
	s_cbranch_execnz .LBB266_14
.LBB266_11:
	s_or_b32 exec_lo, exec_lo, s2
	v_cmp_ne_u32_e64 s1, 1, v7
	s_delay_alu instid0(VALU_DEP_1)
	s_and_b32 exec_lo, exec_lo, s1
	s_cbranch_execnz .LBB266_15
.LBB266_12:
	s_nop 0
	s_sendmsg sendmsg(MSG_DEALLOC_VGPRS)
	s_endpgm
.LBB266_13:
	v_mul_f32_e32 v5, 0x3fb8aa3b, v12
	v_cmp_ngt_f32_e64 s1, 0xc2ce8ed0, v12
	s_delay_alu instid0(VALU_DEP_2) | instskip(SKIP_1) | instid1(VALU_DEP_1)
	v_rndne_f32_e32 v15, v5
	v_fma_f32 v16, 0x3fb8aa3b, v12, -v5
	v_dual_sub_f32 v5, v5, v15 :: v_dual_fmamk_f32 v16, v12, 0x32a5705f, v16
	v_cvt_i32_f32_e32 v15, v15
	s_delay_alu instid0(VALU_DEP_2) | instskip(NEXT) | instid1(VALU_DEP_1)
	v_add_f32_e32 v5, v5, v16
	v_exp_f32_e32 v5, v5
	s_waitcnt_depctr 0xfff
	v_ldexp_f32 v5, v5, v15
	s_delay_alu instid0(VALU_DEP_1) | instskip(SKIP_1) | instid1(VALU_DEP_1)
	v_cndmask_b32_e64 v5, 0, v5, s1
	v_cmp_nlt_f32_e64 s1, 0x42b17218, v12
	v_cndmask_b32_e64 v5, 0x7f800000, v5, s1
	s_delay_alu instid0(VALU_DEP_1)
	v_fma_mixlo_f16 v5, -v4, v5, v9
	global_store_b16 v[0:1], v5, off
	s_or_b32 exec_lo, exec_lo, s2
	s_and_saveexec_b32 s2, vcc_lo
	s_cbranch_execz .LBB266_11
.LBB266_14:
	v_mul_f32_e32 v5, 0x3fb8aa3b, v11
	v_cmp_ngt_f32_e64 s1, 0xc2ce8ed0, v11
	s_delay_alu instid0(VALU_DEP_2) | instskip(SKIP_1) | instid1(VALU_DEP_1)
	v_rndne_f32_e32 v9, v5
	v_fma_f32 v12, 0x3fb8aa3b, v11, -v5
	v_dual_sub_f32 v5, v5, v9 :: v_dual_fmamk_f32 v12, v11, 0x32a5705f, v12
	v_cvt_i32_f32_e32 v9, v9
	s_delay_alu instid0(VALU_DEP_2) | instskip(NEXT) | instid1(VALU_DEP_1)
	v_add_f32_e32 v5, v5, v12
	v_exp_f32_e32 v5, v5
	s_waitcnt_depctr 0xfff
	v_ldexp_f32 v5, v5, v9
	s_delay_alu instid0(VALU_DEP_1) | instskip(SKIP_1) | instid1(VALU_DEP_1)
	v_cndmask_b32_e64 v5, 0, v5, s1
	v_cmp_nlt_f32_e64 s1, 0x42b17218, v11
	v_cndmask_b32_e64 v5, 0x7f800000, v5, s1
	s_delay_alu instid0(VALU_DEP_1) | instskip(SKIP_3) | instid1(VALU_DEP_1)
	v_fma_mixlo_f16 v4, -v4, v5, v8
	global_store_b16 v[0:1], v4, off offset:128
	s_or_b32 exec_lo, exec_lo, s2
	v_cmp_ne_u32_e64 s1, 1, v7
	s_and_b32 exec_lo, exec_lo, s1
	s_cbranch_execz .LBB266_12
.LBB266_15:
	v_add_f32_e32 v2, v2, v3
	s_and_saveexec_b32 s1, s0
	s_cbranch_execz .LBB266_17
; %bb.16:
	v_mul_f32_e32 v3, 0x3fb8aa3b, v13
	v_cmp_ngt_f32_e64 s0, 0xc2ce8ed0, v13
	s_lshl_b64 s[2:3], s[6:7], 1
	s_delay_alu instid0(VALU_DEP_2) | instskip(SKIP_1) | instid1(VALU_DEP_2)
	v_rndne_f32_e32 v4, v3
	v_fma_f32 v5, 0x3fb8aa3b, v13, -v3
	v_sub_f32_e32 v3, v3, v4
	s_delay_alu instid0(VALU_DEP_2) | instskip(SKIP_1) | instid1(VALU_DEP_2)
	v_fmamk_f32 v5, v13, 0x32a5705f, v5
	v_cvt_i32_f32_e32 v4, v4
	v_add_f32_e32 v3, v3, v5
	s_delay_alu instid0(VALU_DEP_1) | instskip(SKIP_2) | instid1(VALU_DEP_1)
	v_exp_f32_e32 v3, v3
	s_waitcnt_depctr 0xfff
	v_ldexp_f32 v3, v3, v4
	v_cndmask_b32_e64 v3, 0, v3, s0
	v_cmp_nlt_f32_e64 s0, 0x42b17218, v13
	s_delay_alu instid0(VALU_DEP_1) | instskip(NEXT) | instid1(VALU_DEP_1)
	v_cndmask_b32_e64 v3, 0x7f800000, v3, s0
	v_fma_mixlo_f16 v5, -v2, v3, v10
	v_add_co_u32 v3, s0, v0, s2
	s_delay_alu instid0(VALU_DEP_1)
	v_add_co_ci_u32_e64 v4, s0, s3, v1, s0
	global_store_b16 v[3:4], v5, off
.LBB266_17:
	s_or_b32 exec_lo, exec_lo, s1
	s_delay_alu instid0(SALU_CYCLE_1)
	s_and_b32 exec_lo, exec_lo, vcc_lo
	s_cbranch_execz .LBB266_12
; %bb.18:
	v_mul_f32_e32 v3, 0x3fb8aa3b, v14
	v_cmp_ngt_f32_e32 vcc_lo, 0xc2ce8ed0, v14
	s_ashr_i32 s7, s6, 31
	s_delay_alu instid0(SALU_CYCLE_1) | instskip(NEXT) | instid1(VALU_DEP_2)
	s_lshl_b64 s[0:1], s[6:7], 1
	v_rndne_f32_e32 v4, v3
	v_fma_f32 v5, 0x3fb8aa3b, v14, -v3
	s_delay_alu instid0(VALU_DEP_2) | instskip(NEXT) | instid1(VALU_DEP_2)
	v_sub_f32_e32 v3, v3, v4
	v_fmamk_f32 v5, v14, 0x32a5705f, v5
	v_cvt_i32_f32_e32 v4, v4
	s_delay_alu instid0(VALU_DEP_2) | instskip(NEXT) | instid1(VALU_DEP_1)
	v_add_f32_e32 v3, v3, v5
	v_exp_f32_e32 v3, v3
	s_waitcnt_depctr 0xfff
	v_ldexp_f32 v3, v3, v4
	s_delay_alu instid0(VALU_DEP_1) | instskip(SKIP_1) | instid1(VALU_DEP_2)
	v_cndmask_b32_e32 v3, 0, v3, vcc_lo
	v_cmp_nlt_f32_e32 vcc_lo, 0x42b17218, v14
	v_cndmask_b32_e32 v3, 0x7f800000, v3, vcc_lo
	v_add_co_u32 v0, vcc_lo, v0, s0
	v_add_co_ci_u32_e32 v1, vcc_lo, s1, v1, vcc_lo
	s_delay_alu instid0(VALU_DEP_3)
	v_fma_mixlo_f16 v2, -v2, v3, v6
	global_store_b16 v[0:1], v2, off offset:128
	s_nop 0
	s_sendmsg sendmsg(MSG_DEALLOC_VGPRS)
	s_endpgm
	.section	.rodata,"a",@progbits
	.p2align	6, 0x0
	.amdhsa_kernel _ZN12_GLOBAL__N_121softmax_warp_backwardIN3c104HalfES2_fLi7ELb1ELb0ELi64EEEvPT0_PKT_S7_iiiPKb
		.amdhsa_group_segment_fixed_size 0
		.amdhsa_private_segment_fixed_size 0
		.amdhsa_kernarg_size 304
		.amdhsa_user_sgpr_count 15
		.amdhsa_user_sgpr_dispatch_ptr 0
		.amdhsa_user_sgpr_queue_ptr 0
		.amdhsa_user_sgpr_kernarg_segment_ptr 1
		.amdhsa_user_sgpr_dispatch_id 0
		.amdhsa_user_sgpr_private_segment_size 0
		.amdhsa_wavefront_size32 1
		.amdhsa_uses_dynamic_stack 0
		.amdhsa_enable_private_segment 0
		.amdhsa_system_sgpr_workgroup_id_x 1
		.amdhsa_system_sgpr_workgroup_id_y 0
		.amdhsa_system_sgpr_workgroup_id_z 0
		.amdhsa_system_sgpr_workgroup_info 0
		.amdhsa_system_vgpr_workitem_id 1
		.amdhsa_next_free_vgpr 17
		.amdhsa_next_free_sgpr 16
		.amdhsa_reserve_vcc 1
		.amdhsa_float_round_mode_32 0
		.amdhsa_float_round_mode_16_64 0
		.amdhsa_float_denorm_mode_32 3
		.amdhsa_float_denorm_mode_16_64 3
		.amdhsa_dx10_clamp 1
		.amdhsa_ieee_mode 1
		.amdhsa_fp16_overflow 0
		.amdhsa_workgroup_processor_mode 1
		.amdhsa_memory_ordered 1
		.amdhsa_forward_progress 0
		.amdhsa_shared_vgpr_count 0
		.amdhsa_exception_fp_ieee_invalid_op 0
		.amdhsa_exception_fp_denorm_src 0
		.amdhsa_exception_fp_ieee_div_zero 0
		.amdhsa_exception_fp_ieee_overflow 0
		.amdhsa_exception_fp_ieee_underflow 0
		.amdhsa_exception_fp_ieee_inexact 0
		.amdhsa_exception_int_div_zero 0
	.end_amdhsa_kernel
	.section	.text._ZN12_GLOBAL__N_121softmax_warp_backwardIN3c104HalfES2_fLi7ELb1ELb0ELi64EEEvPT0_PKT_S7_iiiPKb,"axG",@progbits,_ZN12_GLOBAL__N_121softmax_warp_backwardIN3c104HalfES2_fLi7ELb1ELb0ELi64EEEvPT0_PKT_S7_iiiPKb,comdat
.Lfunc_end266:
	.size	_ZN12_GLOBAL__N_121softmax_warp_backwardIN3c104HalfES2_fLi7ELb1ELb0ELi64EEEvPT0_PKT_S7_iiiPKb, .Lfunc_end266-_ZN12_GLOBAL__N_121softmax_warp_backwardIN3c104HalfES2_fLi7ELb1ELb0ELi64EEEvPT0_PKT_S7_iiiPKb
                                        ; -- End function
	.section	.AMDGPU.csdata,"",@progbits
; Kernel info:
; codeLenInByte = 1616
; NumSgprs: 18
; NumVgprs: 17
; ScratchSize: 0
; MemoryBound: 0
; FloatMode: 240
; IeeeMode: 1
; LDSByteSize: 0 bytes/workgroup (compile time only)
; SGPRBlocks: 2
; VGPRBlocks: 2
; NumSGPRsForWavesPerEU: 18
; NumVGPRsForWavesPerEU: 17
; Occupancy: 16
; WaveLimiterHint : 0
; COMPUTE_PGM_RSRC2:SCRATCH_EN: 0
; COMPUTE_PGM_RSRC2:USER_SGPR: 15
; COMPUTE_PGM_RSRC2:TRAP_HANDLER: 0
; COMPUTE_PGM_RSRC2:TGID_X_EN: 1
; COMPUTE_PGM_RSRC2:TGID_Y_EN: 0
; COMPUTE_PGM_RSRC2:TGID_Z_EN: 0
; COMPUTE_PGM_RSRC2:TIDIG_COMP_CNT: 1
	.section	.text._ZN12_GLOBAL__N_121softmax_warp_backwardIN3c104HalfES2_fLi7ELb1ELb0ELi32EEEvPT0_PKT_S7_iiiPKb,"axG",@progbits,_ZN12_GLOBAL__N_121softmax_warp_backwardIN3c104HalfES2_fLi7ELb1ELb0ELi32EEEvPT0_PKT_S7_iiiPKb,comdat
	.globl	_ZN12_GLOBAL__N_121softmax_warp_backwardIN3c104HalfES2_fLi7ELb1ELb0ELi32EEEvPT0_PKT_S7_iiiPKb ; -- Begin function _ZN12_GLOBAL__N_121softmax_warp_backwardIN3c104HalfES2_fLi7ELb1ELb0ELi32EEEvPT0_PKT_S7_iiiPKb
	.p2align	8
	.type	_ZN12_GLOBAL__N_121softmax_warp_backwardIN3c104HalfES2_fLi7ELb1ELb0ELi32EEEvPT0_PKT_S7_iiiPKb,@function
_ZN12_GLOBAL__N_121softmax_warp_backwardIN3c104HalfES2_fLi7ELb1ELb0ELi32EEEvPT0_PKT_S7_iiiPKb: ; @_ZN12_GLOBAL__N_121softmax_warp_backwardIN3c104HalfES2_fLi7ELb1ELb0ELi32EEEvPT0_PKT_S7_iiiPKb
; %bb.0:
	s_clause 0x1
	s_load_b32 s2, s[0:1], 0x3c
	s_load_b128 s[4:7], s[0:1], 0x18
	v_bfe_u32 v1, v0, 10, 10
	v_and_b32_e32 v6, 31, v0
	s_clause 0x1
	s_load_b128 s[8:11], s[0:1], 0x0
	s_load_b64 s[12:13], s[0:1], 0x10
	v_mov_b32_e32 v8, 0
	v_mov_b32_e32 v12, 0
	;; [unrolled: 1-line block ×3, first 2 shown]
	s_waitcnt lgkmcnt(0)
	s_lshr_b32 s2, s2, 16
	v_cmp_gt_i32_e32 vcc_lo, s6, v6
	s_mul_i32 s15, s15, s2
	s_delay_alu instid0(SALU_CYCLE_1) | instskip(NEXT) | instid1(VALU_DEP_1)
	v_add_lshl_u32 v2, s15, v1, 1
	v_mad_u64_u32 v[0:1], null, v2, s5, v[6:7]
	v_sub_nc_u32_e32 v7, s4, v2
	s_delay_alu instid0(VALU_DEP_1) | instskip(NEXT) | instid1(VALU_DEP_3)
	v_cmp_lt_i32_e64 s3, 0, v7
	v_ashrrev_i32_e32 v1, 31, v0
	s_delay_alu instid0(VALU_DEP_2) | instskip(NEXT) | instid1(VALU_DEP_1)
	s_and_b32 s1, s3, vcc_lo
	v_lshlrev_b64 v[0:1], 1, v[0:1]
	s_delay_alu instid0(VALU_DEP_1) | instskip(NEXT) | instid1(VALU_DEP_1)
	v_add_co_u32 v4, s0, s10, v0
	v_add_co_ci_u32_e64 v5, s0, s11, v1, s0
	v_add_co_u32 v2, s0, s12, v0
	s_delay_alu instid0(VALU_DEP_1)
	v_add_co_ci_u32_e64 v3, s0, s13, v1, s0
	s_and_saveexec_b32 s0, s1
	s_cbranch_execz .LBB267_2
; %bb.1:
	global_load_u16 v9, v[4:5], off
	global_load_u16 v10, v[2:3], off
	s_waitcnt vmcnt(1)
	v_cvt_f32_f16_e32 v12, v9
	s_waitcnt vmcnt(0)
	v_cvt_f32_f16_e32 v18, v10
.LBB267_2:
	s_or_b32 exec_lo, exec_lo, s0
	v_or_b32_e32 v9, 32, v6
	v_mov_b32_e32 v16, 0
	s_delay_alu instid0(VALU_DEP_2) | instskip(NEXT) | instid1(VALU_DEP_1)
	v_cmp_gt_i32_e64 s2, s6, v9
	s_and_b32 s1, s3, s2
	s_delay_alu instid0(SALU_CYCLE_1)
	s_and_saveexec_b32 s0, s1
	s_cbranch_execz .LBB267_4
; %bb.3:
	global_load_u16 v8, v[4:5], off offset:64
	global_load_u16 v9, v[2:3], off offset:64
	s_waitcnt vmcnt(1)
	v_cvt_f32_f16_e32 v8, v8
	s_waitcnt vmcnt(0)
	v_cvt_f32_f16_e32 v16, v9
.LBB267_4:
	s_or_b32 exec_lo, exec_lo, s0
	v_or_b32_e32 v9, 64, v6
	v_dual_mov_b32 v17, 0 :: v_dual_mov_b32 v14, 0
	s_delay_alu instid0(VALU_DEP_2) | instskip(SKIP_1) | instid1(VALU_DEP_2)
	v_cmp_gt_i32_e64 s0, s6, v9
	v_mov_b32_e32 v9, 0
	s_and_b32 s4, s3, s0
	s_delay_alu instid0(SALU_CYCLE_1)
	s_and_saveexec_b32 s1, s4
	s_cbranch_execz .LBB267_6
; %bb.5:
	global_load_u16 v10, v[4:5], off offset:128
	global_load_u16 v11, v[2:3], off offset:128
	s_waitcnt vmcnt(1)
	v_cvt_f32_f16_e32 v14, v10
	s_waitcnt vmcnt(0)
	v_cvt_f32_f16_e32 v17, v11
.LBB267_6:
	s_or_b32 exec_lo, exec_lo, s1
	v_or_b32_e32 v6, 0x60, v6
	v_mov_b32_e32 v15, 0
	s_delay_alu instid0(VALU_DEP_2) | instskip(NEXT) | instid1(VALU_DEP_1)
	v_cmp_gt_i32_e64 s1, s6, v6
	s_and_b32 s5, s3, s1
	s_delay_alu instid0(SALU_CYCLE_1)
	s_and_saveexec_b32 s4, s5
	s_cbranch_execz .LBB267_8
; %bb.7:
	global_load_u16 v6, v[4:5], off offset:192
	global_load_u16 v10, v[2:3], off offset:192
	s_waitcnt vmcnt(1)
	v_cvt_f32_f16_e32 v9, v6
	s_waitcnt vmcnt(0)
	v_cvt_f32_f16_e32 v15, v10
.LBB267_8:
	s_or_b32 exec_lo, exec_lo, s4
	v_cmp_lt_i32_e64 s4, 1, v7
	v_dual_mov_b32 v6, 0 :: v_dual_mov_b32 v11, 0
	v_mov_b32_e32 v13, 0
	s_mov_b32 s7, 0
	s_delay_alu instid0(VALU_DEP_3) | instskip(NEXT) | instid1(SALU_CYCLE_1)
	s_and_b32 s5, s4, vcc_lo
	s_and_saveexec_b32 s10, s5
	s_cbranch_execz .LBB267_10
; %bb.9:
	s_lshl_b64 s[12:13], s[6:7], 1
	s_delay_alu instid0(SALU_CYCLE_1) | instskip(NEXT) | instid1(VALU_DEP_1)
	v_add_co_u32 v10, s5, v4, s12
	v_add_co_ci_u32_e64 v11, s5, s13, v5, s5
	v_add_co_u32 v19, s5, v2, s12
	s_delay_alu instid0(VALU_DEP_1)
	v_add_co_ci_u32_e64 v20, s5, s13, v3, s5
	global_load_u16 v10, v[10:11], off
	global_load_u16 v13, v[19:20], off
	s_waitcnt vmcnt(1)
	v_cvt_f32_f16_e32 v11, v10
	s_waitcnt vmcnt(0)
	v_cvt_f32_f16_e32 v13, v13
.LBB267_10:
	s_or_b32 exec_lo, exec_lo, s10
	v_mov_b32_e32 v19, 0
	s_and_b32 s5, s4, s2
	s_delay_alu instid0(SALU_CYCLE_1)
	s_and_saveexec_b32 s10, s5
	s_cbranch_execz .LBB267_12
; %bb.11:
	s_lshl_b64 s[12:13], s[6:7], 1
	s_delay_alu instid0(SALU_CYCLE_1) | instskip(NEXT) | instid1(VALU_DEP_1)
	v_add_co_u32 v19, s5, v4, s12
	v_add_co_ci_u32_e64 v20, s5, s13, v5, s5
	v_add_co_u32 v21, s5, v2, s12
	s_delay_alu instid0(VALU_DEP_1)
	v_add_co_ci_u32_e64 v22, s5, s13, v3, s5
	global_load_u16 v6, v[19:20], off offset:64
	global_load_u16 v10, v[21:22], off offset:64
	s_waitcnt vmcnt(1)
	v_cvt_f32_f16_e32 v6, v6
	s_waitcnt vmcnt(0)
	v_cvt_f32_f16_e32 v19, v10
.LBB267_12:
	s_or_b32 exec_lo, exec_lo, s10
	v_dual_mov_b32 v10, 0 :: v_dual_mov_b32 v21, 0
	v_mov_b32_e32 v20, 0
	s_and_b32 s5, s4, s0
	s_delay_alu instid0(SALU_CYCLE_1)
	s_and_saveexec_b32 s10, s5
	s_cbranch_execz .LBB267_14
; %bb.13:
	s_lshl_b64 s[12:13], s[6:7], 1
	s_delay_alu instid0(SALU_CYCLE_1) | instskip(NEXT) | instid1(VALU_DEP_1)
	v_add_co_u32 v20, s5, v4, s12
	v_add_co_ci_u32_e64 v21, s5, s13, v5, s5
	v_add_co_u32 v22, s5, v2, s12
	s_delay_alu instid0(VALU_DEP_1)
	v_add_co_ci_u32_e64 v23, s5, s13, v3, s5
	global_load_u16 v20, v[20:21], off offset:128
	global_load_u16 v21, v[22:23], off offset:128
	s_waitcnt vmcnt(1)
	v_cvt_f32_f16_e32 v20, v20
	s_waitcnt vmcnt(0)
	v_cvt_f32_f16_e32 v21, v21
.LBB267_14:
	s_or_b32 exec_lo, exec_lo, s10
	v_mov_b32_e32 v22, 0
	s_and_b32 s4, s4, s1
	s_delay_alu instid0(SALU_CYCLE_1)
	s_and_saveexec_b32 s5, s4
	s_cbranch_execz .LBB267_16
; %bb.15:
	s_lshl_b64 s[10:11], s[6:7], 1
	s_delay_alu instid0(SALU_CYCLE_1) | instskip(NEXT) | instid1(VALU_DEP_1)
	v_add_co_u32 v4, s4, v4, s10
	v_add_co_ci_u32_e64 v5, s4, s11, v5, s4
	v_add_co_u32 v2, s4, v2, s10
	s_delay_alu instid0(VALU_DEP_1)
	v_add_co_ci_u32_e64 v3, s4, s11, v3, s4
	global_load_u16 v4, v[4:5], off offset:192
	global_load_u16 v2, v[2:3], off offset:192
	s_waitcnt vmcnt(1)
	v_cvt_f32_f16_e32 v10, v4
	s_waitcnt vmcnt(0)
	v_cvt_f32_f16_e32 v22, v2
.LBB267_16:
	s_or_b32 exec_lo, exec_lo, s5
	v_mbcnt_lo_u32_b32 v3, -1, 0
	v_add_f32_e32 v4, 0, v11
	s_delay_alu instid0(VALU_DEP_2) | instskip(NEXT) | instid1(VALU_DEP_2)
	v_xor_b32_e32 v5, 16, v3
	v_add_f32_e32 v4, v4, v6
	v_xor_b32_e32 v24, 8, v3
	s_delay_alu instid0(VALU_DEP_3) | instskip(NEXT) | instid1(VALU_DEP_3)
	v_cmp_gt_i32_e64 s4, 32, v5
	v_add_f32_e32 v4, v4, v20
	s_delay_alu instid0(VALU_DEP_2) | instskip(SKIP_1) | instid1(VALU_DEP_3)
	v_cndmask_b32_e64 v5, v3, v5, s4
	v_add_f32_e32 v2, 0, v12
	v_add_f32_e32 v4, v4, v10
	v_cmp_gt_i32_e64 s4, 32, v24
	s_delay_alu instid0(VALU_DEP_3) | instskip(NEXT) | instid1(VALU_DEP_2)
	v_dual_add_f32 v2, v2, v8 :: v_dual_lshlrev_b32 v5, 2, v5
	v_cndmask_b32_e64 v24, v3, v24, s4
	s_delay_alu instid0(VALU_DEP_2) | instskip(NEXT) | instid1(VALU_DEP_2)
	v_add_f32_e32 v2, v2, v14
	v_lshlrev_b32_e32 v24, 2, v24
	s_delay_alu instid0(VALU_DEP_2)
	v_add_f32_e32 v2, v2, v9
	ds_bpermute_b32 v23, v5, v2
	ds_bpermute_b32 v5, v5, v4
	s_waitcnt lgkmcnt(1)
	v_add_f32_e32 v2, v2, v23
	s_waitcnt lgkmcnt(0)
	v_add_f32_e32 v4, v4, v5
	ds_bpermute_b32 v5, v24, v2
	ds_bpermute_b32 v23, v24, v4
	v_xor_b32_e32 v24, 4, v3
	s_delay_alu instid0(VALU_DEP_1) | instskip(NEXT) | instid1(VALU_DEP_1)
	v_cmp_gt_i32_e64 s4, 32, v24
	v_cndmask_b32_e64 v24, v3, v24, s4
	s_delay_alu instid0(VALU_DEP_1)
	v_lshlrev_b32_e32 v24, 2, v24
	s_waitcnt lgkmcnt(1)
	v_add_f32_e32 v2, v2, v5
	s_waitcnt lgkmcnt(0)
	v_add_f32_e32 v4, v4, v23
	ds_bpermute_b32 v5, v24, v2
	ds_bpermute_b32 v23, v24, v4
	v_xor_b32_e32 v24, 2, v3
	s_delay_alu instid0(VALU_DEP_1) | instskip(NEXT) | instid1(VALU_DEP_1)
	v_cmp_gt_i32_e64 s4, 32, v24
	v_cndmask_b32_e64 v24, v3, v24, s4
	s_delay_alu instid0(VALU_DEP_1)
	v_lshlrev_b32_e32 v24, 2, v24
	s_waitcnt lgkmcnt(0)
	v_dual_add_f32 v2, v2, v5 :: v_dual_add_f32 v5, v4, v23
	ds_bpermute_b32 v4, v24, v2
	ds_bpermute_b32 v23, v24, v5
	v_xor_b32_e32 v24, 1, v3
	s_delay_alu instid0(VALU_DEP_1) | instskip(NEXT) | instid1(VALU_DEP_1)
	v_cmp_gt_i32_e64 s4, 32, v24
	v_cndmask_b32_e64 v3, v3, v24, s4
	s_waitcnt lgkmcnt(1)
	s_delay_alu instid0(VALU_DEP_1)
	v_dual_add_f32 v4, v2, v4 :: v_dual_lshlrev_b32 v3, 2, v3
	s_waitcnt lgkmcnt(0)
	v_add_f32_e32 v2, v5, v23
	ds_bpermute_b32 v5, v3, v4
	ds_bpermute_b32 v3, v3, v2
	s_and_saveexec_b32 s4, s3
	s_cbranch_execz .LBB267_22
; %bb.17:
	v_add_co_u32 v0, s3, s8, v0
	s_delay_alu instid0(VALU_DEP_1)
	v_add_co_ci_u32_e64 v1, s3, s9, v1, s3
	s_waitcnt lgkmcnt(1)
	v_add_f32_e32 v4, v4, v5
	s_and_saveexec_b32 s4, vcc_lo
	s_cbranch_execnz .LBB267_23
; %bb.18:
	s_or_b32 exec_lo, exec_lo, s4
	s_and_saveexec_b32 s4, s2
	s_cbranch_execnz .LBB267_24
.LBB267_19:
	s_or_b32 exec_lo, exec_lo, s4
	s_and_saveexec_b32 s4, s0
	s_cbranch_execnz .LBB267_25
.LBB267_20:
	s_or_b32 exec_lo, exec_lo, s4
	s_and_saveexec_b32 s4, s1
	s_cbranch_execnz .LBB267_26
.LBB267_21:
	s_or_b32 exec_lo, exec_lo, s4
	v_cmp_ne_u32_e64 s3, 1, v7
	s_delay_alu instid0(VALU_DEP_1)
	s_and_b32 exec_lo, exec_lo, s3
	s_cbranch_execnz .LBB267_27
.LBB267_22:
	s_nop 0
	s_sendmsg sendmsg(MSG_DEALLOC_VGPRS)
	s_endpgm
.LBB267_23:
	v_mul_f32_e32 v5, 0x3fb8aa3b, v18
	v_cmp_ngt_f32_e64 s3, 0xc2ce8ed0, v18
	s_delay_alu instid0(VALU_DEP_2) | instskip(SKIP_1) | instid1(VALU_DEP_1)
	v_rndne_f32_e32 v23, v5
	v_fma_f32 v24, 0x3fb8aa3b, v18, -v5
	v_dual_sub_f32 v5, v5, v23 :: v_dual_fmamk_f32 v24, v18, 0x32a5705f, v24
	v_cvt_i32_f32_e32 v23, v23
	s_delay_alu instid0(VALU_DEP_2) | instskip(NEXT) | instid1(VALU_DEP_1)
	v_add_f32_e32 v5, v5, v24
	v_exp_f32_e32 v5, v5
	s_waitcnt_depctr 0xfff
	v_ldexp_f32 v5, v5, v23
	s_delay_alu instid0(VALU_DEP_1) | instskip(SKIP_1) | instid1(VALU_DEP_1)
	v_cndmask_b32_e64 v5, 0, v5, s3
	v_cmp_nlt_f32_e64 s3, 0x42b17218, v18
	v_cndmask_b32_e64 v5, 0x7f800000, v5, s3
	s_delay_alu instid0(VALU_DEP_1)
	v_fma_mixlo_f16 v5, -v4, v5, v12
	global_store_b16 v[0:1], v5, off
	s_or_b32 exec_lo, exec_lo, s4
	s_and_saveexec_b32 s4, s2
	s_cbranch_execz .LBB267_19
.LBB267_24:
	v_mul_f32_e32 v5, 0x3fb8aa3b, v16
	v_cmp_ngt_f32_e64 s3, 0xc2ce8ed0, v16
	s_delay_alu instid0(VALU_DEP_2) | instskip(SKIP_1) | instid1(VALU_DEP_1)
	v_rndne_f32_e32 v12, v5
	v_fma_f32 v18, 0x3fb8aa3b, v16, -v5
	v_dual_sub_f32 v5, v5, v12 :: v_dual_fmamk_f32 v18, v16, 0x32a5705f, v18
	v_cvt_i32_f32_e32 v12, v12
	s_delay_alu instid0(VALU_DEP_2) | instskip(NEXT) | instid1(VALU_DEP_1)
	v_add_f32_e32 v5, v5, v18
	v_exp_f32_e32 v5, v5
	s_waitcnt_depctr 0xfff
	v_ldexp_f32 v5, v5, v12
	s_delay_alu instid0(VALU_DEP_1) | instskip(SKIP_1) | instid1(VALU_DEP_1)
	v_cndmask_b32_e64 v5, 0, v5, s3
	v_cmp_nlt_f32_e64 s3, 0x42b17218, v16
	v_cndmask_b32_e64 v5, 0x7f800000, v5, s3
	s_delay_alu instid0(VALU_DEP_1)
	v_fma_mixlo_f16 v5, -v4, v5, v8
	global_store_b16 v[0:1], v5, off offset:64
	s_or_b32 exec_lo, exec_lo, s4
	s_and_saveexec_b32 s4, s0
	s_cbranch_execz .LBB267_20
.LBB267_25:
	v_mul_f32_e32 v5, 0x3fb8aa3b, v17
	v_cmp_ngt_f32_e64 s3, 0xc2ce8ed0, v17
	s_delay_alu instid0(VALU_DEP_2) | instskip(SKIP_1) | instid1(VALU_DEP_2)
	v_rndne_f32_e32 v8, v5
	v_fma_f32 v12, 0x3fb8aa3b, v17, -v5
	v_sub_f32_e32 v5, v5, v8
	s_delay_alu instid0(VALU_DEP_2) | instskip(SKIP_1) | instid1(VALU_DEP_2)
	v_fmamk_f32 v12, v17, 0x32a5705f, v12
	v_cvt_i32_f32_e32 v8, v8
	v_add_f32_e32 v5, v5, v12
	s_delay_alu instid0(VALU_DEP_1) | instskip(SKIP_2) | instid1(VALU_DEP_1)
	v_exp_f32_e32 v5, v5
	s_waitcnt_depctr 0xfff
	v_ldexp_f32 v5, v5, v8
	v_cndmask_b32_e64 v5, 0, v5, s3
	v_cmp_nlt_f32_e64 s3, 0x42b17218, v17
	s_delay_alu instid0(VALU_DEP_1) | instskip(NEXT) | instid1(VALU_DEP_1)
	v_cndmask_b32_e64 v5, 0x7f800000, v5, s3
	v_fma_mixlo_f16 v5, -v4, v5, v14
	global_store_b16 v[0:1], v5, off offset:128
	s_or_b32 exec_lo, exec_lo, s4
	s_and_saveexec_b32 s4, s1
	s_cbranch_execz .LBB267_21
.LBB267_26:
	v_mul_f32_e32 v5, 0x3fb8aa3b, v15
	v_cmp_ngt_f32_e64 s3, 0xc2ce8ed0, v15
	s_delay_alu instid0(VALU_DEP_2) | instskip(SKIP_1) | instid1(VALU_DEP_1)
	v_rndne_f32_e32 v8, v5
	v_fma_f32 v12, 0x3fb8aa3b, v15, -v5
	v_dual_sub_f32 v5, v5, v8 :: v_dual_fmamk_f32 v12, v15, 0x32a5705f, v12
	v_cvt_i32_f32_e32 v8, v8
	s_delay_alu instid0(VALU_DEP_2) | instskip(NEXT) | instid1(VALU_DEP_1)
	v_add_f32_e32 v5, v5, v12
	v_exp_f32_e32 v5, v5
	s_waitcnt_depctr 0xfff
	v_ldexp_f32 v5, v5, v8
	s_delay_alu instid0(VALU_DEP_1) | instskip(SKIP_1) | instid1(VALU_DEP_1)
	v_cndmask_b32_e64 v5, 0, v5, s3
	v_cmp_nlt_f32_e64 s3, 0x42b17218, v15
	v_cndmask_b32_e64 v5, 0x7f800000, v5, s3
	s_delay_alu instid0(VALU_DEP_1) | instskip(SKIP_3) | instid1(VALU_DEP_1)
	v_fma_mixlo_f16 v4, -v4, v5, v9
	global_store_b16 v[0:1], v4, off offset:192
	s_or_b32 exec_lo, exec_lo, s4
	v_cmp_ne_u32_e64 s3, 1, v7
	s_and_b32 exec_lo, exec_lo, s3
	s_cbranch_execz .LBB267_22
.LBB267_27:
	s_ashr_i32 s7, s6, 31
	s_waitcnt lgkmcnt(0)
	v_add_f32_e32 v2, v2, v3
	s_lshl_b64 s[4:5], s[6:7], 1
	s_delay_alu instid0(SALU_CYCLE_1) | instskip(NEXT) | instid1(VALU_DEP_1)
	v_add_co_u32 v0, s3, v0, s4
	v_add_co_ci_u32_e64 v1, s3, s5, v1, s3
	s_and_saveexec_b32 s3, vcc_lo
	s_cbranch_execnz .LBB267_31
; %bb.28:
	s_or_b32 exec_lo, exec_lo, s3
	s_and_saveexec_b32 s3, s2
	s_cbranch_execnz .LBB267_32
.LBB267_29:
	s_or_b32 exec_lo, exec_lo, s3
	s_and_saveexec_b32 s2, s0
	s_cbranch_execnz .LBB267_33
.LBB267_30:
	s_or_b32 exec_lo, exec_lo, s2
	s_delay_alu instid0(SALU_CYCLE_1)
	s_and_b32 exec_lo, exec_lo, s1
	s_cbranch_execz .LBB267_22
	s_branch .LBB267_34
.LBB267_31:
	v_mul_f32_e32 v3, 0x3fb8aa3b, v13
	v_cmp_ngt_f32_e32 vcc_lo, 0xc2ce8ed0, v13
	s_delay_alu instid0(VALU_DEP_2) | instskip(SKIP_1) | instid1(VALU_DEP_2)
	v_rndne_f32_e32 v4, v3
	v_fma_f32 v5, 0x3fb8aa3b, v13, -v3
	v_sub_f32_e32 v3, v3, v4
	s_delay_alu instid0(VALU_DEP_2) | instskip(SKIP_1) | instid1(VALU_DEP_2)
	v_fmamk_f32 v5, v13, 0x32a5705f, v5
	v_cvt_i32_f32_e32 v4, v4
	v_add_f32_e32 v3, v3, v5
	s_delay_alu instid0(VALU_DEP_1) | instskip(SKIP_2) | instid1(VALU_DEP_1)
	v_exp_f32_e32 v3, v3
	s_waitcnt_depctr 0xfff
	v_ldexp_f32 v3, v3, v4
	v_cndmask_b32_e32 v3, 0, v3, vcc_lo
	v_cmp_nlt_f32_e32 vcc_lo, 0x42b17218, v13
	s_delay_alu instid0(VALU_DEP_2) | instskip(NEXT) | instid1(VALU_DEP_1)
	v_cndmask_b32_e32 v3, 0x7f800000, v3, vcc_lo
	v_fma_mixlo_f16 v3, -v2, v3, v11
	global_store_b16 v[0:1], v3, off
	s_or_b32 exec_lo, exec_lo, s3
	s_and_saveexec_b32 s3, s2
	s_cbranch_execz .LBB267_29
.LBB267_32:
	v_mul_f32_e32 v3, 0x3fb8aa3b, v19
	v_cmp_ngt_f32_e32 vcc_lo, 0xc2ce8ed0, v19
	s_delay_alu instid0(VALU_DEP_2) | instskip(SKIP_1) | instid1(VALU_DEP_2)
	v_rndne_f32_e32 v4, v3
	v_fma_f32 v5, 0x3fb8aa3b, v19, -v3
	v_sub_f32_e32 v3, v3, v4
	s_delay_alu instid0(VALU_DEP_2) | instskip(SKIP_1) | instid1(VALU_DEP_2)
	v_fmamk_f32 v5, v19, 0x32a5705f, v5
	v_cvt_i32_f32_e32 v4, v4
	v_add_f32_e32 v3, v3, v5
	s_delay_alu instid0(VALU_DEP_1) | instskip(SKIP_2) | instid1(VALU_DEP_1)
	v_exp_f32_e32 v3, v3
	s_waitcnt_depctr 0xfff
	v_ldexp_f32 v3, v3, v4
	v_cndmask_b32_e32 v3, 0, v3, vcc_lo
	v_cmp_nlt_f32_e32 vcc_lo, 0x42b17218, v19
	s_delay_alu instid0(VALU_DEP_2) | instskip(NEXT) | instid1(VALU_DEP_1)
	v_cndmask_b32_e32 v3, 0x7f800000, v3, vcc_lo
	v_fma_mixlo_f16 v3, -v2, v3, v6
	global_store_b16 v[0:1], v3, off offset:64
	s_or_b32 exec_lo, exec_lo, s3
	s_and_saveexec_b32 s2, s0
	s_cbranch_execz .LBB267_30
.LBB267_33:
	v_mul_f32_e32 v3, 0x3fb8aa3b, v21
	v_cmp_ngt_f32_e32 vcc_lo, 0xc2ce8ed0, v21
	s_delay_alu instid0(VALU_DEP_2) | instskip(SKIP_1) | instid1(VALU_DEP_2)
	v_rndne_f32_e32 v4, v3
	v_fma_f32 v5, 0x3fb8aa3b, v21, -v3
	v_sub_f32_e32 v3, v3, v4
	s_delay_alu instid0(VALU_DEP_2) | instskip(SKIP_1) | instid1(VALU_DEP_2)
	v_fmamk_f32 v5, v21, 0x32a5705f, v5
	v_cvt_i32_f32_e32 v4, v4
	v_add_f32_e32 v3, v3, v5
	s_delay_alu instid0(VALU_DEP_1) | instskip(SKIP_2) | instid1(VALU_DEP_1)
	v_exp_f32_e32 v3, v3
	s_waitcnt_depctr 0xfff
	v_ldexp_f32 v3, v3, v4
	v_cndmask_b32_e32 v3, 0, v3, vcc_lo
	v_cmp_nlt_f32_e32 vcc_lo, 0x42b17218, v21
	s_delay_alu instid0(VALU_DEP_2) | instskip(NEXT) | instid1(VALU_DEP_1)
	v_cndmask_b32_e32 v3, 0x7f800000, v3, vcc_lo
	v_fma_mixlo_f16 v3, -v2, v3, v20
	global_store_b16 v[0:1], v3, off offset:128
	s_or_b32 exec_lo, exec_lo, s2
	s_delay_alu instid0(SALU_CYCLE_1)
	s_and_b32 exec_lo, exec_lo, s1
	s_cbranch_execz .LBB267_22
.LBB267_34:
	v_mul_f32_e32 v3, 0x3fb8aa3b, v22
	v_cmp_ngt_f32_e32 vcc_lo, 0xc2ce8ed0, v22
	s_delay_alu instid0(VALU_DEP_2) | instskip(SKIP_1) | instid1(VALU_DEP_2)
	v_rndne_f32_e32 v4, v3
	v_fma_f32 v5, 0x3fb8aa3b, v22, -v3
	v_sub_f32_e32 v3, v3, v4
	s_delay_alu instid0(VALU_DEP_2) | instskip(SKIP_1) | instid1(VALU_DEP_2)
	v_fmamk_f32 v5, v22, 0x32a5705f, v5
	v_cvt_i32_f32_e32 v4, v4
	v_add_f32_e32 v3, v3, v5
	s_delay_alu instid0(VALU_DEP_1) | instskip(SKIP_2) | instid1(VALU_DEP_1)
	v_exp_f32_e32 v3, v3
	s_waitcnt_depctr 0xfff
	v_ldexp_f32 v3, v3, v4
	v_cndmask_b32_e32 v3, 0, v3, vcc_lo
	v_cmp_nlt_f32_e32 vcc_lo, 0x42b17218, v22
	s_delay_alu instid0(VALU_DEP_2) | instskip(NEXT) | instid1(VALU_DEP_1)
	v_cndmask_b32_e32 v3, 0x7f800000, v3, vcc_lo
	v_fma_mixlo_f16 v2, -v2, v3, v10
	global_store_b16 v[0:1], v2, off offset:192
	s_nop 0
	s_sendmsg sendmsg(MSG_DEALLOC_VGPRS)
	s_endpgm
	.section	.rodata,"a",@progbits
	.p2align	6, 0x0
	.amdhsa_kernel _ZN12_GLOBAL__N_121softmax_warp_backwardIN3c104HalfES2_fLi7ELb1ELb0ELi32EEEvPT0_PKT_S7_iiiPKb
		.amdhsa_group_segment_fixed_size 0
		.amdhsa_private_segment_fixed_size 0
		.amdhsa_kernarg_size 304
		.amdhsa_user_sgpr_count 15
		.amdhsa_user_sgpr_dispatch_ptr 0
		.amdhsa_user_sgpr_queue_ptr 0
		.amdhsa_user_sgpr_kernarg_segment_ptr 1
		.amdhsa_user_sgpr_dispatch_id 0
		.amdhsa_user_sgpr_private_segment_size 0
		.amdhsa_wavefront_size32 1
		.amdhsa_uses_dynamic_stack 0
		.amdhsa_enable_private_segment 0
		.amdhsa_system_sgpr_workgroup_id_x 1
		.amdhsa_system_sgpr_workgroup_id_y 0
		.amdhsa_system_sgpr_workgroup_id_z 0
		.amdhsa_system_sgpr_workgroup_info 0
		.amdhsa_system_vgpr_workitem_id 1
		.amdhsa_next_free_vgpr 25
		.amdhsa_next_free_sgpr 16
		.amdhsa_reserve_vcc 1
		.amdhsa_float_round_mode_32 0
		.amdhsa_float_round_mode_16_64 0
		.amdhsa_float_denorm_mode_32 3
		.amdhsa_float_denorm_mode_16_64 3
		.amdhsa_dx10_clamp 1
		.amdhsa_ieee_mode 1
		.amdhsa_fp16_overflow 0
		.amdhsa_workgroup_processor_mode 1
		.amdhsa_memory_ordered 1
		.amdhsa_forward_progress 0
		.amdhsa_shared_vgpr_count 0
		.amdhsa_exception_fp_ieee_invalid_op 0
		.amdhsa_exception_fp_denorm_src 0
		.amdhsa_exception_fp_ieee_div_zero 0
		.amdhsa_exception_fp_ieee_overflow 0
		.amdhsa_exception_fp_ieee_underflow 0
		.amdhsa_exception_fp_ieee_inexact 0
		.amdhsa_exception_int_div_zero 0
	.end_amdhsa_kernel
	.section	.text._ZN12_GLOBAL__N_121softmax_warp_backwardIN3c104HalfES2_fLi7ELb1ELb0ELi32EEEvPT0_PKT_S7_iiiPKb,"axG",@progbits,_ZN12_GLOBAL__N_121softmax_warp_backwardIN3c104HalfES2_fLi7ELb1ELb0ELi32EEEvPT0_PKT_S7_iiiPKb,comdat
.Lfunc_end267:
	.size	_ZN12_GLOBAL__N_121softmax_warp_backwardIN3c104HalfES2_fLi7ELb1ELb0ELi32EEEvPT0_PKT_S7_iiiPKb, .Lfunc_end267-_ZN12_GLOBAL__N_121softmax_warp_backwardIN3c104HalfES2_fLi7ELb1ELb0ELi32EEEvPT0_PKT_S7_iiiPKb
                                        ; -- End function
	.section	.AMDGPU.csdata,"",@progbits
; Kernel info:
; codeLenInByte = 2560
; NumSgprs: 18
; NumVgprs: 25
; ScratchSize: 0
; MemoryBound: 0
; FloatMode: 240
; IeeeMode: 1
; LDSByteSize: 0 bytes/workgroup (compile time only)
; SGPRBlocks: 2
; VGPRBlocks: 3
; NumSGPRsForWavesPerEU: 18
; NumVGPRsForWavesPerEU: 25
; Occupancy: 16
; WaveLimiterHint : 0
; COMPUTE_PGM_RSRC2:SCRATCH_EN: 0
; COMPUTE_PGM_RSRC2:USER_SGPR: 15
; COMPUTE_PGM_RSRC2:TRAP_HANDLER: 0
; COMPUTE_PGM_RSRC2:TGID_X_EN: 1
; COMPUTE_PGM_RSRC2:TGID_Y_EN: 0
; COMPUTE_PGM_RSRC2:TGID_Z_EN: 0
; COMPUTE_PGM_RSRC2:TIDIG_COMP_CNT: 1
	.section	.text._ZN12_GLOBAL__N_121softmax_warp_backwardIN3c104HalfES2_fLi8ELb1ELb0ELi64EEEvPT0_PKT_S7_iiiPKb,"axG",@progbits,_ZN12_GLOBAL__N_121softmax_warp_backwardIN3c104HalfES2_fLi8ELb1ELb0ELi64EEEvPT0_PKT_S7_iiiPKb,comdat
	.globl	_ZN12_GLOBAL__N_121softmax_warp_backwardIN3c104HalfES2_fLi8ELb1ELb0ELi64EEEvPT0_PKT_S7_iiiPKb ; -- Begin function _ZN12_GLOBAL__N_121softmax_warp_backwardIN3c104HalfES2_fLi8ELb1ELb0ELi64EEEvPT0_PKT_S7_iiiPKb
	.p2align	8
	.type	_ZN12_GLOBAL__N_121softmax_warp_backwardIN3c104HalfES2_fLi8ELb1ELb0ELi64EEEvPT0_PKT_S7_iiiPKb,@function
_ZN12_GLOBAL__N_121softmax_warp_backwardIN3c104HalfES2_fLi8ELb1ELb0ELi64EEEvPT0_PKT_S7_iiiPKb: ; @_ZN12_GLOBAL__N_121softmax_warp_backwardIN3c104HalfES2_fLi8ELb1ELb0ELi64EEEvPT0_PKT_S7_iiiPKb
; %bb.0:
	s_clause 0x1
	s_load_b32 s2, s[0:1], 0x3c
	s_load_b128 s[8:11], s[0:1], 0x18
	v_bfe_u32 v1, v0, 10, 10
	s_clause 0x1
	s_load_b128 s[4:7], s[0:1], 0x0
	s_load_b64 s[12:13], s[0:1], 0x10
	v_mov_b32_e32 v9, 0
	v_mov_b32_e32 v13, 0
	;; [unrolled: 1-line block ×3, first 2 shown]
	s_waitcnt lgkmcnt(0)
	s_lshr_b32 s2, s2, 16
	s_delay_alu instid0(SALU_CYCLE_1) | instskip(SKIP_1) | instid1(VALU_DEP_1)
	v_mad_u64_u32 v[3:4], null, s15, s2, v[1:2]
	v_and_b32_e32 v2, 63, v0
	v_cmp_gt_i32_e32 vcc_lo, s10, v2
	s_delay_alu instid0(VALU_DEP_3) | instskip(SKIP_1) | instid1(VALU_DEP_1)
	v_mad_u64_u32 v[0:1], null, v3, s9, v[2:3]
	v_sub_nc_u32_e32 v14, s8, v3
	v_cmp_lt_i32_e64 s3, 0, v14
	s_delay_alu instid0(VALU_DEP_3) | instskip(NEXT) | instid1(VALU_DEP_2)
	v_ashrrev_i32_e32 v1, 31, v0
	s_and_b32 s1, s3, vcc_lo
	s_delay_alu instid0(VALU_DEP_1) | instskip(NEXT) | instid1(VALU_DEP_1)
	v_lshlrev_b64 v[0:1], 1, v[0:1]
	v_add_co_u32 v3, s0, s6, v0
	s_delay_alu instid0(VALU_DEP_1) | instskip(SKIP_1) | instid1(VALU_DEP_1)
	v_add_co_ci_u32_e64 v4, s0, s7, v1, s0
	v_add_co_u32 v5, s0, s12, v0
	v_add_co_ci_u32_e64 v6, s0, s13, v1, s0
	s_and_saveexec_b32 s0, s1
	s_cbranch_execz .LBB268_2
; %bb.1:
	global_load_u16 v8, v[3:4], off
	global_load_u16 v10, v[5:6], off
	s_waitcnt vmcnt(1)
	v_cvt_f32_f16_e32 v9, v8
	s_waitcnt vmcnt(0)
	v_cvt_f32_f16_e32 v13, v10
.LBB268_2:
	s_or_b32 exec_lo, exec_lo, s0
	v_or_b32_e32 v8, 64, v2
	v_mov_b32_e32 v11, 0
	s_delay_alu instid0(VALU_DEP_2) | instskip(NEXT) | instid1(VALU_DEP_1)
	v_cmp_gt_i32_e64 s2, s10, v8
	s_and_b32 s1, s3, s2
	s_delay_alu instid0(SALU_CYCLE_1)
	s_and_saveexec_b32 s0, s1
	s_cbranch_execz .LBB268_4
; %bb.3:
	global_load_u16 v7, v[3:4], off offset:128
	global_load_u16 v8, v[5:6], off offset:128
	s_waitcnt vmcnt(1)
	v_cvt_f32_f16_e32 v7, v7
	s_waitcnt vmcnt(0)
	v_cvt_f32_f16_e32 v11, v8
.LBB268_4:
	s_or_b32 exec_lo, exec_lo, s0
	v_or_b32_e32 v8, 0x80, v2
	v_mov_b32_e32 v10, 0
	v_mov_b32_e32 v12, 0
	s_delay_alu instid0(VALU_DEP_3) | instskip(SKIP_1) | instid1(VALU_DEP_2)
	v_cmp_gt_i32_e64 s0, s10, v8
	v_mov_b32_e32 v8, 0
	s_and_b32 s6, s3, s0
	s_delay_alu instid0(SALU_CYCLE_1)
	s_and_saveexec_b32 s1, s6
	s_cbranch_execz .LBB268_6
; %bb.5:
	global_load_u16 v10, v[3:4], off offset:256
	global_load_u16 v12, v[5:6], off offset:256
	s_waitcnt vmcnt(1)
	v_cvt_f32_f16_e32 v10, v10
	s_waitcnt vmcnt(0)
	v_cvt_f32_f16_e32 v12, v12
.LBB268_6:
	s_or_b32 exec_lo, exec_lo, s1
	v_or_b32_e32 v2, 0xc0, v2
	s_delay_alu instid0(VALU_DEP_1) | instskip(SKIP_1) | instid1(VALU_DEP_2)
	v_cmp_gt_i32_e64 s1, s10, v2
	v_mov_b32_e32 v2, 0
	s_and_b32 s6, s3, s1
	s_delay_alu instid0(SALU_CYCLE_1)
	s_and_saveexec_b32 s3, s6
	s_cbranch_execz .LBB268_8
; %bb.7:
	global_load_u16 v2, v[3:4], off offset:384
	global_load_u16 v3, v[5:6], off offset:384
	s_waitcnt vmcnt(1)
	v_cvt_f32_f16_e32 v8, v2
	s_waitcnt vmcnt(0)
	v_cvt_f32_f16_e32 v2, v3
.LBB268_8:
	s_or_b32 exec_lo, exec_lo, s3
	v_mbcnt_lo_u32_b32 v4, -1, 0
	s_mov_b32 s6, exec_lo
	s_delay_alu instid0(VALU_DEP_1) | instskip(SKIP_1) | instid1(VALU_DEP_2)
	v_or_b32_e32 v5, 32, v4
	v_xor_b32_e32 v6, 16, v4
	v_cmp_gt_i32_e64 s3, 64, v5
	s_delay_alu instid0(VALU_DEP_1) | instskip(NEXT) | instid1(VALU_DEP_3)
	v_cndmask_b32_e64 v5, v4, v5, s3
	v_cmp_gt_i32_e64 s3, 64, v6
	s_delay_alu instid0(VALU_DEP_2) | instskip(NEXT) | instid1(VALU_DEP_2)
	v_lshlrev_b32_e32 v5, 2, v5
	v_cndmask_b32_e64 v6, v4, v6, s3
	s_delay_alu instid0(VALU_DEP_1) | instskip(NEXT) | instid1(VALU_DEP_1)
	v_dual_add_f32 v3, 0, v9 :: v_dual_lshlrev_b32 v6, 2, v6
	v_add_f32_e32 v3, v3, v7
	s_delay_alu instid0(VALU_DEP_1) | instskip(NEXT) | instid1(VALU_DEP_1)
	v_add_f32_e32 v3, v3, v10
	v_add_f32_e32 v3, v3, v8
	ds_bpermute_b32 v5, v5, v3
	s_waitcnt lgkmcnt(0)
	v_add_f32_e32 v3, v3, v5
	ds_bpermute_b32 v5, v6, v3
	v_xor_b32_e32 v6, 8, v4
	s_delay_alu instid0(VALU_DEP_1) | instskip(NEXT) | instid1(VALU_DEP_1)
	v_cmp_gt_i32_e64 s3, 64, v6
	v_cndmask_b32_e64 v6, v4, v6, s3
	s_waitcnt lgkmcnt(0)
	s_delay_alu instid0(VALU_DEP_1) | instskip(SKIP_2) | instid1(VALU_DEP_1)
	v_dual_add_f32 v3, v3, v5 :: v_dual_lshlrev_b32 v6, 2, v6
	ds_bpermute_b32 v5, v6, v3
	v_xor_b32_e32 v6, 4, v4
	v_cmp_gt_i32_e64 s3, 64, v6
	s_delay_alu instid0(VALU_DEP_1) | instskip(SKIP_1) | instid1(VALU_DEP_1)
	v_cndmask_b32_e64 v6, v4, v6, s3
	s_waitcnt lgkmcnt(0)
	v_dual_add_f32 v3, v3, v5 :: v_dual_lshlrev_b32 v6, 2, v6
	ds_bpermute_b32 v5, v6, v3
	v_xor_b32_e32 v6, 2, v4
	s_delay_alu instid0(VALU_DEP_1) | instskip(NEXT) | instid1(VALU_DEP_1)
	v_cmp_gt_i32_e64 s3, 64, v6
	v_cndmask_b32_e64 v6, v4, v6, s3
	s_waitcnt lgkmcnt(0)
	s_delay_alu instid0(VALU_DEP_1) | instskip(SKIP_2) | instid1(VALU_DEP_1)
	v_dual_add_f32 v3, v3, v5 :: v_dual_lshlrev_b32 v6, 2, v6
	ds_bpermute_b32 v5, v6, v3
	v_xor_b32_e32 v6, 1, v4
	v_cmp_gt_i32_e64 s3, 64, v6
	s_delay_alu instid0(VALU_DEP_1) | instskip(SKIP_1) | instid1(VALU_DEP_1)
	v_cndmask_b32_e64 v4, v4, v6, s3
	s_waitcnt lgkmcnt(0)
	v_dual_add_f32 v3, v3, v5 :: v_dual_lshlrev_b32 v4, 2, v4
	ds_bpermute_b32 v4, v4, v3
	v_cmpx_lt_i32_e32 0, v14
	s_cbranch_execz .LBB268_14
; %bb.9:
	v_add_co_u32 v0, s3, s4, v0
	s_delay_alu instid0(VALU_DEP_1)
	v_add_co_ci_u32_e64 v1, s3, s5, v1, s3
	s_waitcnt lgkmcnt(0)
	v_add_f32_e32 v3, v3, v4
	s_and_saveexec_b32 s3, vcc_lo
	s_cbranch_execnz .LBB268_15
; %bb.10:
	s_or_b32 exec_lo, exec_lo, s3
	s_and_saveexec_b32 s3, s2
	s_cbranch_execnz .LBB268_16
.LBB268_11:
	s_or_b32 exec_lo, exec_lo, s3
	s_and_saveexec_b32 s2, s0
	s_cbranch_execnz .LBB268_17
.LBB268_12:
	s_or_b32 exec_lo, exec_lo, s2
	s_delay_alu instid0(SALU_CYCLE_1)
	s_and_b32 exec_lo, exec_lo, s1
	s_cbranch_execz .LBB268_14
.LBB268_13:
	v_mul_f32_e32 v4, 0x3fb8aa3b, v2
	v_cmp_ngt_f32_e32 vcc_lo, 0xc2ce8ed0, v2
	s_delay_alu instid0(VALU_DEP_2) | instskip(SKIP_1) | instid1(VALU_DEP_2)
	v_rndne_f32_e32 v5, v4
	v_fma_f32 v6, 0x3fb8aa3b, v2, -v4
	v_sub_f32_e32 v4, v4, v5
	s_delay_alu instid0(VALU_DEP_2) | instskip(SKIP_1) | instid1(VALU_DEP_2)
	v_fmamk_f32 v6, v2, 0x32a5705f, v6
	v_cvt_i32_f32_e32 v5, v5
	v_add_f32_e32 v4, v4, v6
	s_delay_alu instid0(VALU_DEP_1) | instskip(SKIP_2) | instid1(VALU_DEP_1)
	v_exp_f32_e32 v4, v4
	s_waitcnt_depctr 0xfff
	v_ldexp_f32 v4, v4, v5
	v_cndmask_b32_e32 v4, 0, v4, vcc_lo
	v_cmp_nlt_f32_e32 vcc_lo, 0x42b17218, v2
	s_delay_alu instid0(VALU_DEP_2) | instskip(NEXT) | instid1(VALU_DEP_1)
	v_cndmask_b32_e32 v2, 0x7f800000, v4, vcc_lo
	v_fma_mixlo_f16 v2, -v3, v2, v8
	global_store_b16 v[0:1], v2, off offset:384
.LBB268_14:
	s_nop 0
	s_sendmsg sendmsg(MSG_DEALLOC_VGPRS)
	s_endpgm
.LBB268_15:
	v_mul_f32_e32 v4, 0x3fb8aa3b, v13
	v_cmp_ngt_f32_e32 vcc_lo, 0xc2ce8ed0, v13
	s_delay_alu instid0(VALU_DEP_2) | instskip(SKIP_1) | instid1(VALU_DEP_2)
	v_rndne_f32_e32 v5, v4
	v_fma_f32 v6, 0x3fb8aa3b, v13, -v4
	v_sub_f32_e32 v4, v4, v5
	s_delay_alu instid0(VALU_DEP_2) | instskip(SKIP_1) | instid1(VALU_DEP_2)
	v_fmamk_f32 v6, v13, 0x32a5705f, v6
	v_cvt_i32_f32_e32 v5, v5
	v_add_f32_e32 v4, v4, v6
	s_delay_alu instid0(VALU_DEP_1) | instskip(SKIP_2) | instid1(VALU_DEP_1)
	v_exp_f32_e32 v4, v4
	s_waitcnt_depctr 0xfff
	v_ldexp_f32 v4, v4, v5
	v_cndmask_b32_e32 v4, 0, v4, vcc_lo
	v_cmp_nlt_f32_e32 vcc_lo, 0x42b17218, v13
	s_delay_alu instid0(VALU_DEP_2) | instskip(NEXT) | instid1(VALU_DEP_1)
	v_cndmask_b32_e32 v4, 0x7f800000, v4, vcc_lo
	v_fma_mixlo_f16 v4, -v3, v4, v9
	global_store_b16 v[0:1], v4, off
	s_or_b32 exec_lo, exec_lo, s3
	s_and_saveexec_b32 s3, s2
	s_cbranch_execz .LBB268_11
.LBB268_16:
	v_mul_f32_e32 v4, 0x3fb8aa3b, v11
	v_cmp_ngt_f32_e32 vcc_lo, 0xc2ce8ed0, v11
	s_delay_alu instid0(VALU_DEP_2) | instskip(SKIP_1) | instid1(VALU_DEP_2)
	v_rndne_f32_e32 v5, v4
	v_fma_f32 v6, 0x3fb8aa3b, v11, -v4
	v_sub_f32_e32 v4, v4, v5
	s_delay_alu instid0(VALU_DEP_2) | instskip(SKIP_1) | instid1(VALU_DEP_2)
	v_fmamk_f32 v6, v11, 0x32a5705f, v6
	v_cvt_i32_f32_e32 v5, v5
	v_add_f32_e32 v4, v4, v6
	s_delay_alu instid0(VALU_DEP_1) | instskip(SKIP_2) | instid1(VALU_DEP_1)
	v_exp_f32_e32 v4, v4
	s_waitcnt_depctr 0xfff
	v_ldexp_f32 v4, v4, v5
	v_cndmask_b32_e32 v4, 0, v4, vcc_lo
	v_cmp_nlt_f32_e32 vcc_lo, 0x42b17218, v11
	s_delay_alu instid0(VALU_DEP_2) | instskip(NEXT) | instid1(VALU_DEP_1)
	v_cndmask_b32_e32 v4, 0x7f800000, v4, vcc_lo
	v_fma_mixlo_f16 v4, -v3, v4, v7
	global_store_b16 v[0:1], v4, off offset:128
	s_or_b32 exec_lo, exec_lo, s3
	s_and_saveexec_b32 s2, s0
	s_cbranch_execz .LBB268_12
.LBB268_17:
	v_mul_f32_e32 v4, 0x3fb8aa3b, v12
	v_cmp_ngt_f32_e32 vcc_lo, 0xc2ce8ed0, v12
	s_delay_alu instid0(VALU_DEP_2) | instskip(SKIP_1) | instid1(VALU_DEP_2)
	v_rndne_f32_e32 v5, v4
	v_fma_f32 v6, 0x3fb8aa3b, v12, -v4
	v_sub_f32_e32 v4, v4, v5
	s_delay_alu instid0(VALU_DEP_2) | instskip(SKIP_1) | instid1(VALU_DEP_2)
	v_fmamk_f32 v6, v12, 0x32a5705f, v6
	v_cvt_i32_f32_e32 v5, v5
	v_add_f32_e32 v4, v4, v6
	s_delay_alu instid0(VALU_DEP_1) | instskip(SKIP_2) | instid1(VALU_DEP_1)
	v_exp_f32_e32 v4, v4
	s_waitcnt_depctr 0xfff
	v_ldexp_f32 v4, v4, v5
	v_cndmask_b32_e32 v4, 0, v4, vcc_lo
	v_cmp_nlt_f32_e32 vcc_lo, 0x42b17218, v12
	s_delay_alu instid0(VALU_DEP_2) | instskip(NEXT) | instid1(VALU_DEP_1)
	v_cndmask_b32_e32 v4, 0x7f800000, v4, vcc_lo
	v_fma_mixlo_f16 v4, -v3, v4, v10
	global_store_b16 v[0:1], v4, off offset:256
	s_or_b32 exec_lo, exec_lo, s2
	s_delay_alu instid0(SALU_CYCLE_1)
	s_and_b32 exec_lo, exec_lo, s1
	s_cbranch_execnz .LBB268_13
	s_branch .LBB268_14
	.section	.rodata,"a",@progbits
	.p2align	6, 0x0
	.amdhsa_kernel _ZN12_GLOBAL__N_121softmax_warp_backwardIN3c104HalfES2_fLi8ELb1ELb0ELi64EEEvPT0_PKT_S7_iiiPKb
		.amdhsa_group_segment_fixed_size 0
		.amdhsa_private_segment_fixed_size 0
		.amdhsa_kernarg_size 304
		.amdhsa_user_sgpr_count 15
		.amdhsa_user_sgpr_dispatch_ptr 0
		.amdhsa_user_sgpr_queue_ptr 0
		.amdhsa_user_sgpr_kernarg_segment_ptr 1
		.amdhsa_user_sgpr_dispatch_id 0
		.amdhsa_user_sgpr_private_segment_size 0
		.amdhsa_wavefront_size32 1
		.amdhsa_uses_dynamic_stack 0
		.amdhsa_enable_private_segment 0
		.amdhsa_system_sgpr_workgroup_id_x 1
		.amdhsa_system_sgpr_workgroup_id_y 0
		.amdhsa_system_sgpr_workgroup_id_z 0
		.amdhsa_system_sgpr_workgroup_info 0
		.amdhsa_system_vgpr_workitem_id 1
		.amdhsa_next_free_vgpr 15
		.amdhsa_next_free_sgpr 16
		.amdhsa_reserve_vcc 1
		.amdhsa_float_round_mode_32 0
		.amdhsa_float_round_mode_16_64 0
		.amdhsa_float_denorm_mode_32 3
		.amdhsa_float_denorm_mode_16_64 3
		.amdhsa_dx10_clamp 1
		.amdhsa_ieee_mode 1
		.amdhsa_fp16_overflow 0
		.amdhsa_workgroup_processor_mode 1
		.amdhsa_memory_ordered 1
		.amdhsa_forward_progress 0
		.amdhsa_shared_vgpr_count 0
		.amdhsa_exception_fp_ieee_invalid_op 0
		.amdhsa_exception_fp_denorm_src 0
		.amdhsa_exception_fp_ieee_div_zero 0
		.amdhsa_exception_fp_ieee_overflow 0
		.amdhsa_exception_fp_ieee_underflow 0
		.amdhsa_exception_fp_ieee_inexact 0
		.amdhsa_exception_int_div_zero 0
	.end_amdhsa_kernel
	.section	.text._ZN12_GLOBAL__N_121softmax_warp_backwardIN3c104HalfES2_fLi8ELb1ELb0ELi64EEEvPT0_PKT_S7_iiiPKb,"axG",@progbits,_ZN12_GLOBAL__N_121softmax_warp_backwardIN3c104HalfES2_fLi8ELb1ELb0ELi64EEEvPT0_PKT_S7_iiiPKb,comdat
.Lfunc_end268:
	.size	_ZN12_GLOBAL__N_121softmax_warp_backwardIN3c104HalfES2_fLi8ELb1ELb0ELi64EEEvPT0_PKT_S7_iiiPKb, .Lfunc_end268-_ZN12_GLOBAL__N_121softmax_warp_backwardIN3c104HalfES2_fLi8ELb1ELb0ELi64EEEvPT0_PKT_S7_iiiPKb
                                        ; -- End function
	.section	.AMDGPU.csdata,"",@progbits
; Kernel info:
; codeLenInByte = 1372
; NumSgprs: 18
; NumVgprs: 15
; ScratchSize: 0
; MemoryBound: 0
; FloatMode: 240
; IeeeMode: 1
; LDSByteSize: 0 bytes/workgroup (compile time only)
; SGPRBlocks: 2
; VGPRBlocks: 1
; NumSGPRsForWavesPerEU: 18
; NumVGPRsForWavesPerEU: 15
; Occupancy: 16
; WaveLimiterHint : 0
; COMPUTE_PGM_RSRC2:SCRATCH_EN: 0
; COMPUTE_PGM_RSRC2:USER_SGPR: 15
; COMPUTE_PGM_RSRC2:TRAP_HANDLER: 0
; COMPUTE_PGM_RSRC2:TGID_X_EN: 1
; COMPUTE_PGM_RSRC2:TGID_Y_EN: 0
; COMPUTE_PGM_RSRC2:TGID_Z_EN: 0
; COMPUTE_PGM_RSRC2:TIDIG_COMP_CNT: 1
	.section	.text._ZN12_GLOBAL__N_121softmax_warp_backwardIN3c104HalfES2_fLi8ELb1ELb0ELi32EEEvPT0_PKT_S7_iiiPKb,"axG",@progbits,_ZN12_GLOBAL__N_121softmax_warp_backwardIN3c104HalfES2_fLi8ELb1ELb0ELi32EEEvPT0_PKT_S7_iiiPKb,comdat
	.globl	_ZN12_GLOBAL__N_121softmax_warp_backwardIN3c104HalfES2_fLi8ELb1ELb0ELi32EEEvPT0_PKT_S7_iiiPKb ; -- Begin function _ZN12_GLOBAL__N_121softmax_warp_backwardIN3c104HalfES2_fLi8ELb1ELb0ELi32EEEvPT0_PKT_S7_iiiPKb
	.p2align	8
	.type	_ZN12_GLOBAL__N_121softmax_warp_backwardIN3c104HalfES2_fLi8ELb1ELb0ELi32EEEvPT0_PKT_S7_iiiPKb,@function
_ZN12_GLOBAL__N_121softmax_warp_backwardIN3c104HalfES2_fLi8ELb1ELb0ELi32EEEvPT0_PKT_S7_iiiPKb: ; @_ZN12_GLOBAL__N_121softmax_warp_backwardIN3c104HalfES2_fLi8ELb1ELb0ELi32EEEvPT0_PKT_S7_iiiPKb
; %bb.0:
	s_clause 0x1
	s_load_b32 s2, s[0:1], 0x3c
	s_load_b128 s[16:19], s[0:1], 0x18
	v_bfe_u32 v1, v0, 10, 10
	s_clause 0x1
	s_load_b128 s[8:11], s[0:1], 0x0
	s_load_b64 s[0:1], s[0:1], 0x10
	v_mov_b32_e32 v11, 0
	v_mov_b32_e32 v21, 0
	;; [unrolled: 1-line block ×3, first 2 shown]
	s_waitcnt lgkmcnt(0)
	s_lshr_b32 s2, s2, 16
	s_delay_alu instid0(SALU_CYCLE_1) | instskip(SKIP_1) | instid1(VALU_DEP_1)
	v_mad_u64_u32 v[3:4], null, s15, s2, v[1:2]
	v_and_b32_e32 v2, 31, v0
	v_cmp_gt_i32_e64 s3, s18, v2
	s_delay_alu instid0(VALU_DEP_3) | instskip(SKIP_1) | instid1(VALU_DEP_1)
	v_mad_u64_u32 v[0:1], null, v3, s17, v[2:3]
	v_sub_nc_u32_e32 v22, s16, v3
	v_cmp_lt_i32_e64 s7, 0, v22
	s_delay_alu instid0(VALU_DEP_3) | instskip(NEXT) | instid1(VALU_DEP_1)
	v_ashrrev_i32_e32 v1, 31, v0
	v_lshlrev_b64 v[0:1], 1, v[0:1]
	s_delay_alu instid0(VALU_DEP_1) | instskip(NEXT) | instid1(VALU_DEP_2)
	v_add_co_u32 v3, vcc_lo, s10, v0
	v_add_co_ci_u32_e32 v4, vcc_lo, s11, v1, vcc_lo
	v_add_co_u32 v5, vcc_lo, s0, v0
	v_add_co_ci_u32_e32 v6, vcc_lo, s1, v1, vcc_lo
	s_and_b32 s1, s7, s3
	s_delay_alu instid0(SALU_CYCLE_1)
	s_and_saveexec_b32 s0, s1
	s_cbranch_execz .LBB269_2
; %bb.1:
	global_load_u16 v8, v[3:4], off
	global_load_u16 v9, v[5:6], off
	s_waitcnt vmcnt(1)
	v_cvt_f32_f16_e32 v11, v8
	s_waitcnt vmcnt(0)
	v_cvt_f32_f16_e32 v21, v9
.LBB269_2:
	s_or_b32 exec_lo, exec_lo, s0
	v_or_b32_e32 v8, 32, v2
	v_mov_b32_e32 v19, 0
	s_delay_alu instid0(VALU_DEP_2) | instskip(NEXT) | instid1(VALU_DEP_1)
	v_cmp_gt_i32_e64 s6, s18, v8
	s_and_b32 s1, s7, s6
	s_delay_alu instid0(SALU_CYCLE_1)
	s_and_saveexec_b32 s0, s1
	s_cbranch_execz .LBB269_4
; %bb.3:
	global_load_u16 v7, v[3:4], off offset:64
	global_load_u16 v8, v[5:6], off offset:64
	s_waitcnt vmcnt(1)
	v_cvt_f32_f16_e32 v7, v7
	s_waitcnt vmcnt(0)
	v_cvt_f32_f16_e32 v19, v8
.LBB269_4:
	s_or_b32 exec_lo, exec_lo, s0
	v_or_b32_e32 v8, 64, v2
	v_mov_b32_e32 v10, 0
	v_mov_b32_e32 v14, 0
	;; [unrolled: 1-line block ×3, first 2 shown]
	s_delay_alu instid0(VALU_DEP_4) | instskip(NEXT) | instid1(VALU_DEP_1)
	v_cmp_gt_i32_e64 s4, s18, v8
	s_and_b32 s1, s7, s4
	s_delay_alu instid0(SALU_CYCLE_1)
	s_and_saveexec_b32 s0, s1
	s_cbranch_execz .LBB269_6
; %bb.5:
	global_load_u16 v8, v[3:4], off offset:128
	global_load_u16 v9, v[5:6], off offset:128
	s_waitcnt vmcnt(1)
	v_cvt_f32_f16_e32 v14, v8
	s_waitcnt vmcnt(0)
	v_cvt_f32_f16_e32 v20, v9
.LBB269_6:
	s_or_b32 exec_lo, exec_lo, s0
	v_or_b32_e32 v8, 0x60, v2
	v_mov_b32_e32 v17, 0
	s_delay_alu instid0(VALU_DEP_2) | instskip(NEXT) | instid1(VALU_DEP_1)
	v_cmp_gt_i32_e64 s5, s18, v8
	s_and_b32 s1, s7, s5
	s_delay_alu instid0(SALU_CYCLE_1)
	s_and_saveexec_b32 s0, s1
	s_cbranch_execz .LBB269_8
; %bb.7:
	global_load_u16 v8, v[3:4], off offset:192
	global_load_u16 v9, v[5:6], off offset:192
	s_waitcnt vmcnt(1)
	v_cvt_f32_f16_e32 v10, v8
	s_waitcnt vmcnt(0)
	v_cvt_f32_f16_e32 v17, v9
.LBB269_8:
	s_or_b32 exec_lo, exec_lo, s0
	v_or_b32_e32 v8, 0x80, v2
	v_dual_mov_b32 v9, 0 :: v_dual_mov_b32 v18, 0
	v_mov_b32_e32 v13, 0
	s_delay_alu instid0(VALU_DEP_3) | instskip(NEXT) | instid1(VALU_DEP_1)
	v_cmp_gt_i32_e64 s1, s18, v8
	s_and_b32 s2, s7, s1
	s_delay_alu instid0(SALU_CYCLE_1)
	s_and_saveexec_b32 s0, s2
	s_cbranch_execz .LBB269_10
; %bb.9:
	global_load_u16 v8, v[3:4], off offset:256
	global_load_u16 v12, v[5:6], off offset:256
	s_waitcnt vmcnt(1)
	v_cvt_f32_f16_e32 v13, v8
	s_waitcnt vmcnt(0)
	v_cvt_f32_f16_e32 v18, v12
.LBB269_10:
	s_or_b32 exec_lo, exec_lo, s0
	v_or_b32_e32 v8, 0xa0, v2
	v_mov_b32_e32 v15, 0
	s_delay_alu instid0(VALU_DEP_2) | instskip(NEXT) | instid1(VALU_DEP_1)
	v_cmp_gt_i32_e64 s2, s18, v8
	s_and_b32 s10, s7, s2
	s_delay_alu instid0(SALU_CYCLE_1)
	s_and_saveexec_b32 s0, s10
	s_cbranch_execz .LBB269_12
; %bb.11:
	global_load_u16 v8, v[3:4], off offset:320
	global_load_u16 v12, v[5:6], off offset:320
	s_waitcnt vmcnt(1)
	v_cvt_f32_f16_e32 v9, v8
	s_waitcnt vmcnt(0)
	v_cvt_f32_f16_e32 v15, v12
.LBB269_12:
	s_or_b32 exec_lo, exec_lo, s0
	v_or_b32_e32 v8, 0xc0, v2
	v_mov_b32_e32 v12, 0
	v_mov_b32_e32 v16, 0
	s_delay_alu instid0(VALU_DEP_3) | instskip(SKIP_2) | instid1(SALU_CYCLE_1)
	v_cmp_gt_i32_e32 vcc_lo, s18, v8
	v_mov_b32_e32 v8, 0
	s_and_b32 s10, s7, vcc_lo
	s_and_saveexec_b32 s0, s10
	s_cbranch_execz .LBB269_14
; %bb.13:
	global_load_u16 v12, v[3:4], off offset:384
	global_load_u16 v16, v[5:6], off offset:384
	s_waitcnt vmcnt(1)
	v_cvt_f32_f16_e32 v12, v12
	s_waitcnt vmcnt(0)
	v_cvt_f32_f16_e32 v16, v16
.LBB269_14:
	s_or_b32 exec_lo, exec_lo, s0
	v_or_b32_e32 v2, 0xe0, v2
	s_delay_alu instid0(VALU_DEP_1) | instskip(SKIP_1) | instid1(VALU_DEP_2)
	v_cmp_gt_i32_e64 s0, s18, v2
	v_mov_b32_e32 v2, 0
	s_and_b32 s10, s7, s0
	s_delay_alu instid0(SALU_CYCLE_1)
	s_and_saveexec_b32 s7, s10
	s_cbranch_execz .LBB269_16
; %bb.15:
	global_load_u16 v2, v[3:4], off offset:448
	global_load_u16 v3, v[5:6], off offset:448
	s_waitcnt vmcnt(1)
	v_cvt_f32_f16_e32 v8, v2
	s_waitcnt vmcnt(0)
	v_cvt_f32_f16_e32 v2, v3
.LBB269_16:
	s_or_b32 exec_lo, exec_lo, s7
	v_mbcnt_lo_u32_b32 v4, -1, 0
	s_mov_b32 s10, exec_lo
	s_delay_alu instid0(VALU_DEP_1) | instskip(SKIP_1) | instid1(VALU_DEP_2)
	v_xor_b32_e32 v5, 16, v4
	v_xor_b32_e32 v6, 8, v4
	v_cmp_gt_i32_e64 s7, 32, v5
	s_delay_alu instid0(VALU_DEP_1) | instskip(NEXT) | instid1(VALU_DEP_3)
	v_cndmask_b32_e64 v5, v4, v5, s7
	v_cmp_gt_i32_e64 s7, 32, v6
	s_delay_alu instid0(VALU_DEP_2) | instskip(NEXT) | instid1(VALU_DEP_2)
	v_lshlrev_b32_e32 v5, 2, v5
	v_cndmask_b32_e64 v6, v4, v6, s7
	s_delay_alu instid0(VALU_DEP_1) | instskip(NEXT) | instid1(VALU_DEP_1)
	v_dual_add_f32 v3, 0, v11 :: v_dual_lshlrev_b32 v6, 2, v6
	v_add_f32_e32 v3, v3, v7
	s_delay_alu instid0(VALU_DEP_1) | instskip(NEXT) | instid1(VALU_DEP_1)
	v_add_f32_e32 v3, v3, v14
	v_add_f32_e32 v3, v3, v10
	s_delay_alu instid0(VALU_DEP_1) | instskip(NEXT) | instid1(VALU_DEP_1)
	v_add_f32_e32 v3, v3, v13
	;; [unrolled: 3-line block ×3, first 2 shown]
	v_add_f32_e32 v3, v3, v8
	ds_bpermute_b32 v5, v5, v3
	s_waitcnt lgkmcnt(0)
	v_add_f32_e32 v3, v3, v5
	ds_bpermute_b32 v5, v6, v3
	v_xor_b32_e32 v6, 4, v4
	s_delay_alu instid0(VALU_DEP_1) | instskip(NEXT) | instid1(VALU_DEP_1)
	v_cmp_gt_i32_e64 s7, 32, v6
	v_cndmask_b32_e64 v6, v4, v6, s7
	s_waitcnt lgkmcnt(0)
	s_delay_alu instid0(VALU_DEP_1) | instskip(SKIP_2) | instid1(VALU_DEP_1)
	v_dual_add_f32 v3, v3, v5 :: v_dual_lshlrev_b32 v6, 2, v6
	ds_bpermute_b32 v5, v6, v3
	v_xor_b32_e32 v6, 2, v4
	v_cmp_gt_i32_e64 s7, 32, v6
	s_delay_alu instid0(VALU_DEP_1) | instskip(SKIP_1) | instid1(VALU_DEP_1)
	v_cndmask_b32_e64 v6, v4, v6, s7
	s_waitcnt lgkmcnt(0)
	v_dual_add_f32 v3, v3, v5 :: v_dual_lshlrev_b32 v6, 2, v6
	ds_bpermute_b32 v5, v6, v3
	v_xor_b32_e32 v6, 1, v4
	s_delay_alu instid0(VALU_DEP_1) | instskip(NEXT) | instid1(VALU_DEP_1)
	v_cmp_gt_i32_e64 s7, 32, v6
	v_cndmask_b32_e64 v4, v4, v6, s7
	s_waitcnt lgkmcnt(0)
	s_delay_alu instid0(VALU_DEP_1)
	v_dual_add_f32 v3, v3, v5 :: v_dual_lshlrev_b32 v4, 2, v4
	ds_bpermute_b32 v4, v4, v3
	v_cmpx_lt_i32_e32 0, v22
	s_cbranch_execz .LBB269_26
; %bb.17:
	v_add_co_u32 v0, s7, s8, v0
	s_delay_alu instid0(VALU_DEP_1)
	v_add_co_ci_u32_e64 v1, s7, s9, v1, s7
	s_waitcnt lgkmcnt(0)
	v_add_f32_e32 v3, v3, v4
	s_and_saveexec_b32 s7, s3
	s_cbranch_execnz .LBB269_27
; %bb.18:
	s_or_b32 exec_lo, exec_lo, s7
	s_and_saveexec_b32 s7, s6
	s_cbranch_execnz .LBB269_28
.LBB269_19:
	s_or_b32 exec_lo, exec_lo, s7
	s_and_saveexec_b32 s6, s4
	s_cbranch_execnz .LBB269_29
.LBB269_20:
	s_or_b32 exec_lo, exec_lo, s6
	s_and_saveexec_b32 s4, s5
	s_cbranch_execnz .LBB269_30
.LBB269_21:
	s_or_b32 exec_lo, exec_lo, s4
	s_and_saveexec_b32 s3, s1
	s_cbranch_execnz .LBB269_31
.LBB269_22:
	s_or_b32 exec_lo, exec_lo, s3
	s_and_saveexec_b32 s3, s2
	s_cbranch_execnz .LBB269_32
.LBB269_23:
	s_or_b32 exec_lo, exec_lo, s3
	s_and_saveexec_b32 s1, vcc_lo
	s_cbranch_execnz .LBB269_33
.LBB269_24:
	s_or_b32 exec_lo, exec_lo, s1
	s_delay_alu instid0(SALU_CYCLE_1)
	s_and_b32 exec_lo, exec_lo, s0
	s_cbranch_execz .LBB269_26
.LBB269_25:
	v_mul_f32_e32 v4, 0x3fb8aa3b, v2
	v_cmp_ngt_f32_e32 vcc_lo, 0xc2ce8ed0, v2
	s_delay_alu instid0(VALU_DEP_2) | instskip(SKIP_1) | instid1(VALU_DEP_2)
	v_rndne_f32_e32 v5, v4
	v_fma_f32 v6, 0x3fb8aa3b, v2, -v4
	v_sub_f32_e32 v4, v4, v5
	s_delay_alu instid0(VALU_DEP_2) | instskip(SKIP_1) | instid1(VALU_DEP_2)
	v_fmamk_f32 v6, v2, 0x32a5705f, v6
	v_cvt_i32_f32_e32 v5, v5
	v_add_f32_e32 v4, v4, v6
	s_delay_alu instid0(VALU_DEP_1) | instskip(SKIP_2) | instid1(VALU_DEP_1)
	v_exp_f32_e32 v4, v4
	s_waitcnt_depctr 0xfff
	v_ldexp_f32 v4, v4, v5
	v_cndmask_b32_e32 v4, 0, v4, vcc_lo
	v_cmp_nlt_f32_e32 vcc_lo, 0x42b17218, v2
	s_delay_alu instid0(VALU_DEP_2) | instskip(NEXT) | instid1(VALU_DEP_1)
	v_cndmask_b32_e32 v2, 0x7f800000, v4, vcc_lo
	v_fma_mixlo_f16 v2, -v3, v2, v8
	global_store_b16 v[0:1], v2, off offset:448
.LBB269_26:
	s_nop 0
	s_sendmsg sendmsg(MSG_DEALLOC_VGPRS)
	s_endpgm
.LBB269_27:
	v_mul_f32_e32 v4, 0x3fb8aa3b, v21
	v_cmp_ngt_f32_e64 s3, 0xc2ce8ed0, v21
	s_delay_alu instid0(VALU_DEP_2) | instskip(SKIP_1) | instid1(VALU_DEP_2)
	v_rndne_f32_e32 v5, v4
	v_fma_f32 v6, 0x3fb8aa3b, v21, -v4
	v_sub_f32_e32 v4, v4, v5
	s_delay_alu instid0(VALU_DEP_2) | instskip(SKIP_1) | instid1(VALU_DEP_2)
	v_fmamk_f32 v6, v21, 0x32a5705f, v6
	v_cvt_i32_f32_e32 v5, v5
	v_add_f32_e32 v4, v4, v6
	s_delay_alu instid0(VALU_DEP_1) | instskip(SKIP_2) | instid1(VALU_DEP_1)
	v_exp_f32_e32 v4, v4
	s_waitcnt_depctr 0xfff
	v_ldexp_f32 v4, v4, v5
	v_cndmask_b32_e64 v4, 0, v4, s3
	v_cmp_nlt_f32_e64 s3, 0x42b17218, v21
	s_delay_alu instid0(VALU_DEP_1) | instskip(NEXT) | instid1(VALU_DEP_1)
	v_cndmask_b32_e64 v4, 0x7f800000, v4, s3
	v_fma_mixlo_f16 v4, -v3, v4, v11
	global_store_b16 v[0:1], v4, off
	s_or_b32 exec_lo, exec_lo, s7
	s_and_saveexec_b32 s7, s6
	s_cbranch_execz .LBB269_19
.LBB269_28:
	v_mul_f32_e32 v4, 0x3fb8aa3b, v19
	v_cmp_ngt_f32_e64 s3, 0xc2ce8ed0, v19
	s_delay_alu instid0(VALU_DEP_2) | instskip(SKIP_1) | instid1(VALU_DEP_2)
	v_rndne_f32_e32 v5, v4
	v_fma_f32 v6, 0x3fb8aa3b, v19, -v4
	v_sub_f32_e32 v4, v4, v5
	s_delay_alu instid0(VALU_DEP_2) | instskip(SKIP_1) | instid1(VALU_DEP_2)
	v_fmamk_f32 v6, v19, 0x32a5705f, v6
	v_cvt_i32_f32_e32 v5, v5
	v_add_f32_e32 v4, v4, v6
	s_delay_alu instid0(VALU_DEP_1) | instskip(SKIP_2) | instid1(VALU_DEP_1)
	v_exp_f32_e32 v4, v4
	s_waitcnt_depctr 0xfff
	v_ldexp_f32 v4, v4, v5
	v_cndmask_b32_e64 v4, 0, v4, s3
	v_cmp_nlt_f32_e64 s3, 0x42b17218, v19
	s_delay_alu instid0(VALU_DEP_1) | instskip(NEXT) | instid1(VALU_DEP_1)
	v_cndmask_b32_e64 v4, 0x7f800000, v4, s3
	v_fma_mixlo_f16 v4, -v3, v4, v7
	global_store_b16 v[0:1], v4, off offset:64
	s_or_b32 exec_lo, exec_lo, s7
	s_and_saveexec_b32 s6, s4
	s_cbranch_execz .LBB269_20
.LBB269_29:
	v_mul_f32_e32 v4, 0x3fb8aa3b, v20
	v_cmp_ngt_f32_e64 s3, 0xc2ce8ed0, v20
	s_delay_alu instid0(VALU_DEP_2) | instskip(SKIP_1) | instid1(VALU_DEP_2)
	v_rndne_f32_e32 v5, v4
	v_fma_f32 v6, 0x3fb8aa3b, v20, -v4
	v_sub_f32_e32 v4, v4, v5
	s_delay_alu instid0(VALU_DEP_2) | instskip(SKIP_1) | instid1(VALU_DEP_2)
	v_fmamk_f32 v6, v20, 0x32a5705f, v6
	v_cvt_i32_f32_e32 v5, v5
	v_add_f32_e32 v4, v4, v6
	s_delay_alu instid0(VALU_DEP_1) | instskip(SKIP_2) | instid1(VALU_DEP_1)
	v_exp_f32_e32 v4, v4
	s_waitcnt_depctr 0xfff
	v_ldexp_f32 v4, v4, v5
	v_cndmask_b32_e64 v4, 0, v4, s3
	v_cmp_nlt_f32_e64 s3, 0x42b17218, v20
	s_delay_alu instid0(VALU_DEP_1) | instskip(NEXT) | instid1(VALU_DEP_1)
	v_cndmask_b32_e64 v4, 0x7f800000, v4, s3
	v_fma_mixlo_f16 v4, -v3, v4, v14
	global_store_b16 v[0:1], v4, off offset:128
	s_or_b32 exec_lo, exec_lo, s6
	s_and_saveexec_b32 s4, s5
	s_cbranch_execz .LBB269_21
.LBB269_30:
	v_mul_f32_e32 v4, 0x3fb8aa3b, v17
	v_cmp_ngt_f32_e64 s3, 0xc2ce8ed0, v17
	s_delay_alu instid0(VALU_DEP_2) | instskip(SKIP_1) | instid1(VALU_DEP_2)
	v_rndne_f32_e32 v5, v4
	v_fma_f32 v6, 0x3fb8aa3b, v17, -v4
	v_sub_f32_e32 v4, v4, v5
	s_delay_alu instid0(VALU_DEP_2) | instskip(SKIP_1) | instid1(VALU_DEP_2)
	v_fmamk_f32 v6, v17, 0x32a5705f, v6
	v_cvt_i32_f32_e32 v5, v5
	v_add_f32_e32 v4, v4, v6
	s_delay_alu instid0(VALU_DEP_1) | instskip(SKIP_2) | instid1(VALU_DEP_1)
	v_exp_f32_e32 v4, v4
	s_waitcnt_depctr 0xfff
	v_ldexp_f32 v4, v4, v5
	v_cndmask_b32_e64 v4, 0, v4, s3
	v_cmp_nlt_f32_e64 s3, 0x42b17218, v17
	s_delay_alu instid0(VALU_DEP_1) | instskip(NEXT) | instid1(VALU_DEP_1)
	v_cndmask_b32_e64 v4, 0x7f800000, v4, s3
	v_fma_mixlo_f16 v4, -v3, v4, v10
	global_store_b16 v[0:1], v4, off offset:192
	s_or_b32 exec_lo, exec_lo, s4
	s_and_saveexec_b32 s3, s1
	s_cbranch_execz .LBB269_22
.LBB269_31:
	v_mul_f32_e32 v4, 0x3fb8aa3b, v18
	v_cmp_ngt_f32_e64 s1, 0xc2ce8ed0, v18
	s_delay_alu instid0(VALU_DEP_2) | instskip(SKIP_1) | instid1(VALU_DEP_2)
	v_rndne_f32_e32 v5, v4
	v_fma_f32 v6, 0x3fb8aa3b, v18, -v4
	v_sub_f32_e32 v4, v4, v5
	s_delay_alu instid0(VALU_DEP_2) | instskip(SKIP_1) | instid1(VALU_DEP_2)
	v_fmamk_f32 v6, v18, 0x32a5705f, v6
	v_cvt_i32_f32_e32 v5, v5
	v_add_f32_e32 v4, v4, v6
	s_delay_alu instid0(VALU_DEP_1) | instskip(SKIP_2) | instid1(VALU_DEP_1)
	v_exp_f32_e32 v4, v4
	s_waitcnt_depctr 0xfff
	v_ldexp_f32 v4, v4, v5
	v_cndmask_b32_e64 v4, 0, v4, s1
	v_cmp_nlt_f32_e64 s1, 0x42b17218, v18
	s_delay_alu instid0(VALU_DEP_1) | instskip(NEXT) | instid1(VALU_DEP_1)
	v_cndmask_b32_e64 v4, 0x7f800000, v4, s1
	v_fma_mixlo_f16 v4, -v3, v4, v13
	global_store_b16 v[0:1], v4, off offset:256
	s_or_b32 exec_lo, exec_lo, s3
	s_and_saveexec_b32 s3, s2
	s_cbranch_execz .LBB269_23
.LBB269_32:
	v_mul_f32_e32 v4, 0x3fb8aa3b, v15
	v_cmp_ngt_f32_e64 s1, 0xc2ce8ed0, v15
	s_delay_alu instid0(VALU_DEP_2) | instskip(SKIP_1) | instid1(VALU_DEP_2)
	v_rndne_f32_e32 v5, v4
	v_fma_f32 v6, 0x3fb8aa3b, v15, -v4
	v_sub_f32_e32 v4, v4, v5
	s_delay_alu instid0(VALU_DEP_2) | instskip(SKIP_1) | instid1(VALU_DEP_2)
	v_fmamk_f32 v6, v15, 0x32a5705f, v6
	v_cvt_i32_f32_e32 v5, v5
	v_add_f32_e32 v4, v4, v6
	s_delay_alu instid0(VALU_DEP_1) | instskip(SKIP_2) | instid1(VALU_DEP_1)
	v_exp_f32_e32 v4, v4
	s_waitcnt_depctr 0xfff
	v_ldexp_f32 v4, v4, v5
	v_cndmask_b32_e64 v4, 0, v4, s1
	v_cmp_nlt_f32_e64 s1, 0x42b17218, v15
	s_delay_alu instid0(VALU_DEP_1) | instskip(NEXT) | instid1(VALU_DEP_1)
	v_cndmask_b32_e64 v4, 0x7f800000, v4, s1
	v_fma_mixlo_f16 v4, -v3, v4, v9
	global_store_b16 v[0:1], v4, off offset:320
	s_or_b32 exec_lo, exec_lo, s3
	s_and_saveexec_b32 s1, vcc_lo
	s_cbranch_execz .LBB269_24
.LBB269_33:
	v_mul_f32_e32 v4, 0x3fb8aa3b, v16
	v_cmp_ngt_f32_e32 vcc_lo, 0xc2ce8ed0, v16
	s_delay_alu instid0(VALU_DEP_2) | instskip(SKIP_1) | instid1(VALU_DEP_2)
	v_rndne_f32_e32 v5, v4
	v_fma_f32 v6, 0x3fb8aa3b, v16, -v4
	v_sub_f32_e32 v4, v4, v5
	s_delay_alu instid0(VALU_DEP_2) | instskip(SKIP_1) | instid1(VALU_DEP_2)
	v_fmamk_f32 v6, v16, 0x32a5705f, v6
	v_cvt_i32_f32_e32 v5, v5
	v_add_f32_e32 v4, v4, v6
	s_delay_alu instid0(VALU_DEP_1) | instskip(SKIP_2) | instid1(VALU_DEP_1)
	v_exp_f32_e32 v4, v4
	s_waitcnt_depctr 0xfff
	v_ldexp_f32 v4, v4, v5
	v_cndmask_b32_e32 v4, 0, v4, vcc_lo
	v_cmp_nlt_f32_e32 vcc_lo, 0x42b17218, v16
	s_delay_alu instid0(VALU_DEP_2) | instskip(NEXT) | instid1(VALU_DEP_1)
	v_cndmask_b32_e32 v4, 0x7f800000, v4, vcc_lo
	v_fma_mixlo_f16 v4, -v3, v4, v12
	global_store_b16 v[0:1], v4, off offset:384
	s_or_b32 exec_lo, exec_lo, s1
	s_delay_alu instid0(SALU_CYCLE_1)
	s_and_b32 exec_lo, exec_lo, s0
	s_cbranch_execnz .LBB269_25
	s_branch .LBB269_26
	.section	.rodata,"a",@progbits
	.p2align	6, 0x0
	.amdhsa_kernel _ZN12_GLOBAL__N_121softmax_warp_backwardIN3c104HalfES2_fLi8ELb1ELb0ELi32EEEvPT0_PKT_S7_iiiPKb
		.amdhsa_group_segment_fixed_size 0
		.amdhsa_private_segment_fixed_size 0
		.amdhsa_kernarg_size 304
		.amdhsa_user_sgpr_count 15
		.amdhsa_user_sgpr_dispatch_ptr 0
		.amdhsa_user_sgpr_queue_ptr 0
		.amdhsa_user_sgpr_kernarg_segment_ptr 1
		.amdhsa_user_sgpr_dispatch_id 0
		.amdhsa_user_sgpr_private_segment_size 0
		.amdhsa_wavefront_size32 1
		.amdhsa_uses_dynamic_stack 0
		.amdhsa_enable_private_segment 0
		.amdhsa_system_sgpr_workgroup_id_x 1
		.amdhsa_system_sgpr_workgroup_id_y 0
		.amdhsa_system_sgpr_workgroup_id_z 0
		.amdhsa_system_sgpr_workgroup_info 0
		.amdhsa_system_vgpr_workitem_id 1
		.amdhsa_next_free_vgpr 23
		.amdhsa_next_free_sgpr 20
		.amdhsa_reserve_vcc 1
		.amdhsa_float_round_mode_32 0
		.amdhsa_float_round_mode_16_64 0
		.amdhsa_float_denorm_mode_32 3
		.amdhsa_float_denorm_mode_16_64 3
		.amdhsa_dx10_clamp 1
		.amdhsa_ieee_mode 1
		.amdhsa_fp16_overflow 0
		.amdhsa_workgroup_processor_mode 1
		.amdhsa_memory_ordered 1
		.amdhsa_forward_progress 0
		.amdhsa_shared_vgpr_count 0
		.amdhsa_exception_fp_ieee_invalid_op 0
		.amdhsa_exception_fp_denorm_src 0
		.amdhsa_exception_fp_ieee_div_zero 0
		.amdhsa_exception_fp_ieee_overflow 0
		.amdhsa_exception_fp_ieee_underflow 0
		.amdhsa_exception_fp_ieee_inexact 0
		.amdhsa_exception_int_div_zero 0
	.end_amdhsa_kernel
	.section	.text._ZN12_GLOBAL__N_121softmax_warp_backwardIN3c104HalfES2_fLi8ELb1ELb0ELi32EEEvPT0_PKT_S7_iiiPKb,"axG",@progbits,_ZN12_GLOBAL__N_121softmax_warp_backwardIN3c104HalfES2_fLi8ELb1ELb0ELi32EEEvPT0_PKT_S7_iiiPKb,comdat
.Lfunc_end269:
	.size	_ZN12_GLOBAL__N_121softmax_warp_backwardIN3c104HalfES2_fLi8ELb1ELb0ELi32EEEvPT0_PKT_S7_iiiPKb, .Lfunc_end269-_ZN12_GLOBAL__N_121softmax_warp_backwardIN3c104HalfES2_fLi8ELb1ELb0ELi32EEEvPT0_PKT_S7_iiiPKb
                                        ; -- End function
	.section	.AMDGPU.csdata,"",@progbits
; Kernel info:
; codeLenInByte = 2328
; NumSgprs: 22
; NumVgprs: 23
; ScratchSize: 0
; MemoryBound: 0
; FloatMode: 240
; IeeeMode: 1
; LDSByteSize: 0 bytes/workgroup (compile time only)
; SGPRBlocks: 2
; VGPRBlocks: 2
; NumSGPRsForWavesPerEU: 22
; NumVGPRsForWavesPerEU: 23
; Occupancy: 16
; WaveLimiterHint : 0
; COMPUTE_PGM_RSRC2:SCRATCH_EN: 0
; COMPUTE_PGM_RSRC2:USER_SGPR: 15
; COMPUTE_PGM_RSRC2:TRAP_HANDLER: 0
; COMPUTE_PGM_RSRC2:TGID_X_EN: 1
; COMPUTE_PGM_RSRC2:TGID_Y_EN: 0
; COMPUTE_PGM_RSRC2:TGID_Z_EN: 0
; COMPUTE_PGM_RSRC2:TIDIG_COMP_CNT: 1
	.section	.text._ZN12_GLOBAL__N_121softmax_warp_backwardIN3c104HalfES2_fLi9ELb1ELb0ELi64EEEvPT0_PKT_S7_iiiPKb,"axG",@progbits,_ZN12_GLOBAL__N_121softmax_warp_backwardIN3c104HalfES2_fLi9ELb1ELb0ELi64EEEvPT0_PKT_S7_iiiPKb,comdat
	.globl	_ZN12_GLOBAL__N_121softmax_warp_backwardIN3c104HalfES2_fLi9ELb1ELb0ELi64EEEvPT0_PKT_S7_iiiPKb ; -- Begin function _ZN12_GLOBAL__N_121softmax_warp_backwardIN3c104HalfES2_fLi9ELb1ELb0ELi64EEEvPT0_PKT_S7_iiiPKb
	.p2align	8
	.type	_ZN12_GLOBAL__N_121softmax_warp_backwardIN3c104HalfES2_fLi9ELb1ELb0ELi64EEEvPT0_PKT_S7_iiiPKb,@function
_ZN12_GLOBAL__N_121softmax_warp_backwardIN3c104HalfES2_fLi9ELb1ELb0ELi64EEEvPT0_PKT_S7_iiiPKb: ; @_ZN12_GLOBAL__N_121softmax_warp_backwardIN3c104HalfES2_fLi9ELb1ELb0ELi64EEEvPT0_PKT_S7_iiiPKb
; %bb.0:
	s_clause 0x1
	s_load_b32 s2, s[0:1], 0x3c
	s_load_b128 s[16:19], s[0:1], 0x18
	v_bfe_u32 v1, v0, 10, 10
	s_clause 0x1
	s_load_b128 s[8:11], s[0:1], 0x0
	s_load_b64 s[0:1], s[0:1], 0x10
	v_mov_b32_e32 v11, 0
	v_mov_b32_e32 v21, 0
	;; [unrolled: 1-line block ×3, first 2 shown]
	s_waitcnt lgkmcnt(0)
	s_lshr_b32 s2, s2, 16
	s_delay_alu instid0(SALU_CYCLE_1) | instskip(SKIP_1) | instid1(VALU_DEP_1)
	v_mad_u64_u32 v[3:4], null, s15, s2, v[1:2]
	v_and_b32_e32 v2, 63, v0
	v_cmp_gt_i32_e64 s3, s18, v2
	s_delay_alu instid0(VALU_DEP_3) | instskip(SKIP_1) | instid1(VALU_DEP_1)
	v_mad_u64_u32 v[0:1], null, v3, s17, v[2:3]
	v_sub_nc_u32_e32 v22, s16, v3
	v_cmp_lt_i32_e64 s7, 0, v22
	s_delay_alu instid0(VALU_DEP_3) | instskip(NEXT) | instid1(VALU_DEP_1)
	v_ashrrev_i32_e32 v1, 31, v0
	v_lshlrev_b64 v[0:1], 1, v[0:1]
	s_delay_alu instid0(VALU_DEP_1) | instskip(NEXT) | instid1(VALU_DEP_2)
	v_add_co_u32 v3, vcc_lo, s10, v0
	v_add_co_ci_u32_e32 v4, vcc_lo, s11, v1, vcc_lo
	v_add_co_u32 v5, vcc_lo, s0, v0
	v_add_co_ci_u32_e32 v6, vcc_lo, s1, v1, vcc_lo
	s_and_b32 s1, s7, s3
	s_delay_alu instid0(SALU_CYCLE_1)
	s_and_saveexec_b32 s0, s1
	s_cbranch_execz .LBB270_2
; %bb.1:
	global_load_u16 v8, v[3:4], off
	global_load_u16 v9, v[5:6], off
	s_waitcnt vmcnt(1)
	v_cvt_f32_f16_e32 v11, v8
	s_waitcnt vmcnt(0)
	v_cvt_f32_f16_e32 v21, v9
.LBB270_2:
	s_or_b32 exec_lo, exec_lo, s0
	v_or_b32_e32 v8, 64, v2
	v_mov_b32_e32 v19, 0
	s_delay_alu instid0(VALU_DEP_2) | instskip(NEXT) | instid1(VALU_DEP_1)
	v_cmp_gt_i32_e64 s6, s18, v8
	s_and_b32 s1, s7, s6
	s_delay_alu instid0(SALU_CYCLE_1)
	s_and_saveexec_b32 s0, s1
	s_cbranch_execz .LBB270_4
; %bb.3:
	global_load_u16 v7, v[3:4], off offset:128
	global_load_u16 v8, v[5:6], off offset:128
	s_waitcnt vmcnt(1)
	v_cvt_f32_f16_e32 v7, v7
	s_waitcnt vmcnt(0)
	v_cvt_f32_f16_e32 v19, v8
.LBB270_4:
	s_or_b32 exec_lo, exec_lo, s0
	v_or_b32_e32 v8, 0x80, v2
	v_mov_b32_e32 v10, 0
	v_mov_b32_e32 v14, 0
	;; [unrolled: 1-line block ×3, first 2 shown]
	s_delay_alu instid0(VALU_DEP_4) | instskip(NEXT) | instid1(VALU_DEP_1)
	v_cmp_gt_i32_e64 s4, s18, v8
	s_and_b32 s1, s7, s4
	s_delay_alu instid0(SALU_CYCLE_1)
	s_and_saveexec_b32 s0, s1
	s_cbranch_execz .LBB270_6
; %bb.5:
	global_load_u16 v8, v[3:4], off offset:256
	global_load_u16 v9, v[5:6], off offset:256
	s_waitcnt vmcnt(1)
	v_cvt_f32_f16_e32 v14, v8
	s_waitcnt vmcnt(0)
	v_cvt_f32_f16_e32 v20, v9
.LBB270_6:
	s_or_b32 exec_lo, exec_lo, s0
	v_or_b32_e32 v8, 0xc0, v2
	v_mov_b32_e32 v17, 0
	s_delay_alu instid0(VALU_DEP_2) | instskip(NEXT) | instid1(VALU_DEP_1)
	v_cmp_gt_i32_e64 s5, s18, v8
	s_and_b32 s1, s7, s5
	s_delay_alu instid0(SALU_CYCLE_1)
	s_and_saveexec_b32 s0, s1
	s_cbranch_execz .LBB270_8
; %bb.7:
	global_load_u16 v8, v[3:4], off offset:384
	global_load_u16 v9, v[5:6], off offset:384
	s_waitcnt vmcnt(1)
	v_cvt_f32_f16_e32 v10, v8
	s_waitcnt vmcnt(0)
	v_cvt_f32_f16_e32 v17, v9
.LBB270_8:
	s_or_b32 exec_lo, exec_lo, s0
	v_or_b32_e32 v8, 0x100, v2
	v_dual_mov_b32 v9, 0 :: v_dual_mov_b32 v18, 0
	v_mov_b32_e32 v13, 0
	s_delay_alu instid0(VALU_DEP_3) | instskip(NEXT) | instid1(VALU_DEP_1)
	v_cmp_gt_i32_e64 s1, s18, v8
	s_and_b32 s2, s7, s1
	s_delay_alu instid0(SALU_CYCLE_1)
	s_and_saveexec_b32 s0, s2
	s_cbranch_execz .LBB270_10
; %bb.9:
	global_load_u16 v8, v[3:4], off offset:512
	global_load_u16 v12, v[5:6], off offset:512
	s_waitcnt vmcnt(1)
	v_cvt_f32_f16_e32 v13, v8
	s_waitcnt vmcnt(0)
	v_cvt_f32_f16_e32 v18, v12
.LBB270_10:
	s_or_b32 exec_lo, exec_lo, s0
	v_or_b32_e32 v8, 0x140, v2
	v_mov_b32_e32 v15, 0
	s_delay_alu instid0(VALU_DEP_2) | instskip(NEXT) | instid1(VALU_DEP_1)
	v_cmp_gt_i32_e64 s2, s18, v8
	s_and_b32 s10, s7, s2
	s_delay_alu instid0(SALU_CYCLE_1)
	s_and_saveexec_b32 s0, s10
	s_cbranch_execz .LBB270_12
; %bb.11:
	global_load_u16 v8, v[3:4], off offset:640
	global_load_u16 v12, v[5:6], off offset:640
	s_waitcnt vmcnt(1)
	v_cvt_f32_f16_e32 v9, v8
	s_waitcnt vmcnt(0)
	v_cvt_f32_f16_e32 v15, v12
.LBB270_12:
	s_or_b32 exec_lo, exec_lo, s0
	v_or_b32_e32 v8, 0x180, v2
	v_mov_b32_e32 v12, 0
	v_mov_b32_e32 v16, 0
	s_delay_alu instid0(VALU_DEP_3) | instskip(SKIP_2) | instid1(SALU_CYCLE_1)
	v_cmp_gt_i32_e32 vcc_lo, s18, v8
	v_mov_b32_e32 v8, 0
	s_and_b32 s10, s7, vcc_lo
	s_and_saveexec_b32 s0, s10
	s_cbranch_execz .LBB270_14
; %bb.13:
	global_load_u16 v12, v[3:4], off offset:768
	global_load_u16 v16, v[5:6], off offset:768
	s_waitcnt vmcnt(1)
	v_cvt_f32_f16_e32 v12, v12
	s_waitcnt vmcnt(0)
	v_cvt_f32_f16_e32 v16, v16
.LBB270_14:
	s_or_b32 exec_lo, exec_lo, s0
	v_or_b32_e32 v2, 0x1c0, v2
	s_delay_alu instid0(VALU_DEP_1) | instskip(SKIP_1) | instid1(VALU_DEP_2)
	v_cmp_gt_i32_e64 s0, s18, v2
	v_mov_b32_e32 v2, 0
	s_and_b32 s10, s7, s0
	s_delay_alu instid0(SALU_CYCLE_1)
	s_and_saveexec_b32 s7, s10
	s_cbranch_execz .LBB270_16
; %bb.15:
	global_load_u16 v2, v[3:4], off offset:896
	global_load_u16 v3, v[5:6], off offset:896
	s_waitcnt vmcnt(1)
	v_cvt_f32_f16_e32 v8, v2
	s_waitcnt vmcnt(0)
	v_cvt_f32_f16_e32 v2, v3
.LBB270_16:
	s_or_b32 exec_lo, exec_lo, s7
	v_mbcnt_lo_u32_b32 v4, -1, 0
	s_mov_b32 s10, exec_lo
	s_delay_alu instid0(VALU_DEP_1) | instskip(SKIP_1) | instid1(VALU_DEP_2)
	v_or_b32_e32 v5, 32, v4
	v_xor_b32_e32 v6, 16, v4
	v_cmp_gt_i32_e64 s7, 64, v5
	s_delay_alu instid0(VALU_DEP_1) | instskip(NEXT) | instid1(VALU_DEP_3)
	v_cndmask_b32_e64 v5, v4, v5, s7
	v_cmp_gt_i32_e64 s7, 64, v6
	s_delay_alu instid0(VALU_DEP_2) | instskip(NEXT) | instid1(VALU_DEP_2)
	v_lshlrev_b32_e32 v5, 2, v5
	v_cndmask_b32_e64 v6, v4, v6, s7
	s_delay_alu instid0(VALU_DEP_1) | instskip(NEXT) | instid1(VALU_DEP_1)
	v_dual_add_f32 v3, 0, v11 :: v_dual_lshlrev_b32 v6, 2, v6
	v_add_f32_e32 v3, v3, v7
	s_delay_alu instid0(VALU_DEP_1) | instskip(NEXT) | instid1(VALU_DEP_1)
	v_add_f32_e32 v3, v3, v14
	v_add_f32_e32 v3, v3, v10
	s_delay_alu instid0(VALU_DEP_1) | instskip(NEXT) | instid1(VALU_DEP_1)
	v_add_f32_e32 v3, v3, v13
	;; [unrolled: 3-line block ×3, first 2 shown]
	v_add_f32_e32 v3, v3, v8
	ds_bpermute_b32 v5, v5, v3
	s_waitcnt lgkmcnt(0)
	v_add_f32_e32 v3, v3, v5
	ds_bpermute_b32 v5, v6, v3
	v_xor_b32_e32 v6, 8, v4
	s_delay_alu instid0(VALU_DEP_1) | instskip(NEXT) | instid1(VALU_DEP_1)
	v_cmp_gt_i32_e64 s7, 64, v6
	v_cndmask_b32_e64 v6, v4, v6, s7
	s_waitcnt lgkmcnt(0)
	s_delay_alu instid0(VALU_DEP_1) | instskip(SKIP_2) | instid1(VALU_DEP_1)
	v_dual_add_f32 v3, v3, v5 :: v_dual_lshlrev_b32 v6, 2, v6
	ds_bpermute_b32 v5, v6, v3
	v_xor_b32_e32 v6, 4, v4
	v_cmp_gt_i32_e64 s7, 64, v6
	s_delay_alu instid0(VALU_DEP_1) | instskip(SKIP_1) | instid1(VALU_DEP_1)
	v_cndmask_b32_e64 v6, v4, v6, s7
	s_waitcnt lgkmcnt(0)
	v_dual_add_f32 v3, v3, v5 :: v_dual_lshlrev_b32 v6, 2, v6
	ds_bpermute_b32 v5, v6, v3
	v_xor_b32_e32 v6, 2, v4
	s_delay_alu instid0(VALU_DEP_1) | instskip(NEXT) | instid1(VALU_DEP_1)
	v_cmp_gt_i32_e64 s7, 64, v6
	v_cndmask_b32_e64 v6, v4, v6, s7
	s_waitcnt lgkmcnt(0)
	s_delay_alu instid0(VALU_DEP_1) | instskip(SKIP_2) | instid1(VALU_DEP_1)
	v_dual_add_f32 v3, v3, v5 :: v_dual_lshlrev_b32 v6, 2, v6
	ds_bpermute_b32 v5, v6, v3
	v_xor_b32_e32 v6, 1, v4
	v_cmp_gt_i32_e64 s7, 64, v6
	s_delay_alu instid0(VALU_DEP_1) | instskip(SKIP_1) | instid1(VALU_DEP_1)
	v_cndmask_b32_e64 v4, v4, v6, s7
	s_waitcnt lgkmcnt(0)
	v_dual_add_f32 v3, v3, v5 :: v_dual_lshlrev_b32 v4, 2, v4
	ds_bpermute_b32 v4, v4, v3
	v_cmpx_lt_i32_e32 0, v22
	s_cbranch_execz .LBB270_26
; %bb.17:
	v_add_co_u32 v0, s7, s8, v0
	s_delay_alu instid0(VALU_DEP_1)
	v_add_co_ci_u32_e64 v1, s7, s9, v1, s7
	s_waitcnt lgkmcnt(0)
	v_add_f32_e32 v3, v3, v4
	s_and_saveexec_b32 s7, s3
	s_cbranch_execnz .LBB270_27
; %bb.18:
	s_or_b32 exec_lo, exec_lo, s7
	s_and_saveexec_b32 s7, s6
	s_cbranch_execnz .LBB270_28
.LBB270_19:
	s_or_b32 exec_lo, exec_lo, s7
	s_and_saveexec_b32 s6, s4
	s_cbranch_execnz .LBB270_29
.LBB270_20:
	s_or_b32 exec_lo, exec_lo, s6
	s_and_saveexec_b32 s4, s5
	s_cbranch_execnz .LBB270_30
.LBB270_21:
	s_or_b32 exec_lo, exec_lo, s4
	s_and_saveexec_b32 s3, s1
	s_cbranch_execnz .LBB270_31
.LBB270_22:
	s_or_b32 exec_lo, exec_lo, s3
	s_and_saveexec_b32 s3, s2
	s_cbranch_execnz .LBB270_32
.LBB270_23:
	s_or_b32 exec_lo, exec_lo, s3
	s_and_saveexec_b32 s1, vcc_lo
	s_cbranch_execnz .LBB270_33
.LBB270_24:
	s_or_b32 exec_lo, exec_lo, s1
	s_delay_alu instid0(SALU_CYCLE_1)
	s_and_b32 exec_lo, exec_lo, s0
	s_cbranch_execz .LBB270_26
.LBB270_25:
	v_mul_f32_e32 v4, 0x3fb8aa3b, v2
	v_cmp_ngt_f32_e32 vcc_lo, 0xc2ce8ed0, v2
	s_delay_alu instid0(VALU_DEP_2) | instskip(SKIP_1) | instid1(VALU_DEP_2)
	v_rndne_f32_e32 v5, v4
	v_fma_f32 v6, 0x3fb8aa3b, v2, -v4
	v_sub_f32_e32 v4, v4, v5
	s_delay_alu instid0(VALU_DEP_2) | instskip(SKIP_1) | instid1(VALU_DEP_2)
	v_fmamk_f32 v6, v2, 0x32a5705f, v6
	v_cvt_i32_f32_e32 v5, v5
	v_add_f32_e32 v4, v4, v6
	s_delay_alu instid0(VALU_DEP_1) | instskip(SKIP_2) | instid1(VALU_DEP_1)
	v_exp_f32_e32 v4, v4
	s_waitcnt_depctr 0xfff
	v_ldexp_f32 v4, v4, v5
	v_cndmask_b32_e32 v4, 0, v4, vcc_lo
	v_cmp_nlt_f32_e32 vcc_lo, 0x42b17218, v2
	s_delay_alu instid0(VALU_DEP_2) | instskip(NEXT) | instid1(VALU_DEP_1)
	v_cndmask_b32_e32 v2, 0x7f800000, v4, vcc_lo
	v_fma_mixlo_f16 v2, -v3, v2, v8
	global_store_b16 v[0:1], v2, off offset:896
.LBB270_26:
	s_nop 0
	s_sendmsg sendmsg(MSG_DEALLOC_VGPRS)
	s_endpgm
.LBB270_27:
	v_mul_f32_e32 v4, 0x3fb8aa3b, v21
	v_cmp_ngt_f32_e64 s3, 0xc2ce8ed0, v21
	s_delay_alu instid0(VALU_DEP_2) | instskip(SKIP_1) | instid1(VALU_DEP_2)
	v_rndne_f32_e32 v5, v4
	v_fma_f32 v6, 0x3fb8aa3b, v21, -v4
	v_sub_f32_e32 v4, v4, v5
	s_delay_alu instid0(VALU_DEP_2) | instskip(SKIP_1) | instid1(VALU_DEP_2)
	v_fmamk_f32 v6, v21, 0x32a5705f, v6
	v_cvt_i32_f32_e32 v5, v5
	v_add_f32_e32 v4, v4, v6
	s_delay_alu instid0(VALU_DEP_1) | instskip(SKIP_2) | instid1(VALU_DEP_1)
	v_exp_f32_e32 v4, v4
	s_waitcnt_depctr 0xfff
	v_ldexp_f32 v4, v4, v5
	v_cndmask_b32_e64 v4, 0, v4, s3
	v_cmp_nlt_f32_e64 s3, 0x42b17218, v21
	s_delay_alu instid0(VALU_DEP_1) | instskip(NEXT) | instid1(VALU_DEP_1)
	v_cndmask_b32_e64 v4, 0x7f800000, v4, s3
	v_fma_mixlo_f16 v4, -v3, v4, v11
	global_store_b16 v[0:1], v4, off
	s_or_b32 exec_lo, exec_lo, s7
	s_and_saveexec_b32 s7, s6
	s_cbranch_execz .LBB270_19
.LBB270_28:
	v_mul_f32_e32 v4, 0x3fb8aa3b, v19
	v_cmp_ngt_f32_e64 s3, 0xc2ce8ed0, v19
	s_delay_alu instid0(VALU_DEP_2) | instskip(SKIP_1) | instid1(VALU_DEP_2)
	v_rndne_f32_e32 v5, v4
	v_fma_f32 v6, 0x3fb8aa3b, v19, -v4
	v_sub_f32_e32 v4, v4, v5
	s_delay_alu instid0(VALU_DEP_2) | instskip(SKIP_1) | instid1(VALU_DEP_2)
	v_fmamk_f32 v6, v19, 0x32a5705f, v6
	v_cvt_i32_f32_e32 v5, v5
	v_add_f32_e32 v4, v4, v6
	s_delay_alu instid0(VALU_DEP_1) | instskip(SKIP_2) | instid1(VALU_DEP_1)
	v_exp_f32_e32 v4, v4
	s_waitcnt_depctr 0xfff
	v_ldexp_f32 v4, v4, v5
	v_cndmask_b32_e64 v4, 0, v4, s3
	v_cmp_nlt_f32_e64 s3, 0x42b17218, v19
	s_delay_alu instid0(VALU_DEP_1) | instskip(NEXT) | instid1(VALU_DEP_1)
	v_cndmask_b32_e64 v4, 0x7f800000, v4, s3
	v_fma_mixlo_f16 v4, -v3, v4, v7
	global_store_b16 v[0:1], v4, off offset:128
	s_or_b32 exec_lo, exec_lo, s7
	s_and_saveexec_b32 s6, s4
	s_cbranch_execz .LBB270_20
.LBB270_29:
	v_mul_f32_e32 v4, 0x3fb8aa3b, v20
	v_cmp_ngt_f32_e64 s3, 0xc2ce8ed0, v20
	s_delay_alu instid0(VALU_DEP_2) | instskip(SKIP_1) | instid1(VALU_DEP_2)
	v_rndne_f32_e32 v5, v4
	v_fma_f32 v6, 0x3fb8aa3b, v20, -v4
	v_sub_f32_e32 v4, v4, v5
	s_delay_alu instid0(VALU_DEP_2) | instskip(SKIP_1) | instid1(VALU_DEP_2)
	v_fmamk_f32 v6, v20, 0x32a5705f, v6
	v_cvt_i32_f32_e32 v5, v5
	v_add_f32_e32 v4, v4, v6
	s_delay_alu instid0(VALU_DEP_1) | instskip(SKIP_2) | instid1(VALU_DEP_1)
	v_exp_f32_e32 v4, v4
	s_waitcnt_depctr 0xfff
	v_ldexp_f32 v4, v4, v5
	v_cndmask_b32_e64 v4, 0, v4, s3
	v_cmp_nlt_f32_e64 s3, 0x42b17218, v20
	s_delay_alu instid0(VALU_DEP_1) | instskip(NEXT) | instid1(VALU_DEP_1)
	v_cndmask_b32_e64 v4, 0x7f800000, v4, s3
	v_fma_mixlo_f16 v4, -v3, v4, v14
	global_store_b16 v[0:1], v4, off offset:256
	s_or_b32 exec_lo, exec_lo, s6
	s_and_saveexec_b32 s4, s5
	s_cbranch_execz .LBB270_21
.LBB270_30:
	v_mul_f32_e32 v4, 0x3fb8aa3b, v17
	v_cmp_ngt_f32_e64 s3, 0xc2ce8ed0, v17
	s_delay_alu instid0(VALU_DEP_2) | instskip(SKIP_1) | instid1(VALU_DEP_2)
	v_rndne_f32_e32 v5, v4
	v_fma_f32 v6, 0x3fb8aa3b, v17, -v4
	v_sub_f32_e32 v4, v4, v5
	s_delay_alu instid0(VALU_DEP_2) | instskip(SKIP_1) | instid1(VALU_DEP_2)
	v_fmamk_f32 v6, v17, 0x32a5705f, v6
	v_cvt_i32_f32_e32 v5, v5
	v_add_f32_e32 v4, v4, v6
	s_delay_alu instid0(VALU_DEP_1) | instskip(SKIP_2) | instid1(VALU_DEP_1)
	v_exp_f32_e32 v4, v4
	s_waitcnt_depctr 0xfff
	v_ldexp_f32 v4, v4, v5
	v_cndmask_b32_e64 v4, 0, v4, s3
	v_cmp_nlt_f32_e64 s3, 0x42b17218, v17
	s_delay_alu instid0(VALU_DEP_1) | instskip(NEXT) | instid1(VALU_DEP_1)
	v_cndmask_b32_e64 v4, 0x7f800000, v4, s3
	v_fma_mixlo_f16 v4, -v3, v4, v10
	global_store_b16 v[0:1], v4, off offset:384
	s_or_b32 exec_lo, exec_lo, s4
	s_and_saveexec_b32 s3, s1
	s_cbranch_execz .LBB270_22
.LBB270_31:
	v_mul_f32_e32 v4, 0x3fb8aa3b, v18
	v_cmp_ngt_f32_e64 s1, 0xc2ce8ed0, v18
	s_delay_alu instid0(VALU_DEP_2) | instskip(SKIP_1) | instid1(VALU_DEP_2)
	v_rndne_f32_e32 v5, v4
	v_fma_f32 v6, 0x3fb8aa3b, v18, -v4
	v_sub_f32_e32 v4, v4, v5
	s_delay_alu instid0(VALU_DEP_2) | instskip(SKIP_1) | instid1(VALU_DEP_2)
	v_fmamk_f32 v6, v18, 0x32a5705f, v6
	v_cvt_i32_f32_e32 v5, v5
	v_add_f32_e32 v4, v4, v6
	s_delay_alu instid0(VALU_DEP_1) | instskip(SKIP_2) | instid1(VALU_DEP_1)
	v_exp_f32_e32 v4, v4
	s_waitcnt_depctr 0xfff
	v_ldexp_f32 v4, v4, v5
	v_cndmask_b32_e64 v4, 0, v4, s1
	v_cmp_nlt_f32_e64 s1, 0x42b17218, v18
	s_delay_alu instid0(VALU_DEP_1) | instskip(NEXT) | instid1(VALU_DEP_1)
	v_cndmask_b32_e64 v4, 0x7f800000, v4, s1
	v_fma_mixlo_f16 v4, -v3, v4, v13
	global_store_b16 v[0:1], v4, off offset:512
	s_or_b32 exec_lo, exec_lo, s3
	s_and_saveexec_b32 s3, s2
	s_cbranch_execz .LBB270_23
.LBB270_32:
	v_mul_f32_e32 v4, 0x3fb8aa3b, v15
	v_cmp_ngt_f32_e64 s1, 0xc2ce8ed0, v15
	s_delay_alu instid0(VALU_DEP_2) | instskip(SKIP_1) | instid1(VALU_DEP_2)
	v_rndne_f32_e32 v5, v4
	v_fma_f32 v6, 0x3fb8aa3b, v15, -v4
	v_sub_f32_e32 v4, v4, v5
	s_delay_alu instid0(VALU_DEP_2) | instskip(SKIP_1) | instid1(VALU_DEP_2)
	v_fmamk_f32 v6, v15, 0x32a5705f, v6
	v_cvt_i32_f32_e32 v5, v5
	v_add_f32_e32 v4, v4, v6
	s_delay_alu instid0(VALU_DEP_1) | instskip(SKIP_2) | instid1(VALU_DEP_1)
	v_exp_f32_e32 v4, v4
	s_waitcnt_depctr 0xfff
	v_ldexp_f32 v4, v4, v5
	v_cndmask_b32_e64 v4, 0, v4, s1
	v_cmp_nlt_f32_e64 s1, 0x42b17218, v15
	s_delay_alu instid0(VALU_DEP_1) | instskip(NEXT) | instid1(VALU_DEP_1)
	v_cndmask_b32_e64 v4, 0x7f800000, v4, s1
	v_fma_mixlo_f16 v4, -v3, v4, v9
	global_store_b16 v[0:1], v4, off offset:640
	s_or_b32 exec_lo, exec_lo, s3
	s_and_saveexec_b32 s1, vcc_lo
	s_cbranch_execz .LBB270_24
.LBB270_33:
	v_mul_f32_e32 v4, 0x3fb8aa3b, v16
	v_cmp_ngt_f32_e32 vcc_lo, 0xc2ce8ed0, v16
	s_delay_alu instid0(VALU_DEP_2) | instskip(SKIP_1) | instid1(VALU_DEP_2)
	v_rndne_f32_e32 v5, v4
	v_fma_f32 v6, 0x3fb8aa3b, v16, -v4
	v_sub_f32_e32 v4, v4, v5
	s_delay_alu instid0(VALU_DEP_2) | instskip(SKIP_1) | instid1(VALU_DEP_2)
	v_fmamk_f32 v6, v16, 0x32a5705f, v6
	v_cvt_i32_f32_e32 v5, v5
	v_add_f32_e32 v4, v4, v6
	s_delay_alu instid0(VALU_DEP_1) | instskip(SKIP_2) | instid1(VALU_DEP_1)
	v_exp_f32_e32 v4, v4
	s_waitcnt_depctr 0xfff
	v_ldexp_f32 v4, v4, v5
	v_cndmask_b32_e32 v4, 0, v4, vcc_lo
	v_cmp_nlt_f32_e32 vcc_lo, 0x42b17218, v16
	s_delay_alu instid0(VALU_DEP_2) | instskip(NEXT) | instid1(VALU_DEP_1)
	v_cndmask_b32_e32 v4, 0x7f800000, v4, vcc_lo
	v_fma_mixlo_f16 v4, -v3, v4, v12
	global_store_b16 v[0:1], v4, off offset:768
	s_or_b32 exec_lo, exec_lo, s1
	s_delay_alu instid0(SALU_CYCLE_1)
	s_and_b32 exec_lo, exec_lo, s0
	s_cbranch_execnz .LBB270_25
	s_branch .LBB270_26
	.section	.rodata,"a",@progbits
	.p2align	6, 0x0
	.amdhsa_kernel _ZN12_GLOBAL__N_121softmax_warp_backwardIN3c104HalfES2_fLi9ELb1ELb0ELi64EEEvPT0_PKT_S7_iiiPKb
		.amdhsa_group_segment_fixed_size 0
		.amdhsa_private_segment_fixed_size 0
		.amdhsa_kernarg_size 304
		.amdhsa_user_sgpr_count 15
		.amdhsa_user_sgpr_dispatch_ptr 0
		.amdhsa_user_sgpr_queue_ptr 0
		.amdhsa_user_sgpr_kernarg_segment_ptr 1
		.amdhsa_user_sgpr_dispatch_id 0
		.amdhsa_user_sgpr_private_segment_size 0
		.amdhsa_wavefront_size32 1
		.amdhsa_uses_dynamic_stack 0
		.amdhsa_enable_private_segment 0
		.amdhsa_system_sgpr_workgroup_id_x 1
		.amdhsa_system_sgpr_workgroup_id_y 0
		.amdhsa_system_sgpr_workgroup_id_z 0
		.amdhsa_system_sgpr_workgroup_info 0
		.amdhsa_system_vgpr_workitem_id 1
		.amdhsa_next_free_vgpr 23
		.amdhsa_next_free_sgpr 20
		.amdhsa_reserve_vcc 1
		.amdhsa_float_round_mode_32 0
		.amdhsa_float_round_mode_16_64 0
		.amdhsa_float_denorm_mode_32 3
		.amdhsa_float_denorm_mode_16_64 3
		.amdhsa_dx10_clamp 1
		.amdhsa_ieee_mode 1
		.amdhsa_fp16_overflow 0
		.amdhsa_workgroup_processor_mode 1
		.amdhsa_memory_ordered 1
		.amdhsa_forward_progress 0
		.amdhsa_shared_vgpr_count 0
		.amdhsa_exception_fp_ieee_invalid_op 0
		.amdhsa_exception_fp_denorm_src 0
		.amdhsa_exception_fp_ieee_div_zero 0
		.amdhsa_exception_fp_ieee_overflow 0
		.amdhsa_exception_fp_ieee_underflow 0
		.amdhsa_exception_fp_ieee_inexact 0
		.amdhsa_exception_int_div_zero 0
	.end_amdhsa_kernel
	.section	.text._ZN12_GLOBAL__N_121softmax_warp_backwardIN3c104HalfES2_fLi9ELb1ELb0ELi64EEEvPT0_PKT_S7_iiiPKb,"axG",@progbits,_ZN12_GLOBAL__N_121softmax_warp_backwardIN3c104HalfES2_fLi9ELb1ELb0ELi64EEEvPT0_PKT_S7_iiiPKb,comdat
.Lfunc_end270:
	.size	_ZN12_GLOBAL__N_121softmax_warp_backwardIN3c104HalfES2_fLi9ELb1ELb0ELi64EEEvPT0_PKT_S7_iiiPKb, .Lfunc_end270-_ZN12_GLOBAL__N_121softmax_warp_backwardIN3c104HalfES2_fLi9ELb1ELb0ELi64EEEvPT0_PKT_S7_iiiPKb
                                        ; -- End function
	.section	.AMDGPU.csdata,"",@progbits
; Kernel info:
; codeLenInByte = 2376
; NumSgprs: 22
; NumVgprs: 23
; ScratchSize: 0
; MemoryBound: 0
; FloatMode: 240
; IeeeMode: 1
; LDSByteSize: 0 bytes/workgroup (compile time only)
; SGPRBlocks: 2
; VGPRBlocks: 2
; NumSGPRsForWavesPerEU: 22
; NumVGPRsForWavesPerEU: 23
; Occupancy: 16
; WaveLimiterHint : 0
; COMPUTE_PGM_RSRC2:SCRATCH_EN: 0
; COMPUTE_PGM_RSRC2:USER_SGPR: 15
; COMPUTE_PGM_RSRC2:TRAP_HANDLER: 0
; COMPUTE_PGM_RSRC2:TGID_X_EN: 1
; COMPUTE_PGM_RSRC2:TGID_Y_EN: 0
; COMPUTE_PGM_RSRC2:TGID_Z_EN: 0
; COMPUTE_PGM_RSRC2:TIDIG_COMP_CNT: 1
	.section	.text._ZN12_GLOBAL__N_121softmax_warp_backwardIN3c104HalfES2_fLi9ELb1ELb0ELi32EEEvPT0_PKT_S7_iiiPKb,"axG",@progbits,_ZN12_GLOBAL__N_121softmax_warp_backwardIN3c104HalfES2_fLi9ELb1ELb0ELi32EEEvPT0_PKT_S7_iiiPKb,comdat
	.globl	_ZN12_GLOBAL__N_121softmax_warp_backwardIN3c104HalfES2_fLi9ELb1ELb0ELi32EEEvPT0_PKT_S7_iiiPKb ; -- Begin function _ZN12_GLOBAL__N_121softmax_warp_backwardIN3c104HalfES2_fLi9ELb1ELb0ELi32EEEvPT0_PKT_S7_iiiPKb
	.p2align	8
	.type	_ZN12_GLOBAL__N_121softmax_warp_backwardIN3c104HalfES2_fLi9ELb1ELb0ELi32EEEvPT0_PKT_S7_iiiPKb,@function
_ZN12_GLOBAL__N_121softmax_warp_backwardIN3c104HalfES2_fLi9ELb1ELb0ELi32EEEvPT0_PKT_S7_iiiPKb: ; @_ZN12_GLOBAL__N_121softmax_warp_backwardIN3c104HalfES2_fLi9ELb1ELb0ELi32EEEvPT0_PKT_S7_iiiPKb
; %bb.0:
	s_clause 0x1
	s_load_b32 s2, s[0:1], 0x3c
	s_load_b128 s[20:23], s[0:1], 0x18
	v_bfe_u32 v1, v0, 10, 10
	s_clause 0x1
	s_load_b128 s[16:19], s[0:1], 0x0
	s_load_b64 s[0:1], s[0:1], 0x10
	v_dual_mov_b32 v8, 0 :: v_dual_mov_b32 v37, 0
	v_mov_b32_e32 v17, 0
	s_waitcnt lgkmcnt(0)
	s_lshr_b32 s2, s2, 16
	s_delay_alu instid0(SALU_CYCLE_1) | instskip(SKIP_1) | instid1(VALU_DEP_1)
	v_mad_u64_u32 v[3:4], null, s15, s2, v[1:2]
	v_and_b32_e32 v2, 31, v0
	v_cmp_gt_i32_e64 s11, s22, v2
	s_delay_alu instid0(VALU_DEP_3) | instskip(SKIP_1) | instid1(VALU_DEP_1)
	v_mad_u64_u32 v[0:1], null, v3, s21, v[2:3]
	v_sub_nc_u32_e32 v38, s20, v3
	v_cmp_lt_i32_e64 s15, 0, v38
	s_delay_alu instid0(VALU_DEP_3) | instskip(NEXT) | instid1(VALU_DEP_1)
	v_ashrrev_i32_e32 v1, 31, v0
	v_lshlrev_b64 v[0:1], 1, v[0:1]
	s_delay_alu instid0(VALU_DEP_1) | instskip(NEXT) | instid1(VALU_DEP_2)
	v_add_co_u32 v3, vcc_lo, s18, v0
	v_add_co_ci_u32_e32 v4, vcc_lo, s19, v1, vcc_lo
	v_add_co_u32 v5, vcc_lo, s0, v0
	v_add_co_ci_u32_e32 v6, vcc_lo, s1, v1, vcc_lo
	s_and_b32 s1, s15, s11
	s_delay_alu instid0(SALU_CYCLE_1)
	s_and_saveexec_b32 s0, s1
	s_cbranch_execz .LBB271_2
; %bb.1:
	global_load_u16 v7, v[3:4], off
	global_load_u16 v9, v[5:6], off
	s_waitcnt vmcnt(1)
	v_cvt_f32_f16_e32 v17, v7
	s_waitcnt vmcnt(0)
	v_cvt_f32_f16_e32 v37, v9
.LBB271_2:
	s_or_b32 exec_lo, exec_lo, s0
	v_or_b32_e32 v7, 32, v2
	v_mov_b32_e32 v35, 0
	s_delay_alu instid0(VALU_DEP_2) | instskip(NEXT) | instid1(VALU_DEP_1)
	v_cmp_gt_i32_e64 s14, s22, v7
	s_and_b32 s1, s15, s14
	s_delay_alu instid0(SALU_CYCLE_1)
	s_and_saveexec_b32 s0, s1
	s_cbranch_execz .LBB271_4
; %bb.3:
	global_load_u16 v7, v[3:4], off offset:64
	global_load_u16 v9, v[5:6], off offset:64
	s_waitcnt vmcnt(1)
	v_cvt_f32_f16_e32 v8, v7
	s_waitcnt vmcnt(0)
	v_cvt_f32_f16_e32 v35, v9
.LBB271_4:
	s_or_b32 exec_lo, exec_lo, s0
	v_or_b32_e32 v7, 64, v2
	v_mov_b32_e32 v14, 0
	v_mov_b32_e32 v26, 0
	;; [unrolled: 1-line block ×3, first 2 shown]
	s_delay_alu instid0(VALU_DEP_4) | instskip(NEXT) | instid1(VALU_DEP_1)
	v_cmp_gt_i32_e64 s12, s22, v7
	s_and_b32 s1, s15, s12
	s_delay_alu instid0(SALU_CYCLE_1)
	s_and_saveexec_b32 s0, s1
	s_cbranch_execz .LBB271_6
; %bb.5:
	global_load_u16 v7, v[3:4], off offset:128
	global_load_u16 v9, v[5:6], off offset:128
	s_waitcnt vmcnt(1)
	v_cvt_f32_f16_e32 v26, v7
	s_waitcnt vmcnt(0)
	v_cvt_f32_f16_e32 v36, v9
.LBB271_6:
	s_or_b32 exec_lo, exec_lo, s0
	v_or_b32_e32 v7, 0x60, v2
	v_mov_b32_e32 v33, 0
	s_delay_alu instid0(VALU_DEP_2) | instskip(NEXT) | instid1(VALU_DEP_1)
	v_cmp_gt_i32_e64 s13, s22, v7
	s_and_b32 s1, s15, s13
	s_delay_alu instid0(SALU_CYCLE_1)
	s_and_saveexec_b32 s0, s1
	s_cbranch_execz .LBB271_8
; %bb.7:
	global_load_u16 v7, v[3:4], off offset:192
	global_load_u16 v9, v[5:6], off offset:192
	s_waitcnt vmcnt(1)
	v_cvt_f32_f16_e32 v14, v7
	s_waitcnt vmcnt(0)
	v_cvt_f32_f16_e32 v33, v9
.LBB271_8:
	s_or_b32 exec_lo, exec_lo, s0
	v_or_b32_e32 v7, 0x80, v2
	v_dual_mov_b32 v13, 0 :: v_dual_mov_b32 v34, 0
	v_mov_b32_e32 v23, 0
	s_delay_alu instid0(VALU_DEP_3) | instskip(NEXT) | instid1(VALU_DEP_1)
	v_cmp_gt_i32_e64 s9, s22, v7
	s_and_b32 s1, s15, s9
	s_delay_alu instid0(SALU_CYCLE_1)
	s_and_saveexec_b32 s0, s1
	s_cbranch_execz .LBB271_10
; %bb.9:
	global_load_u16 v7, v[3:4], off offset:256
	global_load_u16 v9, v[5:6], off offset:256
	s_waitcnt vmcnt(1)
	v_cvt_f32_f16_e32 v23, v7
	s_waitcnt vmcnt(0)
	v_cvt_f32_f16_e32 v34, v9
.LBB271_10:
	s_or_b32 exec_lo, exec_lo, s0
	v_or_b32_e32 v7, 0xa0, v2
	v_mov_b32_e32 v31, 0
	s_delay_alu instid0(VALU_DEP_2) | instskip(NEXT) | instid1(VALU_DEP_1)
	v_cmp_gt_i32_e64 s10, s22, v7
	s_and_b32 s1, s15, s10
	s_delay_alu instid0(SALU_CYCLE_1)
	s_and_saveexec_b32 s0, s1
	s_cbranch_execz .LBB271_12
; %bb.11:
	global_load_u16 v7, v[3:4], off offset:320
	global_load_u16 v9, v[5:6], off offset:320
	s_waitcnt vmcnt(1)
	v_cvt_f32_f16_e32 v13, v7
	s_waitcnt vmcnt(0)
	v_cvt_f32_f16_e32 v31, v9
.LBB271_12:
	s_or_b32 exec_lo, exec_lo, s0
	v_or_b32_e32 v7, 0xc0, v2
	v_mov_b32_e32 v12, 0
	v_mov_b32_e32 v20, 0
	;; [unrolled: 1-line block ×3, first 2 shown]
	s_delay_alu instid0(VALU_DEP_4) | instskip(NEXT) | instid1(VALU_DEP_1)
	v_cmp_gt_i32_e64 s7, s22, v7
	s_and_b32 s1, s15, s7
	s_delay_alu instid0(SALU_CYCLE_1)
	s_and_saveexec_b32 s0, s1
	s_cbranch_execz .LBB271_14
; %bb.13:
	global_load_u16 v7, v[3:4], off offset:384
	global_load_u16 v9, v[5:6], off offset:384
	s_waitcnt vmcnt(1)
	v_cvt_f32_f16_e32 v20, v7
	s_waitcnt vmcnt(0)
	v_cvt_f32_f16_e32 v32, v9
.LBB271_14:
	s_or_b32 exec_lo, exec_lo, s0
	v_or_b32_e32 v7, 0xe0, v2
	v_mov_b32_e32 v29, 0
	s_delay_alu instid0(VALU_DEP_2) | instskip(NEXT) | instid1(VALU_DEP_1)
	v_cmp_gt_i32_e64 s8, s22, v7
	s_and_b32 s1, s15, s8
	s_delay_alu instid0(SALU_CYCLE_1)
	s_and_saveexec_b32 s0, s1
	s_cbranch_execz .LBB271_16
; %bb.15:
	global_load_u16 v7, v[3:4], off offset:448
	global_load_u16 v9, v[5:6], off offset:448
	s_waitcnt vmcnt(1)
	v_cvt_f32_f16_e32 v12, v7
	s_waitcnt vmcnt(0)
	v_cvt_f32_f16_e32 v29, v9
.LBB271_16:
	s_or_b32 exec_lo, exec_lo, s0
	v_or_b32_e32 v7, 0x100, v2
	v_dual_mov_b32 v11, 0 :: v_dual_mov_b32 v30, 0
	v_mov_b32_e32 v19, 0
	s_delay_alu instid0(VALU_DEP_3) | instskip(NEXT) | instid1(VALU_DEP_1)
	v_cmp_gt_i32_e64 s5, s22, v7
	s_and_b32 s1, s15, s5
	s_delay_alu instid0(SALU_CYCLE_1)
	s_and_saveexec_b32 s0, s1
	s_cbranch_execz .LBB271_18
; %bb.17:
	global_load_u16 v7, v[3:4], off offset:512
	global_load_u16 v9, v[5:6], off offset:512
	s_waitcnt vmcnt(1)
	v_cvt_f32_f16_e32 v19, v7
	s_waitcnt vmcnt(0)
	v_cvt_f32_f16_e32 v30, v9
.LBB271_18:
	s_or_b32 exec_lo, exec_lo, s0
	v_or_b32_e32 v7, 0x120, v2
	v_mov_b32_e32 v27, 0
	s_delay_alu instid0(VALU_DEP_2) | instskip(NEXT) | instid1(VALU_DEP_1)
	v_cmp_gt_i32_e64 s6, s22, v7
	s_and_b32 s1, s15, s6
	s_delay_alu instid0(SALU_CYCLE_1)
	s_and_saveexec_b32 s0, s1
	s_cbranch_execz .LBB271_20
; %bb.19:
	global_load_u16 v7, v[3:4], off offset:576
	global_load_u16 v9, v[5:6], off offset:576
	s_waitcnt vmcnt(1)
	v_cvt_f32_f16_e32 v11, v7
	s_waitcnt vmcnt(0)
	v_cvt_f32_f16_e32 v27, v9
.LBB271_20:
	s_or_b32 exec_lo, exec_lo, s0
	v_or_b32_e32 v7, 0x140, v2
	v_mov_b32_e32 v10, 0
	v_mov_b32_e32 v18, 0
	;; [unrolled: 1-line block ×3, first 2 shown]
	s_delay_alu instid0(VALU_DEP_4) | instskip(NEXT) | instid1(VALU_DEP_1)
	v_cmp_gt_i32_e64 s3, s22, v7
	s_and_b32 s1, s15, s3
	s_delay_alu instid0(SALU_CYCLE_1)
	s_and_saveexec_b32 s0, s1
	s_cbranch_execz .LBB271_22
; %bb.21:
	global_load_u16 v7, v[3:4], off offset:640
	global_load_u16 v9, v[5:6], off offset:640
	s_waitcnt vmcnt(1)
	v_cvt_f32_f16_e32 v18, v7
	s_waitcnt vmcnt(0)
	v_cvt_f32_f16_e32 v28, v9
.LBB271_22:
	s_or_b32 exec_lo, exec_lo, s0
	v_or_b32_e32 v7, 0x160, v2
	v_mov_b32_e32 v24, 0
	s_delay_alu instid0(VALU_DEP_2) | instskip(NEXT) | instid1(VALU_DEP_1)
	v_cmp_gt_i32_e64 s4, s22, v7
	s_and_b32 s1, s15, s4
	s_delay_alu instid0(SALU_CYCLE_1)
	s_and_saveexec_b32 s0, s1
	s_cbranch_execz .LBB271_24
; %bb.23:
	global_load_u16 v7, v[3:4], off offset:704
	global_load_u16 v9, v[5:6], off offset:704
	s_waitcnt vmcnt(1)
	v_cvt_f32_f16_e32 v10, v7
	s_waitcnt vmcnt(0)
	v_cvt_f32_f16_e32 v24, v9
.LBB271_24:
	s_or_b32 exec_lo, exec_lo, s0
	v_or_b32_e32 v7, 0x180, v2
	v_dual_mov_b32 v9, 0 :: v_dual_mov_b32 v16, 0
	v_mov_b32_e32 v25, 0
	s_delay_alu instid0(VALU_DEP_3) | instskip(NEXT) | instid1(VALU_DEP_1)
	v_cmp_gt_i32_e64 s1, s22, v7
	s_and_b32 s2, s15, s1
	s_delay_alu instid0(SALU_CYCLE_1)
	s_and_saveexec_b32 s0, s2
	s_cbranch_execz .LBB271_26
; %bb.25:
	global_load_u16 v7, v[3:4], off offset:768
	global_load_u16 v15, v[5:6], off offset:768
	s_waitcnt vmcnt(1)
	v_cvt_f32_f16_e32 v16, v7
	s_waitcnt vmcnt(0)
	v_cvt_f32_f16_e32 v25, v15
.LBB271_26:
	s_or_b32 exec_lo, exec_lo, s0
	v_or_b32_e32 v7, 0x1a0, v2
	v_mov_b32_e32 v21, 0
	s_delay_alu instid0(VALU_DEP_2) | instskip(NEXT) | instid1(VALU_DEP_1)
	v_cmp_gt_i32_e64 s2, s22, v7
	s_and_b32 s18, s15, s2
	s_delay_alu instid0(SALU_CYCLE_1)
	s_and_saveexec_b32 s0, s18
	s_cbranch_execz .LBB271_28
; %bb.27:
	global_load_u16 v7, v[3:4], off offset:832
	global_load_u16 v15, v[5:6], off offset:832
	s_waitcnt vmcnt(1)
	v_cvt_f32_f16_e32 v9, v7
	s_waitcnt vmcnt(0)
	v_cvt_f32_f16_e32 v21, v15
.LBB271_28:
	s_or_b32 exec_lo, exec_lo, s0
	v_or_b32_e32 v7, 0x1c0, v2
	v_dual_mov_b32 v15, 0 :: v_dual_mov_b32 v22, 0
	s_delay_alu instid0(VALU_DEP_2) | instskip(SKIP_2) | instid1(SALU_CYCLE_1)
	v_cmp_gt_i32_e32 vcc_lo, s22, v7
	v_mov_b32_e32 v7, 0
	s_and_b32 s18, s15, vcc_lo
	s_and_saveexec_b32 s0, s18
	s_cbranch_execz .LBB271_30
; %bb.29:
	global_load_u16 v15, v[3:4], off offset:896
	global_load_u16 v22, v[5:6], off offset:896
	s_waitcnt vmcnt(1)
	v_cvt_f32_f16_e32 v15, v15
	s_waitcnt vmcnt(0)
	v_cvt_f32_f16_e32 v22, v22
.LBB271_30:
	s_or_b32 exec_lo, exec_lo, s0
	v_or_b32_e32 v2, 0x1e0, v2
	s_delay_alu instid0(VALU_DEP_1) | instskip(SKIP_1) | instid1(VALU_DEP_2)
	v_cmp_gt_i32_e64 s0, s22, v2
	v_mov_b32_e32 v2, 0
	s_and_b32 s18, s15, s0
	s_delay_alu instid0(SALU_CYCLE_1)
	s_and_saveexec_b32 s15, s18
	s_cbranch_execz .LBB271_32
; %bb.31:
	global_load_u16 v2, v[3:4], off offset:960
	global_load_u16 v3, v[5:6], off offset:960
	s_waitcnt vmcnt(1)
	v_cvt_f32_f16_e32 v7, v2
	s_waitcnt vmcnt(0)
	v_cvt_f32_f16_e32 v2, v3
.LBB271_32:
	s_or_b32 exec_lo, exec_lo, s15
	v_mbcnt_lo_u32_b32 v4, -1, 0
	s_mov_b32 s18, exec_lo
	s_delay_alu instid0(VALU_DEP_1) | instskip(SKIP_1) | instid1(VALU_DEP_2)
	v_xor_b32_e32 v5, 16, v4
	v_xor_b32_e32 v6, 8, v4
	v_cmp_gt_i32_e64 s15, 32, v5
	s_delay_alu instid0(VALU_DEP_1) | instskip(NEXT) | instid1(VALU_DEP_3)
	v_cndmask_b32_e64 v5, v4, v5, s15
	v_cmp_gt_i32_e64 s15, 32, v6
	s_delay_alu instid0(VALU_DEP_2) | instskip(NEXT) | instid1(VALU_DEP_2)
	v_lshlrev_b32_e32 v5, 2, v5
	v_cndmask_b32_e64 v6, v4, v6, s15
	s_delay_alu instid0(VALU_DEP_1) | instskip(NEXT) | instid1(VALU_DEP_1)
	v_dual_add_f32 v3, 0, v17 :: v_dual_lshlrev_b32 v6, 2, v6
	v_add_f32_e32 v3, v3, v8
	s_delay_alu instid0(VALU_DEP_1) | instskip(NEXT) | instid1(VALU_DEP_1)
	v_add_f32_e32 v3, v3, v26
	v_add_f32_e32 v3, v3, v14
	s_delay_alu instid0(VALU_DEP_1) | instskip(NEXT) | instid1(VALU_DEP_1)
	v_add_f32_e32 v3, v3, v23
	;; [unrolled: 3-line block ×7, first 2 shown]
	v_add_f32_e32 v3, v3, v7
	ds_bpermute_b32 v5, v5, v3
	s_waitcnt lgkmcnt(0)
	v_add_f32_e32 v3, v3, v5
	ds_bpermute_b32 v5, v6, v3
	v_xor_b32_e32 v6, 4, v4
	s_delay_alu instid0(VALU_DEP_1) | instskip(NEXT) | instid1(VALU_DEP_1)
	v_cmp_gt_i32_e64 s15, 32, v6
	v_cndmask_b32_e64 v6, v4, v6, s15
	s_waitcnt lgkmcnt(0)
	s_delay_alu instid0(VALU_DEP_1) | instskip(SKIP_2) | instid1(VALU_DEP_1)
	v_dual_add_f32 v3, v3, v5 :: v_dual_lshlrev_b32 v6, 2, v6
	ds_bpermute_b32 v5, v6, v3
	v_xor_b32_e32 v6, 2, v4
	v_cmp_gt_i32_e64 s15, 32, v6
	s_delay_alu instid0(VALU_DEP_1) | instskip(SKIP_1) | instid1(VALU_DEP_1)
	v_cndmask_b32_e64 v6, v4, v6, s15
	s_waitcnt lgkmcnt(0)
	v_dual_add_f32 v3, v3, v5 :: v_dual_lshlrev_b32 v6, 2, v6
	ds_bpermute_b32 v5, v6, v3
	v_xor_b32_e32 v6, 1, v4
	s_delay_alu instid0(VALU_DEP_1) | instskip(NEXT) | instid1(VALU_DEP_1)
	v_cmp_gt_i32_e64 s15, 32, v6
	v_cndmask_b32_e64 v4, v4, v6, s15
	s_waitcnt lgkmcnt(0)
	s_delay_alu instid0(VALU_DEP_1)
	v_dual_add_f32 v3, v3, v5 :: v_dual_lshlrev_b32 v4, 2, v4
	ds_bpermute_b32 v4, v4, v3
	v_cmpx_lt_i32_e32 0, v38
	s_cbranch_execz .LBB271_50
; %bb.33:
	v_add_co_u32 v0, s15, s16, v0
	s_delay_alu instid0(VALU_DEP_1)
	v_add_co_ci_u32_e64 v1, s15, s17, v1, s15
	s_waitcnt lgkmcnt(0)
	v_add_f32_e32 v3, v3, v4
	s_and_saveexec_b32 s15, s11
	s_cbranch_execnz .LBB271_51
; %bb.34:
	s_or_b32 exec_lo, exec_lo, s15
	s_and_saveexec_b32 s15, s14
	s_cbranch_execnz .LBB271_52
.LBB271_35:
	s_or_b32 exec_lo, exec_lo, s15
	s_and_saveexec_b32 s14, s12
	s_cbranch_execnz .LBB271_53
.LBB271_36:
	s_or_b32 exec_lo, exec_lo, s14
	s_and_saveexec_b32 s12, s13
	s_cbranch_execnz .LBB271_54
.LBB271_37:
	s_or_b32 exec_lo, exec_lo, s12
	s_and_saveexec_b32 s11, s9
	s_cbranch_execnz .LBB271_55
.LBB271_38:
	s_or_b32 exec_lo, exec_lo, s11
	s_and_saveexec_b32 s11, s10
	s_cbranch_execnz .LBB271_56
.LBB271_39:
	s_or_b32 exec_lo, exec_lo, s11
	s_and_saveexec_b32 s9, s7
	s_cbranch_execnz .LBB271_57
.LBB271_40:
	s_or_b32 exec_lo, exec_lo, s9
	s_and_saveexec_b32 s9, s8
	s_cbranch_execnz .LBB271_58
.LBB271_41:
	s_or_b32 exec_lo, exec_lo, s9
	s_and_saveexec_b32 s7, s5
	s_cbranch_execnz .LBB271_59
.LBB271_42:
	s_or_b32 exec_lo, exec_lo, s7
	s_and_saveexec_b32 s7, s6
	s_cbranch_execnz .LBB271_60
.LBB271_43:
	s_or_b32 exec_lo, exec_lo, s7
	s_and_saveexec_b32 s5, s3
	s_cbranch_execnz .LBB271_61
.LBB271_44:
	s_or_b32 exec_lo, exec_lo, s5
	s_and_saveexec_b32 s5, s4
	s_cbranch_execnz .LBB271_62
.LBB271_45:
	s_or_b32 exec_lo, exec_lo, s5
	s_and_saveexec_b32 s3, s1
	s_cbranch_execnz .LBB271_63
.LBB271_46:
	s_or_b32 exec_lo, exec_lo, s3
	s_and_saveexec_b32 s3, s2
	s_cbranch_execnz .LBB271_64
.LBB271_47:
	s_or_b32 exec_lo, exec_lo, s3
	s_and_saveexec_b32 s1, vcc_lo
	s_cbranch_execnz .LBB271_65
.LBB271_48:
	s_or_b32 exec_lo, exec_lo, s1
	s_delay_alu instid0(SALU_CYCLE_1)
	s_and_b32 exec_lo, exec_lo, s0
	s_cbranch_execz .LBB271_50
.LBB271_49:
	v_mul_f32_e32 v4, 0x3fb8aa3b, v2
	v_cmp_ngt_f32_e32 vcc_lo, 0xc2ce8ed0, v2
	s_delay_alu instid0(VALU_DEP_2) | instskip(SKIP_1) | instid1(VALU_DEP_2)
	v_rndne_f32_e32 v5, v4
	v_fma_f32 v6, 0x3fb8aa3b, v2, -v4
	v_sub_f32_e32 v4, v4, v5
	s_delay_alu instid0(VALU_DEP_2) | instskip(SKIP_1) | instid1(VALU_DEP_2)
	v_fmamk_f32 v6, v2, 0x32a5705f, v6
	v_cvt_i32_f32_e32 v5, v5
	v_add_f32_e32 v4, v4, v6
	s_delay_alu instid0(VALU_DEP_1) | instskip(SKIP_2) | instid1(VALU_DEP_1)
	v_exp_f32_e32 v4, v4
	s_waitcnt_depctr 0xfff
	v_ldexp_f32 v4, v4, v5
	v_cndmask_b32_e32 v4, 0, v4, vcc_lo
	v_cmp_nlt_f32_e32 vcc_lo, 0x42b17218, v2
	s_delay_alu instid0(VALU_DEP_2) | instskip(NEXT) | instid1(VALU_DEP_1)
	v_cndmask_b32_e32 v2, 0x7f800000, v4, vcc_lo
	v_fma_mixlo_f16 v2, -v3, v2, v7
	global_store_b16 v[0:1], v2, off offset:960
.LBB271_50:
	s_nop 0
	s_sendmsg sendmsg(MSG_DEALLOC_VGPRS)
	s_endpgm
.LBB271_51:
	v_mul_f32_e32 v4, 0x3fb8aa3b, v37
	v_cmp_ngt_f32_e64 s11, 0xc2ce8ed0, v37
	s_delay_alu instid0(VALU_DEP_2) | instskip(SKIP_1) | instid1(VALU_DEP_2)
	v_rndne_f32_e32 v5, v4
	v_fma_f32 v6, 0x3fb8aa3b, v37, -v4
	v_sub_f32_e32 v4, v4, v5
	s_delay_alu instid0(VALU_DEP_2) | instskip(SKIP_1) | instid1(VALU_DEP_2)
	v_fmamk_f32 v6, v37, 0x32a5705f, v6
	v_cvt_i32_f32_e32 v5, v5
	v_add_f32_e32 v4, v4, v6
	s_delay_alu instid0(VALU_DEP_1) | instskip(SKIP_2) | instid1(VALU_DEP_1)
	v_exp_f32_e32 v4, v4
	s_waitcnt_depctr 0xfff
	v_ldexp_f32 v4, v4, v5
	v_cndmask_b32_e64 v4, 0, v4, s11
	v_cmp_nlt_f32_e64 s11, 0x42b17218, v37
	s_delay_alu instid0(VALU_DEP_1) | instskip(NEXT) | instid1(VALU_DEP_1)
	v_cndmask_b32_e64 v4, 0x7f800000, v4, s11
	v_fma_mixlo_f16 v4, -v3, v4, v17
	global_store_b16 v[0:1], v4, off
	s_or_b32 exec_lo, exec_lo, s15
	s_and_saveexec_b32 s15, s14
	s_cbranch_execz .LBB271_35
.LBB271_52:
	v_mul_f32_e32 v4, 0x3fb8aa3b, v35
	v_cmp_ngt_f32_e64 s11, 0xc2ce8ed0, v35
	s_delay_alu instid0(VALU_DEP_2) | instskip(SKIP_1) | instid1(VALU_DEP_2)
	v_rndne_f32_e32 v5, v4
	v_fma_f32 v6, 0x3fb8aa3b, v35, -v4
	v_sub_f32_e32 v4, v4, v5
	s_delay_alu instid0(VALU_DEP_2) | instskip(SKIP_1) | instid1(VALU_DEP_2)
	v_fmamk_f32 v6, v35, 0x32a5705f, v6
	v_cvt_i32_f32_e32 v5, v5
	v_add_f32_e32 v4, v4, v6
	s_delay_alu instid0(VALU_DEP_1) | instskip(SKIP_2) | instid1(VALU_DEP_1)
	v_exp_f32_e32 v4, v4
	s_waitcnt_depctr 0xfff
	v_ldexp_f32 v4, v4, v5
	v_cndmask_b32_e64 v4, 0, v4, s11
	v_cmp_nlt_f32_e64 s11, 0x42b17218, v35
	s_delay_alu instid0(VALU_DEP_1) | instskip(NEXT) | instid1(VALU_DEP_1)
	v_cndmask_b32_e64 v4, 0x7f800000, v4, s11
	v_fma_mixlo_f16 v4, -v3, v4, v8
	global_store_b16 v[0:1], v4, off offset:64
	s_or_b32 exec_lo, exec_lo, s15
	s_and_saveexec_b32 s14, s12
	s_cbranch_execz .LBB271_36
.LBB271_53:
	v_mul_f32_e32 v4, 0x3fb8aa3b, v36
	v_cmp_ngt_f32_e64 s11, 0xc2ce8ed0, v36
	s_delay_alu instid0(VALU_DEP_2) | instskip(SKIP_1) | instid1(VALU_DEP_2)
	v_rndne_f32_e32 v5, v4
	v_fma_f32 v6, 0x3fb8aa3b, v36, -v4
	v_sub_f32_e32 v4, v4, v5
	s_delay_alu instid0(VALU_DEP_2) | instskip(SKIP_1) | instid1(VALU_DEP_2)
	v_fmamk_f32 v6, v36, 0x32a5705f, v6
	v_cvt_i32_f32_e32 v5, v5
	v_add_f32_e32 v4, v4, v6
	s_delay_alu instid0(VALU_DEP_1) | instskip(SKIP_2) | instid1(VALU_DEP_1)
	v_exp_f32_e32 v4, v4
	s_waitcnt_depctr 0xfff
	v_ldexp_f32 v4, v4, v5
	v_cndmask_b32_e64 v4, 0, v4, s11
	v_cmp_nlt_f32_e64 s11, 0x42b17218, v36
	s_delay_alu instid0(VALU_DEP_1) | instskip(NEXT) | instid1(VALU_DEP_1)
	v_cndmask_b32_e64 v4, 0x7f800000, v4, s11
	v_fma_mixlo_f16 v4, -v3, v4, v26
	global_store_b16 v[0:1], v4, off offset:128
	s_or_b32 exec_lo, exec_lo, s14
	s_and_saveexec_b32 s12, s13
	s_cbranch_execz .LBB271_37
.LBB271_54:
	v_mul_f32_e32 v4, 0x3fb8aa3b, v33
	v_cmp_ngt_f32_e64 s11, 0xc2ce8ed0, v33
	s_delay_alu instid0(VALU_DEP_2) | instskip(SKIP_1) | instid1(VALU_DEP_2)
	v_rndne_f32_e32 v5, v4
	v_fma_f32 v6, 0x3fb8aa3b, v33, -v4
	v_sub_f32_e32 v4, v4, v5
	s_delay_alu instid0(VALU_DEP_2) | instskip(SKIP_1) | instid1(VALU_DEP_2)
	v_fmamk_f32 v6, v33, 0x32a5705f, v6
	v_cvt_i32_f32_e32 v5, v5
	v_add_f32_e32 v4, v4, v6
	s_delay_alu instid0(VALU_DEP_1) | instskip(SKIP_2) | instid1(VALU_DEP_1)
	v_exp_f32_e32 v4, v4
	s_waitcnt_depctr 0xfff
	v_ldexp_f32 v4, v4, v5
	v_cndmask_b32_e64 v4, 0, v4, s11
	v_cmp_nlt_f32_e64 s11, 0x42b17218, v33
	s_delay_alu instid0(VALU_DEP_1) | instskip(NEXT) | instid1(VALU_DEP_1)
	v_cndmask_b32_e64 v4, 0x7f800000, v4, s11
	v_fma_mixlo_f16 v4, -v3, v4, v14
	global_store_b16 v[0:1], v4, off offset:192
	s_or_b32 exec_lo, exec_lo, s12
	s_and_saveexec_b32 s11, s9
	s_cbranch_execz .LBB271_38
.LBB271_55:
	v_mul_f32_e32 v4, 0x3fb8aa3b, v34
	v_cmp_ngt_f32_e64 s9, 0xc2ce8ed0, v34
	s_delay_alu instid0(VALU_DEP_2) | instskip(SKIP_1) | instid1(VALU_DEP_2)
	v_rndne_f32_e32 v5, v4
	v_fma_f32 v6, 0x3fb8aa3b, v34, -v4
	v_sub_f32_e32 v4, v4, v5
	s_delay_alu instid0(VALU_DEP_2) | instskip(SKIP_1) | instid1(VALU_DEP_2)
	v_fmamk_f32 v6, v34, 0x32a5705f, v6
	v_cvt_i32_f32_e32 v5, v5
	v_add_f32_e32 v4, v4, v6
	s_delay_alu instid0(VALU_DEP_1) | instskip(SKIP_2) | instid1(VALU_DEP_1)
	v_exp_f32_e32 v4, v4
	s_waitcnt_depctr 0xfff
	v_ldexp_f32 v4, v4, v5
	v_cndmask_b32_e64 v4, 0, v4, s9
	v_cmp_nlt_f32_e64 s9, 0x42b17218, v34
	s_delay_alu instid0(VALU_DEP_1) | instskip(NEXT) | instid1(VALU_DEP_1)
	v_cndmask_b32_e64 v4, 0x7f800000, v4, s9
	v_fma_mixlo_f16 v4, -v3, v4, v23
	global_store_b16 v[0:1], v4, off offset:256
	s_or_b32 exec_lo, exec_lo, s11
	s_and_saveexec_b32 s11, s10
	s_cbranch_execz .LBB271_39
.LBB271_56:
	v_mul_f32_e32 v4, 0x3fb8aa3b, v31
	v_cmp_ngt_f32_e64 s9, 0xc2ce8ed0, v31
	s_delay_alu instid0(VALU_DEP_2) | instskip(SKIP_1) | instid1(VALU_DEP_2)
	v_rndne_f32_e32 v5, v4
	v_fma_f32 v6, 0x3fb8aa3b, v31, -v4
	v_sub_f32_e32 v4, v4, v5
	s_delay_alu instid0(VALU_DEP_2) | instskip(SKIP_1) | instid1(VALU_DEP_2)
	v_fmamk_f32 v6, v31, 0x32a5705f, v6
	v_cvt_i32_f32_e32 v5, v5
	v_add_f32_e32 v4, v4, v6
	s_delay_alu instid0(VALU_DEP_1) | instskip(SKIP_2) | instid1(VALU_DEP_1)
	v_exp_f32_e32 v4, v4
	s_waitcnt_depctr 0xfff
	v_ldexp_f32 v4, v4, v5
	v_cndmask_b32_e64 v4, 0, v4, s9
	v_cmp_nlt_f32_e64 s9, 0x42b17218, v31
	s_delay_alu instid0(VALU_DEP_1) | instskip(NEXT) | instid1(VALU_DEP_1)
	v_cndmask_b32_e64 v4, 0x7f800000, v4, s9
	v_fma_mixlo_f16 v4, -v3, v4, v13
	global_store_b16 v[0:1], v4, off offset:320
	s_or_b32 exec_lo, exec_lo, s11
	s_and_saveexec_b32 s9, s7
	s_cbranch_execz .LBB271_40
.LBB271_57:
	v_mul_f32_e32 v4, 0x3fb8aa3b, v32
	v_cmp_ngt_f32_e64 s7, 0xc2ce8ed0, v32
	s_delay_alu instid0(VALU_DEP_2) | instskip(SKIP_1) | instid1(VALU_DEP_2)
	v_rndne_f32_e32 v5, v4
	v_fma_f32 v6, 0x3fb8aa3b, v32, -v4
	v_sub_f32_e32 v4, v4, v5
	s_delay_alu instid0(VALU_DEP_2) | instskip(SKIP_1) | instid1(VALU_DEP_2)
	v_fmamk_f32 v6, v32, 0x32a5705f, v6
	v_cvt_i32_f32_e32 v5, v5
	v_add_f32_e32 v4, v4, v6
	s_delay_alu instid0(VALU_DEP_1) | instskip(SKIP_2) | instid1(VALU_DEP_1)
	v_exp_f32_e32 v4, v4
	s_waitcnt_depctr 0xfff
	v_ldexp_f32 v4, v4, v5
	v_cndmask_b32_e64 v4, 0, v4, s7
	v_cmp_nlt_f32_e64 s7, 0x42b17218, v32
	s_delay_alu instid0(VALU_DEP_1) | instskip(NEXT) | instid1(VALU_DEP_1)
	v_cndmask_b32_e64 v4, 0x7f800000, v4, s7
	v_fma_mixlo_f16 v4, -v3, v4, v20
	global_store_b16 v[0:1], v4, off offset:384
	s_or_b32 exec_lo, exec_lo, s9
	s_and_saveexec_b32 s9, s8
	s_cbranch_execz .LBB271_41
.LBB271_58:
	v_mul_f32_e32 v4, 0x3fb8aa3b, v29
	v_cmp_ngt_f32_e64 s7, 0xc2ce8ed0, v29
	s_delay_alu instid0(VALU_DEP_2) | instskip(SKIP_1) | instid1(VALU_DEP_2)
	v_rndne_f32_e32 v5, v4
	v_fma_f32 v6, 0x3fb8aa3b, v29, -v4
	v_sub_f32_e32 v4, v4, v5
	s_delay_alu instid0(VALU_DEP_2) | instskip(SKIP_1) | instid1(VALU_DEP_2)
	v_fmamk_f32 v6, v29, 0x32a5705f, v6
	v_cvt_i32_f32_e32 v5, v5
	v_add_f32_e32 v4, v4, v6
	s_delay_alu instid0(VALU_DEP_1) | instskip(SKIP_2) | instid1(VALU_DEP_1)
	v_exp_f32_e32 v4, v4
	s_waitcnt_depctr 0xfff
	v_ldexp_f32 v4, v4, v5
	v_cndmask_b32_e64 v4, 0, v4, s7
	v_cmp_nlt_f32_e64 s7, 0x42b17218, v29
	s_delay_alu instid0(VALU_DEP_1) | instskip(NEXT) | instid1(VALU_DEP_1)
	v_cndmask_b32_e64 v4, 0x7f800000, v4, s7
	v_fma_mixlo_f16 v4, -v3, v4, v12
	global_store_b16 v[0:1], v4, off offset:448
	s_or_b32 exec_lo, exec_lo, s9
	s_and_saveexec_b32 s7, s5
	s_cbranch_execz .LBB271_42
.LBB271_59:
	v_mul_f32_e32 v4, 0x3fb8aa3b, v30
	v_cmp_ngt_f32_e64 s5, 0xc2ce8ed0, v30
	s_delay_alu instid0(VALU_DEP_2) | instskip(SKIP_1) | instid1(VALU_DEP_2)
	v_rndne_f32_e32 v5, v4
	v_fma_f32 v6, 0x3fb8aa3b, v30, -v4
	v_sub_f32_e32 v4, v4, v5
	s_delay_alu instid0(VALU_DEP_2) | instskip(SKIP_1) | instid1(VALU_DEP_2)
	v_fmamk_f32 v6, v30, 0x32a5705f, v6
	v_cvt_i32_f32_e32 v5, v5
	v_add_f32_e32 v4, v4, v6
	s_delay_alu instid0(VALU_DEP_1) | instskip(SKIP_2) | instid1(VALU_DEP_1)
	v_exp_f32_e32 v4, v4
	s_waitcnt_depctr 0xfff
	v_ldexp_f32 v4, v4, v5
	v_cndmask_b32_e64 v4, 0, v4, s5
	v_cmp_nlt_f32_e64 s5, 0x42b17218, v30
	s_delay_alu instid0(VALU_DEP_1) | instskip(NEXT) | instid1(VALU_DEP_1)
	v_cndmask_b32_e64 v4, 0x7f800000, v4, s5
	v_fma_mixlo_f16 v4, -v3, v4, v19
	global_store_b16 v[0:1], v4, off offset:512
	s_or_b32 exec_lo, exec_lo, s7
	s_and_saveexec_b32 s7, s6
	s_cbranch_execz .LBB271_43
.LBB271_60:
	v_mul_f32_e32 v4, 0x3fb8aa3b, v27
	v_cmp_ngt_f32_e64 s5, 0xc2ce8ed0, v27
	s_delay_alu instid0(VALU_DEP_2) | instskip(SKIP_1) | instid1(VALU_DEP_2)
	v_rndne_f32_e32 v5, v4
	v_fma_f32 v6, 0x3fb8aa3b, v27, -v4
	v_sub_f32_e32 v4, v4, v5
	s_delay_alu instid0(VALU_DEP_2) | instskip(SKIP_1) | instid1(VALU_DEP_2)
	v_fmamk_f32 v6, v27, 0x32a5705f, v6
	v_cvt_i32_f32_e32 v5, v5
	v_add_f32_e32 v4, v4, v6
	s_delay_alu instid0(VALU_DEP_1) | instskip(SKIP_2) | instid1(VALU_DEP_1)
	v_exp_f32_e32 v4, v4
	s_waitcnt_depctr 0xfff
	v_ldexp_f32 v4, v4, v5
	v_cndmask_b32_e64 v4, 0, v4, s5
	v_cmp_nlt_f32_e64 s5, 0x42b17218, v27
	s_delay_alu instid0(VALU_DEP_1) | instskip(NEXT) | instid1(VALU_DEP_1)
	v_cndmask_b32_e64 v4, 0x7f800000, v4, s5
	v_fma_mixlo_f16 v4, -v3, v4, v11
	global_store_b16 v[0:1], v4, off offset:576
	s_or_b32 exec_lo, exec_lo, s7
	s_and_saveexec_b32 s5, s3
	s_cbranch_execz .LBB271_44
.LBB271_61:
	v_mul_f32_e32 v4, 0x3fb8aa3b, v28
	v_cmp_ngt_f32_e64 s3, 0xc2ce8ed0, v28
	s_delay_alu instid0(VALU_DEP_2) | instskip(SKIP_1) | instid1(VALU_DEP_2)
	v_rndne_f32_e32 v5, v4
	v_fma_f32 v6, 0x3fb8aa3b, v28, -v4
	v_sub_f32_e32 v4, v4, v5
	s_delay_alu instid0(VALU_DEP_2) | instskip(SKIP_1) | instid1(VALU_DEP_2)
	v_fmamk_f32 v6, v28, 0x32a5705f, v6
	v_cvt_i32_f32_e32 v5, v5
	v_add_f32_e32 v4, v4, v6
	s_delay_alu instid0(VALU_DEP_1) | instskip(SKIP_2) | instid1(VALU_DEP_1)
	v_exp_f32_e32 v4, v4
	s_waitcnt_depctr 0xfff
	v_ldexp_f32 v4, v4, v5
	v_cndmask_b32_e64 v4, 0, v4, s3
	v_cmp_nlt_f32_e64 s3, 0x42b17218, v28
	s_delay_alu instid0(VALU_DEP_1) | instskip(NEXT) | instid1(VALU_DEP_1)
	v_cndmask_b32_e64 v4, 0x7f800000, v4, s3
	v_fma_mixlo_f16 v4, -v3, v4, v18
	global_store_b16 v[0:1], v4, off offset:640
	s_or_b32 exec_lo, exec_lo, s5
	s_and_saveexec_b32 s5, s4
	s_cbranch_execz .LBB271_45
.LBB271_62:
	v_mul_f32_e32 v4, 0x3fb8aa3b, v24
	v_cmp_ngt_f32_e64 s3, 0xc2ce8ed0, v24
	s_delay_alu instid0(VALU_DEP_2) | instskip(SKIP_1) | instid1(VALU_DEP_2)
	v_rndne_f32_e32 v5, v4
	v_fma_f32 v6, 0x3fb8aa3b, v24, -v4
	v_sub_f32_e32 v4, v4, v5
	s_delay_alu instid0(VALU_DEP_2) | instskip(SKIP_1) | instid1(VALU_DEP_2)
	v_fmamk_f32 v6, v24, 0x32a5705f, v6
	v_cvt_i32_f32_e32 v5, v5
	v_add_f32_e32 v4, v4, v6
	s_delay_alu instid0(VALU_DEP_1) | instskip(SKIP_2) | instid1(VALU_DEP_1)
	v_exp_f32_e32 v4, v4
	s_waitcnt_depctr 0xfff
	v_ldexp_f32 v4, v4, v5
	v_cndmask_b32_e64 v4, 0, v4, s3
	v_cmp_nlt_f32_e64 s3, 0x42b17218, v24
	s_delay_alu instid0(VALU_DEP_1) | instskip(NEXT) | instid1(VALU_DEP_1)
	v_cndmask_b32_e64 v4, 0x7f800000, v4, s3
	v_fma_mixlo_f16 v4, -v3, v4, v10
	global_store_b16 v[0:1], v4, off offset:704
	s_or_b32 exec_lo, exec_lo, s5
	s_and_saveexec_b32 s3, s1
	s_cbranch_execz .LBB271_46
.LBB271_63:
	v_mul_f32_e32 v4, 0x3fb8aa3b, v25
	v_cmp_ngt_f32_e64 s1, 0xc2ce8ed0, v25
	s_delay_alu instid0(VALU_DEP_2) | instskip(SKIP_1) | instid1(VALU_DEP_2)
	v_rndne_f32_e32 v5, v4
	v_fma_f32 v6, 0x3fb8aa3b, v25, -v4
	v_sub_f32_e32 v4, v4, v5
	s_delay_alu instid0(VALU_DEP_2) | instskip(SKIP_1) | instid1(VALU_DEP_2)
	v_fmamk_f32 v6, v25, 0x32a5705f, v6
	v_cvt_i32_f32_e32 v5, v5
	v_add_f32_e32 v4, v4, v6
	s_delay_alu instid0(VALU_DEP_1) | instskip(SKIP_2) | instid1(VALU_DEP_1)
	v_exp_f32_e32 v4, v4
	s_waitcnt_depctr 0xfff
	v_ldexp_f32 v4, v4, v5
	v_cndmask_b32_e64 v4, 0, v4, s1
	v_cmp_nlt_f32_e64 s1, 0x42b17218, v25
	s_delay_alu instid0(VALU_DEP_1) | instskip(NEXT) | instid1(VALU_DEP_1)
	v_cndmask_b32_e64 v4, 0x7f800000, v4, s1
	v_fma_mixlo_f16 v4, -v3, v4, v16
	global_store_b16 v[0:1], v4, off offset:768
	s_or_b32 exec_lo, exec_lo, s3
	s_and_saveexec_b32 s3, s2
	s_cbranch_execz .LBB271_47
.LBB271_64:
	v_mul_f32_e32 v4, 0x3fb8aa3b, v21
	v_cmp_ngt_f32_e64 s1, 0xc2ce8ed0, v21
	s_delay_alu instid0(VALU_DEP_2) | instskip(SKIP_1) | instid1(VALU_DEP_2)
	v_rndne_f32_e32 v5, v4
	v_fma_f32 v6, 0x3fb8aa3b, v21, -v4
	v_sub_f32_e32 v4, v4, v5
	s_delay_alu instid0(VALU_DEP_2) | instskip(SKIP_1) | instid1(VALU_DEP_2)
	v_fmamk_f32 v6, v21, 0x32a5705f, v6
	v_cvt_i32_f32_e32 v5, v5
	v_add_f32_e32 v4, v4, v6
	s_delay_alu instid0(VALU_DEP_1) | instskip(SKIP_2) | instid1(VALU_DEP_1)
	v_exp_f32_e32 v4, v4
	s_waitcnt_depctr 0xfff
	v_ldexp_f32 v4, v4, v5
	v_cndmask_b32_e64 v4, 0, v4, s1
	v_cmp_nlt_f32_e64 s1, 0x42b17218, v21
	s_delay_alu instid0(VALU_DEP_1) | instskip(NEXT) | instid1(VALU_DEP_1)
	v_cndmask_b32_e64 v4, 0x7f800000, v4, s1
	v_fma_mixlo_f16 v4, -v3, v4, v9
	global_store_b16 v[0:1], v4, off offset:832
	s_or_b32 exec_lo, exec_lo, s3
	s_and_saveexec_b32 s1, vcc_lo
	s_cbranch_execz .LBB271_48
.LBB271_65:
	v_mul_f32_e32 v4, 0x3fb8aa3b, v22
	v_cmp_ngt_f32_e32 vcc_lo, 0xc2ce8ed0, v22
	s_delay_alu instid0(VALU_DEP_2) | instskip(SKIP_1) | instid1(VALU_DEP_2)
	v_rndne_f32_e32 v5, v4
	v_fma_f32 v6, 0x3fb8aa3b, v22, -v4
	v_sub_f32_e32 v4, v4, v5
	s_delay_alu instid0(VALU_DEP_2) | instskip(SKIP_1) | instid1(VALU_DEP_2)
	v_fmamk_f32 v6, v22, 0x32a5705f, v6
	v_cvt_i32_f32_e32 v5, v5
	v_add_f32_e32 v4, v4, v6
	s_delay_alu instid0(VALU_DEP_1) | instskip(SKIP_2) | instid1(VALU_DEP_1)
	v_exp_f32_e32 v4, v4
	s_waitcnt_depctr 0xfff
	v_ldexp_f32 v4, v4, v5
	v_cndmask_b32_e32 v4, 0, v4, vcc_lo
	v_cmp_nlt_f32_e32 vcc_lo, 0x42b17218, v22
	s_delay_alu instid0(VALU_DEP_2) | instskip(NEXT) | instid1(VALU_DEP_1)
	v_cndmask_b32_e32 v4, 0x7f800000, v4, vcc_lo
	v_fma_mixlo_f16 v4, -v3, v4, v15
	global_store_b16 v[0:1], v4, off offset:896
	s_or_b32 exec_lo, exec_lo, s1
	s_delay_alu instid0(SALU_CYCLE_1)
	s_and_b32 exec_lo, exec_lo, s0
	s_cbranch_execnz .LBB271_49
	s_branch .LBB271_50
	.section	.rodata,"a",@progbits
	.p2align	6, 0x0
	.amdhsa_kernel _ZN12_GLOBAL__N_121softmax_warp_backwardIN3c104HalfES2_fLi9ELb1ELb0ELi32EEEvPT0_PKT_S7_iiiPKb
		.amdhsa_group_segment_fixed_size 0
		.amdhsa_private_segment_fixed_size 0
		.amdhsa_kernarg_size 304
		.amdhsa_user_sgpr_count 15
		.amdhsa_user_sgpr_dispatch_ptr 0
		.amdhsa_user_sgpr_queue_ptr 0
		.amdhsa_user_sgpr_kernarg_segment_ptr 1
		.amdhsa_user_sgpr_dispatch_id 0
		.amdhsa_user_sgpr_private_segment_size 0
		.amdhsa_wavefront_size32 1
		.amdhsa_uses_dynamic_stack 0
		.amdhsa_enable_private_segment 0
		.amdhsa_system_sgpr_workgroup_id_x 1
		.amdhsa_system_sgpr_workgroup_id_y 0
		.amdhsa_system_sgpr_workgroup_id_z 0
		.amdhsa_system_sgpr_workgroup_info 0
		.amdhsa_system_vgpr_workitem_id 1
		.amdhsa_next_free_vgpr 39
		.amdhsa_next_free_sgpr 24
		.amdhsa_reserve_vcc 1
		.amdhsa_float_round_mode_32 0
		.amdhsa_float_round_mode_16_64 0
		.amdhsa_float_denorm_mode_32 3
		.amdhsa_float_denorm_mode_16_64 3
		.amdhsa_dx10_clamp 1
		.amdhsa_ieee_mode 1
		.amdhsa_fp16_overflow 0
		.amdhsa_workgroup_processor_mode 1
		.amdhsa_memory_ordered 1
		.amdhsa_forward_progress 0
		.amdhsa_shared_vgpr_count 0
		.amdhsa_exception_fp_ieee_invalid_op 0
		.amdhsa_exception_fp_denorm_src 0
		.amdhsa_exception_fp_ieee_div_zero 0
		.amdhsa_exception_fp_ieee_overflow 0
		.amdhsa_exception_fp_ieee_underflow 0
		.amdhsa_exception_fp_ieee_inexact 0
		.amdhsa_exception_int_div_zero 0
	.end_amdhsa_kernel
	.section	.text._ZN12_GLOBAL__N_121softmax_warp_backwardIN3c104HalfES2_fLi9ELb1ELb0ELi32EEEvPT0_PKT_S7_iiiPKb,"axG",@progbits,_ZN12_GLOBAL__N_121softmax_warp_backwardIN3c104HalfES2_fLi9ELb1ELb0ELi32EEEvPT0_PKT_S7_iiiPKb,comdat
.Lfunc_end271:
	.size	_ZN12_GLOBAL__N_121softmax_warp_backwardIN3c104HalfES2_fLi9ELb1ELb0ELi32EEEvPT0_PKT_S7_iiiPKb, .Lfunc_end271-_ZN12_GLOBAL__N_121softmax_warp_backwardIN3c104HalfES2_fLi9ELb1ELb0ELi32EEEvPT0_PKT_S7_iiiPKb
                                        ; -- End function
	.section	.AMDGPU.csdata,"",@progbits
; Kernel info:
; codeLenInByte = 4296
; NumSgprs: 26
; NumVgprs: 39
; ScratchSize: 0
; MemoryBound: 0
; FloatMode: 240
; IeeeMode: 1
; LDSByteSize: 0 bytes/workgroup (compile time only)
; SGPRBlocks: 3
; VGPRBlocks: 4
; NumSGPRsForWavesPerEU: 26
; NumVGPRsForWavesPerEU: 39
; Occupancy: 16
; WaveLimiterHint : 0
; COMPUTE_PGM_RSRC2:SCRATCH_EN: 0
; COMPUTE_PGM_RSRC2:USER_SGPR: 15
; COMPUTE_PGM_RSRC2:TRAP_HANDLER: 0
; COMPUTE_PGM_RSRC2:TGID_X_EN: 1
; COMPUTE_PGM_RSRC2:TGID_Y_EN: 0
; COMPUTE_PGM_RSRC2:TGID_Z_EN: 0
; COMPUTE_PGM_RSRC2:TIDIG_COMP_CNT: 1
	.section	.text._ZN12_GLOBAL__N_121softmax_warp_backwardIN3c104HalfES2_fLi10ELb1ELb0ELi64EEEvPT0_PKT_S7_iiiPKb,"axG",@progbits,_ZN12_GLOBAL__N_121softmax_warp_backwardIN3c104HalfES2_fLi10ELb1ELb0ELi64EEEvPT0_PKT_S7_iiiPKb,comdat
	.globl	_ZN12_GLOBAL__N_121softmax_warp_backwardIN3c104HalfES2_fLi10ELb1ELb0ELi64EEEvPT0_PKT_S7_iiiPKb ; -- Begin function _ZN12_GLOBAL__N_121softmax_warp_backwardIN3c104HalfES2_fLi10ELb1ELb0ELi64EEEvPT0_PKT_S7_iiiPKb
	.p2align	8
	.type	_ZN12_GLOBAL__N_121softmax_warp_backwardIN3c104HalfES2_fLi10ELb1ELb0ELi64EEEvPT0_PKT_S7_iiiPKb,@function
_ZN12_GLOBAL__N_121softmax_warp_backwardIN3c104HalfES2_fLi10ELb1ELb0ELi64EEEvPT0_PKT_S7_iiiPKb: ; @_ZN12_GLOBAL__N_121softmax_warp_backwardIN3c104HalfES2_fLi10ELb1ELb0ELi64EEEvPT0_PKT_S7_iiiPKb
; %bb.0:
	s_clause 0x1
	s_load_b32 s2, s[0:1], 0x3c
	s_load_b128 s[20:23], s[0:1], 0x18
	v_bfe_u32 v1, v0, 10, 10
	v_dual_mov_b32 v16, 0 :: v_dual_and_b32 v19, 0x3ff, v0
	s_clause 0x1
	s_load_b128 s[16:19], s[0:1], 0x0
	s_load_b64 s[0:1], s[0:1], 0x10
	s_delay_alu instid0(VALU_DEP_1) | instskip(SKIP_2) | instid1(SALU_CYCLE_1)
	v_dual_mov_b32 v37, 0 :: v_dual_and_b32 v6, 63, v19
	s_waitcnt lgkmcnt(0)
	s_lshr_b32 s2, s2, 16
	v_mad_u64_u32 v[2:3], null, s15, s2, v[1:2]
	s_delay_alu instid0(VALU_DEP_1) | instskip(SKIP_3) | instid1(VALU_DEP_2)
	v_mad_u64_u32 v[0:1], null, v2, s21, v[6:7]
	v_mov_b32_e32 v7, 0
	v_sub_nc_u32_e32 v38, s20, v2
	v_cmp_gt_i32_e64 s11, s22, v6
	v_cmp_lt_i32_e64 s15, 0, v38
	v_ashrrev_i32_e32 v1, 31, v0
	s_delay_alu instid0(VALU_DEP_1) | instskip(NEXT) | instid1(VALU_DEP_1)
	v_lshlrev_b64 v[0:1], 1, v[0:1]
	v_add_co_u32 v2, vcc_lo, s18, v0
	s_delay_alu instid0(VALU_DEP_2) | instskip(SKIP_3) | instid1(SALU_CYCLE_1)
	v_add_co_ci_u32_e32 v3, vcc_lo, s19, v1, vcc_lo
	v_add_co_u32 v4, vcc_lo, s0, v0
	v_add_co_ci_u32_e32 v5, vcc_lo, s1, v1, vcc_lo
	s_and_b32 s1, s15, s11
	s_and_saveexec_b32 s0, s1
	s_cbranch_execz .LBB272_2
; %bb.1:
	global_load_u16 v8, v[2:3], off
	global_load_u16 v9, v[4:5], off
	s_waitcnt vmcnt(1)
	v_cvt_f32_f16_e32 v16, v8
	s_waitcnt vmcnt(0)
	v_cvt_f32_f16_e32 v37, v9
.LBB272_2:
	s_or_b32 exec_lo, exec_lo, s0
	v_or_b32_e32 v8, 64, v6
	v_mov_b32_e32 v35, 0
	s_delay_alu instid0(VALU_DEP_2) | instskip(NEXT) | instid1(VALU_DEP_1)
	v_cmp_gt_i32_e64 s14, s22, v8
	s_and_b32 s1, s15, s14
	s_delay_alu instid0(SALU_CYCLE_1)
	s_and_saveexec_b32 s0, s1
	s_cbranch_execz .LBB272_4
; %bb.3:
	global_load_u16 v7, v[2:3], off offset:128
	global_load_u16 v8, v[4:5], off offset:128
	s_waitcnt vmcnt(1)
	v_cvt_f32_f16_e32 v7, v7
	s_waitcnt vmcnt(0)
	v_cvt_f32_f16_e32 v35, v8
.LBB272_4:
	s_or_b32 exec_lo, exec_lo, s0
	v_or_b32_e32 v8, 0x80, v6
	v_dual_mov_b32 v13, 0 :: v_dual_mov_b32 v26, 0
	v_mov_b32_e32 v36, 0
	s_delay_alu instid0(VALU_DEP_3) | instskip(NEXT) | instid1(VALU_DEP_1)
	v_cmp_gt_i32_e64 s12, s22, v8
	s_and_b32 s1, s15, s12
	s_delay_alu instid0(SALU_CYCLE_1)
	s_and_saveexec_b32 s0, s1
	s_cbranch_execz .LBB272_6
; %bb.5:
	global_load_u16 v8, v[2:3], off offset:256
	global_load_u16 v9, v[4:5], off offset:256
	s_waitcnt vmcnt(1)
	v_cvt_f32_f16_e32 v26, v8
	s_waitcnt vmcnt(0)
	v_cvt_f32_f16_e32 v36, v9
.LBB272_6:
	s_or_b32 exec_lo, exec_lo, s0
	v_or_b32_e32 v8, 0xc0, v6
	v_mov_b32_e32 v33, 0
	s_delay_alu instid0(VALU_DEP_2) | instskip(NEXT) | instid1(VALU_DEP_1)
	v_cmp_gt_i32_e64 s13, s22, v8
	s_and_b32 s1, s15, s13
	s_delay_alu instid0(SALU_CYCLE_1)
	s_and_saveexec_b32 s0, s1
	s_cbranch_execz .LBB272_8
; %bb.7:
	global_load_u16 v8, v[2:3], off offset:384
	global_load_u16 v9, v[4:5], off offset:384
	s_waitcnt vmcnt(1)
	v_cvt_f32_f16_e32 v13, v8
	s_waitcnt vmcnt(0)
	v_cvt_f32_f16_e32 v33, v9
.LBB272_8:
	s_or_b32 exec_lo, exec_lo, s0
	v_or_b32_e32 v8, 0x100, v6
	v_dual_mov_b32 v12, 0 :: v_dual_mov_b32 v23, 0
	v_mov_b32_e32 v34, 0
	s_delay_alu instid0(VALU_DEP_3) | instskip(NEXT) | instid1(VALU_DEP_1)
	v_cmp_gt_i32_e64 s9, s22, v8
	s_and_b32 s1, s15, s9
	s_delay_alu instid0(SALU_CYCLE_1)
	s_and_saveexec_b32 s0, s1
	s_cbranch_execz .LBB272_10
; %bb.9:
	global_load_u16 v8, v[2:3], off offset:512
	global_load_u16 v9, v[4:5], off offset:512
	s_waitcnt vmcnt(1)
	v_cvt_f32_f16_e32 v23, v8
	s_waitcnt vmcnt(0)
	v_cvt_f32_f16_e32 v34, v9
.LBB272_10:
	;; [unrolled: 35-line block ×3, first 2 shown]
	s_or_b32 exec_lo, exec_lo, s0
	v_or_b32_e32 v8, 0x1c0, v6
	v_mov_b32_e32 v29, 0
	s_delay_alu instid0(VALU_DEP_2) | instskip(NEXT) | instid1(VALU_DEP_1)
	v_cmp_gt_i32_e64 s8, s22, v8
	s_and_b32 s1, s15, s8
	s_delay_alu instid0(SALU_CYCLE_1)
	s_and_saveexec_b32 s0, s1
	s_cbranch_execz .LBB272_16
; %bb.15:
	global_load_u16 v8, v[2:3], off offset:896
	global_load_u16 v9, v[4:5], off offset:896
	s_waitcnt vmcnt(1)
	v_cvt_f32_f16_e32 v11, v8
	s_waitcnt vmcnt(0)
	v_cvt_f32_f16_e32 v29, v9
.LBB272_16:
	s_or_b32 exec_lo, exec_lo, s0
	v_or_b32_e32 v8, 0x200, v6
	v_mov_b32_e32 v10, 0
	v_mov_b32_e32 v18, 0
	;; [unrolled: 1-line block ×3, first 2 shown]
	s_delay_alu instid0(VALU_DEP_4) | instskip(NEXT) | instid1(VALU_DEP_1)
	v_cmp_gt_i32_e64 s5, s22, v8
	s_and_b32 s1, s15, s5
	s_delay_alu instid0(SALU_CYCLE_1)
	s_and_saveexec_b32 s0, s1
	s_cbranch_execz .LBB272_18
; %bb.17:
	global_load_u16 v8, v[2:3], off offset:1024
	global_load_u16 v9, v[4:5], off offset:1024
	s_waitcnt vmcnt(1)
	v_cvt_f32_f16_e32 v18, v8
	s_waitcnt vmcnt(0)
	v_cvt_f32_f16_e32 v30, v9
.LBB272_18:
	s_or_b32 exec_lo, exec_lo, s0
	v_or_b32_e32 v8, 0x240, v6
	v_mov_b32_e32 v27, 0
	s_delay_alu instid0(VALU_DEP_2) | instskip(NEXT) | instid1(VALU_DEP_1)
	v_cmp_gt_i32_e64 s6, s22, v8
	s_and_b32 s1, s15, s6
	s_delay_alu instid0(SALU_CYCLE_1)
	s_and_saveexec_b32 s0, s1
	s_cbranch_execz .LBB272_20
; %bb.19:
	global_load_u16 v8, v[2:3], off offset:1152
	global_load_u16 v9, v[4:5], off offset:1152
	s_waitcnt vmcnt(1)
	v_cvt_f32_f16_e32 v10, v8
	s_waitcnt vmcnt(0)
	v_cvt_f32_f16_e32 v27, v9
.LBB272_20:
	s_or_b32 exec_lo, exec_lo, s0
	v_or_b32_e32 v8, 0x280, v6
	v_dual_mov_b32 v9, 0 :: v_dual_mov_b32 v28, 0
	v_mov_b32_e32 v17, 0
	s_delay_alu instid0(VALU_DEP_3) | instskip(NEXT) | instid1(VALU_DEP_1)
	v_cmp_gt_i32_e64 s3, s22, v8
	s_and_b32 s1, s15, s3
	s_delay_alu instid0(SALU_CYCLE_1)
	s_and_saveexec_b32 s0, s1
	s_cbranch_execz .LBB272_22
; %bb.21:
	global_load_u16 v8, v[2:3], off offset:1280
	global_load_u16 v14, v[4:5], off offset:1280
	s_waitcnt vmcnt(1)
	v_cvt_f32_f16_e32 v17, v8
	s_waitcnt vmcnt(0)
	v_cvt_f32_f16_e32 v28, v14
.LBB272_22:
	s_or_b32 exec_lo, exec_lo, s0
	v_or_b32_e32 v8, 0x2c0, v6
	v_mov_b32_e32 v24, 0
	s_delay_alu instid0(VALU_DEP_2) | instskip(NEXT) | instid1(VALU_DEP_1)
	v_cmp_gt_i32_e64 s4, s22, v8
	s_and_b32 s1, s15, s4
	s_delay_alu instid0(SALU_CYCLE_1)
	s_and_saveexec_b32 s0, s1
	s_cbranch_execz .LBB272_24
; %bb.23:
	global_load_u16 v8, v[2:3], off offset:1408
	global_load_u16 v14, v[4:5], off offset:1408
	s_waitcnt vmcnt(1)
	v_cvt_f32_f16_e32 v9, v8
	s_waitcnt vmcnt(0)
	v_cvt_f32_f16_e32 v24, v14
.LBB272_24:
	s_or_b32 exec_lo, exec_lo, s0
	v_or_b32_e32 v8, 0x300, v6
	v_mov_b32_e32 v25, 0
	v_mov_b32_e32 v15, 0
	s_delay_alu instid0(VALU_DEP_3) | instskip(SKIP_1) | instid1(VALU_DEP_2)
	v_cmp_gt_i32_e64 s1, s22, v8
	v_mov_b32_e32 v8, 0
	s_and_b32 s2, s15, s1
	s_delay_alu instid0(SALU_CYCLE_1)
	s_and_saveexec_b32 s0, s2
	s_cbranch_execz .LBB272_26
; %bb.25:
	global_load_u16 v14, v[2:3], off offset:1536
	global_load_u16 v21, v[4:5], off offset:1536
	s_waitcnt vmcnt(1)
	v_cvt_f32_f16_e32 v15, v14
	s_waitcnt vmcnt(0)
	v_cvt_f32_f16_e32 v25, v21
.LBB272_26:
	s_or_b32 exec_lo, exec_lo, s0
	v_or_b32_e32 v14, 0x340, v6
	v_mov_b32_e32 v21, 0
	s_delay_alu instid0(VALU_DEP_2) | instskip(NEXT) | instid1(VALU_DEP_1)
	v_cmp_gt_i32_e64 s2, s22, v14
	s_and_b32 s18, s15, s2
	s_delay_alu instid0(SALU_CYCLE_1)
	s_and_saveexec_b32 s0, s18
	s_cbranch_execz .LBB272_28
; %bb.27:
	global_load_u16 v8, v[2:3], off offset:1664
	global_load_u16 v14, v[4:5], off offset:1664
	s_waitcnt vmcnt(1)
	v_cvt_f32_f16_e32 v8, v8
	s_waitcnt vmcnt(0)
	v_cvt_f32_f16_e32 v21, v14
.LBB272_28:
	s_or_b32 exec_lo, exec_lo, s0
	v_or_b32_e32 v6, 0x380, v6
	v_mov_b32_e32 v14, 0
	v_mov_b32_e32 v22, 0
	s_delay_alu instid0(VALU_DEP_3) | instskip(SKIP_2) | instid1(SALU_CYCLE_1)
	v_cmp_gt_i32_e32 vcc_lo, s22, v6
	v_mov_b32_e32 v6, 0
	s_and_b32 s18, s15, vcc_lo
	s_and_saveexec_b32 s0, s18
	s_cbranch_execz .LBB272_30
; %bb.29:
	global_load_u16 v14, v[2:3], off offset:1792
	global_load_u16 v22, v[4:5], off offset:1792
	s_waitcnt vmcnt(1)
	v_cvt_f32_f16_e32 v14, v14
	s_waitcnt vmcnt(0)
	v_cvt_f32_f16_e32 v22, v22
.LBB272_30:
	s_or_b32 exec_lo, exec_lo, s0
	v_or_b32_e32 v19, 0x3c0, v19
	s_delay_alu instid0(VALU_DEP_1) | instskip(SKIP_1) | instid1(VALU_DEP_2)
	v_cmp_gt_i32_e64 s0, s22, v19
	v_mov_b32_e32 v19, 0
	s_and_b32 s18, s15, s0
	s_delay_alu instid0(SALU_CYCLE_1)
	s_and_saveexec_b32 s15, s18
	s_cbranch_execz .LBB272_32
; %bb.31:
	global_load_u16 v2, v[2:3], off offset:1920
	global_load_u16 v3, v[4:5], off offset:1920
	s_waitcnt vmcnt(1)
	v_cvt_f32_f16_e32 v6, v2
	s_waitcnt vmcnt(0)
	v_cvt_f32_f16_e32 v19, v3
.LBB272_32:
	s_or_b32 exec_lo, exec_lo, s15
	v_mbcnt_lo_u32_b32 v3, -1, 0
	s_mov_b32 s18, exec_lo
	s_delay_alu instid0(VALU_DEP_1) | instskip(SKIP_1) | instid1(VALU_DEP_2)
	v_or_b32_e32 v4, 32, v3
	v_xor_b32_e32 v5, 16, v3
	v_cmp_gt_i32_e64 s15, 64, v4
	s_delay_alu instid0(VALU_DEP_1) | instskip(NEXT) | instid1(VALU_DEP_3)
	v_cndmask_b32_e64 v4, v3, v4, s15
	v_cmp_gt_i32_e64 s15, 64, v5
	s_delay_alu instid0(VALU_DEP_2) | instskip(NEXT) | instid1(VALU_DEP_2)
	v_lshlrev_b32_e32 v4, 2, v4
	v_cndmask_b32_e64 v5, v3, v5, s15
	s_delay_alu instid0(VALU_DEP_1) | instskip(NEXT) | instid1(VALU_DEP_1)
	v_dual_add_f32 v2, 0, v16 :: v_dual_lshlrev_b32 v5, 2, v5
	v_add_f32_e32 v2, v2, v7
	s_delay_alu instid0(VALU_DEP_1) | instskip(NEXT) | instid1(VALU_DEP_1)
	v_add_f32_e32 v2, v2, v26
	v_add_f32_e32 v2, v2, v13
	s_delay_alu instid0(VALU_DEP_1) | instskip(NEXT) | instid1(VALU_DEP_1)
	v_add_f32_e32 v2, v2, v23
	;; [unrolled: 3-line block ×7, first 2 shown]
	v_add_f32_e32 v2, v2, v6
	ds_bpermute_b32 v4, v4, v2
	s_waitcnt lgkmcnt(0)
	v_add_f32_e32 v2, v2, v4
	ds_bpermute_b32 v4, v5, v2
	v_xor_b32_e32 v5, 8, v3
	s_delay_alu instid0(VALU_DEP_1) | instskip(NEXT) | instid1(VALU_DEP_1)
	v_cmp_gt_i32_e64 s15, 64, v5
	v_cndmask_b32_e64 v5, v3, v5, s15
	s_waitcnt lgkmcnt(0)
	s_delay_alu instid0(VALU_DEP_1) | instskip(SKIP_2) | instid1(VALU_DEP_1)
	v_dual_add_f32 v2, v2, v4 :: v_dual_lshlrev_b32 v5, 2, v5
	ds_bpermute_b32 v4, v5, v2
	v_xor_b32_e32 v5, 4, v3
	v_cmp_gt_i32_e64 s15, 64, v5
	s_delay_alu instid0(VALU_DEP_1) | instskip(SKIP_1) | instid1(VALU_DEP_1)
	v_cndmask_b32_e64 v5, v3, v5, s15
	s_waitcnt lgkmcnt(0)
	v_dual_add_f32 v2, v2, v4 :: v_dual_lshlrev_b32 v5, 2, v5
	ds_bpermute_b32 v4, v5, v2
	v_xor_b32_e32 v5, 2, v3
	s_delay_alu instid0(VALU_DEP_1) | instskip(NEXT) | instid1(VALU_DEP_1)
	v_cmp_gt_i32_e64 s15, 64, v5
	v_cndmask_b32_e64 v5, v3, v5, s15
	s_waitcnt lgkmcnt(0)
	s_delay_alu instid0(VALU_DEP_1) | instskip(SKIP_2) | instid1(VALU_DEP_1)
	v_dual_add_f32 v2, v2, v4 :: v_dual_lshlrev_b32 v5, 2, v5
	ds_bpermute_b32 v4, v5, v2
	v_xor_b32_e32 v5, 1, v3
	v_cmp_gt_i32_e64 s15, 64, v5
	s_delay_alu instid0(VALU_DEP_1) | instskip(SKIP_1) | instid1(VALU_DEP_1)
	v_cndmask_b32_e64 v3, v3, v5, s15
	s_waitcnt lgkmcnt(0)
	v_dual_add_f32 v2, v2, v4 :: v_dual_lshlrev_b32 v3, 2, v3
	ds_bpermute_b32 v3, v3, v2
	v_cmpx_lt_i32_e32 0, v38
	s_cbranch_execz .LBB272_50
; %bb.33:
	v_add_co_u32 v0, s15, s16, v0
	s_delay_alu instid0(VALU_DEP_1)
	v_add_co_ci_u32_e64 v1, s15, s17, v1, s15
	s_waitcnt lgkmcnt(0)
	v_add_f32_e32 v2, v2, v3
	s_and_saveexec_b32 s15, s11
	s_cbranch_execnz .LBB272_51
; %bb.34:
	s_or_b32 exec_lo, exec_lo, s15
	s_and_saveexec_b32 s15, s14
	s_cbranch_execnz .LBB272_52
.LBB272_35:
	s_or_b32 exec_lo, exec_lo, s15
	s_and_saveexec_b32 s14, s12
	s_cbranch_execnz .LBB272_53
.LBB272_36:
	s_or_b32 exec_lo, exec_lo, s14
	s_and_saveexec_b32 s12, s13
	s_cbranch_execnz .LBB272_54
.LBB272_37:
	s_or_b32 exec_lo, exec_lo, s12
	s_and_saveexec_b32 s11, s9
	s_cbranch_execnz .LBB272_55
.LBB272_38:
	s_or_b32 exec_lo, exec_lo, s11
	s_and_saveexec_b32 s11, s10
	s_cbranch_execnz .LBB272_56
.LBB272_39:
	s_or_b32 exec_lo, exec_lo, s11
	s_and_saveexec_b32 s9, s7
	s_cbranch_execnz .LBB272_57
.LBB272_40:
	s_or_b32 exec_lo, exec_lo, s9
	s_and_saveexec_b32 s9, s8
	s_cbranch_execnz .LBB272_58
.LBB272_41:
	s_or_b32 exec_lo, exec_lo, s9
	s_and_saveexec_b32 s7, s5
	s_cbranch_execnz .LBB272_59
.LBB272_42:
	s_or_b32 exec_lo, exec_lo, s7
	s_and_saveexec_b32 s7, s6
	s_cbranch_execnz .LBB272_60
.LBB272_43:
	s_or_b32 exec_lo, exec_lo, s7
	s_and_saveexec_b32 s5, s3
	s_cbranch_execnz .LBB272_61
.LBB272_44:
	s_or_b32 exec_lo, exec_lo, s5
	s_and_saveexec_b32 s5, s4
	s_cbranch_execnz .LBB272_62
.LBB272_45:
	s_or_b32 exec_lo, exec_lo, s5
	s_and_saveexec_b32 s3, s1
	s_cbranch_execnz .LBB272_63
.LBB272_46:
	s_or_b32 exec_lo, exec_lo, s3
	s_and_saveexec_b32 s3, s2
	s_cbranch_execnz .LBB272_64
.LBB272_47:
	s_or_b32 exec_lo, exec_lo, s3
	s_and_saveexec_b32 s1, vcc_lo
	s_cbranch_execnz .LBB272_65
.LBB272_48:
	s_or_b32 exec_lo, exec_lo, s1
	s_delay_alu instid0(SALU_CYCLE_1)
	s_and_b32 exec_lo, exec_lo, s0
	s_cbranch_execz .LBB272_50
.LBB272_49:
	v_mul_f32_e32 v3, 0x3fb8aa3b, v19
	v_cmp_ngt_f32_e32 vcc_lo, 0xc2ce8ed0, v19
	s_delay_alu instid0(VALU_DEP_2) | instskip(SKIP_1) | instid1(VALU_DEP_2)
	v_rndne_f32_e32 v4, v3
	v_fma_f32 v5, 0x3fb8aa3b, v19, -v3
	v_sub_f32_e32 v3, v3, v4
	s_delay_alu instid0(VALU_DEP_2) | instskip(SKIP_1) | instid1(VALU_DEP_2)
	v_fmamk_f32 v5, v19, 0x32a5705f, v5
	v_cvt_i32_f32_e32 v4, v4
	v_add_f32_e32 v3, v3, v5
	s_delay_alu instid0(VALU_DEP_1) | instskip(SKIP_2) | instid1(VALU_DEP_1)
	v_exp_f32_e32 v3, v3
	s_waitcnt_depctr 0xfff
	v_ldexp_f32 v3, v3, v4
	v_cndmask_b32_e32 v3, 0, v3, vcc_lo
	v_cmp_nlt_f32_e32 vcc_lo, 0x42b17218, v19
	s_delay_alu instid0(VALU_DEP_2) | instskip(NEXT) | instid1(VALU_DEP_1)
	v_cndmask_b32_e32 v3, 0x7f800000, v3, vcc_lo
	v_fma_mixlo_f16 v2, -v2, v3, v6
	global_store_b16 v[0:1], v2, off offset:1920
.LBB272_50:
	s_nop 0
	s_sendmsg sendmsg(MSG_DEALLOC_VGPRS)
	s_endpgm
.LBB272_51:
	v_mul_f32_e32 v3, 0x3fb8aa3b, v37
	v_cmp_ngt_f32_e64 s11, 0xc2ce8ed0, v37
	s_delay_alu instid0(VALU_DEP_2) | instskip(SKIP_1) | instid1(VALU_DEP_2)
	v_rndne_f32_e32 v4, v3
	v_fma_f32 v5, 0x3fb8aa3b, v37, -v3
	v_sub_f32_e32 v3, v3, v4
	s_delay_alu instid0(VALU_DEP_2) | instskip(SKIP_1) | instid1(VALU_DEP_2)
	v_fmamk_f32 v5, v37, 0x32a5705f, v5
	v_cvt_i32_f32_e32 v4, v4
	v_add_f32_e32 v3, v3, v5
	s_delay_alu instid0(VALU_DEP_1) | instskip(SKIP_2) | instid1(VALU_DEP_1)
	v_exp_f32_e32 v3, v3
	s_waitcnt_depctr 0xfff
	v_ldexp_f32 v3, v3, v4
	v_cndmask_b32_e64 v3, 0, v3, s11
	v_cmp_nlt_f32_e64 s11, 0x42b17218, v37
	s_delay_alu instid0(VALU_DEP_1) | instskip(NEXT) | instid1(VALU_DEP_1)
	v_cndmask_b32_e64 v3, 0x7f800000, v3, s11
	v_fma_mixlo_f16 v3, -v2, v3, v16
	global_store_b16 v[0:1], v3, off
	s_or_b32 exec_lo, exec_lo, s15
	s_and_saveexec_b32 s15, s14
	s_cbranch_execz .LBB272_35
.LBB272_52:
	v_mul_f32_e32 v3, 0x3fb8aa3b, v35
	v_cmp_ngt_f32_e64 s11, 0xc2ce8ed0, v35
	s_delay_alu instid0(VALU_DEP_2) | instskip(SKIP_1) | instid1(VALU_DEP_2)
	v_rndne_f32_e32 v4, v3
	v_fma_f32 v5, 0x3fb8aa3b, v35, -v3
	v_sub_f32_e32 v3, v3, v4
	s_delay_alu instid0(VALU_DEP_2) | instskip(SKIP_1) | instid1(VALU_DEP_2)
	v_fmamk_f32 v5, v35, 0x32a5705f, v5
	v_cvt_i32_f32_e32 v4, v4
	v_add_f32_e32 v3, v3, v5
	s_delay_alu instid0(VALU_DEP_1) | instskip(SKIP_2) | instid1(VALU_DEP_1)
	v_exp_f32_e32 v3, v3
	s_waitcnt_depctr 0xfff
	v_ldexp_f32 v3, v3, v4
	v_cndmask_b32_e64 v3, 0, v3, s11
	v_cmp_nlt_f32_e64 s11, 0x42b17218, v35
	s_delay_alu instid0(VALU_DEP_1) | instskip(NEXT) | instid1(VALU_DEP_1)
	v_cndmask_b32_e64 v3, 0x7f800000, v3, s11
	v_fma_mixlo_f16 v3, -v2, v3, v7
	global_store_b16 v[0:1], v3, off offset:128
	s_or_b32 exec_lo, exec_lo, s15
	s_and_saveexec_b32 s14, s12
	s_cbranch_execz .LBB272_36
.LBB272_53:
	v_mul_f32_e32 v3, 0x3fb8aa3b, v36
	v_cmp_ngt_f32_e64 s11, 0xc2ce8ed0, v36
	s_delay_alu instid0(VALU_DEP_2) | instskip(SKIP_1) | instid1(VALU_DEP_2)
	v_rndne_f32_e32 v4, v3
	v_fma_f32 v5, 0x3fb8aa3b, v36, -v3
	v_sub_f32_e32 v3, v3, v4
	s_delay_alu instid0(VALU_DEP_2) | instskip(SKIP_1) | instid1(VALU_DEP_2)
	v_fmamk_f32 v5, v36, 0x32a5705f, v5
	v_cvt_i32_f32_e32 v4, v4
	v_add_f32_e32 v3, v3, v5
	s_delay_alu instid0(VALU_DEP_1) | instskip(SKIP_2) | instid1(VALU_DEP_1)
	v_exp_f32_e32 v3, v3
	s_waitcnt_depctr 0xfff
	v_ldexp_f32 v3, v3, v4
	v_cndmask_b32_e64 v3, 0, v3, s11
	v_cmp_nlt_f32_e64 s11, 0x42b17218, v36
	s_delay_alu instid0(VALU_DEP_1) | instskip(NEXT) | instid1(VALU_DEP_1)
	v_cndmask_b32_e64 v3, 0x7f800000, v3, s11
	v_fma_mixlo_f16 v3, -v2, v3, v26
	global_store_b16 v[0:1], v3, off offset:256
	s_or_b32 exec_lo, exec_lo, s14
	s_and_saveexec_b32 s12, s13
	s_cbranch_execz .LBB272_37
.LBB272_54:
	v_mul_f32_e32 v3, 0x3fb8aa3b, v33
	v_cmp_ngt_f32_e64 s11, 0xc2ce8ed0, v33
	s_delay_alu instid0(VALU_DEP_2) | instskip(SKIP_1) | instid1(VALU_DEP_2)
	v_rndne_f32_e32 v4, v3
	v_fma_f32 v5, 0x3fb8aa3b, v33, -v3
	v_sub_f32_e32 v3, v3, v4
	s_delay_alu instid0(VALU_DEP_2) | instskip(SKIP_1) | instid1(VALU_DEP_2)
	v_fmamk_f32 v5, v33, 0x32a5705f, v5
	v_cvt_i32_f32_e32 v4, v4
	v_add_f32_e32 v3, v3, v5
	s_delay_alu instid0(VALU_DEP_1) | instskip(SKIP_2) | instid1(VALU_DEP_1)
	v_exp_f32_e32 v3, v3
	s_waitcnt_depctr 0xfff
	v_ldexp_f32 v3, v3, v4
	v_cndmask_b32_e64 v3, 0, v3, s11
	v_cmp_nlt_f32_e64 s11, 0x42b17218, v33
	s_delay_alu instid0(VALU_DEP_1) | instskip(NEXT) | instid1(VALU_DEP_1)
	v_cndmask_b32_e64 v3, 0x7f800000, v3, s11
	v_fma_mixlo_f16 v3, -v2, v3, v13
	global_store_b16 v[0:1], v3, off offset:384
	s_or_b32 exec_lo, exec_lo, s12
	s_and_saveexec_b32 s11, s9
	s_cbranch_execz .LBB272_38
.LBB272_55:
	v_mul_f32_e32 v3, 0x3fb8aa3b, v34
	v_cmp_ngt_f32_e64 s9, 0xc2ce8ed0, v34
	s_delay_alu instid0(VALU_DEP_2) | instskip(SKIP_1) | instid1(VALU_DEP_2)
	v_rndne_f32_e32 v4, v3
	v_fma_f32 v5, 0x3fb8aa3b, v34, -v3
	v_sub_f32_e32 v3, v3, v4
	s_delay_alu instid0(VALU_DEP_2) | instskip(SKIP_1) | instid1(VALU_DEP_2)
	v_fmamk_f32 v5, v34, 0x32a5705f, v5
	v_cvt_i32_f32_e32 v4, v4
	v_add_f32_e32 v3, v3, v5
	s_delay_alu instid0(VALU_DEP_1) | instskip(SKIP_2) | instid1(VALU_DEP_1)
	v_exp_f32_e32 v3, v3
	s_waitcnt_depctr 0xfff
	v_ldexp_f32 v3, v3, v4
	v_cndmask_b32_e64 v3, 0, v3, s9
	v_cmp_nlt_f32_e64 s9, 0x42b17218, v34
	s_delay_alu instid0(VALU_DEP_1) | instskip(NEXT) | instid1(VALU_DEP_1)
	v_cndmask_b32_e64 v3, 0x7f800000, v3, s9
	v_fma_mixlo_f16 v3, -v2, v3, v23
	global_store_b16 v[0:1], v3, off offset:512
	s_or_b32 exec_lo, exec_lo, s11
	s_and_saveexec_b32 s11, s10
	s_cbranch_execz .LBB272_39
.LBB272_56:
	v_mul_f32_e32 v3, 0x3fb8aa3b, v31
	v_cmp_ngt_f32_e64 s9, 0xc2ce8ed0, v31
	s_delay_alu instid0(VALU_DEP_2) | instskip(SKIP_1) | instid1(VALU_DEP_2)
	v_rndne_f32_e32 v4, v3
	v_fma_f32 v5, 0x3fb8aa3b, v31, -v3
	v_sub_f32_e32 v3, v3, v4
	s_delay_alu instid0(VALU_DEP_2) | instskip(SKIP_1) | instid1(VALU_DEP_2)
	v_fmamk_f32 v5, v31, 0x32a5705f, v5
	v_cvt_i32_f32_e32 v4, v4
	v_add_f32_e32 v3, v3, v5
	s_delay_alu instid0(VALU_DEP_1) | instskip(SKIP_2) | instid1(VALU_DEP_1)
	v_exp_f32_e32 v3, v3
	s_waitcnt_depctr 0xfff
	v_ldexp_f32 v3, v3, v4
	v_cndmask_b32_e64 v3, 0, v3, s9
	v_cmp_nlt_f32_e64 s9, 0x42b17218, v31
	s_delay_alu instid0(VALU_DEP_1) | instskip(NEXT) | instid1(VALU_DEP_1)
	v_cndmask_b32_e64 v3, 0x7f800000, v3, s9
	v_fma_mixlo_f16 v3, -v2, v3, v12
	global_store_b16 v[0:1], v3, off offset:640
	s_or_b32 exec_lo, exec_lo, s11
	s_and_saveexec_b32 s9, s7
	s_cbranch_execz .LBB272_40
.LBB272_57:
	v_mul_f32_e32 v3, 0x3fb8aa3b, v32
	v_cmp_ngt_f32_e64 s7, 0xc2ce8ed0, v32
	s_delay_alu instid0(VALU_DEP_2) | instskip(SKIP_1) | instid1(VALU_DEP_2)
	v_rndne_f32_e32 v4, v3
	v_fma_f32 v5, 0x3fb8aa3b, v32, -v3
	v_sub_f32_e32 v3, v3, v4
	s_delay_alu instid0(VALU_DEP_2) | instskip(SKIP_1) | instid1(VALU_DEP_2)
	v_fmamk_f32 v5, v32, 0x32a5705f, v5
	v_cvt_i32_f32_e32 v4, v4
	v_add_f32_e32 v3, v3, v5
	s_delay_alu instid0(VALU_DEP_1) | instskip(SKIP_2) | instid1(VALU_DEP_1)
	v_exp_f32_e32 v3, v3
	s_waitcnt_depctr 0xfff
	v_ldexp_f32 v3, v3, v4
	v_cndmask_b32_e64 v3, 0, v3, s7
	v_cmp_nlt_f32_e64 s7, 0x42b17218, v32
	s_delay_alu instid0(VALU_DEP_1) | instskip(NEXT) | instid1(VALU_DEP_1)
	v_cndmask_b32_e64 v3, 0x7f800000, v3, s7
	v_fma_mixlo_f16 v3, -v2, v3, v20
	global_store_b16 v[0:1], v3, off offset:768
	s_or_b32 exec_lo, exec_lo, s9
	s_and_saveexec_b32 s9, s8
	s_cbranch_execz .LBB272_41
.LBB272_58:
	v_mul_f32_e32 v3, 0x3fb8aa3b, v29
	v_cmp_ngt_f32_e64 s7, 0xc2ce8ed0, v29
	s_delay_alu instid0(VALU_DEP_2) | instskip(SKIP_1) | instid1(VALU_DEP_2)
	v_rndne_f32_e32 v4, v3
	v_fma_f32 v5, 0x3fb8aa3b, v29, -v3
	v_sub_f32_e32 v3, v3, v4
	s_delay_alu instid0(VALU_DEP_2) | instskip(SKIP_1) | instid1(VALU_DEP_2)
	v_fmamk_f32 v5, v29, 0x32a5705f, v5
	v_cvt_i32_f32_e32 v4, v4
	v_add_f32_e32 v3, v3, v5
	s_delay_alu instid0(VALU_DEP_1) | instskip(SKIP_2) | instid1(VALU_DEP_1)
	v_exp_f32_e32 v3, v3
	s_waitcnt_depctr 0xfff
	v_ldexp_f32 v3, v3, v4
	v_cndmask_b32_e64 v3, 0, v3, s7
	v_cmp_nlt_f32_e64 s7, 0x42b17218, v29
	s_delay_alu instid0(VALU_DEP_1) | instskip(NEXT) | instid1(VALU_DEP_1)
	v_cndmask_b32_e64 v3, 0x7f800000, v3, s7
	v_fma_mixlo_f16 v3, -v2, v3, v11
	global_store_b16 v[0:1], v3, off offset:896
	s_or_b32 exec_lo, exec_lo, s9
	s_and_saveexec_b32 s7, s5
	s_cbranch_execz .LBB272_42
.LBB272_59:
	v_mul_f32_e32 v3, 0x3fb8aa3b, v30
	v_cmp_ngt_f32_e64 s5, 0xc2ce8ed0, v30
	s_delay_alu instid0(VALU_DEP_2) | instskip(SKIP_1) | instid1(VALU_DEP_2)
	v_rndne_f32_e32 v4, v3
	v_fma_f32 v5, 0x3fb8aa3b, v30, -v3
	v_sub_f32_e32 v3, v3, v4
	s_delay_alu instid0(VALU_DEP_2) | instskip(SKIP_1) | instid1(VALU_DEP_2)
	v_fmamk_f32 v5, v30, 0x32a5705f, v5
	v_cvt_i32_f32_e32 v4, v4
	v_add_f32_e32 v3, v3, v5
	s_delay_alu instid0(VALU_DEP_1) | instskip(SKIP_2) | instid1(VALU_DEP_1)
	v_exp_f32_e32 v3, v3
	s_waitcnt_depctr 0xfff
	v_ldexp_f32 v3, v3, v4
	v_cndmask_b32_e64 v3, 0, v3, s5
	v_cmp_nlt_f32_e64 s5, 0x42b17218, v30
	s_delay_alu instid0(VALU_DEP_1) | instskip(NEXT) | instid1(VALU_DEP_1)
	v_cndmask_b32_e64 v3, 0x7f800000, v3, s5
	v_fma_mixlo_f16 v3, -v2, v3, v18
	global_store_b16 v[0:1], v3, off offset:1024
	s_or_b32 exec_lo, exec_lo, s7
	s_and_saveexec_b32 s7, s6
	s_cbranch_execz .LBB272_43
.LBB272_60:
	v_mul_f32_e32 v3, 0x3fb8aa3b, v27
	v_cmp_ngt_f32_e64 s5, 0xc2ce8ed0, v27
	s_delay_alu instid0(VALU_DEP_2) | instskip(SKIP_1) | instid1(VALU_DEP_2)
	v_rndne_f32_e32 v4, v3
	v_fma_f32 v5, 0x3fb8aa3b, v27, -v3
	v_sub_f32_e32 v3, v3, v4
	s_delay_alu instid0(VALU_DEP_2) | instskip(SKIP_1) | instid1(VALU_DEP_2)
	v_fmamk_f32 v5, v27, 0x32a5705f, v5
	v_cvt_i32_f32_e32 v4, v4
	v_add_f32_e32 v3, v3, v5
	s_delay_alu instid0(VALU_DEP_1) | instskip(SKIP_2) | instid1(VALU_DEP_1)
	v_exp_f32_e32 v3, v3
	s_waitcnt_depctr 0xfff
	v_ldexp_f32 v3, v3, v4
	v_cndmask_b32_e64 v3, 0, v3, s5
	v_cmp_nlt_f32_e64 s5, 0x42b17218, v27
	s_delay_alu instid0(VALU_DEP_1) | instskip(NEXT) | instid1(VALU_DEP_1)
	v_cndmask_b32_e64 v3, 0x7f800000, v3, s5
	v_fma_mixlo_f16 v3, -v2, v3, v10
	global_store_b16 v[0:1], v3, off offset:1152
	s_or_b32 exec_lo, exec_lo, s7
	s_and_saveexec_b32 s5, s3
	s_cbranch_execz .LBB272_44
.LBB272_61:
	v_mul_f32_e32 v3, 0x3fb8aa3b, v28
	v_cmp_ngt_f32_e64 s3, 0xc2ce8ed0, v28
	s_delay_alu instid0(VALU_DEP_2) | instskip(SKIP_1) | instid1(VALU_DEP_2)
	v_rndne_f32_e32 v4, v3
	v_fma_f32 v5, 0x3fb8aa3b, v28, -v3
	v_sub_f32_e32 v3, v3, v4
	s_delay_alu instid0(VALU_DEP_2) | instskip(SKIP_1) | instid1(VALU_DEP_2)
	v_fmamk_f32 v5, v28, 0x32a5705f, v5
	v_cvt_i32_f32_e32 v4, v4
	v_add_f32_e32 v3, v3, v5
	s_delay_alu instid0(VALU_DEP_1) | instskip(SKIP_2) | instid1(VALU_DEP_1)
	v_exp_f32_e32 v3, v3
	s_waitcnt_depctr 0xfff
	v_ldexp_f32 v3, v3, v4
	v_cndmask_b32_e64 v3, 0, v3, s3
	v_cmp_nlt_f32_e64 s3, 0x42b17218, v28
	s_delay_alu instid0(VALU_DEP_1) | instskip(NEXT) | instid1(VALU_DEP_1)
	v_cndmask_b32_e64 v3, 0x7f800000, v3, s3
	v_fma_mixlo_f16 v3, -v2, v3, v17
	global_store_b16 v[0:1], v3, off offset:1280
	s_or_b32 exec_lo, exec_lo, s5
	s_and_saveexec_b32 s5, s4
	s_cbranch_execz .LBB272_45
.LBB272_62:
	v_mul_f32_e32 v3, 0x3fb8aa3b, v24
	v_cmp_ngt_f32_e64 s3, 0xc2ce8ed0, v24
	s_delay_alu instid0(VALU_DEP_2) | instskip(SKIP_1) | instid1(VALU_DEP_2)
	v_rndne_f32_e32 v4, v3
	v_fma_f32 v5, 0x3fb8aa3b, v24, -v3
	v_sub_f32_e32 v3, v3, v4
	s_delay_alu instid0(VALU_DEP_2) | instskip(SKIP_1) | instid1(VALU_DEP_2)
	v_fmamk_f32 v5, v24, 0x32a5705f, v5
	v_cvt_i32_f32_e32 v4, v4
	v_add_f32_e32 v3, v3, v5
	s_delay_alu instid0(VALU_DEP_1) | instskip(SKIP_2) | instid1(VALU_DEP_1)
	v_exp_f32_e32 v3, v3
	s_waitcnt_depctr 0xfff
	v_ldexp_f32 v3, v3, v4
	v_cndmask_b32_e64 v3, 0, v3, s3
	v_cmp_nlt_f32_e64 s3, 0x42b17218, v24
	s_delay_alu instid0(VALU_DEP_1) | instskip(NEXT) | instid1(VALU_DEP_1)
	v_cndmask_b32_e64 v3, 0x7f800000, v3, s3
	v_fma_mixlo_f16 v3, -v2, v3, v9
	global_store_b16 v[0:1], v3, off offset:1408
	s_or_b32 exec_lo, exec_lo, s5
	s_and_saveexec_b32 s3, s1
	s_cbranch_execz .LBB272_46
.LBB272_63:
	v_mul_f32_e32 v3, 0x3fb8aa3b, v25
	v_cmp_ngt_f32_e64 s1, 0xc2ce8ed0, v25
	s_delay_alu instid0(VALU_DEP_2) | instskip(SKIP_1) | instid1(VALU_DEP_2)
	v_rndne_f32_e32 v4, v3
	v_fma_f32 v5, 0x3fb8aa3b, v25, -v3
	v_sub_f32_e32 v3, v3, v4
	s_delay_alu instid0(VALU_DEP_2) | instskip(SKIP_1) | instid1(VALU_DEP_2)
	v_fmamk_f32 v5, v25, 0x32a5705f, v5
	v_cvt_i32_f32_e32 v4, v4
	v_add_f32_e32 v3, v3, v5
	s_delay_alu instid0(VALU_DEP_1) | instskip(SKIP_2) | instid1(VALU_DEP_1)
	v_exp_f32_e32 v3, v3
	s_waitcnt_depctr 0xfff
	v_ldexp_f32 v3, v3, v4
	v_cndmask_b32_e64 v3, 0, v3, s1
	v_cmp_nlt_f32_e64 s1, 0x42b17218, v25
	s_delay_alu instid0(VALU_DEP_1) | instskip(NEXT) | instid1(VALU_DEP_1)
	v_cndmask_b32_e64 v3, 0x7f800000, v3, s1
	v_fma_mixlo_f16 v3, -v2, v3, v15
	global_store_b16 v[0:1], v3, off offset:1536
	s_or_b32 exec_lo, exec_lo, s3
	s_and_saveexec_b32 s3, s2
	s_cbranch_execz .LBB272_47
.LBB272_64:
	v_mul_f32_e32 v3, 0x3fb8aa3b, v21
	v_cmp_ngt_f32_e64 s1, 0xc2ce8ed0, v21
	s_delay_alu instid0(VALU_DEP_2) | instskip(SKIP_1) | instid1(VALU_DEP_2)
	v_rndne_f32_e32 v4, v3
	v_fma_f32 v5, 0x3fb8aa3b, v21, -v3
	v_sub_f32_e32 v3, v3, v4
	s_delay_alu instid0(VALU_DEP_2) | instskip(SKIP_1) | instid1(VALU_DEP_2)
	v_fmamk_f32 v5, v21, 0x32a5705f, v5
	v_cvt_i32_f32_e32 v4, v4
	v_add_f32_e32 v3, v3, v5
	s_delay_alu instid0(VALU_DEP_1) | instskip(SKIP_2) | instid1(VALU_DEP_1)
	v_exp_f32_e32 v3, v3
	s_waitcnt_depctr 0xfff
	v_ldexp_f32 v3, v3, v4
	v_cndmask_b32_e64 v3, 0, v3, s1
	v_cmp_nlt_f32_e64 s1, 0x42b17218, v21
	s_delay_alu instid0(VALU_DEP_1) | instskip(NEXT) | instid1(VALU_DEP_1)
	v_cndmask_b32_e64 v3, 0x7f800000, v3, s1
	v_fma_mixlo_f16 v3, -v2, v3, v8
	global_store_b16 v[0:1], v3, off offset:1664
	s_or_b32 exec_lo, exec_lo, s3
	s_and_saveexec_b32 s1, vcc_lo
	s_cbranch_execz .LBB272_48
.LBB272_65:
	v_mul_f32_e32 v3, 0x3fb8aa3b, v22
	v_cmp_ngt_f32_e32 vcc_lo, 0xc2ce8ed0, v22
	s_delay_alu instid0(VALU_DEP_2) | instskip(SKIP_1) | instid1(VALU_DEP_2)
	v_rndne_f32_e32 v4, v3
	v_fma_f32 v5, 0x3fb8aa3b, v22, -v3
	v_sub_f32_e32 v3, v3, v4
	s_delay_alu instid0(VALU_DEP_2) | instskip(SKIP_1) | instid1(VALU_DEP_2)
	v_fmamk_f32 v5, v22, 0x32a5705f, v5
	v_cvt_i32_f32_e32 v4, v4
	v_add_f32_e32 v3, v3, v5
	s_delay_alu instid0(VALU_DEP_1) | instskip(SKIP_2) | instid1(VALU_DEP_1)
	v_exp_f32_e32 v3, v3
	s_waitcnt_depctr 0xfff
	v_ldexp_f32 v3, v3, v4
	v_cndmask_b32_e32 v3, 0, v3, vcc_lo
	v_cmp_nlt_f32_e32 vcc_lo, 0x42b17218, v22
	s_delay_alu instid0(VALU_DEP_2) | instskip(NEXT) | instid1(VALU_DEP_1)
	v_cndmask_b32_e32 v3, 0x7f800000, v3, vcc_lo
	v_fma_mixlo_f16 v3, -v2, v3, v14
	global_store_b16 v[0:1], v3, off offset:1792
	s_or_b32 exec_lo, exec_lo, s1
	s_delay_alu instid0(SALU_CYCLE_1)
	s_and_b32 exec_lo, exec_lo, s0
	s_cbranch_execnz .LBB272_49
	s_branch .LBB272_50
	.section	.rodata,"a",@progbits
	.p2align	6, 0x0
	.amdhsa_kernel _ZN12_GLOBAL__N_121softmax_warp_backwardIN3c104HalfES2_fLi10ELb1ELb0ELi64EEEvPT0_PKT_S7_iiiPKb
		.amdhsa_group_segment_fixed_size 0
		.amdhsa_private_segment_fixed_size 0
		.amdhsa_kernarg_size 304
		.amdhsa_user_sgpr_count 15
		.amdhsa_user_sgpr_dispatch_ptr 0
		.amdhsa_user_sgpr_queue_ptr 0
		.amdhsa_user_sgpr_kernarg_segment_ptr 1
		.amdhsa_user_sgpr_dispatch_id 0
		.amdhsa_user_sgpr_private_segment_size 0
		.amdhsa_wavefront_size32 1
		.amdhsa_uses_dynamic_stack 0
		.amdhsa_enable_private_segment 0
		.amdhsa_system_sgpr_workgroup_id_x 1
		.amdhsa_system_sgpr_workgroup_id_y 0
		.amdhsa_system_sgpr_workgroup_id_z 0
		.amdhsa_system_sgpr_workgroup_info 0
		.amdhsa_system_vgpr_workitem_id 1
		.amdhsa_next_free_vgpr 39
		.amdhsa_next_free_sgpr 24
		.amdhsa_reserve_vcc 1
		.amdhsa_float_round_mode_32 0
		.amdhsa_float_round_mode_16_64 0
		.amdhsa_float_denorm_mode_32 3
		.amdhsa_float_denorm_mode_16_64 3
		.amdhsa_dx10_clamp 1
		.amdhsa_ieee_mode 1
		.amdhsa_fp16_overflow 0
		.amdhsa_workgroup_processor_mode 1
		.amdhsa_memory_ordered 1
		.amdhsa_forward_progress 0
		.amdhsa_shared_vgpr_count 0
		.amdhsa_exception_fp_ieee_invalid_op 0
		.amdhsa_exception_fp_denorm_src 0
		.amdhsa_exception_fp_ieee_div_zero 0
		.amdhsa_exception_fp_ieee_overflow 0
		.amdhsa_exception_fp_ieee_underflow 0
		.amdhsa_exception_fp_ieee_inexact 0
		.amdhsa_exception_int_div_zero 0
	.end_amdhsa_kernel
	.section	.text._ZN12_GLOBAL__N_121softmax_warp_backwardIN3c104HalfES2_fLi10ELb1ELb0ELi64EEEvPT0_PKT_S7_iiiPKb,"axG",@progbits,_ZN12_GLOBAL__N_121softmax_warp_backwardIN3c104HalfES2_fLi10ELb1ELb0ELi64EEEvPT0_PKT_S7_iiiPKb,comdat
.Lfunc_end272:
	.size	_ZN12_GLOBAL__N_121softmax_warp_backwardIN3c104HalfES2_fLi10ELb1ELb0ELi64EEEvPT0_PKT_S7_iiiPKb, .Lfunc_end272-_ZN12_GLOBAL__N_121softmax_warp_backwardIN3c104HalfES2_fLi10ELb1ELb0ELi64EEEvPT0_PKT_S7_iiiPKb
                                        ; -- End function
	.section	.AMDGPU.csdata,"",@progbits
; Kernel info:
; codeLenInByte = 4348
; NumSgprs: 26
; NumVgprs: 39
; ScratchSize: 0
; MemoryBound: 0
; FloatMode: 240
; IeeeMode: 1
; LDSByteSize: 0 bytes/workgroup (compile time only)
; SGPRBlocks: 3
; VGPRBlocks: 4
; NumSGPRsForWavesPerEU: 26
; NumVGPRsForWavesPerEU: 39
; Occupancy: 16
; WaveLimiterHint : 0
; COMPUTE_PGM_RSRC2:SCRATCH_EN: 0
; COMPUTE_PGM_RSRC2:USER_SGPR: 15
; COMPUTE_PGM_RSRC2:TRAP_HANDLER: 0
; COMPUTE_PGM_RSRC2:TGID_X_EN: 1
; COMPUTE_PGM_RSRC2:TGID_Y_EN: 0
; COMPUTE_PGM_RSRC2:TGID_Z_EN: 0
; COMPUTE_PGM_RSRC2:TIDIG_COMP_CNT: 1
	.section	.text._ZN12_GLOBAL__N_121softmax_warp_backwardIN3c104HalfES2_fLi10ELb1ELb0ELi32EEEvPT0_PKT_S7_iiiPKb,"axG",@progbits,_ZN12_GLOBAL__N_121softmax_warp_backwardIN3c104HalfES2_fLi10ELb1ELb0ELi32EEEvPT0_PKT_S7_iiiPKb,comdat
	.globl	_ZN12_GLOBAL__N_121softmax_warp_backwardIN3c104HalfES2_fLi10ELb1ELb0ELi32EEEvPT0_PKT_S7_iiiPKb ; -- Begin function _ZN12_GLOBAL__N_121softmax_warp_backwardIN3c104HalfES2_fLi10ELb1ELb0ELi32EEEvPT0_PKT_S7_iiiPKb
	.p2align	8
	.type	_ZN12_GLOBAL__N_121softmax_warp_backwardIN3c104HalfES2_fLi10ELb1ELb0ELi32EEEvPT0_PKT_S7_iiiPKb,@function
_ZN12_GLOBAL__N_121softmax_warp_backwardIN3c104HalfES2_fLi10ELb1ELb0ELi32EEEvPT0_PKT_S7_iiiPKb: ; @_ZN12_GLOBAL__N_121softmax_warp_backwardIN3c104HalfES2_fLi10ELb1ELb0ELi32EEEvPT0_PKT_S7_iiiPKb
; %bb.0:
	s_clause 0x1
	s_load_b32 s2, s[0:1], 0x3c
	s_load_b128 s[40:43], s[0:1], 0x18
	v_bfe_u32 v1, v0, 10, 10
	v_dual_mov_b32 v15, 0 :: v_dual_and_b32 v26, 0x3ff, v0
	s_load_b128 s[36:39], s[0:1], 0x0
	v_mov_b32_e32 v45, 0
	s_load_b64 s[0:1], s[0:1], 0x10
	s_delay_alu instid0(VALU_DEP_2) | instskip(SKIP_2) | instid1(VALU_DEP_1)
	v_dual_mov_b32 v69, 0 :: v_dual_and_b32 v6, 31, v26
	s_waitcnt lgkmcnt(0)
	s_lshr_b32 s2, s2, 16
	v_cmp_gt_i32_e64 s27, s42, v6
	v_mad_u64_u32 v[2:3], null, s15, s2, v[1:2]
	s_delay_alu instid0(VALU_DEP_1) | instskip(SKIP_1) | instid1(VALU_DEP_1)
	v_mad_u64_u32 v[0:1], null, v2, s41, v[6:7]
	v_sub_nc_u32_e32 v70, s40, v2
	v_cmp_lt_i32_e64 s31, 0, v70
	s_delay_alu instid0(VALU_DEP_3) | instskip(NEXT) | instid1(VALU_DEP_1)
	v_ashrrev_i32_e32 v1, 31, v0
	v_lshlrev_b64 v[0:1], 1, v[0:1]
	s_delay_alu instid0(VALU_DEP_1) | instskip(NEXT) | instid1(VALU_DEP_2)
	v_add_co_u32 v2, vcc_lo, s38, v0
	v_add_co_ci_u32_e32 v3, vcc_lo, s39, v1, vcc_lo
	v_add_co_u32 v4, vcc_lo, s0, v0
	v_add_co_ci_u32_e32 v5, vcc_lo, s1, v1, vcc_lo
	s_and_b32 s1, s31, s27
	s_delay_alu instid0(SALU_CYCLE_1)
	s_and_saveexec_b32 s0, s1
	s_cbranch_execz .LBB273_2
; %bb.1:
	global_load_u16 v7, v[2:3], off
	global_load_u16 v8, v[4:5], off
	s_waitcnt vmcnt(1)
	v_cvt_f32_f16_e32 v45, v7
	s_waitcnt vmcnt(0)
	v_cvt_f32_f16_e32 v69, v8
.LBB273_2:
	s_or_b32 exec_lo, exec_lo, s0
	v_or_b32_e32 v7, 32, v6
	v_mov_b32_e32 v67, 0
	s_delay_alu instid0(VALU_DEP_2) | instskip(NEXT) | instid1(VALU_DEP_1)
	v_cmp_gt_i32_e64 s30, s42, v7
	s_and_b32 s1, s31, s30
	s_delay_alu instid0(SALU_CYCLE_1)
	s_and_saveexec_b32 s0, s1
	s_cbranch_execz .LBB273_4
; %bb.3:
	global_load_u16 v7, v[2:3], off offset:64
	global_load_u16 v8, v[4:5], off offset:64
	s_waitcnt vmcnt(1)
	v_cvt_f32_f16_e32 v15, v7
	s_waitcnt vmcnt(0)
	v_cvt_f32_f16_e32 v67, v8
.LBB273_4:
	s_or_b32 exec_lo, exec_lo, s0
	v_or_b32_e32 v7, 64, v6
	v_dual_mov_b32 v21, 0 :: v_dual_mov_b32 v58, 0
	v_mov_b32_e32 v68, 0
	s_delay_alu instid0(VALU_DEP_3) | instskip(NEXT) | instid1(VALU_DEP_1)
	v_cmp_gt_i32_e64 s28, s42, v7
	s_and_b32 s1, s31, s28
	s_delay_alu instid0(SALU_CYCLE_1)
	s_and_saveexec_b32 s0, s1
	s_cbranch_execz .LBB273_6
; %bb.5:
	global_load_u16 v7, v[2:3], off offset:128
	global_load_u16 v8, v[4:5], off offset:128
	s_waitcnt vmcnt(1)
	v_cvt_f32_f16_e32 v58, v7
	s_waitcnt vmcnt(0)
	v_cvt_f32_f16_e32 v68, v8
.LBB273_6:
	s_or_b32 exec_lo, exec_lo, s0
	v_or_b32_e32 v7, 0x60, v6
	v_mov_b32_e32 v65, 0
	s_delay_alu instid0(VALU_DEP_2) | instskip(NEXT) | instid1(VALU_DEP_1)
	v_cmp_gt_i32_e64 s29, s42, v7
	s_and_b32 s1, s31, s29
	s_delay_alu instid0(SALU_CYCLE_1)
	s_and_saveexec_b32 s0, s1
	s_cbranch_execz .LBB273_8
; %bb.7:
	global_load_u16 v7, v[2:3], off offset:192
	global_load_u16 v8, v[4:5], off offset:192
	s_waitcnt vmcnt(1)
	v_cvt_f32_f16_e32 v21, v7
	s_waitcnt vmcnt(0)
	v_cvt_f32_f16_e32 v65, v8
.LBB273_8:
	s_or_b32 exec_lo, exec_lo, s0
	v_or_b32_e32 v7, 0x80, v6
	v_dual_mov_b32 v20, 0 :: v_dual_mov_b32 v55, 0
	v_mov_b32_e32 v66, 0
	s_delay_alu instid0(VALU_DEP_3) | instskip(NEXT) | instid1(VALU_DEP_1)
	v_cmp_gt_i32_e64 s25, s42, v7
	s_and_b32 s1, s31, s25
	s_delay_alu instid0(SALU_CYCLE_1)
	s_and_saveexec_b32 s0, s1
	s_cbranch_execz .LBB273_10
; %bb.9:
	global_load_u16 v7, v[2:3], off offset:256
	global_load_u16 v8, v[4:5], off offset:256
	s_waitcnt vmcnt(1)
	v_cvt_f32_f16_e32 v55, v7
	s_waitcnt vmcnt(0)
	v_cvt_f32_f16_e32 v66, v8
.LBB273_10:
	;; [unrolled: 35-line block ×13, first 2 shown]
	s_or_b32 exec_lo, exec_lo, s0
	v_or_b32_e32 v7, 0x360, v6
	v_mov_b32_e32 v31, 0
	s_delay_alu instid0(VALU_DEP_2) | instskip(NEXT) | instid1(VALU_DEP_1)
	v_cmp_gt_i32_e64 s4, s42, v7
	s_and_b32 s1, s31, s4
	s_delay_alu instid0(SALU_CYCLE_1)
	s_and_saveexec_b32 s0, s1
	s_cbranch_execz .LBB273_56
; %bb.55:
	global_load_u16 v7, v[2:3], off offset:1728
	global_load_u16 v22, v[4:5], off offset:1728
	s_waitcnt vmcnt(1)
	v_cvt_f32_f16_e32 v8, v7
	s_waitcnt vmcnt(0)
	v_cvt_f32_f16_e32 v31, v22
.LBB273_56:
	s_or_b32 exec_lo, exec_lo, s0
	v_or_b32_e32 v7, 0x380, v6
	v_dual_mov_b32 v23, 0 :: v_dual_mov_b32 v32, 0
	s_delay_alu instid0(VALU_DEP_2) | instskip(SKIP_1) | instid1(VALU_DEP_2)
	v_cmp_gt_i32_e64 s1, s42, v7
	v_mov_b32_e32 v7, 0
	s_and_b32 s2, s31, s1
	s_delay_alu instid0(SALU_CYCLE_1)
	s_and_saveexec_b32 s0, s2
	s_cbranch_execz .LBB273_58
; %bb.57:
	global_load_u16 v22, v[2:3], off offset:1792
	global_load_u16 v28, v[4:5], off offset:1792
	s_waitcnt vmcnt(1)
	v_cvt_f32_f16_e32 v23, v22
	s_waitcnt vmcnt(0)
	v_cvt_f32_f16_e32 v32, v28
.LBB273_58:
	s_or_b32 exec_lo, exec_lo, s0
	v_or_b32_e32 v22, 0x3a0, v6
	v_mov_b32_e32 v28, 0
	s_delay_alu instid0(VALU_DEP_2) | instskip(NEXT) | instid1(VALU_DEP_1)
	v_cmp_gt_i32_e64 s2, s42, v22
	s_and_b32 s33, s31, s2
	s_delay_alu instid0(SALU_CYCLE_1)
	s_and_saveexec_b32 s0, s33
	s_cbranch_execz .LBB273_60
; %bb.59:
	global_load_u16 v7, v[2:3], off offset:1856
	global_load_u16 v22, v[4:5], off offset:1856
	s_waitcnt vmcnt(1)
	v_cvt_f32_f16_e32 v7, v7
	s_waitcnt vmcnt(0)
	v_cvt_f32_f16_e32 v28, v22
.LBB273_60:
	s_or_b32 exec_lo, exec_lo, s0
	v_or_b32_e32 v6, 0x3c0, v6
	v_dual_mov_b32 v22, 0 :: v_dual_mov_b32 v29, 0
	s_delay_alu instid0(VALU_DEP_2) | instskip(SKIP_2) | instid1(SALU_CYCLE_1)
	v_cmp_gt_i32_e32 vcc_lo, s42, v6
	v_mov_b32_e32 v6, 0
	s_and_b32 s33, s31, vcc_lo
	s_and_saveexec_b32 s0, s33
	s_cbranch_execz .LBB273_62
; %bb.61:
	global_load_u16 v22, v[2:3], off offset:1920
	global_load_u16 v29, v[4:5], off offset:1920
	s_waitcnt vmcnt(1)
	v_cvt_f32_f16_e32 v22, v22
	s_waitcnt vmcnt(0)
	v_cvt_f32_f16_e32 v29, v29
.LBB273_62:
	s_or_b32 exec_lo, exec_lo, s0
	v_or_b32_e32 v26, 0x3e0, v26
	s_delay_alu instid0(VALU_DEP_1) | instskip(SKIP_1) | instid1(VALU_DEP_2)
	v_cmp_gt_i32_e64 s0, s42, v26
	v_mov_b32_e32 v26, 0
	s_and_b32 s33, s31, s0
	s_delay_alu instid0(SALU_CYCLE_1)
	s_and_saveexec_b32 s31, s33
	s_cbranch_execz .LBB273_64
; %bb.63:
	global_load_u16 v2, v[2:3], off offset:1984
	global_load_u16 v3, v[4:5], off offset:1984
	s_waitcnt vmcnt(1)
	v_cvt_f32_f16_e32 v6, v2
	s_waitcnt vmcnt(0)
	v_cvt_f32_f16_e32 v26, v3
.LBB273_64:
	s_or_b32 exec_lo, exec_lo, s31
	v_mbcnt_lo_u32_b32 v3, -1, 0
	v_add_f32_e32 v2, 0, v45
	s_mov_b32 s33, exec_lo
	s_delay_alu instid0(VALU_DEP_2) | instskip(SKIP_1) | instid1(VALU_DEP_2)
	v_xor_b32_e32 v4, 16, v3
	v_xor_b32_e32 v5, 8, v3
	v_cmp_gt_i32_e64 s31, 32, v4
	s_delay_alu instid0(VALU_DEP_1) | instskip(NEXT) | instid1(VALU_DEP_3)
	v_cndmask_b32_e64 v4, v3, v4, s31
	v_cmp_gt_i32_e64 s31, 32, v5
	s_delay_alu instid0(VALU_DEP_2) | instskip(NEXT) | instid1(VALU_DEP_2)
	v_lshlrev_b32_e32 v4, 2, v4
	v_cndmask_b32_e64 v5, v3, v5, s31
	s_delay_alu instid0(VALU_DEP_1) | instskip(NEXT) | instid1(VALU_DEP_1)
	v_dual_add_f32 v2, v2, v15 :: v_dual_lshlrev_b32 v5, 2, v5
	v_add_f32_e32 v2, v2, v58
	s_delay_alu instid0(VALU_DEP_1) | instskip(NEXT) | instid1(VALU_DEP_1)
	v_add_f32_e32 v2, v2, v21
	v_add_f32_e32 v2, v2, v55
	s_delay_alu instid0(VALU_DEP_1) | instskip(NEXT) | instid1(VALU_DEP_1)
	v_add_f32_e32 v2, v2, v20
	;; [unrolled: 3-line block ×14, first 2 shown]
	v_add_f32_e32 v2, v2, v22
	s_delay_alu instid0(VALU_DEP_1)
	v_add_f32_e32 v2, v2, v6
	ds_bpermute_b32 v4, v4, v2
	s_waitcnt lgkmcnt(0)
	v_add_f32_e32 v2, v2, v4
	ds_bpermute_b32 v4, v5, v2
	v_xor_b32_e32 v5, 4, v3
	s_delay_alu instid0(VALU_DEP_1) | instskip(NEXT) | instid1(VALU_DEP_1)
	v_cmp_gt_i32_e64 s31, 32, v5
	v_cndmask_b32_e64 v5, v3, v5, s31
	s_waitcnt lgkmcnt(0)
	s_delay_alu instid0(VALU_DEP_1) | instskip(SKIP_2) | instid1(VALU_DEP_1)
	v_dual_add_f32 v2, v2, v4 :: v_dual_lshlrev_b32 v5, 2, v5
	ds_bpermute_b32 v4, v5, v2
	v_xor_b32_e32 v5, 2, v3
	v_cmp_gt_i32_e64 s31, 32, v5
	s_delay_alu instid0(VALU_DEP_1) | instskip(SKIP_1) | instid1(VALU_DEP_1)
	v_cndmask_b32_e64 v5, v3, v5, s31
	s_waitcnt lgkmcnt(0)
	v_dual_add_f32 v2, v2, v4 :: v_dual_lshlrev_b32 v5, 2, v5
	ds_bpermute_b32 v4, v5, v2
	v_xor_b32_e32 v5, 1, v3
	s_delay_alu instid0(VALU_DEP_1) | instskip(NEXT) | instid1(VALU_DEP_1)
	v_cmp_gt_i32_e64 s31, 32, v5
	v_cndmask_b32_e64 v3, v3, v5, s31
	s_waitcnt lgkmcnt(0)
	s_delay_alu instid0(VALU_DEP_1)
	v_dual_add_f32 v2, v2, v4 :: v_dual_lshlrev_b32 v3, 2, v3
	ds_bpermute_b32 v3, v3, v2
	v_cmpx_lt_i32_e32 0, v70
	s_cbranch_execz .LBB273_98
; %bb.65:
	v_add_co_u32 v0, s31, s36, v0
	s_delay_alu instid0(VALU_DEP_1)
	v_add_co_ci_u32_e64 v1, s31, s37, v1, s31
	s_waitcnt lgkmcnt(0)
	v_add_f32_e32 v2, v2, v3
	s_and_saveexec_b32 s31, s27
	s_cbranch_execnz .LBB273_99
; %bb.66:
	s_or_b32 exec_lo, exec_lo, s31
	s_and_saveexec_b32 s31, s30
	s_cbranch_execnz .LBB273_100
.LBB273_67:
	s_or_b32 exec_lo, exec_lo, s31
	s_and_saveexec_b32 s30, s28
	s_cbranch_execnz .LBB273_101
.LBB273_68:
	s_or_b32 exec_lo, exec_lo, s30
	s_and_saveexec_b32 s28, s29
	s_cbranch_execnz .LBB273_102
.LBB273_69:
	s_or_b32 exec_lo, exec_lo, s28
	s_and_saveexec_b32 s27, s25
	s_cbranch_execnz .LBB273_103
.LBB273_70:
	s_or_b32 exec_lo, exec_lo, s27
	s_and_saveexec_b32 s27, s26
	s_cbranch_execnz .LBB273_104
.LBB273_71:
	s_or_b32 exec_lo, exec_lo, s27
	s_and_saveexec_b32 s25, s23
	s_cbranch_execnz .LBB273_105
.LBB273_72:
	s_or_b32 exec_lo, exec_lo, s25
	s_and_saveexec_b32 s25, s24
	s_cbranch_execnz .LBB273_106
.LBB273_73:
	s_or_b32 exec_lo, exec_lo, s25
	s_and_saveexec_b32 s23, s21
	s_cbranch_execnz .LBB273_107
.LBB273_74:
	s_or_b32 exec_lo, exec_lo, s23
	s_and_saveexec_b32 s23, s22
	s_cbranch_execnz .LBB273_108
.LBB273_75:
	s_or_b32 exec_lo, exec_lo, s23
	s_and_saveexec_b32 s21, s19
	s_cbranch_execnz .LBB273_109
.LBB273_76:
	s_or_b32 exec_lo, exec_lo, s21
	s_and_saveexec_b32 s21, s20
	s_cbranch_execnz .LBB273_110
.LBB273_77:
	s_or_b32 exec_lo, exec_lo, s21
	s_and_saveexec_b32 s19, s17
	s_cbranch_execnz .LBB273_111
.LBB273_78:
	s_or_b32 exec_lo, exec_lo, s19
	s_and_saveexec_b32 s19, s18
	s_cbranch_execnz .LBB273_112
.LBB273_79:
	s_or_b32 exec_lo, exec_lo, s19
	s_and_saveexec_b32 s17, s15
	s_cbranch_execnz .LBB273_113
.LBB273_80:
	s_or_b32 exec_lo, exec_lo, s17
	s_and_saveexec_b32 s17, s16
	s_cbranch_execnz .LBB273_114
.LBB273_81:
	s_or_b32 exec_lo, exec_lo, s17
	s_and_saveexec_b32 s15, s13
	s_cbranch_execnz .LBB273_115
.LBB273_82:
	s_or_b32 exec_lo, exec_lo, s15
	s_and_saveexec_b32 s15, s14
	s_cbranch_execnz .LBB273_116
.LBB273_83:
	s_or_b32 exec_lo, exec_lo, s15
	s_and_saveexec_b32 s13, s11
	s_cbranch_execnz .LBB273_117
.LBB273_84:
	s_or_b32 exec_lo, exec_lo, s13
	s_and_saveexec_b32 s13, s12
	s_cbranch_execnz .LBB273_118
.LBB273_85:
	s_or_b32 exec_lo, exec_lo, s13
	s_and_saveexec_b32 s11, s9
	s_cbranch_execnz .LBB273_119
.LBB273_86:
	s_or_b32 exec_lo, exec_lo, s11
	s_and_saveexec_b32 s11, s10
	s_cbranch_execnz .LBB273_120
.LBB273_87:
	s_or_b32 exec_lo, exec_lo, s11
	s_and_saveexec_b32 s9, s7
	s_cbranch_execnz .LBB273_121
.LBB273_88:
	s_or_b32 exec_lo, exec_lo, s9
	s_and_saveexec_b32 s9, s8
	s_cbranch_execnz .LBB273_122
.LBB273_89:
	s_or_b32 exec_lo, exec_lo, s9
	s_and_saveexec_b32 s7, s5
	s_cbranch_execnz .LBB273_123
.LBB273_90:
	s_or_b32 exec_lo, exec_lo, s7
	s_and_saveexec_b32 s7, s6
	s_cbranch_execnz .LBB273_124
.LBB273_91:
	s_or_b32 exec_lo, exec_lo, s7
	s_and_saveexec_b32 s5, s3
	s_cbranch_execnz .LBB273_125
.LBB273_92:
	s_or_b32 exec_lo, exec_lo, s5
	s_and_saveexec_b32 s5, s4
	s_cbranch_execnz .LBB273_126
.LBB273_93:
	s_or_b32 exec_lo, exec_lo, s5
	s_and_saveexec_b32 s3, s1
	s_cbranch_execnz .LBB273_127
.LBB273_94:
	s_or_b32 exec_lo, exec_lo, s3
	s_and_saveexec_b32 s3, s2
	s_cbranch_execnz .LBB273_128
.LBB273_95:
	s_or_b32 exec_lo, exec_lo, s3
	s_and_saveexec_b32 s1, vcc_lo
	s_cbranch_execnz .LBB273_129
.LBB273_96:
	s_or_b32 exec_lo, exec_lo, s1
	s_delay_alu instid0(SALU_CYCLE_1)
	s_and_b32 exec_lo, exec_lo, s0
	s_cbranch_execz .LBB273_98
.LBB273_97:
	v_mul_f32_e32 v3, 0x3fb8aa3b, v26
	v_cmp_ngt_f32_e32 vcc_lo, 0xc2ce8ed0, v26
	s_delay_alu instid0(VALU_DEP_2) | instskip(SKIP_1) | instid1(VALU_DEP_2)
	v_rndne_f32_e32 v4, v3
	v_fma_f32 v5, 0x3fb8aa3b, v26, -v3
	v_sub_f32_e32 v3, v3, v4
	s_delay_alu instid0(VALU_DEP_2) | instskip(SKIP_1) | instid1(VALU_DEP_2)
	v_fmamk_f32 v5, v26, 0x32a5705f, v5
	v_cvt_i32_f32_e32 v4, v4
	v_add_f32_e32 v3, v3, v5
	s_delay_alu instid0(VALU_DEP_1) | instskip(SKIP_2) | instid1(VALU_DEP_1)
	v_exp_f32_e32 v3, v3
	s_waitcnt_depctr 0xfff
	v_ldexp_f32 v3, v3, v4
	v_cndmask_b32_e32 v3, 0, v3, vcc_lo
	v_cmp_nlt_f32_e32 vcc_lo, 0x42b17218, v26
	s_delay_alu instid0(VALU_DEP_2) | instskip(NEXT) | instid1(VALU_DEP_1)
	v_cndmask_b32_e32 v3, 0x7f800000, v3, vcc_lo
	v_fma_mixlo_f16 v2, -v2, v3, v6
	global_store_b16 v[0:1], v2, off offset:1984
.LBB273_98:
	s_nop 0
	s_sendmsg sendmsg(MSG_DEALLOC_VGPRS)
	s_endpgm
.LBB273_99:
	v_mul_f32_e32 v3, 0x3fb8aa3b, v69
	v_cmp_ngt_f32_e64 s27, 0xc2ce8ed0, v69
	s_delay_alu instid0(VALU_DEP_2) | instskip(SKIP_1) | instid1(VALU_DEP_2)
	v_rndne_f32_e32 v4, v3
	v_fma_f32 v5, 0x3fb8aa3b, v69, -v3
	v_sub_f32_e32 v3, v3, v4
	s_delay_alu instid0(VALU_DEP_2) | instskip(SKIP_1) | instid1(VALU_DEP_2)
	v_fmamk_f32 v5, v69, 0x32a5705f, v5
	v_cvt_i32_f32_e32 v4, v4
	v_add_f32_e32 v3, v3, v5
	s_delay_alu instid0(VALU_DEP_1) | instskip(SKIP_2) | instid1(VALU_DEP_1)
	v_exp_f32_e32 v3, v3
	s_waitcnt_depctr 0xfff
	v_ldexp_f32 v3, v3, v4
	v_cndmask_b32_e64 v3, 0, v3, s27
	v_cmp_nlt_f32_e64 s27, 0x42b17218, v69
	s_delay_alu instid0(VALU_DEP_1) | instskip(NEXT) | instid1(VALU_DEP_1)
	v_cndmask_b32_e64 v3, 0x7f800000, v3, s27
	v_fma_mixlo_f16 v3, -v2, v3, v45
	global_store_b16 v[0:1], v3, off
	s_or_b32 exec_lo, exec_lo, s31
	s_and_saveexec_b32 s31, s30
	s_cbranch_execz .LBB273_67
.LBB273_100:
	v_mul_f32_e32 v3, 0x3fb8aa3b, v67
	v_cmp_ngt_f32_e64 s27, 0xc2ce8ed0, v67
	s_delay_alu instid0(VALU_DEP_2) | instskip(SKIP_1) | instid1(VALU_DEP_2)
	v_rndne_f32_e32 v4, v3
	v_fma_f32 v5, 0x3fb8aa3b, v67, -v3
	v_sub_f32_e32 v3, v3, v4
	s_delay_alu instid0(VALU_DEP_2) | instskip(SKIP_1) | instid1(VALU_DEP_2)
	v_fmamk_f32 v5, v67, 0x32a5705f, v5
	v_cvt_i32_f32_e32 v4, v4
	v_add_f32_e32 v3, v3, v5
	s_delay_alu instid0(VALU_DEP_1) | instskip(SKIP_2) | instid1(VALU_DEP_1)
	v_exp_f32_e32 v3, v3
	s_waitcnt_depctr 0xfff
	v_ldexp_f32 v3, v3, v4
	v_cndmask_b32_e64 v3, 0, v3, s27
	v_cmp_nlt_f32_e64 s27, 0x42b17218, v67
	s_delay_alu instid0(VALU_DEP_1) | instskip(NEXT) | instid1(VALU_DEP_1)
	v_cndmask_b32_e64 v3, 0x7f800000, v3, s27
	v_fma_mixlo_f16 v3, -v2, v3, v15
	global_store_b16 v[0:1], v3, off offset:64
	s_or_b32 exec_lo, exec_lo, s31
	s_and_saveexec_b32 s30, s28
	s_cbranch_execz .LBB273_68
.LBB273_101:
	v_mul_f32_e32 v3, 0x3fb8aa3b, v68
	v_cmp_ngt_f32_e64 s27, 0xc2ce8ed0, v68
	s_delay_alu instid0(VALU_DEP_2) | instskip(SKIP_1) | instid1(VALU_DEP_2)
	v_rndne_f32_e32 v4, v3
	v_fma_f32 v5, 0x3fb8aa3b, v68, -v3
	v_sub_f32_e32 v3, v3, v4
	s_delay_alu instid0(VALU_DEP_2) | instskip(SKIP_1) | instid1(VALU_DEP_2)
	v_fmamk_f32 v5, v68, 0x32a5705f, v5
	v_cvt_i32_f32_e32 v4, v4
	v_add_f32_e32 v3, v3, v5
	s_delay_alu instid0(VALU_DEP_1) | instskip(SKIP_2) | instid1(VALU_DEP_1)
	v_exp_f32_e32 v3, v3
	s_waitcnt_depctr 0xfff
	v_ldexp_f32 v3, v3, v4
	v_cndmask_b32_e64 v3, 0, v3, s27
	v_cmp_nlt_f32_e64 s27, 0x42b17218, v68
	s_delay_alu instid0(VALU_DEP_1) | instskip(NEXT) | instid1(VALU_DEP_1)
	v_cndmask_b32_e64 v3, 0x7f800000, v3, s27
	v_fma_mixlo_f16 v3, -v2, v3, v58
	global_store_b16 v[0:1], v3, off offset:128
	s_or_b32 exec_lo, exec_lo, s30
	s_and_saveexec_b32 s28, s29
	s_cbranch_execz .LBB273_69
.LBB273_102:
	v_mul_f32_e32 v3, 0x3fb8aa3b, v65
	v_cmp_ngt_f32_e64 s27, 0xc2ce8ed0, v65
	s_delay_alu instid0(VALU_DEP_2) | instskip(SKIP_1) | instid1(VALU_DEP_2)
	v_rndne_f32_e32 v4, v3
	v_fma_f32 v5, 0x3fb8aa3b, v65, -v3
	v_sub_f32_e32 v3, v3, v4
	s_delay_alu instid0(VALU_DEP_2) | instskip(SKIP_1) | instid1(VALU_DEP_2)
	v_fmamk_f32 v5, v65, 0x32a5705f, v5
	v_cvt_i32_f32_e32 v4, v4
	v_add_f32_e32 v3, v3, v5
	s_delay_alu instid0(VALU_DEP_1) | instskip(SKIP_2) | instid1(VALU_DEP_1)
	v_exp_f32_e32 v3, v3
	s_waitcnt_depctr 0xfff
	v_ldexp_f32 v3, v3, v4
	v_cndmask_b32_e64 v3, 0, v3, s27
	v_cmp_nlt_f32_e64 s27, 0x42b17218, v65
	s_delay_alu instid0(VALU_DEP_1) | instskip(NEXT) | instid1(VALU_DEP_1)
	v_cndmask_b32_e64 v3, 0x7f800000, v3, s27
	v_fma_mixlo_f16 v3, -v2, v3, v21
	global_store_b16 v[0:1], v3, off offset:192
	s_or_b32 exec_lo, exec_lo, s28
	s_and_saveexec_b32 s27, s25
	s_cbranch_execz .LBB273_70
.LBB273_103:
	v_mul_f32_e32 v3, 0x3fb8aa3b, v66
	v_cmp_ngt_f32_e64 s25, 0xc2ce8ed0, v66
	s_delay_alu instid0(VALU_DEP_2) | instskip(SKIP_1) | instid1(VALU_DEP_2)
	v_rndne_f32_e32 v4, v3
	v_fma_f32 v5, 0x3fb8aa3b, v66, -v3
	v_sub_f32_e32 v3, v3, v4
	s_delay_alu instid0(VALU_DEP_2) | instskip(SKIP_1) | instid1(VALU_DEP_2)
	v_fmamk_f32 v5, v66, 0x32a5705f, v5
	v_cvt_i32_f32_e32 v4, v4
	v_add_f32_e32 v3, v3, v5
	s_delay_alu instid0(VALU_DEP_1) | instskip(SKIP_2) | instid1(VALU_DEP_1)
	v_exp_f32_e32 v3, v3
	s_waitcnt_depctr 0xfff
	v_ldexp_f32 v3, v3, v4
	v_cndmask_b32_e64 v3, 0, v3, s25
	v_cmp_nlt_f32_e64 s25, 0x42b17218, v66
	s_delay_alu instid0(VALU_DEP_1) | instskip(NEXT) | instid1(VALU_DEP_1)
	v_cndmask_b32_e64 v3, 0x7f800000, v3, s25
	v_fma_mixlo_f16 v3, -v2, v3, v55
	global_store_b16 v[0:1], v3, off offset:256
	s_or_b32 exec_lo, exec_lo, s27
	s_and_saveexec_b32 s27, s26
	s_cbranch_execz .LBB273_71
.LBB273_104:
	v_mul_f32_e32 v3, 0x3fb8aa3b, v63
	v_cmp_ngt_f32_e64 s25, 0xc2ce8ed0, v63
	s_delay_alu instid0(VALU_DEP_2) | instskip(SKIP_1) | instid1(VALU_DEP_2)
	v_rndne_f32_e32 v4, v3
	v_fma_f32 v5, 0x3fb8aa3b, v63, -v3
	v_sub_f32_e32 v3, v3, v4
	s_delay_alu instid0(VALU_DEP_2) | instskip(SKIP_1) | instid1(VALU_DEP_2)
	v_fmamk_f32 v5, v63, 0x32a5705f, v5
	v_cvt_i32_f32_e32 v4, v4
	v_add_f32_e32 v3, v3, v5
	s_delay_alu instid0(VALU_DEP_1) | instskip(SKIP_2) | instid1(VALU_DEP_1)
	v_exp_f32_e32 v3, v3
	s_waitcnt_depctr 0xfff
	v_ldexp_f32 v3, v3, v4
	v_cndmask_b32_e64 v3, 0, v3, s25
	v_cmp_nlt_f32_e64 s25, 0x42b17218, v63
	s_delay_alu instid0(VALU_DEP_1) | instskip(NEXT) | instid1(VALU_DEP_1)
	v_cndmask_b32_e64 v3, 0x7f800000, v3, s25
	v_fma_mixlo_f16 v3, -v2, v3, v20
	global_store_b16 v[0:1], v3, off offset:320
	s_or_b32 exec_lo, exec_lo, s27
	s_and_saveexec_b32 s25, s23
	s_cbranch_execz .LBB273_72
.LBB273_105:
	v_mul_f32_e32 v3, 0x3fb8aa3b, v64
	v_cmp_ngt_f32_e64 s23, 0xc2ce8ed0, v64
	s_delay_alu instid0(VALU_DEP_2) | instskip(SKIP_1) | instid1(VALU_DEP_2)
	v_rndne_f32_e32 v4, v3
	v_fma_f32 v5, 0x3fb8aa3b, v64, -v3
	v_sub_f32_e32 v3, v3, v4
	s_delay_alu instid0(VALU_DEP_2) | instskip(SKIP_1) | instid1(VALU_DEP_2)
	v_fmamk_f32 v5, v64, 0x32a5705f, v5
	v_cvt_i32_f32_e32 v4, v4
	v_add_f32_e32 v3, v3, v5
	s_delay_alu instid0(VALU_DEP_1) | instskip(SKIP_2) | instid1(VALU_DEP_1)
	v_exp_f32_e32 v3, v3
	s_waitcnt_depctr 0xfff
	v_ldexp_f32 v3, v3, v4
	v_cndmask_b32_e64 v3, 0, v3, s23
	v_cmp_nlt_f32_e64 s23, 0x42b17218, v64
	s_delay_alu instid0(VALU_DEP_1) | instskip(NEXT) | instid1(VALU_DEP_1)
	v_cndmask_b32_e64 v3, 0x7f800000, v3, s23
	v_fma_mixlo_f16 v3, -v2, v3, v52
	global_store_b16 v[0:1], v3, off offset:384
	s_or_b32 exec_lo, exec_lo, s25
	s_and_saveexec_b32 s25, s24
	s_cbranch_execz .LBB273_73
.LBB273_106:
	v_mul_f32_e32 v3, 0x3fb8aa3b, v61
	v_cmp_ngt_f32_e64 s23, 0xc2ce8ed0, v61
	s_delay_alu instid0(VALU_DEP_2) | instskip(SKIP_1) | instid1(VALU_DEP_2)
	v_rndne_f32_e32 v4, v3
	v_fma_f32 v5, 0x3fb8aa3b, v61, -v3
	v_sub_f32_e32 v3, v3, v4
	s_delay_alu instid0(VALU_DEP_2) | instskip(SKIP_1) | instid1(VALU_DEP_2)
	v_fmamk_f32 v5, v61, 0x32a5705f, v5
	v_cvt_i32_f32_e32 v4, v4
	v_add_f32_e32 v3, v3, v5
	s_delay_alu instid0(VALU_DEP_1) | instskip(SKIP_2) | instid1(VALU_DEP_1)
	v_exp_f32_e32 v3, v3
	s_waitcnt_depctr 0xfff
	v_ldexp_f32 v3, v3, v4
	v_cndmask_b32_e64 v3, 0, v3, s23
	v_cmp_nlt_f32_e64 s23, 0x42b17218, v61
	s_delay_alu instid0(VALU_DEP_1) | instskip(NEXT) | instid1(VALU_DEP_1)
	v_cndmask_b32_e64 v3, 0x7f800000, v3, s23
	v_fma_mixlo_f16 v3, -v2, v3, v19
	global_store_b16 v[0:1], v3, off offset:448
	s_or_b32 exec_lo, exec_lo, s25
	s_and_saveexec_b32 s23, s21
	s_cbranch_execz .LBB273_74
.LBB273_107:
	v_mul_f32_e32 v3, 0x3fb8aa3b, v62
	v_cmp_ngt_f32_e64 s21, 0xc2ce8ed0, v62
	s_delay_alu instid0(VALU_DEP_2) | instskip(SKIP_1) | instid1(VALU_DEP_2)
	v_rndne_f32_e32 v4, v3
	v_fma_f32 v5, 0x3fb8aa3b, v62, -v3
	v_sub_f32_e32 v3, v3, v4
	s_delay_alu instid0(VALU_DEP_2) | instskip(SKIP_1) | instid1(VALU_DEP_2)
	v_fmamk_f32 v5, v62, 0x32a5705f, v5
	v_cvt_i32_f32_e32 v4, v4
	v_add_f32_e32 v3, v3, v5
	s_delay_alu instid0(VALU_DEP_1) | instskip(SKIP_2) | instid1(VALU_DEP_1)
	v_exp_f32_e32 v3, v3
	s_waitcnt_depctr 0xfff
	v_ldexp_f32 v3, v3, v4
	v_cndmask_b32_e64 v3, 0, v3, s21
	v_cmp_nlt_f32_e64 s21, 0x42b17218, v62
	s_delay_alu instid0(VALU_DEP_1) | instskip(NEXT) | instid1(VALU_DEP_1)
	v_cndmask_b32_e64 v3, 0x7f800000, v3, s21
	v_fma_mixlo_f16 v3, -v2, v3, v49
	global_store_b16 v[0:1], v3, off offset:512
	s_or_b32 exec_lo, exec_lo, s23
	s_and_saveexec_b32 s23, s22
	s_cbranch_execz .LBB273_75
.LBB273_108:
	v_mul_f32_e32 v3, 0x3fb8aa3b, v59
	v_cmp_ngt_f32_e64 s21, 0xc2ce8ed0, v59
	s_delay_alu instid0(VALU_DEP_2) | instskip(SKIP_1) | instid1(VALU_DEP_2)
	v_rndne_f32_e32 v4, v3
	v_fma_f32 v5, 0x3fb8aa3b, v59, -v3
	v_sub_f32_e32 v3, v3, v4
	s_delay_alu instid0(VALU_DEP_2) | instskip(SKIP_1) | instid1(VALU_DEP_2)
	v_fmamk_f32 v5, v59, 0x32a5705f, v5
	v_cvt_i32_f32_e32 v4, v4
	v_add_f32_e32 v3, v3, v5
	s_delay_alu instid0(VALU_DEP_1) | instskip(SKIP_2) | instid1(VALU_DEP_1)
	v_exp_f32_e32 v3, v3
	s_waitcnt_depctr 0xfff
	v_ldexp_f32 v3, v3, v4
	v_cndmask_b32_e64 v3, 0, v3, s21
	v_cmp_nlt_f32_e64 s21, 0x42b17218, v59
	s_delay_alu instid0(VALU_DEP_1) | instskip(NEXT) | instid1(VALU_DEP_1)
	v_cndmask_b32_e64 v3, 0x7f800000, v3, s21
	v_fma_mixlo_f16 v3, -v2, v3, v18
	global_store_b16 v[0:1], v3, off offset:576
	s_or_b32 exec_lo, exec_lo, s23
	s_and_saveexec_b32 s21, s19
	s_cbranch_execz .LBB273_76
.LBB273_109:
	v_mul_f32_e32 v3, 0x3fb8aa3b, v60
	v_cmp_ngt_f32_e64 s19, 0xc2ce8ed0, v60
	s_delay_alu instid0(VALU_DEP_2) | instskip(SKIP_1) | instid1(VALU_DEP_2)
	v_rndne_f32_e32 v4, v3
	v_fma_f32 v5, 0x3fb8aa3b, v60, -v3
	v_sub_f32_e32 v3, v3, v4
	s_delay_alu instid0(VALU_DEP_2) | instskip(SKIP_1) | instid1(VALU_DEP_2)
	v_fmamk_f32 v5, v60, 0x32a5705f, v5
	v_cvt_i32_f32_e32 v4, v4
	v_add_f32_e32 v3, v3, v5
	s_delay_alu instid0(VALU_DEP_1) | instskip(SKIP_2) | instid1(VALU_DEP_1)
	v_exp_f32_e32 v3, v3
	s_waitcnt_depctr 0xfff
	v_ldexp_f32 v3, v3, v4
	v_cndmask_b32_e64 v3, 0, v3, s19
	v_cmp_nlt_f32_e64 s19, 0x42b17218, v60
	s_delay_alu instid0(VALU_DEP_1) | instskip(NEXT) | instid1(VALU_DEP_1)
	v_cndmask_b32_e64 v3, 0x7f800000, v3, s19
	v_fma_mixlo_f16 v3, -v2, v3, v46
	global_store_b16 v[0:1], v3, off offset:640
	s_or_b32 exec_lo, exec_lo, s21
	s_and_saveexec_b32 s21, s20
	s_cbranch_execz .LBB273_77
.LBB273_110:
	v_mul_f32_e32 v3, 0x3fb8aa3b, v56
	v_cmp_ngt_f32_e64 s19, 0xc2ce8ed0, v56
	s_delay_alu instid0(VALU_DEP_2) | instskip(SKIP_1) | instid1(VALU_DEP_2)
	v_rndne_f32_e32 v4, v3
	v_fma_f32 v5, 0x3fb8aa3b, v56, -v3
	v_sub_f32_e32 v3, v3, v4
	s_delay_alu instid0(VALU_DEP_2) | instskip(SKIP_1) | instid1(VALU_DEP_2)
	v_fmamk_f32 v5, v56, 0x32a5705f, v5
	v_cvt_i32_f32_e32 v4, v4
	v_add_f32_e32 v3, v3, v5
	s_delay_alu instid0(VALU_DEP_1) | instskip(SKIP_2) | instid1(VALU_DEP_1)
	v_exp_f32_e32 v3, v3
	s_waitcnt_depctr 0xfff
	v_ldexp_f32 v3, v3, v4
	v_cndmask_b32_e64 v3, 0, v3, s19
	v_cmp_nlt_f32_e64 s19, 0x42b17218, v56
	s_delay_alu instid0(VALU_DEP_1) | instskip(NEXT) | instid1(VALU_DEP_1)
	v_cndmask_b32_e64 v3, 0x7f800000, v3, s19
	v_fma_mixlo_f16 v3, -v2, v3, v17
	global_store_b16 v[0:1], v3, off offset:704
	s_or_b32 exec_lo, exec_lo, s21
	s_and_saveexec_b32 s19, s17
	s_cbranch_execz .LBB273_78
.LBB273_111:
	v_mul_f32_e32 v3, 0x3fb8aa3b, v57
	v_cmp_ngt_f32_e64 s17, 0xc2ce8ed0, v57
	s_delay_alu instid0(VALU_DEP_2) | instskip(SKIP_1) | instid1(VALU_DEP_2)
	v_rndne_f32_e32 v4, v3
	v_fma_f32 v5, 0x3fb8aa3b, v57, -v3
	v_sub_f32_e32 v3, v3, v4
	s_delay_alu instid0(VALU_DEP_2) | instskip(SKIP_1) | instid1(VALU_DEP_2)
	v_fmamk_f32 v5, v57, 0x32a5705f, v5
	v_cvt_i32_f32_e32 v4, v4
	v_add_f32_e32 v3, v3, v5
	s_delay_alu instid0(VALU_DEP_1) | instskip(SKIP_2) | instid1(VALU_DEP_1)
	v_exp_f32_e32 v3, v3
	s_waitcnt_depctr 0xfff
	v_ldexp_f32 v3, v3, v4
	v_cndmask_b32_e64 v3, 0, v3, s17
	v_cmp_nlt_f32_e64 s17, 0x42b17218, v57
	s_delay_alu instid0(VALU_DEP_1) | instskip(NEXT) | instid1(VALU_DEP_1)
	v_cndmask_b32_e64 v3, 0x7f800000, v3, s17
	v_fma_mixlo_f16 v3, -v2, v3, v42
	global_store_b16 v[0:1], v3, off offset:768
	s_or_b32 exec_lo, exec_lo, s19
	s_and_saveexec_b32 s19, s18
	s_cbranch_execz .LBB273_79
.LBB273_112:
	v_mul_f32_e32 v3, 0x3fb8aa3b, v53
	v_cmp_ngt_f32_e64 s17, 0xc2ce8ed0, v53
	s_delay_alu instid0(VALU_DEP_2) | instskip(SKIP_1) | instid1(VALU_DEP_2)
	v_rndne_f32_e32 v4, v3
	v_fma_f32 v5, 0x3fb8aa3b, v53, -v3
	v_sub_f32_e32 v3, v3, v4
	s_delay_alu instid0(VALU_DEP_2) | instskip(SKIP_1) | instid1(VALU_DEP_2)
	v_fmamk_f32 v5, v53, 0x32a5705f, v5
	v_cvt_i32_f32_e32 v4, v4
	v_add_f32_e32 v3, v3, v5
	s_delay_alu instid0(VALU_DEP_1) | instskip(SKIP_2) | instid1(VALU_DEP_1)
	v_exp_f32_e32 v3, v3
	s_waitcnt_depctr 0xfff
	v_ldexp_f32 v3, v3, v4
	v_cndmask_b32_e64 v3, 0, v3, s17
	v_cmp_nlt_f32_e64 s17, 0x42b17218, v53
	s_delay_alu instid0(VALU_DEP_1) | instskip(NEXT) | instid1(VALU_DEP_1)
	v_cndmask_b32_e64 v3, 0x7f800000, v3, s17
	v_fma_mixlo_f16 v3, -v2, v3, v16
	global_store_b16 v[0:1], v3, off offset:832
	s_or_b32 exec_lo, exec_lo, s19
	s_and_saveexec_b32 s17, s15
	s_cbranch_execz .LBB273_80
.LBB273_113:
	v_mul_f32_e32 v3, 0x3fb8aa3b, v54
	v_cmp_ngt_f32_e64 s15, 0xc2ce8ed0, v54
	s_delay_alu instid0(VALU_DEP_2) | instskip(SKIP_1) | instid1(VALU_DEP_2)
	v_rndne_f32_e32 v4, v3
	v_fma_f32 v5, 0x3fb8aa3b, v54, -v3
	v_sub_f32_e32 v3, v3, v4
	s_delay_alu instid0(VALU_DEP_2) | instskip(SKIP_1) | instid1(VALU_DEP_2)
	v_fmamk_f32 v5, v54, 0x32a5705f, v5
	v_cvt_i32_f32_e32 v4, v4
	v_add_f32_e32 v3, v3, v5
	s_delay_alu instid0(VALU_DEP_1) | instskip(SKIP_2) | instid1(VALU_DEP_1)
	v_exp_f32_e32 v3, v3
	s_waitcnt_depctr 0xfff
	v_ldexp_f32 v3, v3, v4
	v_cndmask_b32_e64 v3, 0, v3, s15
	v_cmp_nlt_f32_e64 s15, 0x42b17218, v54
	s_delay_alu instid0(VALU_DEP_1) | instskip(NEXT) | instid1(VALU_DEP_1)
	v_cndmask_b32_e64 v3, 0x7f800000, v3, s15
	v_fma_mixlo_f16 v3, -v2, v3, v39
	global_store_b16 v[0:1], v3, off offset:896
	s_or_b32 exec_lo, exec_lo, s17
	s_and_saveexec_b32 s17, s16
	s_cbranch_execz .LBB273_81
.LBB273_114:
	v_mul_f32_e32 v3, 0x3fb8aa3b, v50
	v_cmp_ngt_f32_e64 s15, 0xc2ce8ed0, v50
	s_delay_alu instid0(VALU_DEP_2) | instskip(SKIP_1) | instid1(VALU_DEP_2)
	v_rndne_f32_e32 v4, v3
	v_fma_f32 v5, 0x3fb8aa3b, v50, -v3
	v_sub_f32_e32 v3, v3, v4
	s_delay_alu instid0(VALU_DEP_2) | instskip(SKIP_1) | instid1(VALU_DEP_2)
	v_fmamk_f32 v5, v50, 0x32a5705f, v5
	v_cvt_i32_f32_e32 v4, v4
	v_add_f32_e32 v3, v3, v5
	s_delay_alu instid0(VALU_DEP_1) | instskip(SKIP_2) | instid1(VALU_DEP_1)
	v_exp_f32_e32 v3, v3
	s_waitcnt_depctr 0xfff
	v_ldexp_f32 v3, v3, v4
	v_cndmask_b32_e64 v3, 0, v3, s15
	v_cmp_nlt_f32_e64 s15, 0x42b17218, v50
	s_delay_alu instid0(VALU_DEP_1) | instskip(NEXT) | instid1(VALU_DEP_1)
	v_cndmask_b32_e64 v3, 0x7f800000, v3, s15
	v_fma_mixlo_f16 v3, -v2, v3, v14
	global_store_b16 v[0:1], v3, off offset:960
	s_or_b32 exec_lo, exec_lo, s17
	s_and_saveexec_b32 s15, s13
	s_cbranch_execz .LBB273_82
.LBB273_115:
	v_mul_f32_e32 v3, 0x3fb8aa3b, v51
	v_cmp_ngt_f32_e64 s13, 0xc2ce8ed0, v51
	s_delay_alu instid0(VALU_DEP_2) | instskip(SKIP_1) | instid1(VALU_DEP_2)
	v_rndne_f32_e32 v4, v3
	v_fma_f32 v5, 0x3fb8aa3b, v51, -v3
	v_sub_f32_e32 v3, v3, v4
	s_delay_alu instid0(VALU_DEP_2) | instskip(SKIP_1) | instid1(VALU_DEP_2)
	v_fmamk_f32 v5, v51, 0x32a5705f, v5
	v_cvt_i32_f32_e32 v4, v4
	v_add_f32_e32 v3, v3, v5
	s_delay_alu instid0(VALU_DEP_1) | instskip(SKIP_2) | instid1(VALU_DEP_1)
	v_exp_f32_e32 v3, v3
	s_waitcnt_depctr 0xfff
	v_ldexp_f32 v3, v3, v4
	v_cndmask_b32_e64 v3, 0, v3, s13
	v_cmp_nlt_f32_e64 s13, 0x42b17218, v51
	s_delay_alu instid0(VALU_DEP_1) | instskip(NEXT) | instid1(VALU_DEP_1)
	v_cndmask_b32_e64 v3, 0x7f800000, v3, s13
	v_fma_mixlo_f16 v3, -v2, v3, v36
	global_store_b16 v[0:1], v3, off offset:1024
	s_or_b32 exec_lo, exec_lo, s15
	s_and_saveexec_b32 s15, s14
	s_cbranch_execz .LBB273_83
.LBB273_116:
	v_mul_f32_e32 v3, 0x3fb8aa3b, v47
	v_cmp_ngt_f32_e64 s13, 0xc2ce8ed0, v47
	s_delay_alu instid0(VALU_DEP_2) | instskip(SKIP_1) | instid1(VALU_DEP_2)
	v_rndne_f32_e32 v4, v3
	v_fma_f32 v5, 0x3fb8aa3b, v47, -v3
	v_sub_f32_e32 v3, v3, v4
	s_delay_alu instid0(VALU_DEP_2) | instskip(SKIP_1) | instid1(VALU_DEP_2)
	v_fmamk_f32 v5, v47, 0x32a5705f, v5
	v_cvt_i32_f32_e32 v4, v4
	v_add_f32_e32 v3, v3, v5
	s_delay_alu instid0(VALU_DEP_1) | instskip(SKIP_2) | instid1(VALU_DEP_1)
	v_exp_f32_e32 v3, v3
	s_waitcnt_depctr 0xfff
	v_ldexp_f32 v3, v3, v4
	v_cndmask_b32_e64 v3, 0, v3, s13
	v_cmp_nlt_f32_e64 s13, 0x42b17218, v47
	s_delay_alu instid0(VALU_DEP_1) | instskip(NEXT) | instid1(VALU_DEP_1)
	v_cndmask_b32_e64 v3, 0x7f800000, v3, s13
	v_fma_mixlo_f16 v3, -v2, v3, v13
	global_store_b16 v[0:1], v3, off offset:1088
	s_or_b32 exec_lo, exec_lo, s15
	s_and_saveexec_b32 s13, s11
	s_cbranch_execz .LBB273_84
.LBB273_117:
	v_mul_f32_e32 v3, 0x3fb8aa3b, v48
	v_cmp_ngt_f32_e64 s11, 0xc2ce8ed0, v48
	s_delay_alu instid0(VALU_DEP_2) | instskip(SKIP_1) | instid1(VALU_DEP_2)
	v_rndne_f32_e32 v4, v3
	v_fma_f32 v5, 0x3fb8aa3b, v48, -v3
	v_sub_f32_e32 v3, v3, v4
	s_delay_alu instid0(VALU_DEP_2) | instskip(SKIP_1) | instid1(VALU_DEP_2)
	v_fmamk_f32 v5, v48, 0x32a5705f, v5
	v_cvt_i32_f32_e32 v4, v4
	v_add_f32_e32 v3, v3, v5
	s_delay_alu instid0(VALU_DEP_1) | instskip(SKIP_2) | instid1(VALU_DEP_1)
	v_exp_f32_e32 v3, v3
	s_waitcnt_depctr 0xfff
	v_ldexp_f32 v3, v3, v4
	v_cndmask_b32_e64 v3, 0, v3, s11
	v_cmp_nlt_f32_e64 s11, 0x42b17218, v48
	s_delay_alu instid0(VALU_DEP_1) | instskip(NEXT) | instid1(VALU_DEP_1)
	v_cndmask_b32_e64 v3, 0x7f800000, v3, s11
	v_fma_mixlo_f16 v3, -v2, v3, v33
	global_store_b16 v[0:1], v3, off offset:1152
	s_or_b32 exec_lo, exec_lo, s13
	s_and_saveexec_b32 s13, s12
	s_cbranch_execz .LBB273_85
.LBB273_118:
	v_mul_f32_e32 v3, 0x3fb8aa3b, v43
	v_cmp_ngt_f32_e64 s11, 0xc2ce8ed0, v43
	s_delay_alu instid0(VALU_DEP_2) | instskip(SKIP_1) | instid1(VALU_DEP_2)
	v_rndne_f32_e32 v4, v3
	v_fma_f32 v5, 0x3fb8aa3b, v43, -v3
	v_sub_f32_e32 v3, v3, v4
	s_delay_alu instid0(VALU_DEP_2) | instskip(SKIP_1) | instid1(VALU_DEP_2)
	v_fmamk_f32 v5, v43, 0x32a5705f, v5
	v_cvt_i32_f32_e32 v4, v4
	v_add_f32_e32 v3, v3, v5
	s_delay_alu instid0(VALU_DEP_1) | instskip(SKIP_2) | instid1(VALU_DEP_1)
	v_exp_f32_e32 v3, v3
	s_waitcnt_depctr 0xfff
	v_ldexp_f32 v3, v3, v4
	v_cndmask_b32_e64 v3, 0, v3, s11
	v_cmp_nlt_f32_e64 s11, 0x42b17218, v43
	s_delay_alu instid0(VALU_DEP_1) | instskip(NEXT) | instid1(VALU_DEP_1)
	v_cndmask_b32_e64 v3, 0x7f800000, v3, s11
	v_fma_mixlo_f16 v3, -v2, v3, v12
	global_store_b16 v[0:1], v3, off offset:1216
	s_or_b32 exec_lo, exec_lo, s13
	s_and_saveexec_b32 s11, s9
	s_cbranch_execz .LBB273_86
.LBB273_119:
	v_mul_f32_e32 v3, 0x3fb8aa3b, v44
	v_cmp_ngt_f32_e64 s9, 0xc2ce8ed0, v44
	s_delay_alu instid0(VALU_DEP_2) | instskip(SKIP_1) | instid1(VALU_DEP_2)
	v_rndne_f32_e32 v4, v3
	v_fma_f32 v5, 0x3fb8aa3b, v44, -v3
	v_sub_f32_e32 v3, v3, v4
	s_delay_alu instid0(VALU_DEP_2) | instskip(SKIP_1) | instid1(VALU_DEP_2)
	v_fmamk_f32 v5, v44, 0x32a5705f, v5
	v_cvt_i32_f32_e32 v4, v4
	v_add_f32_e32 v3, v3, v5
	s_delay_alu instid0(VALU_DEP_1) | instskip(SKIP_2) | instid1(VALU_DEP_1)
	v_exp_f32_e32 v3, v3
	s_waitcnt_depctr 0xfff
	v_ldexp_f32 v3, v3, v4
	v_cndmask_b32_e64 v3, 0, v3, s9
	v_cmp_nlt_f32_e64 s9, 0x42b17218, v44
	s_delay_alu instid0(VALU_DEP_1) | instskip(NEXT) | instid1(VALU_DEP_1)
	v_cndmask_b32_e64 v3, 0x7f800000, v3, s9
	v_fma_mixlo_f16 v3, -v2, v3, v30
	global_store_b16 v[0:1], v3, off offset:1280
	s_or_b32 exec_lo, exec_lo, s11
	s_and_saveexec_b32 s11, s10
	s_cbranch_execz .LBB273_87
.LBB273_120:
	v_mul_f32_e32 v3, 0x3fb8aa3b, v40
	v_cmp_ngt_f32_e64 s9, 0xc2ce8ed0, v40
	s_delay_alu instid0(VALU_DEP_2) | instskip(SKIP_1) | instid1(VALU_DEP_2)
	v_rndne_f32_e32 v4, v3
	v_fma_f32 v5, 0x3fb8aa3b, v40, -v3
	v_sub_f32_e32 v3, v3, v4
	s_delay_alu instid0(VALU_DEP_2) | instskip(SKIP_1) | instid1(VALU_DEP_2)
	v_fmamk_f32 v5, v40, 0x32a5705f, v5
	v_cvt_i32_f32_e32 v4, v4
	v_add_f32_e32 v3, v3, v5
	s_delay_alu instid0(VALU_DEP_1) | instskip(SKIP_2) | instid1(VALU_DEP_1)
	v_exp_f32_e32 v3, v3
	s_waitcnt_depctr 0xfff
	v_ldexp_f32 v3, v3, v4
	v_cndmask_b32_e64 v3, 0, v3, s9
	v_cmp_nlt_f32_e64 s9, 0x42b17218, v40
	s_delay_alu instid0(VALU_DEP_1) | instskip(NEXT) | instid1(VALU_DEP_1)
	v_cndmask_b32_e64 v3, 0x7f800000, v3, s9
	v_fma_mixlo_f16 v3, -v2, v3, v11
	global_store_b16 v[0:1], v3, off offset:1344
	s_or_b32 exec_lo, exec_lo, s11
	s_and_saveexec_b32 s9, s7
	s_cbranch_execz .LBB273_88
.LBB273_121:
	v_mul_f32_e32 v3, 0x3fb8aa3b, v41
	v_cmp_ngt_f32_e64 s7, 0xc2ce8ed0, v41
	s_delay_alu instid0(VALU_DEP_2) | instskip(SKIP_1) | instid1(VALU_DEP_2)
	v_rndne_f32_e32 v4, v3
	v_fma_f32 v5, 0x3fb8aa3b, v41, -v3
	v_sub_f32_e32 v3, v3, v4
	s_delay_alu instid0(VALU_DEP_2) | instskip(SKIP_1) | instid1(VALU_DEP_2)
	v_fmamk_f32 v5, v41, 0x32a5705f, v5
	v_cvt_i32_f32_e32 v4, v4
	v_add_f32_e32 v3, v3, v5
	s_delay_alu instid0(VALU_DEP_1) | instskip(SKIP_2) | instid1(VALU_DEP_1)
	v_exp_f32_e32 v3, v3
	s_waitcnt_depctr 0xfff
	v_ldexp_f32 v3, v3, v4
	v_cndmask_b32_e64 v3, 0, v3, s7
	v_cmp_nlt_f32_e64 s7, 0x42b17218, v41
	s_delay_alu instid0(VALU_DEP_1) | instskip(NEXT) | instid1(VALU_DEP_1)
	v_cndmask_b32_e64 v3, 0x7f800000, v3, s7
	v_fma_mixlo_f16 v3, -v2, v3, v27
	global_store_b16 v[0:1], v3, off offset:1408
	s_or_b32 exec_lo, exec_lo, s9
	s_and_saveexec_b32 s9, s8
	s_cbranch_execz .LBB273_89
.LBB273_122:
	v_mul_f32_e32 v3, 0x3fb8aa3b, v37
	v_cmp_ngt_f32_e64 s7, 0xc2ce8ed0, v37
	s_delay_alu instid0(VALU_DEP_2) | instskip(SKIP_1) | instid1(VALU_DEP_2)
	v_rndne_f32_e32 v4, v3
	v_fma_f32 v5, 0x3fb8aa3b, v37, -v3
	v_sub_f32_e32 v3, v3, v4
	s_delay_alu instid0(VALU_DEP_2) | instskip(SKIP_1) | instid1(VALU_DEP_2)
	v_fmamk_f32 v5, v37, 0x32a5705f, v5
	v_cvt_i32_f32_e32 v4, v4
	v_add_f32_e32 v3, v3, v5
	s_delay_alu instid0(VALU_DEP_1) | instskip(SKIP_2) | instid1(VALU_DEP_1)
	v_exp_f32_e32 v3, v3
	s_waitcnt_depctr 0xfff
	v_ldexp_f32 v3, v3, v4
	v_cndmask_b32_e64 v3, 0, v3, s7
	v_cmp_nlt_f32_e64 s7, 0x42b17218, v37
	s_delay_alu instid0(VALU_DEP_1) | instskip(NEXT) | instid1(VALU_DEP_1)
	v_cndmask_b32_e64 v3, 0x7f800000, v3, s7
	v_fma_mixlo_f16 v3, -v2, v3, v10
	global_store_b16 v[0:1], v3, off offset:1472
	s_or_b32 exec_lo, exec_lo, s9
	s_and_saveexec_b32 s7, s5
	s_cbranch_execz .LBB273_90
.LBB273_123:
	v_mul_f32_e32 v3, 0x3fb8aa3b, v38
	v_cmp_ngt_f32_e64 s5, 0xc2ce8ed0, v38
	s_delay_alu instid0(VALU_DEP_2) | instskip(SKIP_1) | instid1(VALU_DEP_2)
	v_rndne_f32_e32 v4, v3
	v_fma_f32 v5, 0x3fb8aa3b, v38, -v3
	v_sub_f32_e32 v3, v3, v4
	s_delay_alu instid0(VALU_DEP_2) | instskip(SKIP_1) | instid1(VALU_DEP_2)
	v_fmamk_f32 v5, v38, 0x32a5705f, v5
	v_cvt_i32_f32_e32 v4, v4
	v_add_f32_e32 v3, v3, v5
	s_delay_alu instid0(VALU_DEP_1) | instskip(SKIP_2) | instid1(VALU_DEP_1)
	v_exp_f32_e32 v3, v3
	s_waitcnt_depctr 0xfff
	v_ldexp_f32 v3, v3, v4
	v_cndmask_b32_e64 v3, 0, v3, s5
	v_cmp_nlt_f32_e64 s5, 0x42b17218, v38
	s_delay_alu instid0(VALU_DEP_1) | instskip(NEXT) | instid1(VALU_DEP_1)
	v_cndmask_b32_e64 v3, 0x7f800000, v3, s5
	v_fma_mixlo_f16 v3, -v2, v3, v25
	global_store_b16 v[0:1], v3, off offset:1536
	s_or_b32 exec_lo, exec_lo, s7
	s_and_saveexec_b32 s7, s6
	s_cbranch_execz .LBB273_91
.LBB273_124:
	v_mul_f32_e32 v3, 0x3fb8aa3b, v34
	v_cmp_ngt_f32_e64 s5, 0xc2ce8ed0, v34
	s_delay_alu instid0(VALU_DEP_2) | instskip(SKIP_1) | instid1(VALU_DEP_2)
	v_rndne_f32_e32 v4, v3
	v_fma_f32 v5, 0x3fb8aa3b, v34, -v3
	v_sub_f32_e32 v3, v3, v4
	s_delay_alu instid0(VALU_DEP_2) | instskip(SKIP_1) | instid1(VALU_DEP_2)
	v_fmamk_f32 v5, v34, 0x32a5705f, v5
	v_cvt_i32_f32_e32 v4, v4
	v_add_f32_e32 v3, v3, v5
	s_delay_alu instid0(VALU_DEP_1) | instskip(SKIP_2) | instid1(VALU_DEP_1)
	v_exp_f32_e32 v3, v3
	s_waitcnt_depctr 0xfff
	v_ldexp_f32 v3, v3, v4
	v_cndmask_b32_e64 v3, 0, v3, s5
	v_cmp_nlt_f32_e64 s5, 0x42b17218, v34
	s_delay_alu instid0(VALU_DEP_1) | instskip(NEXT) | instid1(VALU_DEP_1)
	v_cndmask_b32_e64 v3, 0x7f800000, v3, s5
	v_fma_mixlo_f16 v3, -v2, v3, v9
	global_store_b16 v[0:1], v3, off offset:1600
	s_or_b32 exec_lo, exec_lo, s7
	s_and_saveexec_b32 s5, s3
	s_cbranch_execz .LBB273_92
.LBB273_125:
	v_mul_f32_e32 v3, 0x3fb8aa3b, v35
	v_cmp_ngt_f32_e64 s3, 0xc2ce8ed0, v35
	s_delay_alu instid0(VALU_DEP_2) | instskip(SKIP_1) | instid1(VALU_DEP_2)
	v_rndne_f32_e32 v4, v3
	v_fma_f32 v5, 0x3fb8aa3b, v35, -v3
	v_sub_f32_e32 v3, v3, v4
	s_delay_alu instid0(VALU_DEP_2) | instskip(SKIP_1) | instid1(VALU_DEP_2)
	v_fmamk_f32 v5, v35, 0x32a5705f, v5
	v_cvt_i32_f32_e32 v4, v4
	v_add_f32_e32 v3, v3, v5
	s_delay_alu instid0(VALU_DEP_1) | instskip(SKIP_2) | instid1(VALU_DEP_1)
	v_exp_f32_e32 v3, v3
	s_waitcnt_depctr 0xfff
	v_ldexp_f32 v3, v3, v4
	v_cndmask_b32_e64 v3, 0, v3, s3
	v_cmp_nlt_f32_e64 s3, 0x42b17218, v35
	s_delay_alu instid0(VALU_DEP_1) | instskip(NEXT) | instid1(VALU_DEP_1)
	v_cndmask_b32_e64 v3, 0x7f800000, v3, s3
	v_fma_mixlo_f16 v3, -v2, v3, v24
	global_store_b16 v[0:1], v3, off offset:1664
	s_or_b32 exec_lo, exec_lo, s5
	s_and_saveexec_b32 s5, s4
	s_cbranch_execz .LBB273_93
.LBB273_126:
	v_mul_f32_e32 v3, 0x3fb8aa3b, v31
	v_cmp_ngt_f32_e64 s3, 0xc2ce8ed0, v31
	s_delay_alu instid0(VALU_DEP_2) | instskip(SKIP_1) | instid1(VALU_DEP_2)
	v_rndne_f32_e32 v4, v3
	v_fma_f32 v5, 0x3fb8aa3b, v31, -v3
	v_sub_f32_e32 v3, v3, v4
	s_delay_alu instid0(VALU_DEP_2) | instskip(SKIP_1) | instid1(VALU_DEP_2)
	v_fmamk_f32 v5, v31, 0x32a5705f, v5
	v_cvt_i32_f32_e32 v4, v4
	v_add_f32_e32 v3, v3, v5
	s_delay_alu instid0(VALU_DEP_1) | instskip(SKIP_2) | instid1(VALU_DEP_1)
	v_exp_f32_e32 v3, v3
	s_waitcnt_depctr 0xfff
	v_ldexp_f32 v3, v3, v4
	v_cndmask_b32_e64 v3, 0, v3, s3
	v_cmp_nlt_f32_e64 s3, 0x42b17218, v31
	s_delay_alu instid0(VALU_DEP_1) | instskip(NEXT) | instid1(VALU_DEP_1)
	v_cndmask_b32_e64 v3, 0x7f800000, v3, s3
	v_fma_mixlo_f16 v3, -v2, v3, v8
	global_store_b16 v[0:1], v3, off offset:1728
	s_or_b32 exec_lo, exec_lo, s5
	s_and_saveexec_b32 s3, s1
	s_cbranch_execz .LBB273_94
.LBB273_127:
	v_mul_f32_e32 v3, 0x3fb8aa3b, v32
	v_cmp_ngt_f32_e64 s1, 0xc2ce8ed0, v32
	s_delay_alu instid0(VALU_DEP_2) | instskip(SKIP_1) | instid1(VALU_DEP_2)
	v_rndne_f32_e32 v4, v3
	v_fma_f32 v5, 0x3fb8aa3b, v32, -v3
	v_sub_f32_e32 v3, v3, v4
	s_delay_alu instid0(VALU_DEP_2) | instskip(SKIP_1) | instid1(VALU_DEP_2)
	v_fmamk_f32 v5, v32, 0x32a5705f, v5
	v_cvt_i32_f32_e32 v4, v4
	v_add_f32_e32 v3, v3, v5
	s_delay_alu instid0(VALU_DEP_1) | instskip(SKIP_2) | instid1(VALU_DEP_1)
	v_exp_f32_e32 v3, v3
	s_waitcnt_depctr 0xfff
	v_ldexp_f32 v3, v3, v4
	v_cndmask_b32_e64 v3, 0, v3, s1
	v_cmp_nlt_f32_e64 s1, 0x42b17218, v32
	s_delay_alu instid0(VALU_DEP_1) | instskip(NEXT) | instid1(VALU_DEP_1)
	v_cndmask_b32_e64 v3, 0x7f800000, v3, s1
	v_fma_mixlo_f16 v3, -v2, v3, v23
	global_store_b16 v[0:1], v3, off offset:1792
	s_or_b32 exec_lo, exec_lo, s3
	s_and_saveexec_b32 s3, s2
	s_cbranch_execz .LBB273_95
.LBB273_128:
	v_mul_f32_e32 v3, 0x3fb8aa3b, v28
	v_cmp_ngt_f32_e64 s1, 0xc2ce8ed0, v28
	s_delay_alu instid0(VALU_DEP_2) | instskip(SKIP_1) | instid1(VALU_DEP_2)
	v_rndne_f32_e32 v4, v3
	v_fma_f32 v5, 0x3fb8aa3b, v28, -v3
	v_sub_f32_e32 v3, v3, v4
	s_delay_alu instid0(VALU_DEP_2) | instskip(SKIP_1) | instid1(VALU_DEP_2)
	v_fmamk_f32 v5, v28, 0x32a5705f, v5
	v_cvt_i32_f32_e32 v4, v4
	v_add_f32_e32 v3, v3, v5
	s_delay_alu instid0(VALU_DEP_1) | instskip(SKIP_2) | instid1(VALU_DEP_1)
	v_exp_f32_e32 v3, v3
	s_waitcnt_depctr 0xfff
	v_ldexp_f32 v3, v3, v4
	v_cndmask_b32_e64 v3, 0, v3, s1
	v_cmp_nlt_f32_e64 s1, 0x42b17218, v28
	s_delay_alu instid0(VALU_DEP_1) | instskip(NEXT) | instid1(VALU_DEP_1)
	v_cndmask_b32_e64 v3, 0x7f800000, v3, s1
	v_fma_mixlo_f16 v3, -v2, v3, v7
	global_store_b16 v[0:1], v3, off offset:1856
	s_or_b32 exec_lo, exec_lo, s3
	s_and_saveexec_b32 s1, vcc_lo
	s_cbranch_execz .LBB273_96
.LBB273_129:
	v_mul_f32_e32 v3, 0x3fb8aa3b, v29
	v_cmp_ngt_f32_e32 vcc_lo, 0xc2ce8ed0, v29
	s_delay_alu instid0(VALU_DEP_2) | instskip(SKIP_1) | instid1(VALU_DEP_2)
	v_rndne_f32_e32 v4, v3
	v_fma_f32 v5, 0x3fb8aa3b, v29, -v3
	v_sub_f32_e32 v3, v3, v4
	s_delay_alu instid0(VALU_DEP_2) | instskip(SKIP_1) | instid1(VALU_DEP_2)
	v_fmamk_f32 v5, v29, 0x32a5705f, v5
	v_cvt_i32_f32_e32 v4, v4
	v_add_f32_e32 v3, v3, v5
	s_delay_alu instid0(VALU_DEP_1) | instskip(SKIP_2) | instid1(VALU_DEP_1)
	v_exp_f32_e32 v3, v3
	s_waitcnt_depctr 0xfff
	v_ldexp_f32 v3, v3, v4
	v_cndmask_b32_e32 v3, 0, v3, vcc_lo
	v_cmp_nlt_f32_e32 vcc_lo, 0x42b17218, v29
	s_delay_alu instid0(VALU_DEP_2) | instskip(NEXT) | instid1(VALU_DEP_1)
	v_cndmask_b32_e32 v3, 0x7f800000, v3, vcc_lo
	v_fma_mixlo_f16 v3, -v2, v3, v22
	global_store_b16 v[0:1], v3, off offset:1920
	s_or_b32 exec_lo, exec_lo, s1
	s_delay_alu instid0(SALU_CYCLE_1)
	s_and_b32 exec_lo, exec_lo, s0
	s_cbranch_execnz .LBB273_97
	s_branch .LBB273_98
	.section	.rodata,"a",@progbits
	.p2align	6, 0x0
	.amdhsa_kernel _ZN12_GLOBAL__N_121softmax_warp_backwardIN3c104HalfES2_fLi10ELb1ELb0ELi32EEEvPT0_PKT_S7_iiiPKb
		.amdhsa_group_segment_fixed_size 0
		.amdhsa_private_segment_fixed_size 0
		.amdhsa_kernarg_size 304
		.amdhsa_user_sgpr_count 15
		.amdhsa_user_sgpr_dispatch_ptr 0
		.amdhsa_user_sgpr_queue_ptr 0
		.amdhsa_user_sgpr_kernarg_segment_ptr 1
		.amdhsa_user_sgpr_dispatch_id 0
		.amdhsa_user_sgpr_private_segment_size 0
		.amdhsa_wavefront_size32 1
		.amdhsa_uses_dynamic_stack 0
		.amdhsa_enable_private_segment 0
		.amdhsa_system_sgpr_workgroup_id_x 1
		.amdhsa_system_sgpr_workgroup_id_y 0
		.amdhsa_system_sgpr_workgroup_id_z 0
		.amdhsa_system_sgpr_workgroup_info 0
		.amdhsa_system_vgpr_workitem_id 1
		.amdhsa_next_free_vgpr 71
		.amdhsa_next_free_sgpr 44
		.amdhsa_reserve_vcc 1
		.amdhsa_float_round_mode_32 0
		.amdhsa_float_round_mode_16_64 0
		.amdhsa_float_denorm_mode_32 3
		.amdhsa_float_denorm_mode_16_64 3
		.amdhsa_dx10_clamp 1
		.amdhsa_ieee_mode 1
		.amdhsa_fp16_overflow 0
		.amdhsa_workgroup_processor_mode 1
		.amdhsa_memory_ordered 1
		.amdhsa_forward_progress 0
		.amdhsa_shared_vgpr_count 0
		.amdhsa_exception_fp_ieee_invalid_op 0
		.amdhsa_exception_fp_denorm_src 0
		.amdhsa_exception_fp_ieee_div_zero 0
		.amdhsa_exception_fp_ieee_overflow 0
		.amdhsa_exception_fp_ieee_underflow 0
		.amdhsa_exception_fp_ieee_inexact 0
		.amdhsa_exception_int_div_zero 0
	.end_amdhsa_kernel
	.section	.text._ZN12_GLOBAL__N_121softmax_warp_backwardIN3c104HalfES2_fLi10ELb1ELb0ELi32EEEvPT0_PKT_S7_iiiPKb,"axG",@progbits,_ZN12_GLOBAL__N_121softmax_warp_backwardIN3c104HalfES2_fLi10ELb1ELb0ELi32EEEvPT0_PKT_S7_iiiPKb,comdat
.Lfunc_end273:
	.size	_ZN12_GLOBAL__N_121softmax_warp_backwardIN3c104HalfES2_fLi10ELb1ELb0ELi32EEEvPT0_PKT_S7_iiiPKb, .Lfunc_end273-_ZN12_GLOBAL__N_121softmax_warp_backwardIN3c104HalfES2_fLi10ELb1ELb0ELi32EEEvPT0_PKT_S7_iiiPKb
                                        ; -- End function
	.section	.AMDGPU.csdata,"",@progbits
; Kernel info:
; codeLenInByte = 8236
; NumSgprs: 46
; NumVgprs: 71
; ScratchSize: 0
; MemoryBound: 0
; FloatMode: 240
; IeeeMode: 1
; LDSByteSize: 0 bytes/workgroup (compile time only)
; SGPRBlocks: 5
; VGPRBlocks: 8
; NumSGPRsForWavesPerEU: 46
; NumVGPRsForWavesPerEU: 71
; Occupancy: 16
; WaveLimiterHint : 0
; COMPUTE_PGM_RSRC2:SCRATCH_EN: 0
; COMPUTE_PGM_RSRC2:USER_SGPR: 15
; COMPUTE_PGM_RSRC2:TRAP_HANDLER: 0
; COMPUTE_PGM_RSRC2:TGID_X_EN: 1
; COMPUTE_PGM_RSRC2:TGID_Y_EN: 0
; COMPUTE_PGM_RSRC2:TGID_Z_EN: 0
; COMPUTE_PGM_RSRC2:TIDIG_COMP_CNT: 1
	.section	.text._ZN2at6native12_GLOBAL__N_124cunn_SoftMaxBackwardSmemILi8EN3c104HalfEfS4_NS1_26LogSoftMaxBackwardEpilogueEEEvPT0_PKT2_SA_l,"axG",@progbits,_ZN2at6native12_GLOBAL__N_124cunn_SoftMaxBackwardSmemILi8EN3c104HalfEfS4_NS1_26LogSoftMaxBackwardEpilogueEEEvPT0_PKT2_SA_l,comdat
	.globl	_ZN2at6native12_GLOBAL__N_124cunn_SoftMaxBackwardSmemILi8EN3c104HalfEfS4_NS1_26LogSoftMaxBackwardEpilogueEEEvPT0_PKT2_SA_l ; -- Begin function _ZN2at6native12_GLOBAL__N_124cunn_SoftMaxBackwardSmemILi8EN3c104HalfEfS4_NS1_26LogSoftMaxBackwardEpilogueEEEvPT0_PKT2_SA_l
	.p2align	8
	.type	_ZN2at6native12_GLOBAL__N_124cunn_SoftMaxBackwardSmemILi8EN3c104HalfEfS4_NS1_26LogSoftMaxBackwardEpilogueEEEvPT0_PKT2_SA_l,@function
_ZN2at6native12_GLOBAL__N_124cunn_SoftMaxBackwardSmemILi8EN3c104HalfEfS4_NS1_26LogSoftMaxBackwardEpilogueEEEvPT0_PKT2_SA_l: ; @_ZN2at6native12_GLOBAL__N_124cunn_SoftMaxBackwardSmemILi8EN3c104HalfEfS4_NS1_26LogSoftMaxBackwardEpilogueEEEvPT0_PKT2_SA_l
; %bb.0:
	s_load_b256 s[4:11], s[0:1], 0x0
	v_dual_mov_b32 v2, 0 :: v_dual_lshlrev_b32 v1, 3, v0
	v_lshl_add_u32 v5, v0, 4, 0
	s_waitcnt lgkmcnt(0)
	s_delay_alu instid0(VALU_DEP_2)
	v_cmp_gt_i64_e32 vcc_lo, s[10:11], v[1:2]
	s_mul_i32 s2, s15, s11
	s_mul_hi_u32 s3, s15, s10
	s_mul_i32 s12, s15, s10
	s_add_i32 s13, s3, s2
	s_and_saveexec_b32 s3, vcc_lo
	s_cbranch_execz .LBB274_4
; %bb.1:
	s_load_b32 s2, s[0:1], 0x2c
	s_lshl_b64 s[14:15], s[12:13], 1
	v_lshl_add_u32 v6, v0, 4, 0
	s_add_u32 s8, s8, s14
	s_addc_u32 s9, s9, s15
	v_dual_mov_b32 v2, 0 :: v_dual_mov_b32 v3, v0
	s_mov_b32 s15, 0
	s_waitcnt lgkmcnt(0)
	s_and_b32 s14, s2, 0xffff
	s_delay_alu instid0(SALU_CYCLE_1)
	v_add_lshl_u32 v1, v0, s14, 3
	s_lshl_b32 s16, s14, 3
	s_lshl_b32 s17, s14, 4
	s_set_inst_prefetch_distance 0x1
	.p2align	6
.LBB274_2:                              ; =>This Inner Loop Header: Depth=1
	v_ashrrev_i32_e32 v4, 31, v3
	s_delay_alu instid0(VALU_DEP_1) | instskip(SKIP_1) | instid1(VALU_DEP_2)
	v_lshlrev_b64 v[7:8], 4, v[3:4]
	v_add_nc_u32_e32 v3, s14, v3
	v_add_co_u32 v7, s2, s8, v7
	s_delay_alu instid0(VALU_DEP_1)
	v_add_co_ci_u32_e64 v8, s2, s9, v8, s2
	global_load_b128 v[7:10], v[7:8], off
	s_waitcnt vmcnt(0)
	v_cvt_f32_f16_e32 v4, v7
	v_lshrrev_b32_e32 v11, 16, v7
	v_cvt_f32_f16_e32 v12, v8
	ds_store_b128 v6, v[7:10]
	v_add_nc_u32_e32 v6, s17, v6
	v_add_f32_e32 v2, v2, v4
	v_cvt_f32_f16_e32 v4, v11
	v_lshrrev_b32_e32 v11, 16, v8
	s_delay_alu instid0(VALU_DEP_2) | instskip(NEXT) | instid1(VALU_DEP_2)
	v_add_f32_e32 v2, v2, v4
	v_cvt_f32_f16_e32 v4, v11
	v_lshrrev_b32_e32 v11, 16, v9
	s_delay_alu instid0(VALU_DEP_3) | instskip(SKIP_1) | instid1(VALU_DEP_2)
	v_add_f32_e32 v2, v2, v12
	v_cvt_f32_f16_e32 v12, v9
	v_add_f32_e32 v2, v2, v4
	s_delay_alu instid0(VALU_DEP_4) | instskip(SKIP_1) | instid1(VALU_DEP_3)
	v_cvt_f32_f16_e32 v4, v11
	v_lshrrev_b32_e32 v11, 16, v10
	v_add_f32_e32 v2, v2, v12
	v_cvt_f32_f16_e32 v12, v10
	s_delay_alu instid0(VALU_DEP_3) | instskip(NEXT) | instid1(VALU_DEP_3)
	v_cvt_f32_f16_e32 v11, v11
	v_add_f32_e32 v4, v2, v4
	v_ashrrev_i32_e32 v2, 31, v1
	s_delay_alu instid0(VALU_DEP_2) | instskip(NEXT) | instid1(VALU_DEP_2)
	v_add_f32_e32 v4, v4, v12
	v_cmp_le_i64_e64 s2, s[10:11], v[1:2]
	s_delay_alu instid0(VALU_DEP_2) | instskip(NEXT) | instid1(VALU_DEP_2)
	v_dual_add_f32 v2, v4, v11 :: v_dual_add_nc_u32 v1, s16, v1
	s_or_b32 s15, s2, s15
	s_delay_alu instid0(SALU_CYCLE_1)
	s_and_not1_b32 exec_lo, exec_lo, s15
	s_cbranch_execnz .LBB274_2
; %bb.3:
	s_set_inst_prefetch_distance 0x2
	s_or_b32 exec_lo, exec_lo, s15
.LBB274_4:
	s_delay_alu instid0(SALU_CYCLE_1)
	s_or_b32 exec_lo, exec_lo, s3
	v_mbcnt_lo_u32_b32 v6, -1, 0
	s_lshl_b32 s3, s10, 1
	s_mov_b32 s8, exec_lo
	s_add_i32 s3, s3, 0
	s_waitcnt lgkmcnt(0)
	v_cmp_gt_u32_e64 s2, 16, v6
	s_barrier
	buffer_gl0_inv
	v_cndmask_b32_e64 v1, 0, 1, s2
	v_cmp_gt_u32_e64 s2, 24, v6
	s_delay_alu instid0(VALU_DEP_2) | instskip(NEXT) | instid1(VALU_DEP_2)
	v_lshlrev_b32_e32 v1, 4, v1
	v_cndmask_b32_e64 v3, 0, 1, s2
	v_cmp_gt_u32_e64 s2, 28, v6
	s_delay_alu instid0(VALU_DEP_3) | instskip(NEXT) | instid1(VALU_DEP_3)
	v_add_lshl_u32 v1, v1, v6, 2
	v_lshlrev_b32_e32 v3, 3, v3
	ds_bpermute_b32 v4, v1, v2
	v_add_lshl_u32 v3, v3, v6, 2
	s_waitcnt lgkmcnt(0)
	v_add_f32_e32 v4, v2, v4
	v_cndmask_b32_e64 v2, 0, 1, s2
	v_cmp_gt_u32_e64 s2, 30, v6
	ds_bpermute_b32 v7, v3, v4
	s_waitcnt lgkmcnt(0)
	v_dual_add_f32 v7, v4, v7 :: v_dual_lshlrev_b32 v2, 2, v2
	s_delay_alu instid0(VALU_DEP_1) | instskip(SKIP_4) | instid1(VALU_DEP_1)
	v_add_lshl_u32 v2, v2, v6, 2
	v_cndmask_b32_e64 v4, 0, 1, s2
	v_cmp_ne_u32_e64 s2, 31, v6
	ds_bpermute_b32 v8, v2, v7
	v_lshlrev_b32_e32 v4, 1, v4
	v_add_lshl_u32 v4, v4, v6, 2
	v_add_co_ci_u32_e64 v6, s2, 0, v6, s2
	s_waitcnt lgkmcnt(0)
	s_delay_alu instid0(VALU_DEP_1)
	v_dual_add_f32 v7, v7, v8 :: v_dual_lshlrev_b32 v6, 2, v6
	ds_bpermute_b32 v8, v4, v7
	s_waitcnt lgkmcnt(0)
	v_add_f32_e32 v8, v7, v8
	v_and_b32_e32 v7, 31, v0
	ds_bpermute_b32 v9, v6, v8
	v_cmpx_eq_u32_e32 0, v7
	s_cbranch_execz .LBB274_6
; %bb.5:
	v_lshrrev_b32_e32 v10, 3, v0
	s_waitcnt lgkmcnt(0)
	v_add_f32_e32 v8, v8, v9
	s_delay_alu instid0(VALU_DEP_2)
	v_add_nc_u32_e32 v10, s3, v10
	ds_store_b32 v10, v8
.LBB274_6:
	s_or_b32 exec_lo, exec_lo, s8
	s_waitcnt lgkmcnt(0)
	s_barrier
	buffer_gl0_inv
	s_load_b32 s1, s[0:1], 0x2c
	v_mov_b32_e32 v8, 0
	s_mov_b32 s2, exec_lo
	s_waitcnt lgkmcnt(0)
	s_bfe_u32 s0, s1, 0xb0005
	s_delay_alu instid0(SALU_CYCLE_1)
	v_cmpx_gt_u32_e64 s0, v0
	s_cbranch_execz .LBB274_8
; %bb.7:
	v_lshl_add_u32 v7, v7, 2, s3
	ds_load_b32 v8, v7
.LBB274_8:
	s_or_b32 exec_lo, exec_lo, s2
	s_delay_alu instid0(SALU_CYCLE_1)
	s_mov_b32 s2, exec_lo
	v_cmpx_gt_u32_e32 32, v0
	s_cbranch_execz .LBB274_10
; %bb.9:
	s_waitcnt lgkmcnt(0)
	ds_bpermute_b32 v1, v1, v8
	s_waitcnt lgkmcnt(0)
	v_add_f32_e32 v1, v8, v1
	ds_bpermute_b32 v3, v3, v1
	s_waitcnt lgkmcnt(0)
	v_add_f32_e32 v1, v1, v3
	ds_bpermute_b32 v2, v2, v1
	s_waitcnt lgkmcnt(0)
	v_add_f32_e32 v1, v1, v2
	ds_bpermute_b32 v2, v4, v1
	s_waitcnt lgkmcnt(0)
	v_add_f32_e32 v1, v1, v2
	ds_bpermute_b32 v2, v6, v1
	s_waitcnt lgkmcnt(0)
	v_add_f32_e32 v8, v1, v2
.LBB274_10:
	s_or_b32 exec_lo, exec_lo, s2
	s_delay_alu instid0(SALU_CYCLE_1)
	s_mov_b32 s2, exec_lo
	v_cmpx_eq_u32_e32 0, v0
	s_cbranch_execz .LBB274_12
; %bb.11:
	v_mov_b32_e32 v1, s3
	s_waitcnt lgkmcnt(0)
	ds_store_b32 v1, v8
.LBB274_12:
	s_or_b32 exec_lo, exec_lo, s2
	s_waitcnt lgkmcnt(0)
	s_barrier
	buffer_gl0_inv
	s_and_saveexec_b32 s0, vcc_lo
	s_cbranch_execz .LBB274_15
; %bb.13:
	v_mov_b32_e32 v1, s3
	s_lshl_b64 s[2:3], s[12:13], 1
	s_and_b32 s9, s1, 0xffff
	s_add_u32 s12, s4, s2
	v_add_lshl_u32 v2, v0, s9, 3
	ds_load_b32 v4, v1
	s_addc_u32 s13, s5, s3
	s_add_u32 s14, s6, s2
	s_addc_u32 s15, s7, s3
	s_lshl_b32 s16, s9, 3
	s_mov_b32 s17, 0
	s_lshl_b32 s18, s9, 4
	s_mov_b32 s19, 0x3fb8aa3b
	s_mov_b32 s20, 0x32a5705f
.LBB274_14:                             ; =>This Inner Loop Header: Depth=1
	v_ashrrev_i32_e32 v1, 31, v0
	v_ashrrev_i32_e32 v3, 31, v2
	ds_load_b128 v[10:13], v5
	v_lshlrev_b64 v[14:15], 4, v[0:1]
	s_delay_alu instid0(VALU_DEP_1) | instskip(NEXT) | instid1(VALU_DEP_2)
	v_add_co_u32 v6, vcc_lo, s14, v14
	v_add_co_ci_u32_e32 v7, vcc_lo, s15, v15, vcc_lo
	v_cmp_le_i64_e32 vcc_lo, s[10:11], v[2:3]
	v_add_co_u32 v14, s0, s12, v14
	global_load_b128 v[6:9], v[6:7], off
	v_add_co_ci_u32_e64 v15, s0, s13, v15, s0
	v_add_nc_u32_e32 v2, s16, v2
	s_or_b32 s17, vcc_lo, s17
	s_waitcnt vmcnt(0)
	v_lshrrev_b32_e32 v1, 16, v6
	v_lshrrev_b32_e32 v3, 16, v7
	v_lshrrev_b32_e32 v16, 16, v8
	v_cvt_f32_f16_e32 v17, v6
	v_lshrrev_b32_e32 v18, 16, v9
	v_cvt_f32_f16_e32 v19, v7
	v_cvt_f32_f16_e32 v20, v8
	;; [unrolled: 1-line block ×3, first 2 shown]
	v_add_nc_u32_e32 v5, s18, v5
	s_delay_alu instid0(VALU_DEP_4)
	v_dual_mul_f32 v23, 0x3fb8aa3b, v19 :: v_dual_add_nc_u32 v0, s9, v0
	v_cvt_f32_f16_e32 v1, v1
	v_cvt_f32_f16_e32 v3, v3
	v_mul_f32_e32 v22, 0x3fb8aa3b, v17
	v_mul_f32_e32 v24, 0x3fb8aa3b, v20
	v_cvt_f32_f16_e32 v16, v16
	v_mul_f32_e32 v25, 0x3fb8aa3b, v21
	v_cvt_f32_f16_e32 v18, v18
	v_mul_f32_e32 v28, 0x3fb8aa3b, v1
	v_fma_mix_f32 v29, v7, s19, -v23 op_sel_hi:[1,0,0]
	v_rndne_f32_e32 v30, v23
	v_mul_f32_e32 v31, 0x3fb8aa3b, v3
	v_mul_f32_e32 v37, 0x3fb8aa3b, v18
	v_fma_mix_f32 v26, v6, s19, -v22 op_sel_hi:[1,0,0]
	v_rndne_f32_e32 v27, v22
	v_fma_mix_f32 v32, v8, s19, -v24 op_sel_hi:[1,0,0]
	v_rndne_f32_e32 v33, v24
	v_mul_f32_e32 v34, 0x3fb8aa3b, v16
	v_fma_mix_f32 v35, v9, s19, -v25 op_sel_hi:[1,0,0]
	v_rndne_f32_e32 v36, v25
	v_fma_mix_f32 v26, v6, s20, v26 op_sel_hi:[1,0,0]
	v_dual_sub_f32 v22, v22, v27 :: v_dual_sub_f32 v23, v23, v30
	v_fma_mix_f32 v38, v6, s19, -v28 op_sel:[1,0,0] op_sel_hi:[1,0,0]
	v_rndne_f32_e32 v39, v28
	v_fma_mix_f32 v29, v7, s20, v29 op_sel_hi:[1,0,0]
	v_fma_mix_f32 v40, v7, s19, -v31 op_sel:[1,0,0] op_sel_hi:[1,0,0]
	v_rndne_f32_e32 v41, v31
	v_fma_mix_f32 v32, v8, s20, v32 op_sel_hi:[1,0,0]
	v_dual_sub_f32 v24, v24, v33 :: v_dual_sub_f32 v25, v25, v36
	v_fma_mix_f32 v42, v8, s19, -v34 op_sel:[1,0,0] op_sel_hi:[1,0,0]
	v_rndne_f32_e32 v43, v34
	v_fma_mix_f32 v35, v9, s20, v35 op_sel_hi:[1,0,0]
	v_fma_mix_f32 v44, v9, s19, -v37 op_sel:[1,0,0] op_sel_hi:[1,0,0]
	v_rndne_f32_e32 v45, v37
	v_dual_add_f32 v22, v22, v26 :: v_dual_add_f32 v23, v23, v29
	v_fma_mix_f32 v6, v6, s20, v38 op_sel:[1,0,0] op_sel_hi:[1,0,0]
	v_dual_sub_f32 v26, v28, v39 :: v_dual_sub_f32 v29, v31, v41
	v_fma_mix_f32 v7, v7, s20, v40 op_sel:[1,0,0] op_sel_hi:[1,0,0]
	v_dual_add_f32 v24, v24, v32 :: v_dual_add_f32 v25, v25, v35
	v_fma_mix_f32 v8, v8, s20, v42 op_sel:[1,0,0] op_sel_hi:[1,0,0]
	v_dual_sub_f32 v32, v34, v43 :: v_dual_sub_f32 v35, v37, v45
	v_fma_mix_f32 v9, v9, s20, v44 op_sel:[1,0,0] op_sel_hi:[1,0,0]
	v_exp_f32_e32 v22, v22
	v_dual_add_f32 v6, v26, v6 :: v_dual_add_f32 v7, v29, v7
	v_exp_f32_e32 v23, v23
	v_exp_f32_e32 v24, v24
	v_dual_add_f32 v8, v32, v8 :: v_dual_add_f32 v9, v35, v9
	v_exp_f32_e32 v25, v25
	v_cvt_i32_f32_e32 v27, v27
	v_cvt_i32_f32_e32 v30, v30
	;; [unrolled: 1-line block ×4, first 2 shown]
	v_exp_f32_e32 v6, v6
	v_exp_f32_e32 v7, v7
	;; [unrolled: 1-line block ×4, first 2 shown]
	v_cvt_i32_f32_e32 v28, v39
	v_cvt_i32_f32_e32 v31, v41
	;; [unrolled: 1-line block ×4, first 2 shown]
	v_ldexp_f32 v22, v22, v27
	v_ldexp_f32 v23, v23, v30
	v_cmp_ngt_f32_e64 s1, 0xc2ce8ed0, v19
	v_ldexp_f32 v24, v24, v33
	v_cmp_ngt_f32_e64 s2, 0xc2ce8ed0, v20
	;; [unrolled: 2-line block ×3, first 2 shown]
	v_cmp_ngt_f32_e64 s4, 0xc2ce8ed0, v17
	v_ldexp_f32 v6, v6, v28
	v_cndmask_b32_e64 v23, 0, v23, s1
	v_cmp_nlt_f32_e64 s1, 0x42b17218, v19
	v_ldexp_f32 v7, v7, v31
	v_cndmask_b32_e64 v22, 0, v22, s4
	v_cmp_ngt_f32_e64 s4, 0xc2ce8ed0, v1
	v_cmp_ngt_f32_e64 s5, 0xc2ce8ed0, v3
	v_cndmask_b32_e64 v19, 0, v24, s2
	v_cmp_nlt_f32_e64 s2, 0x42b17218, v20
	v_ldexp_f32 v8, v8, v34
	v_cmp_ngt_f32_e64 s6, 0xc2ce8ed0, v16
	v_cndmask_b32_e64 v20, 0, v25, s3
	v_cmp_nlt_f32_e64 s3, 0x42b17218, v21
	v_ldexp_f32 v9, v9, v37
	v_cmp_ngt_f32_e64 s7, 0xc2ce8ed0, v18
	v_cmp_nlt_f32_e64 s8, 0x42b17218, v17
	v_cndmask_b32_e64 v21, 0, v6, s4
	v_cmp_nlt_f32_e64 s4, 0x42b17218, v1
	s_delay_alu instid0(VALU_DEP_3)
	v_cndmask_b32_e64 v17, 0x7f800000, v22, s8
	v_cndmask_b32_e64 v22, 0x7f800000, v23, s1
	;; [unrolled: 1-line block ×3, first 2 shown]
	v_cmp_nlt_f32_e64 s1, 0x42b17218, v3
	v_cndmask_b32_e64 v3, 0x7f800000, v19, s2
	v_cndmask_b32_e64 v19, 0, v8, s6
	v_cmp_nlt_f32_e64 s2, 0x42b17218, v16
	v_cndmask_b32_e64 v16, 0x7f800000, v20, s3
	v_cndmask_b32_e64 v20, 0, v9, s7
	v_cmp_nlt_f32_e64 s3, 0x42b17218, v18
	s_waitcnt lgkmcnt(0)
	v_fma_mixlo_f16 v6, -v4, v17, v10 op_sel_hi:[0,0,1]
	v_cndmask_b32_e64 v1, 0x7f800000, v21, s4
	v_fma_mixlo_f16 v7, -v4, v22, v11 op_sel_hi:[0,0,1]
	v_fma_mixlo_f16 v8, -v4, v3, v12 op_sel_hi:[0,0,1]
	;; [unrolled: 1-line block ×3, first 2 shown]
	v_cndmask_b32_e64 v3, 0x7f800000, v20, s3
	v_cndmask_b32_e64 v16, 0x7f800000, v19, s2
	;; [unrolled: 1-line block ×3, first 2 shown]
	v_fma_mixhi_f16 v6, -v4, v1, v10 op_sel:[0,0,1] op_sel_hi:[0,0,1]
	s_delay_alu instid0(VALU_DEP_4) | instskip(NEXT) | instid1(VALU_DEP_4)
	v_fma_mixhi_f16 v9, -v4, v3, v13 op_sel:[0,0,1] op_sel_hi:[0,0,1]
	v_fma_mixhi_f16 v8, -v4, v16, v12 op_sel:[0,0,1] op_sel_hi:[0,0,1]
	s_delay_alu instid0(VALU_DEP_4)
	v_fma_mixhi_f16 v7, -v4, v17, v11 op_sel:[0,0,1] op_sel_hi:[0,0,1]
	global_store_b128 v[14:15], v[6:9], off
	s_and_not1_b32 exec_lo, exec_lo, s17
	s_cbranch_execnz .LBB274_14
.LBB274_15:
	s_nop 0
	s_sendmsg sendmsg(MSG_DEALLOC_VGPRS)
	s_endpgm
	.section	.rodata,"a",@progbits
	.p2align	6, 0x0
	.amdhsa_kernel _ZN2at6native12_GLOBAL__N_124cunn_SoftMaxBackwardSmemILi8EN3c104HalfEfS4_NS1_26LogSoftMaxBackwardEpilogueEEEvPT0_PKT2_SA_l
		.amdhsa_group_segment_fixed_size 0
		.amdhsa_private_segment_fixed_size 0
		.amdhsa_kernarg_size 288
		.amdhsa_user_sgpr_count 15
		.amdhsa_user_sgpr_dispatch_ptr 0
		.amdhsa_user_sgpr_queue_ptr 0
		.amdhsa_user_sgpr_kernarg_segment_ptr 1
		.amdhsa_user_sgpr_dispatch_id 0
		.amdhsa_user_sgpr_private_segment_size 0
		.amdhsa_wavefront_size32 1
		.amdhsa_uses_dynamic_stack 0
		.amdhsa_enable_private_segment 0
		.amdhsa_system_sgpr_workgroup_id_x 1
		.amdhsa_system_sgpr_workgroup_id_y 0
		.amdhsa_system_sgpr_workgroup_id_z 0
		.amdhsa_system_sgpr_workgroup_info 0
		.amdhsa_system_vgpr_workitem_id 0
		.amdhsa_next_free_vgpr 46
		.amdhsa_next_free_sgpr 21
		.amdhsa_reserve_vcc 1
		.amdhsa_float_round_mode_32 0
		.amdhsa_float_round_mode_16_64 0
		.amdhsa_float_denorm_mode_32 3
		.amdhsa_float_denorm_mode_16_64 3
		.amdhsa_dx10_clamp 1
		.amdhsa_ieee_mode 1
		.amdhsa_fp16_overflow 0
		.amdhsa_workgroup_processor_mode 1
		.amdhsa_memory_ordered 1
		.amdhsa_forward_progress 0
		.amdhsa_shared_vgpr_count 0
		.amdhsa_exception_fp_ieee_invalid_op 0
		.amdhsa_exception_fp_denorm_src 0
		.amdhsa_exception_fp_ieee_div_zero 0
		.amdhsa_exception_fp_ieee_overflow 0
		.amdhsa_exception_fp_ieee_underflow 0
		.amdhsa_exception_fp_ieee_inexact 0
		.amdhsa_exception_int_div_zero 0
	.end_amdhsa_kernel
	.section	.text._ZN2at6native12_GLOBAL__N_124cunn_SoftMaxBackwardSmemILi8EN3c104HalfEfS4_NS1_26LogSoftMaxBackwardEpilogueEEEvPT0_PKT2_SA_l,"axG",@progbits,_ZN2at6native12_GLOBAL__N_124cunn_SoftMaxBackwardSmemILi8EN3c104HalfEfS4_NS1_26LogSoftMaxBackwardEpilogueEEEvPT0_PKT2_SA_l,comdat
.Lfunc_end274:
	.size	_ZN2at6native12_GLOBAL__N_124cunn_SoftMaxBackwardSmemILi8EN3c104HalfEfS4_NS1_26LogSoftMaxBackwardEpilogueEEEvPT0_PKT2_SA_l, .Lfunc_end274-_ZN2at6native12_GLOBAL__N_124cunn_SoftMaxBackwardSmemILi8EN3c104HalfEfS4_NS1_26LogSoftMaxBackwardEpilogueEEEvPT0_PKT2_SA_l
                                        ; -- End function
	.section	.AMDGPU.csdata,"",@progbits
; Kernel info:
; codeLenInByte = 1988
; NumSgprs: 23
; NumVgprs: 46
; ScratchSize: 0
; MemoryBound: 0
; FloatMode: 240
; IeeeMode: 1
; LDSByteSize: 0 bytes/workgroup (compile time only)
; SGPRBlocks: 2
; VGPRBlocks: 5
; NumSGPRsForWavesPerEU: 23
; NumVGPRsForWavesPerEU: 46
; Occupancy: 16
; WaveLimiterHint : 0
; COMPUTE_PGM_RSRC2:SCRATCH_EN: 0
; COMPUTE_PGM_RSRC2:USER_SGPR: 15
; COMPUTE_PGM_RSRC2:TRAP_HANDLER: 0
; COMPUTE_PGM_RSRC2:TGID_X_EN: 1
; COMPUTE_PGM_RSRC2:TGID_Y_EN: 0
; COMPUTE_PGM_RSRC2:TGID_Z_EN: 0
; COMPUTE_PGM_RSRC2:TIDIG_COMP_CNT: 0
	.section	.text._ZN2at6native12_GLOBAL__N_120cunn_SoftMaxBackwardILi8EN3c104HalfEfS4_NS1_26LogSoftMaxBackwardEpilogueEEEvPT0_PKT2_SA_l,"axG",@progbits,_ZN2at6native12_GLOBAL__N_120cunn_SoftMaxBackwardILi8EN3c104HalfEfS4_NS1_26LogSoftMaxBackwardEpilogueEEEvPT0_PKT2_SA_l,comdat
	.globl	_ZN2at6native12_GLOBAL__N_120cunn_SoftMaxBackwardILi8EN3c104HalfEfS4_NS1_26LogSoftMaxBackwardEpilogueEEEvPT0_PKT2_SA_l ; -- Begin function _ZN2at6native12_GLOBAL__N_120cunn_SoftMaxBackwardILi8EN3c104HalfEfS4_NS1_26LogSoftMaxBackwardEpilogueEEEvPT0_PKT2_SA_l
	.p2align	8
	.type	_ZN2at6native12_GLOBAL__N_120cunn_SoftMaxBackwardILi8EN3c104HalfEfS4_NS1_26LogSoftMaxBackwardEpilogueEEEvPT0_PKT2_SA_l,@function
_ZN2at6native12_GLOBAL__N_120cunn_SoftMaxBackwardILi8EN3c104HalfEfS4_NS1_26LogSoftMaxBackwardEpilogueEEEvPT0_PKT2_SA_l: ; @_ZN2at6native12_GLOBAL__N_120cunn_SoftMaxBackwardILi8EN3c104HalfEfS4_NS1_26LogSoftMaxBackwardEpilogueEEEvPT0_PKT2_SA_l
; %bb.0:
	s_load_b256 s[4:11], s[0:1], 0x0
	s_mov_b32 s29, 0
	s_waitcnt lgkmcnt(0)
	s_mul_i32 s3, s15, s11
	s_mul_hi_u32 s12, s15, s10
	s_mul_i32 s2, s15, s10
	s_add_i32 s3, s12, s3
	v_cmp_lt_i64_e64 s14, 0x7ffffffe, s[10:11]
	s_lshl_b64 s[26:27], s[2:3], 1
	s_delay_alu instid0(SALU_CYCLE_1) | instskip(SKIP_2) | instid1(SALU_CYCLE_1)
	s_add_u32 s12, s8, s26
	s_addc_u32 s13, s9, s27
	s_bfe_u32 s28, s12, 0x30001
	s_cmp_lg_u32 s28, 0
	s_cselect_b32 s22, -1, 0
	s_and_b32 vcc_lo, exec_lo, s14
	s_cbranch_vccz .LBB275_16
; %bb.1:
	v_mov_b32_e32 v1, 0
	s_and_b32 vcc_lo, exec_lo, s22
	s_cbranch_vccz .LBB275_39
; %bb.2:
	s_lshl_b32 s2, s28, 1
	s_delay_alu instid0(VALU_DEP_1)
	v_mov_b32_e32 v8, v1
	s_sub_u32 s18, s12, s2
	s_mov_b32 s20, 0
	s_subb_u32 s19, s13, 0
	s_mov_b32 s2, exec_lo
	v_cmpx_le_u64_e64 s[28:29], v[0:1]
	s_cbranch_execz .LBB275_4
; %bb.3:
	v_lshlrev_b32_e32 v2, 1, v0
	global_load_u16 v2, v2, s[18:19]
	s_waitcnt vmcnt(0)
	v_cvt_f32_f16_e32 v2, v2
	s_delay_alu instid0(VALU_DEP_1)
	v_add_f32_e32 v8, 0, v2
.LBB275_4:
	s_or_b32 exec_lo, exec_lo, s2
	s_load_b32 s16, s[0:1], 0x2c
	s_add_u32 s17, s28, s10
	s_addc_u32 s21, 0, s11
	s_add_u32 s2, s0, 32
	s_addc_u32 s3, s1, 0
	s_waitcnt lgkmcnt(0)
	s_and_b32 s23, s16, 0xffff
	s_delay_alu instid0(SALU_CYCLE_1) | instskip(SKIP_2) | instid1(SALU_CYCLE_1)
	s_sub_u32 s16, s17, s23
	s_subb_u32 s17, s21, 0
	s_lshl_b32 s21, s23, 1
	s_add_u32 s18, s18, s21
	s_addc_u32 s19, s19, 0
	s_and_b32 vcc_lo, exec_lo, s20
	s_cbranch_vccz .LBB275_6
.LBB275_5:
	v_mov_b32_e32 v8, 0
	s_add_u32 s2, s0, 32
	s_addc_u32 s3, s1, 0
	s_mov_b64 s[16:17], s[10:11]
	s_mov_b64 s[18:19], s[12:13]
.LBB275_6:
	s_load_b32 s20, s[2:3], 0x0
	v_mov_b32_e32 v2, 0
	s_mov_b32 s21, s17
	s_waitcnt lgkmcnt(0)
	s_cmp_lt_u32 s15, s20
	s_cselect_b32 s20, 12, 18
	s_delay_alu instid0(SALU_CYCLE_1)
	s_add_u32 s2, s2, s20
	s_addc_u32 s3, s3, 0
	s_mov_b32 s20, 0
	global_load_u16 v2, v2, s[2:3]
	s_waitcnt vmcnt(0)
	v_readfirstlane_b32 s2, v2
	v_and_b32_e32 v9, 0xffff, v2
	s_delay_alu instid0(VALU_DEP_2) | instskip(NEXT) | instid1(SALU_CYCLE_1)
	s_and_b32 s2, 0xffff, s2
	s_lshl_b32 s3, s2, 3
	s_cmp_lg_u64 s[20:21], 0
	s_cbranch_scc0 .LBB275_40
; %bb.7:
	v_cvt_f32_u32_e32 v2, s3
	s_sub_u32 s23, 0, s3
	s_subb_u32 s24, 0, 0
	s_delay_alu instid0(VALU_DEP_1) | instskip(NEXT) | instid1(VALU_DEP_1)
	v_fmamk_f32 v2, 0, 0x4f800000, v2
	v_rcp_f32_e32 v2, v2
	s_waitcnt_depctr 0xfff
	v_mul_f32_e32 v2, 0x5f7ffffc, v2
	s_delay_alu instid0(VALU_DEP_1) | instskip(NEXT) | instid1(VALU_DEP_1)
	v_mul_f32_e32 v3, 0x2f800000, v2
	v_trunc_f32_e32 v3, v3
	s_delay_alu instid0(VALU_DEP_1) | instskip(SKIP_1) | instid1(VALU_DEP_2)
	v_fmamk_f32 v2, v3, 0xcf800000, v2
	v_cvt_u32_f32_e32 v3, v3
	v_cvt_u32_f32_e32 v2, v2
	s_delay_alu instid0(VALU_DEP_2) | instskip(NEXT) | instid1(VALU_DEP_2)
	v_readfirstlane_b32 s2, v3
	v_readfirstlane_b32 s21, v2
	s_delay_alu instid0(VALU_DEP_2) | instskip(NEXT) | instid1(VALU_DEP_1)
	s_mul_i32 s25, s23, s2
	s_mul_hi_u32 s31, s23, s21
	s_mul_i32 s30, s24, s21
	s_add_i32 s25, s31, s25
	s_mul_i32 s33, s23, s21
	s_add_i32 s25, s25, s30
	s_mul_hi_u32 s31, s21, s33
	s_mul_hi_u32 s34, s2, s33
	s_mul_i32 s30, s2, s33
	s_mul_hi_u32 s33, s21, s25
	s_mul_i32 s21, s21, s25
	s_mul_hi_u32 s35, s2, s25
	s_add_u32 s21, s31, s21
	s_addc_u32 s31, 0, s33
	s_add_u32 s21, s21, s30
	s_mul_i32 s25, s2, s25
	s_addc_u32 s21, s31, s34
	s_addc_u32 s30, s35, 0
	s_add_u32 s21, s21, s25
	s_addc_u32 s25, 0, s30
	v_add_co_u32 v2, s21, v2, s21
	s_delay_alu instid0(VALU_DEP_1) | instskip(SKIP_1) | instid1(VALU_DEP_1)
	s_cmp_lg_u32 s21, 0
	s_addc_u32 s2, s2, s25
	v_readfirstlane_b32 s21, v2
	s_mul_i32 s25, s23, s2
	s_delay_alu instid0(VALU_DEP_1)
	s_mul_hi_u32 s30, s23, s21
	s_mul_i32 s24, s24, s21
	s_add_i32 s25, s30, s25
	s_mul_i32 s23, s23, s21
	s_add_i32 s25, s25, s24
	s_mul_hi_u32 s30, s2, s23
	s_mul_i32 s31, s2, s23
	s_mul_hi_u32 s23, s21, s23
	s_mul_hi_u32 s33, s21, s25
	s_mul_i32 s21, s21, s25
	s_mul_hi_u32 s24, s2, s25
	s_add_u32 s21, s23, s21
	s_addc_u32 s23, 0, s33
	s_add_u32 s21, s21, s31
	s_mul_i32 s25, s2, s25
	s_addc_u32 s21, s23, s30
	s_addc_u32 s23, s24, 0
	s_add_u32 s21, s21, s25
	s_addc_u32 s23, 0, s23
	v_add_co_u32 v2, s21, v2, s21
	s_delay_alu instid0(VALU_DEP_1) | instskip(SKIP_1) | instid1(VALU_DEP_1)
	s_cmp_lg_u32 s21, 0
	s_addc_u32 s2, s2, s23
	v_readfirstlane_b32 s21, v2
	s_mul_i32 s24, s16, s2
	s_mul_hi_u32 s23, s16, s2
	s_mul_hi_u32 s25, s17, s2
	s_mul_i32 s2, s17, s2
	s_mul_hi_u32 s30, s16, s21
	s_mul_hi_u32 s31, s17, s21
	s_mul_i32 s21, s17, s21
	s_add_u32 s24, s30, s24
	s_addc_u32 s23, 0, s23
	s_add_u32 s21, s24, s21
	s_addc_u32 s21, s23, s31
	s_addc_u32 s23, s25, 0
	s_add_u32 s2, s21, s2
	s_addc_u32 s21, 0, s23
	s_mul_hi_u32 s23, s3, s2
	s_mul_i32 s2, s3, s2
	s_mul_i32 s21, s3, s21
	v_sub_co_u32 v2, s2, s16, s2
	s_add_i32 s23, s23, s21
	s_cmp_lg_u32 s2, 0
	s_delay_alu instid0(VALU_DEP_1) | instskip(SKIP_2) | instid1(VALU_DEP_1)
	v_sub_co_u32 v3, s2, v2, s3
	s_subb_u32 s21, s17, s23
	s_cmp_lg_u32 s2, 0
	v_cmp_le_u32_e32 vcc_lo, s3, v3
	v_sub_co_u32 v4, s2, v3, s3
	s_subb_u32 s23, s21, 0
	s_cmp_lg_u32 s2, 0
	v_cndmask_b32_e64 v5, 0, -1, vcc_lo
	s_subb_u32 s2, s23, 0
	s_cmp_eq_u32 s23, 0
	v_mov_b32_e32 v7, s2
	s_cselect_b32 vcc_lo, -1, 0
	s_cmp_eq_u32 s21, 0
	v_cndmask_b32_e32 v5, -1, v5, vcc_lo
	v_cmp_le_u32_e32 vcc_lo, s3, v2
	s_cselect_b32 s2, -1, 0
	v_cndmask_b32_e64 v6, 0, -1, vcc_lo
	s_delay_alu instid0(VALU_DEP_3) | instskip(NEXT) | instid1(VALU_DEP_2)
	v_cmp_ne_u32_e32 vcc_lo, 0, v5
	v_cndmask_b32_e64 v5, -1, v6, s2
	v_cndmask_b32_e32 v6, s23, v7, vcc_lo
	v_cndmask_b32_e32 v4, v3, v4, vcc_lo
	s_delay_alu instid0(VALU_DEP_3) | instskip(NEXT) | instid1(VALU_DEP_2)
	v_cmp_ne_u32_e32 vcc_lo, 0, v5
	v_cndmask_b32_e32 v2, v2, v4, vcc_lo
	s_delay_alu instid0(VALU_DEP_4)
	v_cndmask_b32_e32 v3, s21, v6, vcc_lo
	s_and_not1_b32 vcc_lo, exec_lo, s20
	s_cbranch_vccnz .LBB275_9
.LBB275_8:
	v_cvt_f32_u32_e32 v2, s3
	s_sub_i32 s2, 0, s3
	s_delay_alu instid0(VALU_DEP_1) | instskip(SKIP_2) | instid1(VALU_DEP_1)
	v_rcp_iflag_f32_e32 v2, v2
	s_waitcnt_depctr 0xfff
	v_mul_f32_e32 v2, 0x4f7ffffe, v2
	v_cvt_u32_f32_e32 v2, v2
	s_delay_alu instid0(VALU_DEP_1) | instskip(NEXT) | instid1(VALU_DEP_1)
	v_mul_lo_u32 v3, s2, v2
	v_mul_hi_u32 v3, v2, v3
	s_delay_alu instid0(VALU_DEP_1) | instskip(NEXT) | instid1(VALU_DEP_1)
	v_add_nc_u32_e32 v2, v2, v3
	v_mul_hi_u32 v2, s16, v2
	s_delay_alu instid0(VALU_DEP_1) | instskip(NEXT) | instid1(VALU_DEP_1)
	v_mul_lo_u32 v2, v2, s3
	v_sub_nc_u32_e32 v2, s16, v2
	s_delay_alu instid0(VALU_DEP_1) | instskip(SKIP_1) | instid1(VALU_DEP_2)
	v_subrev_nc_u32_e32 v3, s3, v2
	v_cmp_le_u32_e32 vcc_lo, s3, v2
	v_cndmask_b32_e32 v2, v2, v3, vcc_lo
	s_delay_alu instid0(VALU_DEP_1) | instskip(SKIP_1) | instid1(VALU_DEP_2)
	v_subrev_nc_u32_e32 v3, s3, v2
	v_cmp_le_u32_e32 vcc_lo, s3, v2
	v_dual_cndmask_b32 v2, v2, v3 :: v_dual_mov_b32 v3, 0
.LBB275_9:
	v_dual_mov_b32 v7, v1 :: v_dual_lshlrev_b32 v4, 4, v0
	s_delay_alu instid0(VALU_DEP_2) | instskip(NEXT) | instid1(VALU_DEP_3)
	v_sub_co_u32 v2, vcc_lo, s16, v2
	v_sub_co_ci_u32_e32 v3, vcc_lo, s17, v3, vcc_lo
	s_delay_alu instid0(VALU_DEP_3) | instskip(NEXT) | instid1(VALU_DEP_1)
	v_add_co_u32 v4, s2, s18, v4
	v_add_co_ci_u32_e64 v5, null, s19, 0, s2
	v_lshlrev_b32_e32 v10, 4, v9
	v_mov_b32_e32 v6, v0
	s_mov_b32 s3, 0
	s_set_inst_prefetch_distance 0x1
	.p2align	6
.LBB275_10:                             ; =>This Inner Loop Header: Depth=1
	global_load_b128 v[11:14], v[4:5], off
	v_add_co_u32 v6, vcc_lo, v6, v9
	v_add_co_ci_u32_e32 v7, vcc_lo, 0, v7, vcc_lo
	v_add_co_u32 v4, s2, v4, v10
	s_delay_alu instid0(VALU_DEP_1) | instskip(SKIP_3) | instid1(VALU_DEP_2)
	v_add_co_ci_u32_e64 v5, s2, 0, v5, s2
	s_waitcnt vmcnt(0)
	v_cvt_f32_f16_e32 v1, v11
	v_lshrrev_b32_e32 v11, 16, v11
	v_add_f32_e32 v1, v8, v1
	s_delay_alu instid0(VALU_DEP_2) | instskip(SKIP_2) | instid1(VALU_DEP_3)
	v_cvt_f32_f16_e32 v8, v11
	v_lshrrev_b32_e32 v11, 16, v12
	v_cvt_f32_f16_e32 v12, v12
	v_add_f32_e32 v1, v1, v8
	s_delay_alu instid0(VALU_DEP_3) | instskip(SKIP_1) | instid1(VALU_DEP_3)
	v_cvt_f32_f16_e32 v8, v11
	v_lshrrev_b32_e32 v11, 16, v13
	v_add_f32_e32 v1, v1, v12
	v_cvt_f32_f16_e32 v12, v13
	v_lshrrev_b32_e32 v13, 16, v14
	v_cvt_f32_f16_e32 v14, v14
	s_delay_alu instid0(VALU_DEP_4) | instskip(SKIP_1) | instid1(VALU_DEP_2)
	v_add_f32_e32 v1, v1, v8
	v_cvt_f32_f16_e32 v8, v11
	v_add_f32_e32 v1, v1, v12
	v_lshlrev_b64 v[11:12], 3, v[6:7]
	s_delay_alu instid0(VALU_DEP_2) | instskip(SKIP_1) | instid1(VALU_DEP_3)
	v_add_f32_e32 v1, v1, v8
	v_cvt_f32_f16_e32 v8, v13
	v_cmp_ge_i64_e32 vcc_lo, v[11:12], v[2:3]
	s_delay_alu instid0(VALU_DEP_3) | instskip(SKIP_1) | instid1(VALU_DEP_1)
	v_add_f32_e32 v1, v1, v14
	s_or_b32 s3, vcc_lo, s3
	v_add_f32_e32 v8, v1, v8
	s_and_not1_b32 exec_lo, exec_lo, s3
	s_cbranch_execnz .LBB275_10
; %bb.11:
	s_set_inst_prefetch_distance 0x2
	s_or_b32 exec_lo, exec_lo, s3
	v_add_co_u32 v1, vcc_lo, v2, v0
	v_add_co_ci_u32_e32 v2, vcc_lo, 0, v3, vcc_lo
	s_mov_b32 s2, exec_lo
	s_delay_alu instid0(VALU_DEP_1)
	v_cmpx_gt_i64_e64 s[16:17], v[1:2]
	s_cbranch_execz .LBB275_15
; %bb.12:
	s_mov_b32 s3, 0
.LBB275_13:                             ; =>This Inner Loop Header: Depth=1
	v_lshlrev_b64 v[3:4], 1, v[1:2]
	s_delay_alu instid0(VALU_DEP_1) | instskip(NEXT) | instid1(VALU_DEP_2)
	v_add_co_u32 v3, vcc_lo, s18, v3
	v_add_co_ci_u32_e32 v4, vcc_lo, s19, v4, vcc_lo
	v_add_co_u32 v1, vcc_lo, v1, v9
	v_add_co_ci_u32_e32 v2, vcc_lo, 0, v2, vcc_lo
	global_load_u16 v3, v[3:4], off
	v_cmp_le_i64_e32 vcc_lo, s[16:17], v[1:2]
	s_or_b32 s3, vcc_lo, s3
	s_waitcnt vmcnt(0)
	v_cvt_f32_f16_e32 v3, v3
	s_delay_alu instid0(VALU_DEP_1)
	v_add_f32_e32 v8, v8, v3
	s_and_not1_b32 exec_lo, exec_lo, s3
	s_cbranch_execnz .LBB275_13
; %bb.14:
	s_or_b32 exec_lo, exec_lo, s3
.LBB275_15:
	s_delay_alu instid0(SALU_CYCLE_1)
	s_or_b32 exec_lo, exec_lo, s2
	s_branch .LBB275_31
.LBB275_16:
                                        ; implicit-def: $vgpr8
	s_cbranch_execz .LBB275_31
; %bb.17:
	s_and_b32 vcc_lo, exec_lo, s22
	s_cbranch_vccz .LBB275_41
; %bb.18:
	s_lshl_b64 s[2:3], s[28:29], 1
	v_cmp_le_u32_e32 vcc_lo, s28, v0
	s_sub_u32 s18, s12, s2
	s_subb_u32 s19, s13, s3
	s_add_i32 s3, s28, s10
	v_mov_b32_e32 v8, 0
	v_cmp_gt_i32_e64 s2, s3, v0
	s_delay_alu instid0(VALU_DEP_1) | instskip(NEXT) | instid1(SALU_CYCLE_1)
	s_and_b32 s16, vcc_lo, s2
	s_and_saveexec_b32 s2, s16
	s_cbranch_execz .LBB275_20
; %bb.19:
	v_lshlrev_b32_e32 v1, 1, v0
	global_load_u16 v1, v1, s[18:19]
	s_waitcnt vmcnt(0)
	v_cvt_f32_f16_e32 v1, v1
	s_delay_alu instid0(VALU_DEP_1)
	v_add_f32_e32 v8, 0, v1
.LBB275_20:
	s_or_b32 exec_lo, exec_lo, s2
	s_load_b32 s2, s[0:1], 0x2c
	s_add_u32 s16, s0, 32
	s_addc_u32 s17, s1, 0
	s_waitcnt lgkmcnt(0)
	s_and_b32 s2, s2, 0xffff
	s_delay_alu instid0(SALU_CYCLE_1) | instskip(SKIP_1) | instid1(SALU_CYCLE_1)
	v_sub_nc_u32_e64 v1, s3, s2 clamp
	s_lshl_b32 s2, s2, 1
	s_add_u32 s2, s18, s2
	s_addc_u32 s3, s19, 0
	s_delay_alu instid0(VALU_DEP_1)
	v_readfirstlane_b32 s20, v1
	s_branch .LBB275_22
.LBB275_21:
	v_mov_b32_e32 v8, 0
	s_add_u32 s16, s0, 32
	s_addc_u32 s17, s1, 0
	s_mov_b32 s20, s10
	s_mov_b64 s[2:3], s[12:13]
.LBB275_22:
	s_load_b32 s18, s[16:17], 0x0
	v_mov_b32_e32 v1, 0
	s_waitcnt lgkmcnt(0)
	s_cmp_lt_u32 s15, s18
	s_cselect_b32 s18, 12, 18
	s_delay_alu instid0(SALU_CYCLE_1) | instskip(SKIP_4) | instid1(VALU_DEP_1)
	s_add_u32 s16, s16, s18
	s_addc_u32 s17, s17, 0
	global_load_u16 v3, v1, s[16:17]
	s_waitcnt vmcnt(0)
	v_readfirstlane_b32 s16, v3
	s_lshl_b32 s16, s16, 3
	s_delay_alu instid0(SALU_CYCLE_1) | instskip(SKIP_1) | instid1(VALU_DEP_1)
	v_cvt_f32_u32_e32 v1, s16
	s_sub_i32 s18, 0, s16
	v_rcp_iflag_f32_e32 v1, v1
	s_waitcnt_depctr 0xfff
	v_mul_f32_e32 v1, 0x4f7ffffe, v1
	s_delay_alu instid0(VALU_DEP_1) | instskip(NEXT) | instid1(VALU_DEP_1)
	v_cvt_u32_f32_e32 v1, v1
	v_readfirstlane_b32 s17, v1
	v_lshlrev_b32_e32 v1, 3, v0
	s_delay_alu instid0(VALU_DEP_2) | instskip(NEXT) | instid1(SALU_CYCLE_1)
	s_mul_i32 s18, s18, s17
	s_mul_hi_u32 s18, s17, s18
	s_delay_alu instid0(SALU_CYCLE_1) | instskip(NEXT) | instid1(SALU_CYCLE_1)
	s_add_i32 s17, s17, s18
	s_mul_hi_u32 s17, s20, s17
	s_delay_alu instid0(SALU_CYCLE_1) | instskip(NEXT) | instid1(SALU_CYCLE_1)
	s_mul_i32 s17, s17, s16
	s_sub_i32 s17, s20, s17
	s_delay_alu instid0(SALU_CYCLE_1) | instskip(SKIP_2) | instid1(SALU_CYCLE_1)
	s_sub_i32 s18, s17, s16
	s_cmp_ge_u32 s17, s16
	s_cselect_b32 s17, s18, s17
	s_sub_i32 s18, s17, s16
	s_cmp_ge_u32 s17, s16
	s_cselect_b32 s16, s18, s17
	s_mov_b32 s18, 0
	s_sub_i32 s16, s20, s16
	s_mov_b32 s17, exec_lo
	v_cmpx_gt_i32_e64 s16, v1
	s_cbranch_execz .LBB275_26
; %bb.23:
	v_mov_b32_e32 v1, v0
	s_set_inst_prefetch_distance 0x1
	.p2align	6
.LBB275_24:                             ; =>This Inner Loop Header: Depth=1
	s_delay_alu instid0(VALU_DEP_1) | instskip(NEXT) | instid1(VALU_DEP_1)
	v_ashrrev_i32_e32 v2, 31, v1
	v_lshlrev_b64 v[4:5], 4, v[1:2]
	v_add_nc_u32_e32 v1, v1, v3
	s_delay_alu instid0(VALU_DEP_2) | instskip(NEXT) | instid1(VALU_DEP_3)
	v_add_co_u32 v4, vcc_lo, s2, v4
	v_add_co_ci_u32_e32 v5, vcc_lo, s3, v5, vcc_lo
	global_load_b128 v[4:7], v[4:5], off
	s_waitcnt vmcnt(0)
	v_cvt_f32_f16_e32 v2, v4
	v_lshrrev_b32_e32 v4, 16, v4
	s_delay_alu instid0(VALU_DEP_2) | instskip(NEXT) | instid1(VALU_DEP_2)
	v_add_f32_e32 v2, v8, v2
	v_cvt_f32_f16_e32 v4, v4
	v_lshrrev_b32_e32 v8, 16, v5
	v_cvt_f32_f16_e32 v5, v5
	s_delay_alu instid0(VALU_DEP_3) | instskip(NEXT) | instid1(VALU_DEP_3)
	v_add_f32_e32 v2, v2, v4
	v_cvt_f32_f16_e32 v4, v8
	s_delay_alu instid0(VALU_DEP_2) | instskip(SKIP_2) | instid1(VALU_DEP_3)
	v_add_f32_e32 v2, v2, v5
	v_lshrrev_b32_e32 v5, 16, v6
	v_cvt_f32_f16_e32 v6, v6
	v_add_f32_e32 v2, v2, v4
	s_delay_alu instid0(VALU_DEP_3) | instskip(SKIP_1) | instid1(VALU_DEP_3)
	v_cvt_f32_f16_e32 v4, v5
	v_lshrrev_b32_e32 v5, 16, v7
	v_add_f32_e32 v2, v2, v6
	v_cvt_f32_f16_e32 v6, v7
	s_delay_alu instid0(VALU_DEP_3) | instskip(NEXT) | instid1(VALU_DEP_3)
	v_cvt_f32_f16_e32 v5, v5
	v_add_f32_e32 v2, v2, v4
	v_lshlrev_b32_e32 v4, 3, v1
	s_delay_alu instid0(VALU_DEP_2) | instskip(NEXT) | instid1(VALU_DEP_2)
	v_add_f32_e32 v2, v2, v6
	v_cmp_le_i32_e32 vcc_lo, s16, v4
	s_delay_alu instid0(VALU_DEP_2) | instskip(SKIP_1) | instid1(SALU_CYCLE_1)
	v_add_f32_e32 v8, v2, v5
	s_or_b32 s18, vcc_lo, s18
	s_and_not1_b32 exec_lo, exec_lo, s18
	s_cbranch_execnz .LBB275_24
; %bb.25:
	s_set_inst_prefetch_distance 0x2
	s_or_b32 exec_lo, exec_lo, s18
.LBB275_26:
	s_delay_alu instid0(SALU_CYCLE_1) | instskip(SKIP_2) | instid1(VALU_DEP_1)
	s_or_b32 exec_lo, exec_lo, s17
	v_add_nc_u32_e32 v1, s16, v0
	s_mov_b32 s16, exec_lo
	v_cmpx_gt_i32_e64 s20, v1
	s_cbranch_execz .LBB275_30
; %bb.27:
	s_mov_b32 s17, 0
.LBB275_28:                             ; =>This Inner Loop Header: Depth=1
	v_ashrrev_i32_e32 v2, 31, v1
	s_delay_alu instid0(VALU_DEP_1) | instskip(NEXT) | instid1(VALU_DEP_1)
	v_lshlrev_b64 v[4:5], 1, v[1:2]
	v_add_co_u32 v4, vcc_lo, s2, v4
	s_delay_alu instid0(VALU_DEP_2) | instskip(SKIP_3) | instid1(VALU_DEP_1)
	v_add_co_ci_u32_e32 v5, vcc_lo, s3, v5, vcc_lo
	global_load_u16 v2, v[4:5], off
	s_waitcnt vmcnt(0)
	v_cvt_f32_f16_e32 v2, v2
	v_dual_add_f32 v8, v8, v2 :: v_dual_add_nc_u32 v1, v1, v3
	s_delay_alu instid0(VALU_DEP_1) | instskip(SKIP_1) | instid1(SALU_CYCLE_1)
	v_cmp_le_i32_e32 vcc_lo, s20, v1
	s_or_b32 s17, vcc_lo, s17
	s_and_not1_b32 exec_lo, exec_lo, s17
	s_cbranch_execnz .LBB275_28
; %bb.29:
	s_or_b32 exec_lo, exec_lo, s17
.LBB275_30:
	s_delay_alu instid0(SALU_CYCLE_1)
	s_or_b32 exec_lo, exec_lo, s16
.LBB275_31:
	v_lshl_add_u32 v1, v0, 2, 0
	s_barrier
	buffer_gl0_inv
	s_add_u32 s20, s0, 32
	ds_store_b32 v1, v8
	s_waitcnt lgkmcnt(0)
	s_barrier
	buffer_gl0_inv
	s_load_b32 s2, s[0:1], 0x2c
	s_addc_u32 s21, s1, 0
	s_waitcnt lgkmcnt(0)
	s_bfe_u32 s0, s2, 0xb0005
	s_delay_alu instid0(SALU_CYCLE_1) | instskip(NEXT) | instid1(SALU_CYCLE_1)
	s_min_u32 s1, s0, 32
	v_cmp_gt_u32_e32 vcc_lo, s1, v0
	s_and_saveexec_b32 s1, vcc_lo
	s_cbranch_execz .LBB275_33
; %bb.32:
	v_mad_u32_u24 v10, 0x7c, v0, v1
	ds_load_2addr_b32 v[2:3], v10 offset1:1
	ds_load_2addr_b32 v[4:5], v10 offset0:2 offset1:3
	ds_load_2addr_b32 v[6:7], v10 offset0:4 offset1:5
	;; [unrolled: 1-line block ×3, first 2 shown]
	s_waitcnt lgkmcnt(3)
	v_add_f32_e32 v2, 0, v2
	s_delay_alu instid0(VALU_DEP_1) | instskip(SKIP_1) | instid1(VALU_DEP_1)
	v_add_f32_e32 v2, v2, v3
	s_waitcnt lgkmcnt(2)
	v_add_f32_e32 v2, v2, v4
	s_delay_alu instid0(VALU_DEP_1) | instskip(SKIP_1) | instid1(VALU_DEP_1)
	v_add_f32_e32 v2, v2, v5
	s_waitcnt lgkmcnt(1)
	v_add_f32_e32 v4, v2, v6
	ds_load_2addr_b32 v[2:3], v10 offset0:8 offset1:9
	v_add_f32_e32 v4, v4, v7
	s_waitcnt lgkmcnt(1)
	s_delay_alu instid0(VALU_DEP_1)
	v_add_f32_e32 v6, v4, v8
	ds_load_2addr_b32 v[4:5], v10 offset0:10 offset1:11
	v_add_f32_e32 v11, v6, v9
	ds_load_2addr_b32 v[6:7], v10 offset0:12 offset1:13
	ds_load_2addr_b32 v[8:9], v10 offset0:14 offset1:15
	s_waitcnt lgkmcnt(3)
	v_add_f32_e32 v2, v11, v2
	s_delay_alu instid0(VALU_DEP_1) | instskip(SKIP_1) | instid1(VALU_DEP_1)
	v_add_f32_e32 v2, v2, v3
	s_waitcnt lgkmcnt(2)
	v_add_f32_e32 v2, v2, v4
	s_delay_alu instid0(VALU_DEP_1) | instskip(SKIP_1) | instid1(VALU_DEP_1)
	v_add_f32_e32 v2, v2, v5
	s_waitcnt lgkmcnt(1)
	v_add_f32_e32 v4, v2, v6
	ds_load_2addr_b32 v[2:3], v10 offset0:16 offset1:17
	v_add_f32_e32 v4, v4, v7
	s_waitcnt lgkmcnt(1)
	s_delay_alu instid0(VALU_DEP_1)
	v_add_f32_e32 v6, v4, v8
	ds_load_2addr_b32 v[4:5], v10 offset0:18 offset1:19
	v_add_f32_e32 v11, v6, v9
	ds_load_2addr_b32 v[6:7], v10 offset0:20 offset1:21
	ds_load_2addr_b32 v[8:9], v10 offset0:22 offset1:23
	;; [unrolled: 19-line block ×3, first 2 shown]
	s_waitcnt lgkmcnt(3)
	v_add_f32_e32 v2, v11, v2
	s_delay_alu instid0(VALU_DEP_1) | instskip(SKIP_1) | instid1(VALU_DEP_1)
	v_add_f32_e32 v2, v2, v3
	s_waitcnt lgkmcnt(2)
	v_add_f32_e32 v2, v2, v4
	s_delay_alu instid0(VALU_DEP_1) | instskip(SKIP_1) | instid1(VALU_DEP_1)
	v_add_f32_e32 v2, v2, v5
	;; [unrolled: 4-line block ×3, first 2 shown]
	s_waitcnt lgkmcnt(0)
	v_add_f32_e32 v2, v2, v8
	s_delay_alu instid0(VALU_DEP_1)
	v_add_f32_e32 v2, v2, v9
	ds_store_b32 v1, v2
.LBB275_33:
	s_or_b32 exec_lo, exec_lo, s1
	s_and_b32 s22, s2, 0xffff
	s_mov_b32 s1, exec_lo
	s_waitcnt lgkmcnt(0)
	s_barrier
	buffer_gl0_inv
	v_cmpx_eq_u32_e32 0, v0
	s_cbranch_execz .LBB275_46
; %bb.34:
	v_mov_b32_e32 v1, 0
	s_cmp_lt_u32 s22, 32
	s_cbranch_scc1 .LBB275_45
; %bb.35:
	v_mov_b32_e32 v1, 0
	s_add_i32 s2, s0, -1
	s_delay_alu instid0(SALU_CYCLE_1)
	s_cmp_lt_u32 s2, 7
	s_cbranch_scc1 .LBB275_42
; %bb.36:
	s_and_b32 s2, s0, 0x7f8
	s_mov_b32 s3, 0
	s_mov_b32 s16, 0
	.p2align	6
.LBB275_37:                             ; =>This Inner Loop Header: Depth=1
	s_delay_alu instid0(SALU_CYCLE_1)
	v_mov_b32_e32 v8, s16
	s_add_i32 s3, s3, 8
	s_add_i32 s16, s16, 32
	s_cmp_eq_u32 s2, s3
	ds_load_2addr_b32 v[2:3], v8 offset1:1
	ds_load_2addr_b32 v[4:5], v8 offset0:2 offset1:3
	ds_load_2addr_b32 v[6:7], v8 offset0:4 offset1:5
	ds_load_2addr_b32 v[8:9], v8 offset0:6 offset1:7
	s_waitcnt lgkmcnt(3)
	v_add_f32_e32 v1, v1, v2
	s_delay_alu instid0(VALU_DEP_1) | instskip(SKIP_1) | instid1(VALU_DEP_1)
	v_add_f32_e32 v1, v1, v3
	s_waitcnt lgkmcnt(2)
	v_add_f32_e32 v1, v1, v4
	s_delay_alu instid0(VALU_DEP_1) | instskip(SKIP_1) | instid1(VALU_DEP_1)
	v_add_f32_e32 v1, v1, v5
	;; [unrolled: 4-line block ×3, first 2 shown]
	s_waitcnt lgkmcnt(0)
	v_add_f32_e32 v1, v1, v8
	s_delay_alu instid0(VALU_DEP_1)
	v_add_f32_e32 v1, v1, v9
	s_cbranch_scc0 .LBB275_37
; %bb.38:
	s_and_b32 s0, s0, 7
	s_delay_alu instid0(SALU_CYCLE_1)
	s_cmp_eq_u32 s0, 0
	s_cbranch_scc0 .LBB275_43
	s_branch .LBB275_45
.LBB275_39:
                                        ; implicit-def: $sgpr18_sgpr19
                                        ; implicit-def: $sgpr16_sgpr17
                                        ; implicit-def: $vgpr8
                                        ; implicit-def: $sgpr2_sgpr3
	s_cbranch_execnz .LBB275_5
	s_branch .LBB275_6
.LBB275_40:
                                        ; implicit-def: $vgpr2_vgpr3
	s_branch .LBB275_8
.LBB275_41:
                                        ; implicit-def: $sgpr2_sgpr3
                                        ; implicit-def: $sgpr20
                                        ; implicit-def: $vgpr8
                                        ; implicit-def: $sgpr16_sgpr17
	s_cbranch_execnz .LBB275_21
	s_branch .LBB275_22
.LBB275_42:
	s_mov_b32 s2, 0
	s_and_b32 s0, s0, 7
	s_delay_alu instid0(SALU_CYCLE_1)
	s_cmp_eq_u32 s0, 0
	s_cbranch_scc1 .LBB275_45
.LBB275_43:
	s_lshl_b32 s2, s2, 2
	s_delay_alu instid0(SALU_CYCLE_1)
	s_add_i32 s2, s2, 0
.LBB275_44:                             ; =>This Inner Loop Header: Depth=1
	s_delay_alu instid0(SALU_CYCLE_1)
	v_mov_b32_e32 v2, s2
	s_add_i32 s0, s0, -1
	s_add_i32 s2, s2, 4
	s_cmp_lg_u32 s0, 0
	ds_load_b32 v2, v2
	s_waitcnt lgkmcnt(0)
	v_add_f32_e32 v1, v1, v2
	s_cbranch_scc1 .LBB275_44
.LBB275_45:
	v_mov_b32_e32 v2, 0
	ds_store_b32 v2, v1
.LBB275_46:
	s_or_b32 exec_lo, exec_lo, s1
	v_mov_b32_e32 v1, 0
	s_waitcnt lgkmcnt(0)
	s_barrier
	buffer_gl0_inv
	s_add_u32 s16, s4, s26
	ds_load_b32 v8, v1
	s_addc_u32 s17, s5, s27
	s_add_u32 s18, s6, s26
	s_mov_b32 s25, 0
	s_addc_u32 s19, s7, s27
	s_bfe_u32 s24, s16, 0x30001
	s_bfe_u32 s0, s18, 0x30001
	s_mov_b32 s1, s25
	s_delay_alu instid0(SALU_CYCLE_1) | instskip(SKIP_3) | instid1(SALU_CYCLE_1)
	s_cmp_eq_u64 s[24:25], s[0:1]
	s_cselect_b32 s0, -1, 0
	s_cmp_eq_u64 s[24:25], s[28:29]
	s_cselect_b32 s1, -1, 0
	s_and_b32 s0, s0, s1
	s_delay_alu instid0(SALU_CYCLE_1)
	s_and_not1_b32 vcc_lo, exec_lo, s0
	s_mov_b32 s0, -1
	s_cbranch_vccz .LBB275_65
; %bb.47:
	s_and_b32 vcc_lo, exec_lo, s14
	s_cbranch_vccz .LBB275_56
; %bb.48:
	s_lshl_b32 s1, s22, 3
	s_mov_b32 s30, 0
	v_cvt_f32_u32_e32 v1, s1
	s_sub_i32 s2, 0, s1
	s_mov_b32 s23, exec_lo
	s_delay_alu instid0(VALU_DEP_1) | instskip(SKIP_2) | instid1(VALU_DEP_1)
	v_rcp_iflag_f32_e32 v1, v1
	s_waitcnt_depctr 0xfff
	v_mul_f32_e32 v1, 0x4f7ffffe, v1
	v_cvt_u32_f32_e32 v1, v1
	s_delay_alu instid0(VALU_DEP_1) | instskip(SKIP_1) | instid1(VALU_DEP_2)
	v_readfirstlane_b32 s0, v1
	v_mov_b32_e32 v1, 0
	s_mul_i32 s2, s2, s0
	s_delay_alu instid0(VALU_DEP_1) | instskip(SKIP_1) | instid1(SALU_CYCLE_1)
	v_dual_mov_b32 v3, v1 :: v_dual_mov_b32 v2, v0
	s_mul_hi_u32 s2, s0, s2
	s_add_i32 s0, s0, s2
	s_delay_alu instid0(SALU_CYCLE_1) | instskip(NEXT) | instid1(SALU_CYCLE_1)
	s_mul_hi_u32 s0, s10, s0
	s_mul_i32 s0, s0, s1
	s_delay_alu instid0(SALU_CYCLE_1) | instskip(NEXT) | instid1(SALU_CYCLE_1)
	s_sub_i32 s0, s10, s0
	s_sub_i32 s2, s0, s1
	s_cmp_ge_u32 s0, s1
	s_cselect_b32 s0, s2, s0
	s_delay_alu instid0(SALU_CYCLE_1) | instskip(SKIP_3) | instid1(SALU_CYCLE_1)
	s_sub_i32 s2, s0, s1
	s_cmp_ge_u32 s0, s1
	s_cselect_b32 s0, s2, s0
	s_bfe_i64 s[2:3], s[10:11], 0x200000
	s_sub_u32 s28, s2, s0
	s_subb_u32 s29, s3, 0
	s_delay_alu instid0(SALU_CYCLE_1)
	v_cmpx_gt_i64_e64 s[28:29], v[0:1]
	s_cbranch_execz .LBB275_52
; %bb.49:
	v_lshlrev_b64 v[2:3], 1, v[0:1]
	s_lshl_b32 s31, s22, 1
	s_lshl_b32 s33, s22, 4
	s_mov_b32 s34, 0x3fb8aa3b
	s_mov_b32 s35, 0x32a5705f
	s_delay_alu instid0(VALU_DEP_1)
	v_add_co_u32 v4, vcc_lo, s26, v2
	v_add_co_ci_u32_e32 v5, vcc_lo, s27, v3, vcc_lo
	v_dual_mov_b32 v3, v1 :: v_dual_mov_b32 v2, v0
.LBB275_50:                             ; =>This Inner Loop Header: Depth=1
	s_delay_alu instid0(VALU_DEP_3) | instskip(NEXT) | instid1(VALU_DEP_3)
	v_add_co_u32 v6, vcc_lo, s6, v4
	v_add_co_ci_u32_e32 v7, vcc_lo, s7, v5, vcc_lo
	v_add_co_u32 v9, vcc_lo, s8, v4
	v_add_co_ci_u32_e32 v10, vcc_lo, s9, v5, vcc_lo
	global_load_u16 v1, v[6:7], off
	global_load_u16 v23, v[9:10], off
	v_add_co_u32 v6, vcc_lo, v6, s31
	v_add_co_ci_u32_e32 v7, vcc_lo, 0, v7, vcc_lo
	v_add_co_u32 v9, vcc_lo, v9, s31
	v_add_co_ci_u32_e32 v10, vcc_lo, 0, v10, vcc_lo
	s_delay_alu instid0(VALU_DEP_4) | instskip(NEXT) | instid1(VALU_DEP_4)
	v_add_co_u32 v11, vcc_lo, v6, s31
	v_add_co_ci_u32_e32 v12, vcc_lo, 0, v7, vcc_lo
	s_clause 0x1
	global_load_u16 v24, v[6:7], off
	global_load_u16 v25, v[11:12], off
	v_add_co_u32 v6, vcc_lo, v11, s31
	v_add_co_ci_u32_e32 v7, vcc_lo, 0, v12, vcc_lo
	global_load_u16 v31, v[9:10], off
	global_load_u16 v26, v[6:7], off
	v_add_co_u32 v6, vcc_lo, v6, s31
	v_add_co_ci_u32_e32 v7, vcc_lo, 0, v7, vcc_lo
	global_load_u16 v27, v[6:7], off
	v_add_co_u32 v6, vcc_lo, v6, s31
	v_add_co_ci_u32_e32 v7, vcc_lo, 0, v7, vcc_lo
	;; [unrolled: 3-line block ×6, first 2 shown]
	s_delay_alu instid0(VALU_DEP_2) | instskip(NEXT) | instid1(VALU_DEP_2)
	v_add_co_u32 v11, vcc_lo, v9, s31
	v_add_co_ci_u32_e32 v12, vcc_lo, 0, v10, vcc_lo
	s_delay_alu instid0(VALU_DEP_2) | instskip(NEXT) | instid1(VALU_DEP_2)
	v_add_co_u32 v13, vcc_lo, v11, s31
	v_add_co_ci_u32_e32 v14, vcc_lo, 0, v12, vcc_lo
	s_delay_alu instid0(VALU_DEP_2) | instskip(NEXT) | instid1(VALU_DEP_2)
	v_add_co_u32 v15, vcc_lo, v13, s31
	v_add_co_ci_u32_e32 v16, vcc_lo, 0, v14, vcc_lo
	s_delay_alu instid0(VALU_DEP_2) | instskip(NEXT) | instid1(VALU_DEP_2)
	v_add_co_u32 v6, vcc_lo, v15, s31
	v_add_co_ci_u32_e32 v7, vcc_lo, 0, v16, vcc_lo
	s_clause 0x2
	global_load_u16 v33, v[9:10], off
	global_load_u16 v34, v[11:12], off
	global_load_u16 v35, v[13:14], off
	global_load_u16 v36, v[15:16], off
	global_load_u16 v37, v[6:7], off
	v_add_co_u32 v6, vcc_lo, s4, v4
	v_add_co_ci_u32_e32 v7, vcc_lo, s5, v5, vcc_lo
	v_add_co_u32 v2, vcc_lo, v2, s1
	v_add_co_ci_u32_e32 v3, vcc_lo, 0, v3, vcc_lo
	;; [unrolled: 2-line block ×4, first 2 shown]
	v_cmp_le_i64_e32 vcc_lo, s[28:29], v[2:3]
	s_delay_alu instid0(VALU_DEP_3) | instskip(NEXT) | instid1(VALU_DEP_1)
	v_add_co_u32 v11, s0, v9, s31
	v_add_co_ci_u32_e64 v12, s0, 0, v10, s0
	s_or_b32 s30, vcc_lo, s30
	s_delay_alu instid0(VALU_DEP_2) | instskip(NEXT) | instid1(VALU_DEP_2)
	v_add_co_u32 v13, vcc_lo, v11, s31
	v_add_co_ci_u32_e32 v14, vcc_lo, 0, v12, vcc_lo
	s_delay_alu instid0(VALU_DEP_2) | instskip(NEXT) | instid1(VALU_DEP_2)
	v_add_co_u32 v15, vcc_lo, v13, s31
	v_add_co_ci_u32_e32 v16, vcc_lo, 0, v14, vcc_lo
	;; [unrolled: 3-line block ×5, first 2 shown]
	s_waitcnt vmcnt(15)
	v_cvt_f32_f16_e32 v38, v1
	s_delay_alu instid0(VALU_DEP_1)
	v_cmp_ngt_f32_e32 vcc_lo, 0xc2ce8ed0, v38
	v_cmp_nlt_f32_e64 s0, 0x42b17218, v38
	s_waitcnt vmcnt(13)
	v_cvt_f32_f16_e32 v40, v24
	s_waitcnt vmcnt(12)
	v_cvt_f32_f16_e32 v44, v25
	s_delay_alu instid0(VALU_DEP_1) | instskip(NEXT) | instid1(VALU_DEP_1)
	v_dual_mul_f32 v39, 0x3fb8aa3b, v38 :: v_dual_mul_f32 v46, 0x3fb8aa3b, v44
	v_fma_mix_f32 v41, v1, s34, -v39 op_sel_hi:[1,0,0]
	v_rndne_f32_e32 v42, v39
	s_waitcnt vmcnt(10)
	v_cvt_f32_f16_e32 v47, v26
	v_mul_f32_e32 v43, 0x3fb8aa3b, v40
	v_fma_mix_f32 v1, v1, s35, v41 op_sel_hi:[1,0,0]
	v_cvt_i32_f32_e32 v41, v42
	s_delay_alu instid0(VALU_DEP_4) | instskip(NEXT) | instid1(VALU_DEP_4)
	v_mul_f32_e32 v48, 0x3fb8aa3b, v47
	v_rndne_f32_e32 v45, v43
	s_waitcnt vmcnt(9)
	v_cvt_f32_f16_e32 v49, v27
	v_sub_f32_e32 v39, v39, v42
	v_fma_mix_f32 v42, v24, s34, -v43 op_sel_hi:[1,0,0]
	s_delay_alu instid0(VALU_DEP_3) | instskip(NEXT) | instid1(VALU_DEP_2)
	v_mul_f32_e32 v50, 0x3fb8aa3b, v49
	v_fma_mix_f32 v24, v24, s35, v42 op_sel_hi:[1,0,0]
	s_waitcnt vmcnt(8)
	v_cvt_f32_f16_e32 v51, v28
	v_add_f32_e32 v1, v39, v1
	v_cvt_i32_f32_e32 v42, v45
	s_delay_alu instid0(VALU_DEP_3) | instskip(NEXT) | instid1(VALU_DEP_3)
	v_mul_f32_e32 v52, 0x3fb8aa3b, v51
	v_exp_f32_e32 v1, v1
	s_waitcnt vmcnt(7)
	v_cvt_f32_f16_e32 v53, v29
	s_waitcnt vmcnt(6)
	v_cvt_f32_f16_e32 v54, v30
	v_sub_f32_e32 v39, v43, v45
	v_rndne_f32_e32 v45, v46
	v_fma_mix_f32 v43, v25, s34, -v46 op_sel_hi:[1,0,0]
	s_waitcnt_depctr 0xfff
	v_ldexp_f32 v1, v1, v41
	v_dual_add_f32 v24, v39, v24 :: v_dual_sub_f32 v39, v46, v45
	v_fma_mix_f32 v25, v25, s35, v43 op_sel_hi:[1,0,0]
	v_cvt_i32_f32_e32 v43, v45
	v_fma_mix_f32 v45, v26, s34, -v48 op_sel_hi:[1,0,0]
	s_delay_alu instid0(VALU_DEP_4) | instskip(SKIP_4) | instid1(VALU_DEP_4)
	v_exp_f32_e32 v24, v24
	v_rndne_f32_e32 v46, v48
	v_cndmask_b32_e32 v1, 0, v1, vcc_lo
	v_cmp_ngt_f32_e32 vcc_lo, 0xc2ce8ed0, v40
	v_fma_mix_f32 v26, v26, s35, v45 op_sel_hi:[1,0,0]
	v_cvt_i32_f32_e32 v45, v46
	s_waitcnt_depctr 0xfff
	v_ldexp_f32 v24, v24, v42
	v_add_f32_e32 v25, v39, v25
	v_sub_f32_e32 v39, v48, v46
	v_fma_mix_f32 v46, v27, s34, -v50 op_sel_hi:[1,0,0]
	v_rndne_f32_e32 v48, v50
	v_cndmask_b32_e32 v24, 0, v24, vcc_lo
	v_exp_f32_e32 v25, v25
	v_add_f32_e32 v26, v39, v26
	v_fma_mix_f32 v27, v27, s35, v46 op_sel_hi:[1,0,0]
	v_sub_f32_e32 v39, v50, v48
	v_cvt_i32_f32_e32 v41, v48
	v_fma_mix_f32 v46, v28, s34, -v52 op_sel_hi:[1,0,0]
	v_rndne_f32_e32 v48, v52
	v_mul_f32_e32 v50, 0x3fb8aa3b, v53
	v_exp_f32_e32 v26, v26
	v_add_f32_e32 v27, v39, v27
	v_fma_mix_f32 v28, v28, s35, v46 op_sel_hi:[1,0,0]
	v_ldexp_f32 v25, v25, v43
	v_cmp_ngt_f32_e32 vcc_lo, 0xc2ce8ed0, v44
	v_sub_f32_e32 v39, v52, v48
	v_cvt_i32_f32_e32 v42, v48
	v_rndne_f32_e32 v48, v50
	v_fma_mix_f32 v46, v29, s34, -v50 op_sel_hi:[1,0,0]
	v_mul_f32_e32 v52, 0x3fb8aa3b, v54
	v_add_f32_e32 v28, v39, v28
	v_cndmask_b32_e64 v1, 0x7f800000, v1, s0
	v_cmp_nlt_f32_e64 s0, 0x42b17218, v40
	v_sub_f32_e32 v38, v50, v48
	v_exp_f32_e32 v27, v27
	v_fma_mix_f32 v29, v29, s35, v46 op_sel_hi:[1,0,0]
	s_waitcnt lgkmcnt(0)
	v_fma_mixlo_f16 v1, -v8, v1, v23 op_sel_hi:[0,0,1]
	v_cndmask_b32_e64 v23, 0x7f800000, v24, s0
	v_cndmask_b32_e32 v24, 0, v25, vcc_lo
	v_ldexp_f32 v25, v26, v45
	v_exp_f32_e32 v26, v28
	v_cmp_ngt_f32_e32 vcc_lo, 0xc2ce8ed0, v47
	global_store_b16 v[6:7], v1, off
	v_fma_mixlo_f16 v1, -v8, v23, v31 op_sel_hi:[0,0,1]
	v_cmp_nlt_f32_e64 s0, 0x42b17218, v44
	v_ldexp_f32 v23, v27, v41
	v_cvt_i32_f32_e32 v39, v48
	v_fma_mix_f32 v43, v30, s34, -v52 op_sel_hi:[1,0,0]
	global_store_b16 v[9:10], v1, off
	v_cndmask_b32_e64 v6, 0x7f800000, v24, s0
	v_ldexp_f32 v10, v26, v42
	v_cndmask_b32_e32 v7, 0, v25, vcc_lo
	v_cmp_ngt_f32_e32 vcc_lo, 0xc2ce8ed0, v49
	v_add_f32_e32 v28, v38, v29
	v_cmp_nlt_f32_e64 s0, 0x42b17218, v47
	s_waitcnt vmcnt(5)
	v_fma_mixlo_f16 v1, -v8, v6, v32 op_sel_hi:[0,0,1]
	v_rndne_f32_e32 v46, v52
	v_cndmask_b32_e32 v9, 0, v23, vcc_lo
	v_exp_f32_e32 v25, v28
	v_cmp_ngt_f32_e32 vcc_lo, 0xc2ce8ed0, v51
	global_store_b16 v[11:12], v1, off
	v_fma_mix_f32 v29, v30, s35, v43 op_sel_hi:[1,0,0]
	v_cvt_i32_f32_e32 v38, v46
	v_cndmask_b32_e32 v10, 0, v10, vcc_lo
	v_cndmask_b32_e64 v7, 0x7f800000, v7, s0
	v_cmp_nlt_f32_e64 s0, 0x42b17218, v49
	v_cmp_nlt_f32_e32 vcc_lo, 0x42b17218, v51
	s_waitcnt vmcnt(4)
	s_delay_alu instid0(VALU_DEP_3) | instskip(NEXT) | instid1(VALU_DEP_3)
	v_fma_mixlo_f16 v7, -v8, v7, v33 op_sel_hi:[0,0,1]
	v_cndmask_b32_e64 v1, 0x7f800000, v9, s0
	v_ldexp_f32 v9, v25, v39
	v_cmp_ngt_f32_e64 s0, 0xc2ce8ed0, v53
	v_cndmask_b32_e32 v10, 0x7f800000, v10, vcc_lo
	v_cmp_nlt_f32_e32 vcc_lo, 0x42b17218, v53
	s_waitcnt vmcnt(3)
	v_fma_mixlo_f16 v1, -v8, v1, v34 op_sel_hi:[0,0,1]
	v_cndmask_b32_e64 v9, 0, v9, s0
	v_sub_f32_e32 v30, v52, v46
	v_cmp_ngt_f32_e64 s0, 0xc2ce8ed0, v54
	s_waitcnt vmcnt(2)
	v_fma_mixlo_f16 v10, -v8, v10, v35 op_sel_hi:[0,0,1]
	v_cndmask_b32_e32 v9, 0x7f800000, v9, vcc_lo
	v_add_f32_e32 v24, v30, v29
	v_cmp_nlt_f32_e32 vcc_lo, 0x42b17218, v54
	s_waitcnt vmcnt(1)
	s_delay_alu instid0(VALU_DEP_3) | instskip(NEXT) | instid1(VALU_DEP_3)
	v_fma_mixlo_f16 v9, -v8, v9, v36 op_sel_hi:[0,0,1]
	v_exp_f32_e32 v6, v24
	s_waitcnt_depctr 0xfff
	v_ldexp_f32 v6, v6, v38
	s_delay_alu instid0(VALU_DEP_1) | instskip(NEXT) | instid1(VALU_DEP_1)
	v_cndmask_b32_e64 v6, 0, v6, s0
	v_cndmask_b32_e32 v6, 0x7f800000, v6, vcc_lo
	s_waitcnt vmcnt(0)
	s_delay_alu instid0(VALU_DEP_1)
	v_fma_mixlo_f16 v6, -v8, v6, v37 op_sel_hi:[0,0,1]
	s_clause 0x2
	global_store_b16 v[13:14], v7, off
	global_store_b16 v[15:16], v1, off
	;; [unrolled: 1-line block ×5, first 2 shown]
	s_and_not1_b32 exec_lo, exec_lo, s30
	s_cbranch_execnz .LBB275_50
; %bb.51:
	s_or_b32 exec_lo, exec_lo, s30
.LBB275_52:
	s_delay_alu instid0(SALU_CYCLE_1) | instskip(NEXT) | instid1(SALU_CYCLE_1)
	s_or_b32 exec_lo, exec_lo, s23
	s_mov_b32 s1, exec_lo
	v_cmpx_gt_i64_e64 s[2:3], v[2:3]
	s_cbranch_execz .LBB275_55
; %bb.53:
	v_lshlrev_b64 v[4:5], 1, v[2:3]
	s_mov_b32 s23, 0
	s_mov_b32 s28, 0x32a5705f
	s_delay_alu instid0(VALU_DEP_1) | instskip(NEXT) | instid1(VALU_DEP_2)
	v_add_co_u32 v1, vcc_lo, s26, v4
	v_add_co_ci_u32_e32 v4, vcc_lo, s27, v5, vcc_lo
	s_lshl_b32 s26, s22, 1
	s_mov_b32 s27, 0x3fb8aa3b
.LBB275_54:                             ; =>This Inner Loop Header: Depth=1
	s_delay_alu instid0(VALU_DEP_2) | instskip(NEXT) | instid1(VALU_DEP_2)
	v_add_co_u32 v5, vcc_lo, s6, v1
	v_add_co_ci_u32_e32 v6, vcc_lo, s7, v4, vcc_lo
	v_add_co_u32 v2, s0, v2, s22
	s_delay_alu instid0(VALU_DEP_1)
	v_add_co_ci_u32_e64 v3, s0, 0, v3, s0
	global_load_u16 v7, v[5:6], off
	v_add_co_u32 v5, vcc_lo, s8, v1
	v_add_co_ci_u32_e32 v6, vcc_lo, s9, v4, vcc_lo
	global_load_u16 v9, v[5:6], off
	s_waitcnt vmcnt(1)
	v_cvt_f32_f16_e32 v10, v7
	s_delay_alu instid0(VALU_DEP_1) | instskip(SKIP_1) | instid1(VALU_DEP_2)
	v_mul_f32_e32 v5, 0x3fb8aa3b, v10
	v_cmp_ngt_f32_e64 s0, 0xc2ce8ed0, v10
	v_fma_mix_f32 v6, v7, s27, -v5 op_sel_hi:[1,0,0]
	v_rndne_f32_e32 v11, v5
	s_delay_alu instid0(VALU_DEP_2) | instskip(NEXT) | instid1(VALU_DEP_2)
	v_fma_mix_f32 v6, v7, s28, v6 op_sel_hi:[1,0,0]
	v_sub_f32_e32 v5, v5, v11
	v_cvt_i32_f32_e32 v7, v11
	s_delay_alu instid0(VALU_DEP_2) | instskip(NEXT) | instid1(VALU_DEP_1)
	v_add_f32_e32 v5, v5, v6
	v_exp_f32_e32 v6, v5
	v_add_co_u32 v5, vcc_lo, s4, v1
	s_waitcnt_depctr 0xfff
	v_ldexp_f32 v6, v6, v7
	s_delay_alu instid0(VALU_DEP_1) | instskip(SKIP_3) | instid1(VALU_DEP_1)
	v_cndmask_b32_e64 v7, 0, v6, s0
	v_add_co_ci_u32_e32 v6, vcc_lo, s5, v4, vcc_lo
	v_cmp_nlt_f32_e32 vcc_lo, 0x42b17218, v10
	v_add_co_u32 v1, s0, v1, s26
	v_add_co_ci_u32_e64 v4, s0, 0, v4, s0
	v_cndmask_b32_e32 v7, 0x7f800000, v7, vcc_lo
	v_cmp_le_i64_e32 vcc_lo, s[2:3], v[2:3]
	s_waitcnt vmcnt(0) lgkmcnt(0)
	s_delay_alu instid0(VALU_DEP_2)
	v_fma_mixlo_f16 v7, -v8, v7, v9 op_sel_hi:[0,0,1]
	s_or_b32 s23, vcc_lo, s23
	global_store_b16 v[5:6], v7, off
	s_and_not1_b32 exec_lo, exec_lo, s23
	s_cbranch_execnz .LBB275_54
.LBB275_55:
	s_or_b32 exec_lo, exec_lo, s1
	s_mov_b32 s0, 0
.LBB275_56:
	s_delay_alu instid0(SALU_CYCLE_1)
	s_and_b32 vcc_lo, exec_lo, s0
	s_cbranch_vccz .LBB275_92
; %bb.57:
	s_lshl_b32 s0, s22, 3
	s_mov_b32 s9, 0
	v_cvt_f32_u32_e32 v1, s0
	s_sub_i32 s2, 0, s0
	s_mov_b32 s7, exec_lo
	s_delay_alu instid0(VALU_DEP_1) | instskip(SKIP_2) | instid1(VALU_DEP_1)
	v_rcp_iflag_f32_e32 v1, v1
	s_waitcnt_depctr 0xfff
	v_mul_f32_e32 v1, 0x4f7ffffe, v1
	v_cvt_u32_f32_e32 v1, v1
	s_delay_alu instid0(VALU_DEP_1) | instskip(SKIP_1) | instid1(VALU_DEP_2)
	v_readfirstlane_b32 s1, v1
	v_mov_b32_e32 v1, v0
	s_mul_i32 s2, s2, s1
	s_delay_alu instid0(SALU_CYCLE_1) | instskip(NEXT) | instid1(SALU_CYCLE_1)
	s_mul_hi_u32 s2, s1, s2
	s_add_i32 s1, s1, s2
	s_delay_alu instid0(SALU_CYCLE_1) | instskip(NEXT) | instid1(SALU_CYCLE_1)
	s_mul_hi_u32 s1, s10, s1
	s_mul_i32 s1, s1, s0
	s_delay_alu instid0(SALU_CYCLE_1) | instskip(NEXT) | instid1(SALU_CYCLE_1)
	s_sub_i32 s1, s10, s1
	s_sub_i32 s2, s1, s0
	s_cmp_ge_u32 s1, s0
	s_cselect_b32 s1, s2, s1
	s_delay_alu instid0(SALU_CYCLE_1) | instskip(SKIP_2) | instid1(SALU_CYCLE_1)
	s_sub_i32 s2, s1, s0
	s_cmp_ge_u32 s1, s0
	s_cselect_b32 s0, s2, s1
	s_sub_i32 s8, s10, s0
	s_delay_alu instid0(SALU_CYCLE_1)
	v_cmpx_gt_i32_e64 s8, v0
	s_cbranch_execz .LBB275_61
; %bb.58:
	s_add_i32 s33, s22, s22
	v_dual_mov_b32 v2, 0 :: v_dual_mov_b32 v1, v0
	s_add_i32 s0, s33, s22
	s_lshl_b32 s23, s22, 1
	s_mul_i32 s26, s22, 3
	s_lshl_b32 s27, s22, 2
	s_mul_i32 s28, s22, 5
	s_mul_i32 s29, s22, 6
	;; [unrolled: 1-line block ×3, first 2 shown]
	s_mov_b32 s31, 0x3fb8aa3b
	s_mov_b32 s34, 0x32a5705f
	s_add_i32 s35, s33, s0
.LBB275_59:                             ; =>This Inner Loop Header: Depth=1
	v_lshlrev_b64 v[3:4], 1, v[1:2]
	v_dual_mov_b32 v6, v2 :: v_dual_add_nc_u32 v5, s22, v1
	v_dual_mov_b32 v10, v2 :: v_dual_add_nc_u32 v9, s23, v1
	;; [unrolled: 1-line block ×3, first 2 shown]
	s_delay_alu instid0(VALU_DEP_4) | instskip(NEXT) | instid1(VALU_DEP_4)
	v_add_co_u32 v21, vcc_lo, s18, v3
	v_lshlrev_b64 v[6:7], 1, v[5:6]
	v_add_co_ci_u32_e32 v22, vcc_lo, s19, v4, vcc_lo
	v_lshlrev_b64 v[9:10], 1, v[9:10]
	v_dual_mov_b32 v14, v2 :: v_dual_add_nc_u32 v13, s27, v1
	v_lshlrev_b64 v[11:12], 1, v[11:12]
	global_load_u16 v35, v[21:22], off
	v_add_co_u32 v21, vcc_lo, s18, v6
	v_dual_mov_b32 v16, v2 :: v_dual_add_nc_u32 v15, s28, v1
	v_add_co_ci_u32_e32 v22, vcc_lo, s19, v7, vcc_lo
	v_lshlrev_b64 v[13:14], 1, v[13:14]
	v_add_co_u32 v23, vcc_lo, s18, v9
	v_dual_mov_b32 v18, v2 :: v_dual_add_nc_u32 v17, s29, v1
	v_add_co_ci_u32_e32 v24, vcc_lo, s19, v10, vcc_lo
	v_lshlrev_b64 v[15:16], 1, v[15:16]
	v_add_co_u32 v25, vcc_lo, s18, v11
	v_add_nc_u32_e32 v1, s30, v1
	v_add_co_ci_u32_e32 v26, vcc_lo, s19, v12, vcc_lo
	v_lshlrev_b64 v[17:18], 1, v[17:18]
	v_add_co_u32 v27, vcc_lo, s18, v13
	v_add_co_ci_u32_e32 v28, vcc_lo, s19, v14, vcc_lo
	v_lshlrev_b64 v[19:20], 1, v[1:2]
	v_add_co_u32 v29, vcc_lo, s18, v15
	v_add_co_ci_u32_e32 v30, vcc_lo, s19, v16, vcc_lo
	v_add_co_u32 v31, vcc_lo, s18, v17
	v_add_co_ci_u32_e32 v32, vcc_lo, s19, v18, vcc_lo
	;; [unrolled: 2-line block ×3, first 2 shown]
	s_clause 0x6
	global_load_u16 v36, v[21:22], off
	global_load_u16 v37, v[23:24], off
	;; [unrolled: 1-line block ×7, first 2 shown]
	v_add_co_u32 v21, vcc_lo, s12, v3
	v_add_co_ci_u32_e32 v22, vcc_lo, s13, v4, vcc_lo
	v_add3_u32 v1, s33, s35, v5
	v_add_co_u32 v5, s0, s16, v6
	global_load_u16 v43, v[21:22], off
	v_add_co_u32 v21, vcc_lo, s12, v6
	v_add_co_ci_u32_e32 v22, vcc_lo, s13, v7, vcc_lo
	v_add_co_u32 v23, vcc_lo, s12, v9
	v_add_co_ci_u32_e32 v24, vcc_lo, s13, v10, vcc_lo
	;; [unrolled: 2-line block ×7, first 2 shown]
	s_clause 0x6
	global_load_u16 v21, v[21:22], off
	global_load_u16 v22, v[23:24], off
	;; [unrolled: 1-line block ×7, first 2 shown]
	v_add_co_ci_u32_e64 v6, s0, s17, v7, s0
	v_add_co_u32 v3, vcc_lo, s16, v3
	v_add_co_ci_u32_e32 v4, vcc_lo, s17, v4, vcc_lo
	v_cmp_le_i32_e32 vcc_lo, s8, v1
	v_add_co_u32 v9, s0, s16, v9
	s_delay_alu instid0(VALU_DEP_1) | instskip(SKIP_2) | instid1(VALU_DEP_1)
	v_add_co_ci_u32_e64 v10, s0, s17, v10, s0
	s_or_b32 s9, vcc_lo, s9
	v_add_co_u32 v11, s0, s16, v11
	v_add_co_ci_u32_e64 v12, s0, s17, v12, s0
	v_add_co_u32 v13, s0, s16, v13
	s_delay_alu instid0(VALU_DEP_1) | instskip(SKIP_1) | instid1(VALU_DEP_1)
	v_add_co_ci_u32_e64 v14, s0, s17, v14, s0
	v_add_co_u32 v15, s0, s16, v15
	v_add_co_ci_u32_e64 v16, s0, s17, v16, s0
	v_add_co_u32 v17, s0, s16, v17
	s_delay_alu instid0(VALU_DEP_1) | instskip(SKIP_1) | instid1(VALU_DEP_1)
	v_add_co_ci_u32_e64 v18, s0, s17, v18, s0
	v_add_co_u32 v19, s0, s16, v19
	v_add_co_ci_u32_e64 v20, s0, s17, v20, s0
	s_waitcnt vmcnt(15)
	v_cvt_f32_f16_e32 v7, v35
	s_delay_alu instid0(VALU_DEP_1) | instskip(SKIP_2) | instid1(VALU_DEP_3)
	v_mul_f32_e32 v28, 0x3fb8aa3b, v7
	v_cmp_ngt_f32_e32 vcc_lo, 0xc2ce8ed0, v7
	v_cmp_nlt_f32_e64 s6, 0x42b17218, v7
	v_fma_mix_f32 v45, v35, s31, -v28 op_sel_hi:[1,0,0]
	v_rndne_f32_e32 v46, v28
	s_delay_alu instid0(VALU_DEP_2) | instskip(NEXT) | instid1(VALU_DEP_2)
	v_fma_mix_f32 v35, v35, s34, v45 op_sel_hi:[1,0,0]
	v_cvt_i32_f32_e32 v45, v46
	v_sub_f32_e32 v28, v28, v46
	s_waitcnt vmcnt(14)
	v_cvt_f32_f16_e32 v29, v36
	s_waitcnt vmcnt(13)
	v_cvt_f32_f16_e32 v30, v37
	;; [unrolled: 2-line block ×7, first 2 shown]
	v_dual_mul_f32 v49, 0x3fb8aa3b, v31 :: v_dual_mul_f32 v50, 0x3fb8aa3b, v32
	v_dual_mul_f32 v47, 0x3fb8aa3b, v29 :: v_dual_mul_f32 v48, 0x3fb8aa3b, v30
	s_delay_alu instid0(VALU_DEP_3) | instskip(SKIP_1) | instid1(VALU_DEP_4)
	v_mul_f32_e32 v53, 0x3fb8aa3b, v44
	v_dual_mul_f32 v51, 0x3fb8aa3b, v33 :: v_dual_mul_f32 v52, 0x3fb8aa3b, v34
	v_rndne_f32_e32 v58, v49
	v_add_f32_e32 v28, v28, v35
	v_fma_mix_f32 v46, v36, s31, -v47 op_sel_hi:[1,0,0]
	v_rndne_f32_e32 v54, v47
	v_fma_mix_f32 v55, v37, s31, -v48 op_sel_hi:[1,0,0]
	v_rndne_f32_e32 v56, v48
	v_fma_mix_f32 v57, v38, s31, -v49 op_sel_hi:[1,0,0]
	v_sub_f32_e32 v49, v49, v58
	v_fma_mix_f32 v59, v39, s31, -v50 op_sel_hi:[1,0,0]
	v_rndne_f32_e32 v60, v50
	v_fma_mix_f32 v61, v40, s31, -v51 op_sel_hi:[1,0,0]
	v_rndne_f32_e32 v62, v51
	;; [unrolled: 2-line block ×4, first 2 shown]
	v_exp_f32_e32 v28, v28
	v_fma_mix_f32 v35, v36, s34, v46 op_sel_hi:[1,0,0]
	v_dual_sub_f32 v36, v47, v54 :: v_dual_sub_f32 v47, v48, v56
	v_fma_mix_f32 v37, v37, s34, v55 op_sel_hi:[1,0,0]
	v_fma_mix_f32 v38, v38, s34, v57 op_sel_hi:[1,0,0]
	;; [unrolled: 1-line block ×3, first 2 shown]
	v_dual_sub_f32 v50, v50, v60 :: v_dual_sub_f32 v51, v51, v62
	v_fma_mix_f32 v40, v40, s34, v61 op_sel_hi:[1,0,0]
	v_fma_mix_f32 v41, v41, s34, v63 op_sel_hi:[1,0,0]
	v_dual_sub_f32 v52, v52, v64 :: v_dual_sub_f32 v53, v53, v66
	v_fma_mix_f32 v42, v42, s34, v65 op_sel_hi:[1,0,0]
	v_dual_add_f32 v35, v36, v35 :: v_dual_add_f32 v36, v47, v37
	v_dual_add_f32 v37, v49, v38 :: v_dual_add_f32 v38, v50, v39
	s_delay_alu instid0(VALU_DEP_4)
	v_dual_add_f32 v39, v51, v40 :: v_dual_add_f32 v40, v52, v41
	v_ldexp_f32 v28, v28, v45
	v_add_f32_e32 v41, v53, v42
	v_exp_f32_e32 v35, v35
	v_exp_f32_e32 v37, v37
	;; [unrolled: 1-line block ×3, first 2 shown]
	v_cndmask_b32_e32 v28, 0, v28, vcc_lo
	v_exp_f32_e32 v41, v41
	v_exp_f32_e32 v36, v36
	;; [unrolled: 1-line block ×3, first 2 shown]
	v_cvt_i32_f32_e32 v46, v54
	v_cvt_i32_f32_e32 v48, v56
	;; [unrolled: 1-line block ×5, first 2 shown]
	v_exp_f32_e32 v40, v40
	v_cvt_i32_f32_e32 v55, v60
	v_cvt_i32_f32_e32 v57, v64
	v_ldexp_f32 v35, v35, v46
	v_cmp_ngt_f32_e32 vcc_lo, 0xc2ce8ed0, v29
	v_ldexp_f32 v37, v37, v54
	v_cmp_ngt_f32_e64 s1, 0xc2ce8ed0, v31
	v_ldexp_f32 v39, v39, v56
	v_cmp_ngt_f32_e64 s3, 0xc2ce8ed0, v33
	;; [unrolled: 2-line block ×6, first 2 shown]
	v_cndmask_b32_e64 v7, 0x7f800000, v28, s6
	v_cndmask_b32_e32 v28, 0, v35, vcc_lo
	v_cmp_nlt_f32_e32 vcc_lo, 0x42b17218, v30
	v_cndmask_b32_e64 v30, 0, v37, s1
	v_cmp_nlt_f32_e64 s1, 0x42b17218, v32
	v_cndmask_b32_e64 v32, 0, v39, s3
	v_cmp_nlt_f32_e64 s3, 0x42b17218, v34
	;; [unrolled: 2-line block ×6, first 2 shown]
	s_waitcnt vmcnt(7) lgkmcnt(0)
	v_fma_mixlo_f16 v7, -v8, v7, v43 op_sel_hi:[0,0,1]
	v_cndmask_b32_e64 v28, 0x7f800000, v28, s5
	v_cndmask_b32_e32 v29, 0x7f800000, v35, vcc_lo
	v_cndmask_b32_e64 v30, 0x7f800000, v30, s0
	v_cndmask_b32_e64 v31, 0x7f800000, v31, s1
	;; [unrolled: 1-line block ×5, first 2 shown]
	global_store_b16 v[3:4], v7, off
	s_waitcnt vmcnt(6)
	v_fma_mixlo_f16 v3, -v8, v28, v21 op_sel_hi:[0,0,1]
	s_waitcnt vmcnt(5)
	v_fma_mixlo_f16 v4, -v8, v29, v22 op_sel_hi:[0,0,1]
	;; [unrolled: 2-line block ×7, first 2 shown]
	s_clause 0x6
	global_store_b16 v[5:6], v3, off
	global_store_b16 v[9:10], v4, off
	;; [unrolled: 1-line block ×7, first 2 shown]
	s_and_not1_b32 exec_lo, exec_lo, s9
	s_cbranch_execnz .LBB275_59
; %bb.60:
	s_or_b32 exec_lo, exec_lo, s9
.LBB275_61:
	s_delay_alu instid0(SALU_CYCLE_1) | instskip(NEXT) | instid1(SALU_CYCLE_1)
	s_or_b32 exec_lo, exec_lo, s7
	s_mov_b32 s1, exec_lo
	v_cmpx_gt_i32_e64 s10, v1
	s_cbranch_execz .LBB275_64
; %bb.62:
	s_mov_b32 s2, 0
	s_mov_b32 s3, 0x3fb8aa3b
	;; [unrolled: 1-line block ×3, first 2 shown]
	s_set_inst_prefetch_distance 0x1
	.p2align	6
.LBB275_63:                             ; =>This Inner Loop Header: Depth=1
	v_ashrrev_i32_e32 v2, 31, v1
	s_delay_alu instid0(VALU_DEP_1) | instskip(SKIP_1) | instid1(VALU_DEP_2)
	v_lshlrev_b64 v[2:3], 1, v[1:2]
	v_add_nc_u32_e32 v1, s22, v1
	v_add_co_u32 v4, vcc_lo, s18, v2
	s_delay_alu instid0(VALU_DEP_3) | instskip(SKIP_4) | instid1(VALU_DEP_1)
	v_add_co_ci_u32_e32 v5, vcc_lo, s19, v3, vcc_lo
	global_load_u16 v6, v[4:5], off
	v_add_co_u32 v4, vcc_lo, s12, v2
	v_add_co_ci_u32_e32 v5, vcc_lo, s13, v3, vcc_lo
	v_add_co_u32 v2, s0, s16, v2
	v_add_co_ci_u32_e64 v3, s0, s17, v3, s0
	global_load_u16 v4, v[4:5], off
	s_waitcnt vmcnt(1)
	v_cvt_f32_f16_e32 v5, v6
	s_delay_alu instid0(VALU_DEP_1) | instskip(SKIP_1) | instid1(VALU_DEP_1)
	v_cmp_ngt_f32_e32 vcc_lo, 0xc2ce8ed0, v5
	v_mul_f32_e32 v7, 0x3fb8aa3b, v5
	v_fma_mix_f32 v9, v6, s3, -v7 op_sel_hi:[1,0,0]
	v_rndne_f32_e32 v10, v7
	s_delay_alu instid0(VALU_DEP_2) | instskip(NEXT) | instid1(VALU_DEP_2)
	v_fma_mix_f32 v6, v6, s4, v9 op_sel_hi:[1,0,0]
	v_sub_f32_e32 v7, v7, v10
	s_delay_alu instid0(VALU_DEP_1) | instskip(SKIP_1) | instid1(VALU_DEP_2)
	v_add_f32_e32 v6, v7, v6
	v_cvt_i32_f32_e32 v7, v10
	v_exp_f32_e32 v6, v6
	s_waitcnt_depctr 0xfff
	v_ldexp_f32 v6, v6, v7
	s_delay_alu instid0(VALU_DEP_1) | instskip(SKIP_1) | instid1(VALU_DEP_2)
	v_cndmask_b32_e32 v6, 0, v6, vcc_lo
	v_cmp_nlt_f32_e32 vcc_lo, 0x42b17218, v5
	v_cndmask_b32_e32 v5, 0x7f800000, v6, vcc_lo
	v_cmp_le_i32_e32 vcc_lo, s10, v1
	s_waitcnt vmcnt(0) lgkmcnt(0)
	s_delay_alu instid0(VALU_DEP_2)
	v_fma_mixlo_f16 v4, -v8, v5, v4 op_sel_hi:[0,0,1]
	s_or_b32 s2, vcc_lo, s2
	global_store_b16 v[2:3], v4, off
	s_and_not1_b32 exec_lo, exec_lo, s2
	s_cbranch_execnz .LBB275_63
.LBB275_64:
	s_set_inst_prefetch_distance 0x2
	s_or_b32 exec_lo, exec_lo, s1
	s_mov_b32 s0, 0
.LBB275_65:
	s_delay_alu instid0(SALU_CYCLE_1)
	s_and_not1_b32 vcc_lo, exec_lo, s0
	s_cbranch_vccnz .LBB275_93
.LBB275_66:
	s_cmp_lg_u64 s[24:25], 0
	s_mov_b32 s1, -1
	s_cselect_b32 s7, -1, 0
	s_and_b32 vcc_lo, exec_lo, s14
	v_cndmask_b32_e64 v1, 0, 1, s7
	s_delay_alu instid0(VALU_DEP_1)
	v_cmp_ne_u32_e64 s0, 1, v1
	s_cbranch_vccz .LBB275_81
; %bb.67:
	v_mov_b32_e32 v1, 0
	s_delay_alu instid0(VALU_DEP_2)
	s_and_b32 vcc_lo, exec_lo, s0
	s_mov_b64 s[8:9], s[10:11]
	s_mov_b64 s[26:27], s[16:17]
	;; [unrolled: 1-line block ×4, first 2 shown]
	s_cbranch_vccnz .LBB275_71
; %bb.68:
	s_lshl_b32 s2, s24, 1
	s_mov_b32 s23, 0
	s_sub_u32 s0, s16, s2
	s_subb_u32 s1, s17, 0
	s_sub_u32 s4, s18, s2
	s_subb_u32 s5, s19, 0
	;; [unrolled: 2-line block ×3, first 2 shown]
	s_mov_b32 s6, exec_lo
	v_cmpx_le_u64_e64 s[24:25], v[0:1]
	s_cbranch_execz .LBB275_70
; %bb.69:
	v_lshlrev_b64 v[2:3], 1, v[0:1]
	s_mov_b32 s8, 0x3fb8aa3b
	s_delay_alu instid0(VALU_DEP_1) | instskip(NEXT) | instid1(VALU_DEP_2)
	v_add_co_u32 v4, vcc_lo, s4, v2
	v_add_co_ci_u32_e32 v5, vcc_lo, s5, v3, vcc_lo
	global_load_u16 v6, v[4:5], off
	v_add_co_u32 v4, vcc_lo, s2, v2
	v_add_co_ci_u32_e32 v5, vcc_lo, s3, v3, vcc_lo
	global_load_u16 v4, v[4:5], off
	s_waitcnt vmcnt(1)
	v_cvt_f32_f16_e32 v5, v6
	s_delay_alu instid0(VALU_DEP_1) | instskip(SKIP_1) | instid1(VALU_DEP_1)
	v_cmp_ngt_f32_e32 vcc_lo, 0xc2ce8ed0, v5
	v_mul_f32_e32 v7, 0x3fb8aa3b, v5
	v_fma_mix_f32 v9, v6, s8, -v7 op_sel_hi:[1,0,0]
	v_rndne_f32_e32 v10, v7
	s_mov_b32 s8, 0x32a5705f
	s_delay_alu instid0(VALU_DEP_2) | instid1(SALU_CYCLE_1)
	v_fma_mix_f32 v6, v6, s8, v9 op_sel_hi:[1,0,0]
	s_delay_alu instid0(VALU_DEP_2) | instskip(NEXT) | instid1(VALU_DEP_1)
	v_sub_f32_e32 v7, v7, v10
	v_add_f32_e32 v6, v7, v6
	v_cvt_i32_f32_e32 v7, v10
	s_delay_alu instid0(VALU_DEP_2) | instskip(SKIP_2) | instid1(VALU_DEP_1)
	v_exp_f32_e32 v6, v6
	s_waitcnt_depctr 0xfff
	v_ldexp_f32 v6, v6, v7
	v_cndmask_b32_e32 v6, 0, v6, vcc_lo
	v_cmp_nlt_f32_e32 vcc_lo, 0x42b17218, v5
	s_delay_alu instid0(VALU_DEP_2) | instskip(SKIP_3) | instid1(VALU_DEP_3)
	v_cndmask_b32_e32 v5, 0x7f800000, v6, vcc_lo
	v_add_co_u32 v2, vcc_lo, s0, v2
	v_add_co_ci_u32_e32 v3, vcc_lo, s1, v3, vcc_lo
	s_waitcnt vmcnt(0) lgkmcnt(0)
	v_fma_mixlo_f16 v4, -v8, v5, v4 op_sel_hi:[0,0,1]
	global_store_b16 v[2:3], v4, off
.LBB275_70:
	s_or_b32 exec_lo, exec_lo, s6
	s_add_u32 s8, s24, s10
	s_addc_u32 s9, 0, s11
	s_delay_alu instid0(SALU_CYCLE_1) | instskip(NEXT) | instid1(VALU_DEP_1)
	v_cmp_lt_i64_e64 s6, s[8:9], s[22:23]
	s_and_b32 s6, s6, exec_lo
	s_cselect_b32 s6, s8, s22
	s_cselect_b32 s11, s9, 0
	s_sub_u32 s8, s8, s6
	s_subb_u32 s9, s9, s11
	s_lshl_b32 s6, s22, 1
	s_delay_alu instid0(SALU_CYCLE_1)
	s_add_u32 s26, s0, s6
	s_addc_u32 s27, s1, 0
	s_add_u32 s28, s4, s6
	s_addc_u32 s29, s5, 0
	s_add_u32 s30, s2, s6
	s_addc_u32 s31, s3, 0
.LBB275_71:
	s_load_b32 s0, s[20:21], 0x0
	v_mov_b32_e32 v2, 0
	s_mov_b32 s2, 0
	s_mov_b32 s3, s9
	s_waitcnt lgkmcnt(0)
	s_cmp_lt_u32 s15, s0
	s_cselect_b32 s0, 12, 18
	s_delay_alu instid0(SALU_CYCLE_1) | instskip(SKIP_4) | instid1(VALU_DEP_1)
	s_add_u32 s0, s20, s0
	s_addc_u32 s1, s21, 0
	global_load_u16 v2, v2, s[0:1]
	s_waitcnt vmcnt(0)
	v_readfirstlane_b32 s0, v2
	s_and_b32 s11, s0, 0xffff
	s_delay_alu instid0(SALU_CYCLE_1)
	s_lshl_b32 s1, s11, 3
	s_cmp_lg_u64 s[2:3], 0
	s_cbranch_scc0 .LBB275_94
; %bb.72:
	v_cvt_f32_ubyte0_e32 v2, 0
	v_cvt_f32_u32_e32 v3, s1
	s_sub_u32 s4, 0, s1
	s_subb_u32 s5, 0, 0
	s_delay_alu instid0(VALU_DEP_1) | instskip(NEXT) | instid1(VALU_DEP_1)
	v_fmamk_f32 v2, v2, 0x4f800000, v3
	v_rcp_f32_e32 v2, v2
	s_waitcnt_depctr 0xfff
	v_mul_f32_e32 v2, 0x5f7ffffc, v2
	s_delay_alu instid0(VALU_DEP_1) | instskip(NEXT) | instid1(VALU_DEP_1)
	v_mul_f32_e32 v3, 0x2f800000, v2
	v_trunc_f32_e32 v3, v3
	s_delay_alu instid0(VALU_DEP_1) | instskip(SKIP_1) | instid1(VALU_DEP_2)
	v_fmamk_f32 v2, v3, 0xcf800000, v2
	v_cvt_u32_f32_e32 v3, v3
	v_cvt_u32_f32_e32 v2, v2
	s_delay_alu instid0(VALU_DEP_2) | instskip(NEXT) | instid1(VALU_DEP_2)
	v_readfirstlane_b32 s0, v3
	v_readfirstlane_b32 s3, v2
	s_delay_alu instid0(VALU_DEP_2) | instskip(NEXT) | instid1(VALU_DEP_1)
	s_mul_i32 s6, s4, s0
	s_mul_hi_u32 s23, s4, s3
	s_mul_i32 s14, s5, s3
	s_add_i32 s6, s23, s6
	s_mul_i32 s25, s4, s3
	s_add_i32 s6, s6, s14
	s_mul_hi_u32 s23, s3, s25
	s_mul_hi_u32 s33, s0, s25
	s_mul_i32 s14, s0, s25
	s_mul_hi_u32 s25, s3, s6
	s_mul_i32 s3, s3, s6
	s_mul_hi_u32 s34, s0, s6
	s_add_u32 s3, s23, s3
	s_addc_u32 s23, 0, s25
	s_add_u32 s3, s3, s14
	s_mul_i32 s6, s0, s6
	s_addc_u32 s3, s23, s33
	s_addc_u32 s14, s34, 0
	s_add_u32 s3, s3, s6
	s_addc_u32 s6, 0, s14
	v_add_co_u32 v2, s3, v2, s3
	s_delay_alu instid0(VALU_DEP_1) | instskip(SKIP_1) | instid1(VALU_DEP_1)
	s_cmp_lg_u32 s3, 0
	s_addc_u32 s0, s0, s6
	v_readfirstlane_b32 s3, v2
	s_mul_i32 s6, s4, s0
	s_delay_alu instid0(VALU_DEP_1)
	s_mul_hi_u32 s14, s4, s3
	s_mul_i32 s5, s5, s3
	s_add_i32 s6, s14, s6
	s_mul_i32 s4, s4, s3
	s_add_i32 s6, s6, s5
	s_mul_hi_u32 s14, s0, s4
	s_mul_i32 s23, s0, s4
	s_mul_hi_u32 s4, s3, s4
	s_mul_hi_u32 s25, s3, s6
	s_mul_i32 s3, s3, s6
	s_mul_hi_u32 s5, s0, s6
	s_add_u32 s3, s4, s3
	s_addc_u32 s4, 0, s25
	s_add_u32 s3, s3, s23
	s_mul_i32 s6, s0, s6
	s_addc_u32 s3, s4, s14
	s_addc_u32 s4, s5, 0
	s_add_u32 s3, s3, s6
	s_addc_u32 s4, 0, s4
	v_add_co_u32 v2, s3, v2, s3
	s_delay_alu instid0(VALU_DEP_1) | instskip(SKIP_2) | instid1(VALU_DEP_1)
	s_cmp_lg_u32 s3, 0
	s_addc_u32 s0, s0, s4
	s_ashr_i32 s4, s9, 31
	v_readfirstlane_b32 s3, v2
	s_add_u32 s34, s8, s4
	s_mov_b32 s5, s4
	s_addc_u32 s35, s9, s4
	s_delay_alu instid0(SALU_CYCLE_1) | instskip(NEXT) | instid1(SALU_CYCLE_1)
	s_xor_b64 s[34:35], s[34:35], s[4:5]
	s_mul_i32 s6, s34, s0
	s_mul_hi_u32 s14, s34, s3
	s_mul_hi_u32 s5, s34, s0
	s_mul_hi_u32 s25, s35, s3
	s_mul_i32 s3, s35, s3
	s_add_u32 s6, s14, s6
	s_addc_u32 s5, 0, s5
	s_mul_hi_u32 s23, s35, s0
	s_add_u32 s3, s6, s3
	s_mul_i32 s0, s35, s0
	s_addc_u32 s3, s5, s25
	s_addc_u32 s5, s23, 0
	s_add_u32 s0, s3, s0
	s_addc_u32 s3, 0, s5
	s_mul_hi_u32 s5, s1, s0
	s_mul_i32 s0, s1, s0
	s_mul_i32 s3, s1, s3
	v_sub_co_u32 v2, s0, s34, s0
	s_add_i32 s5, s5, s3
	s_cmp_lg_u32 s0, 0
	s_delay_alu instid0(VALU_DEP_1) | instskip(SKIP_2) | instid1(VALU_DEP_1)
	v_sub_co_u32 v3, s0, v2, s1
	s_subb_u32 s3, s35, s5
	s_cmp_lg_u32 s0, 0
	v_cmp_le_u32_e32 vcc_lo, s1, v3
	v_sub_co_u32 v4, s0, v3, s1
	s_subb_u32 s5, s3, 0
	s_cmp_lg_u32 s0, 0
	v_cndmask_b32_e64 v5, 0, -1, vcc_lo
	s_subb_u32 s0, s5, 0
	s_cmp_eq_u32 s5, 0
	v_mov_b32_e32 v7, s0
	s_cselect_b32 vcc_lo, -1, 0
	s_cmp_eq_u32 s3, 0
	v_cndmask_b32_e32 v5, -1, v5, vcc_lo
	v_cmp_le_u32_e32 vcc_lo, s1, v2
	s_cselect_b32 s0, -1, 0
	v_cndmask_b32_e64 v6, 0, -1, vcc_lo
	s_delay_alu instid0(VALU_DEP_3) | instskip(NEXT) | instid1(VALU_DEP_2)
	v_cmp_ne_u32_e32 vcc_lo, 0, v5
	v_cndmask_b32_e64 v5, -1, v6, s0
	v_cndmask_b32_e32 v6, s5, v7, vcc_lo
	v_cndmask_b32_e32 v3, v3, v4, vcc_lo
	s_delay_alu instid0(VALU_DEP_3) | instskip(NEXT) | instid1(VALU_DEP_2)
	v_cmp_ne_u32_e32 vcc_lo, 0, v5
	v_cndmask_b32_e32 v2, v2, v3, vcc_lo
	s_delay_alu instid0(VALU_DEP_4) | instskip(NEXT) | instid1(VALU_DEP_2)
	v_cndmask_b32_e32 v4, s3, v6, vcc_lo
	v_xor_b32_e32 v2, s4, v2
	s_delay_alu instid0(VALU_DEP_2) | instskip(NEXT) | instid1(VALU_DEP_2)
	v_xor_b32_e32 v3, s4, v4
	v_sub_co_u32 v2, vcc_lo, v2, s4
	s_delay_alu instid0(VALU_DEP_2)
	v_subrev_co_ci_u32_e32 v3, vcc_lo, s4, v3, vcc_lo
	s_and_not1_b32 vcc_lo, exec_lo, s2
	s_cbranch_vccnz .LBB275_74
.LBB275_73:
	v_cvt_f32_u32_e32 v2, s1
	s_sub_i32 s0, 0, s1
	s_delay_alu instid0(VALU_DEP_1) | instskip(SKIP_2) | instid1(VALU_DEP_1)
	v_rcp_iflag_f32_e32 v2, v2
	s_waitcnt_depctr 0xfff
	v_mul_f32_e32 v2, 0x4f7ffffe, v2
	v_cvt_u32_f32_e32 v2, v2
	s_delay_alu instid0(VALU_DEP_1) | instskip(NEXT) | instid1(VALU_DEP_1)
	v_mul_lo_u32 v3, s0, v2
	v_mul_hi_u32 v3, v2, v3
	s_delay_alu instid0(VALU_DEP_1) | instskip(NEXT) | instid1(VALU_DEP_1)
	v_add_nc_u32_e32 v2, v2, v3
	v_mul_hi_u32 v2, s8, v2
	s_delay_alu instid0(VALU_DEP_1) | instskip(NEXT) | instid1(VALU_DEP_1)
	v_mul_lo_u32 v2, v2, s1
	v_sub_nc_u32_e32 v2, s8, v2
	s_delay_alu instid0(VALU_DEP_1) | instskip(SKIP_1) | instid1(VALU_DEP_2)
	v_subrev_nc_u32_e32 v3, s1, v2
	v_cmp_le_u32_e32 vcc_lo, s1, v2
	v_cndmask_b32_e32 v2, v2, v3, vcc_lo
	s_delay_alu instid0(VALU_DEP_1) | instskip(SKIP_1) | instid1(VALU_DEP_2)
	v_subrev_nc_u32_e32 v3, s1, v2
	v_cmp_le_u32_e32 vcc_lo, s1, v2
	v_dual_cndmask_b32 v2, v2, v3 :: v_dual_mov_b32 v3, 0
.LBB275_74:
	s_delay_alu instid0(VALU_DEP_1) | instskip(SKIP_1) | instid1(VALU_DEP_3)
	v_sub_co_u32 v2, vcc_lo, s8, v2
	v_lshlrev_b64 v[4:5], 3, v[0:1]
	v_sub_co_ci_u32_e32 v3, vcc_lo, s9, v3, vcc_lo
	s_mov_b32 s14, exec_lo
	s_delay_alu instid0(VALU_DEP_1)
	v_cmpx_lt_i64_e64 v[4:5], v[2:3]
	s_cbranch_execz .LBB275_77
; %bb.75:
	v_lshlrev_b64 v[4:5], 4, v[0:1]
	v_dual_mov_b32 v7, v1 :: v_dual_mov_b32 v6, v0
	s_lshl_b32 s23, s11, 4
	s_mov_b32 s25, 0
	s_mov_b32 s33, 0x3fb8aa3b
	;; [unrolled: 1-line block ×3, first 2 shown]
	s_mov_b64 s[34:35], s[30:31]
	s_mov_b64 s[36:37], s[28:29]
	;; [unrolled: 1-line block ×3, first 2 shown]
.LBB275_76:                             ; =>This Inner Loop Header: Depth=1
	v_add_co_u32 v9, vcc_lo, s36, v4
	v_add_co_ci_u32_e32 v10, vcc_lo, s37, v5, vcc_lo
	v_add_co_u32 v13, vcc_lo, s34, v4
	v_add_co_ci_u32_e32 v14, vcc_lo, s35, v5, vcc_lo
	global_load_b128 v[9:12], v[9:10], off
	v_add_co_u32 v17, vcc_lo, s38, v4
	global_load_b128 v[13:16], v[13:14], off
	v_add_co_ci_u32_e32 v18, vcc_lo, s39, v5, vcc_lo
	v_add_co_u32 v6, vcc_lo, v6, s11
	v_add_co_ci_u32_e32 v7, vcc_lo, 0, v7, vcc_lo
	s_add_u32 s38, s38, s23
	s_addc_u32 s39, s39, 0
	s_add_u32 s36, s36, s23
	s_delay_alu instid0(VALU_DEP_1)
	v_lshlrev_b64 v[19:20], 3, v[6:7]
	s_addc_u32 s37, s37, 0
	s_add_u32 s34, s34, s23
	s_addc_u32 s35, s35, 0
	s_waitcnt vmcnt(1)
	v_lshrrev_b32_e32 v1, 16, v9
	v_lshrrev_b32_e32 v21, 16, v10
	;; [unrolled: 1-line block ×3, first 2 shown]
	v_cvt_f32_f16_e32 v23, v9
	v_lshrrev_b32_e32 v24, 16, v12
	v_cvt_f32_f16_e32 v25, v10
	v_cvt_f32_f16_e32 v26, v11
	;; [unrolled: 1-line block ×3, first 2 shown]
	v_mul_f32_e32 v28, 0x3fb8aa3b, v23
	v_cvt_f32_f16_e32 v1, v1
	v_mul_f32_e32 v29, 0x3fb8aa3b, v25
	v_cvt_f32_f16_e32 v21, v21
	v_dual_mul_f32 v30, 0x3fb8aa3b, v26 :: v_dual_mul_f32 v31, 0x3fb8aa3b, v27
	v_cvt_f32_f16_e32 v22, v22
	v_cvt_f32_f16_e32 v24, v24
	v_fma_mix_f32 v32, v9, s33, -v28 op_sel_hi:[1,0,0]
	v_rndne_f32_e32 v33, v28
	v_mul_f32_e32 v34, 0x3fb8aa3b, v1
	v_fma_mix_f32 v35, v10, s33, -v29 op_sel_hi:[1,0,0]
	v_mul_f32_e32 v43, 0x3fb8aa3b, v24
	v_rndne_f32_e32 v36, v29
	v_dual_mul_f32 v37, 0x3fb8aa3b, v21 :: v_dual_mul_f32 v40, 0x3fb8aa3b, v22
	v_fma_mix_f32 v38, v11, s33, -v30 op_sel_hi:[1,0,0]
	v_rndne_f32_e32 v39, v30
	v_fma_mix_f32 v41, v12, s33, -v31 op_sel_hi:[1,0,0]
	v_rndne_f32_e32 v42, v31
	v_fma_mix_f32 v32, v9, s40, v32 op_sel_hi:[1,0,0]
	v_dual_sub_f32 v28, v28, v33 :: v_dual_sub_f32 v29, v29, v36
	v_fma_mix_f32 v44, v9, s33, -v34 op_sel:[1,0,0] op_sel_hi:[1,0,0]
	v_rndne_f32_e32 v45, v34
	v_fma_mix_f32 v35, v10, s40, v35 op_sel_hi:[1,0,0]
	v_fma_mix_f32 v46, v10, s33, -v37 op_sel:[1,0,0] op_sel_hi:[1,0,0]
	v_rndne_f32_e32 v47, v37
	v_fma_mix_f32 v38, v11, s40, v38 op_sel_hi:[1,0,0]
	v_dual_sub_f32 v30, v30, v39 :: v_dual_sub_f32 v31, v31, v42
	v_fma_mix_f32 v48, v11, s33, -v40 op_sel:[1,0,0] op_sel_hi:[1,0,0]
	v_rndne_f32_e32 v49, v40
	v_fma_mix_f32 v41, v12, s40, v41 op_sel_hi:[1,0,0]
	v_fma_mix_f32 v50, v12, s33, -v43 op_sel:[1,0,0] op_sel_hi:[1,0,0]
	v_rndne_f32_e32 v51, v43
	v_dual_add_f32 v28, v28, v32 :: v_dual_add_f32 v29, v29, v35
	v_fma_mix_f32 v9, v9, s40, v44 op_sel:[1,0,0] op_sel_hi:[1,0,0]
	v_dual_sub_f32 v32, v34, v45 :: v_dual_sub_f32 v35, v37, v47
	v_fma_mix_f32 v10, v10, s40, v46 op_sel:[1,0,0] op_sel_hi:[1,0,0]
	v_dual_add_f32 v30, v30, v38 :: v_dual_add_f32 v31, v31, v41
	v_fma_mix_f32 v11, v11, s40, v48 op_sel:[1,0,0] op_sel_hi:[1,0,0]
	v_dual_sub_f32 v38, v40, v49 :: v_dual_sub_f32 v41, v43, v51
	v_fma_mix_f32 v12, v12, s40, v50 op_sel:[1,0,0] op_sel_hi:[1,0,0]
	v_exp_f32_e32 v28, v28
	v_dual_add_f32 v9, v32, v9 :: v_dual_add_f32 v10, v35, v10
	v_exp_f32_e32 v29, v29
	v_exp_f32_e32 v30, v30
	v_dual_add_f32 v11, v38, v11 :: v_dual_add_f32 v12, v41, v12
	v_exp_f32_e32 v31, v31
	v_cvt_i32_f32_e32 v33, v33
	v_cvt_i32_f32_e32 v36, v36
	;; [unrolled: 1-line block ×4, first 2 shown]
	v_exp_f32_e32 v9, v9
	v_exp_f32_e32 v10, v10
	;; [unrolled: 1-line block ×4, first 2 shown]
	v_cvt_i32_f32_e32 v34, v45
	v_cvt_i32_f32_e32 v37, v47
	v_cvt_i32_f32_e32 v40, v49
	v_cvt_i32_f32_e32 v43, v51
	v_ldexp_f32 v28, v28, v33
	v_ldexp_f32 v29, v29, v36
	v_cmp_ngt_f32_e32 vcc_lo, 0xc2ce8ed0, v25
	v_ldexp_f32 v30, v30, v39
	v_cmp_ngt_f32_e64 s0, 0xc2ce8ed0, v26
	v_ldexp_f32 v31, v31, v42
	v_cmp_ngt_f32_e64 s1, 0xc2ce8ed0, v27
	v_cmp_ngt_f32_e64 s2, 0xc2ce8ed0, v23
	v_ldexp_f32 v9, v9, v34
	v_cndmask_b32_e32 v29, 0, v29, vcc_lo
	v_cmp_nlt_f32_e32 vcc_lo, 0x42b17218, v25
	v_ldexp_f32 v10, v10, v37
	v_cndmask_b32_e64 v28, 0, v28, s2
	v_cmp_ngt_f32_e64 s2, 0xc2ce8ed0, v1
	v_cmp_ngt_f32_e64 s3, 0xc2ce8ed0, v21
	v_cndmask_b32_e64 v25, 0, v30, s0
	v_cmp_nlt_f32_e64 s0, 0x42b17218, v26
	v_ldexp_f32 v11, v11, v40
	v_cmp_ngt_f32_e64 s4, 0xc2ce8ed0, v22
	v_cndmask_b32_e64 v26, 0, v31, s1
	v_cmp_nlt_f32_e64 s1, 0x42b17218, v27
	v_ldexp_f32 v12, v12, v43
	v_cmp_ngt_f32_e64 s5, 0xc2ce8ed0, v24
	v_cmp_nlt_f32_e64 s6, 0x42b17218, v23
	v_cndmask_b32_e64 v27, 0, v9, s2
	v_cmp_nlt_f32_e64 s2, 0x42b17218, v1
	v_cndmask_b32_e32 v1, 0x7f800000, v29, vcc_lo
	v_cmp_nlt_f32_e32 vcc_lo, 0x42b17218, v21
	v_cndmask_b32_e64 v23, 0x7f800000, v28, s6
	v_cndmask_b32_e64 v28, 0, v10, s3
	;; [unrolled: 1-line block ×4, first 2 shown]
	v_cmp_nlt_f32_e64 s0, 0x42b17218, v22
	v_cndmask_b32_e64 v22, 0x7f800000, v26, s1
	v_cndmask_b32_e64 v26, 0, v12, s5
	v_cmp_nlt_f32_e64 s1, 0x42b17218, v24
	s_waitcnt vmcnt(0)
	v_fma_mixlo_f16 v9, -v8, v23, v13 op_sel_hi:[0,0,1]
	v_fma_mixlo_f16 v10, -v8, v1, v14 op_sel_hi:[0,0,1]
	;; [unrolled: 1-line block ×4, first 2 shown]
	v_cndmask_b32_e64 v1, 0x7f800000, v26, s1
	v_cndmask_b32_e64 v21, 0x7f800000, v25, s0
	v_cndmask_b32_e32 v22, 0x7f800000, v28, vcc_lo
	v_cndmask_b32_e64 v23, 0x7f800000, v27, s2
	v_cmp_ge_i64_e32 vcc_lo, v[19:20], v[2:3]
	v_fma_mixhi_f16 v12, -v8, v1, v16 op_sel:[0,0,1] op_sel_hi:[0,0,1]
	v_fma_mixhi_f16 v11, -v8, v21, v15 op_sel:[0,0,1] op_sel_hi:[0,0,1]
	v_fma_mixhi_f16 v10, -v8, v22, v14 op_sel:[0,0,1] op_sel_hi:[0,0,1]
	v_fma_mixhi_f16 v9, -v8, v23, v13 op_sel:[0,0,1] op_sel_hi:[0,0,1]
	s_or_b32 s25, vcc_lo, s25
	global_store_b128 v[17:18], v[9:12], off
	s_and_not1_b32 exec_lo, exec_lo, s25
	s_cbranch_execnz .LBB275_76
.LBB275_77:
	s_or_b32 exec_lo, exec_lo, s14
	v_add_co_u32 v1, vcc_lo, v2, v0
	v_add_co_ci_u32_e32 v2, vcc_lo, 0, v3, vcc_lo
	s_mov_b32 s1, exec_lo
	s_delay_alu instid0(VALU_DEP_1)
	v_cmpx_gt_i64_e64 s[8:9], v[1:2]
	s_cbranch_execz .LBB275_80
; %bb.78:
	v_lshlrev_b64 v[3:4], 1, v[1:2]
	s_lshl_b32 s2, s11, 1
	s_mov_b32 s3, 0
	s_mov_b32 s4, 0x3fb8aa3b
	;; [unrolled: 1-line block ×3, first 2 shown]
.LBB275_79:                             ; =>This Inner Loop Header: Depth=1
	s_delay_alu instid0(VALU_DEP_1) | instskip(SKIP_2) | instid1(VALU_DEP_1)
	v_add_co_u32 v5, vcc_lo, s28, v3
	v_add_co_ci_u32_e32 v6, vcc_lo, s29, v4, vcc_lo
	v_add_co_u32 v1, s0, v1, s11
	v_add_co_ci_u32_e64 v2, s0, 0, v2, s0
	global_load_u16 v7, v[5:6], off
	v_add_co_u32 v5, vcc_lo, s30, v3
	v_add_co_ci_u32_e32 v6, vcc_lo, s31, v4, vcc_lo
	global_load_u16 v9, v[5:6], off
	s_waitcnt vmcnt(1)
	v_cvt_f32_f16_e32 v10, v7
	s_delay_alu instid0(VALU_DEP_1) | instskip(SKIP_1) | instid1(VALU_DEP_2)
	v_mul_f32_e32 v5, 0x3fb8aa3b, v10
	v_cmp_ngt_f32_e64 s0, 0xc2ce8ed0, v10
	v_fma_mix_f32 v6, v7, s4, -v5 op_sel_hi:[1,0,0]
	v_rndne_f32_e32 v11, v5
	s_delay_alu instid0(VALU_DEP_2) | instskip(NEXT) | instid1(VALU_DEP_2)
	v_fma_mix_f32 v6, v7, s5, v6 op_sel_hi:[1,0,0]
	v_sub_f32_e32 v5, v5, v11
	v_cvt_i32_f32_e32 v7, v11
	s_delay_alu instid0(VALU_DEP_2) | instskip(NEXT) | instid1(VALU_DEP_1)
	v_add_f32_e32 v5, v5, v6
	v_exp_f32_e32 v6, v5
	v_add_co_u32 v5, vcc_lo, s26, v3
	s_waitcnt_depctr 0xfff
	v_ldexp_f32 v6, v6, v7
	s_delay_alu instid0(VALU_DEP_1) | instskip(SKIP_3) | instid1(VALU_DEP_1)
	v_cndmask_b32_e64 v7, 0, v6, s0
	v_add_co_ci_u32_e32 v6, vcc_lo, s27, v4, vcc_lo
	v_cmp_nlt_f32_e32 vcc_lo, 0x42b17218, v10
	v_add_co_u32 v3, s0, v3, s2
	v_add_co_ci_u32_e64 v4, s0, 0, v4, s0
	v_cndmask_b32_e32 v7, 0x7f800000, v7, vcc_lo
	v_cmp_le_i64_e32 vcc_lo, s[8:9], v[1:2]
	s_waitcnt vmcnt(0)
	s_delay_alu instid0(VALU_DEP_2)
	v_fma_mixlo_f16 v7, -v8, v7, v9 op_sel_hi:[0,0,1]
	s_or_b32 s3, vcc_lo, s3
	global_store_b16 v[5:6], v7, off
	s_and_not1_b32 exec_lo, exec_lo, s3
	s_cbranch_execnz .LBB275_79
.LBB275_80:
	s_or_b32 exec_lo, exec_lo, s1
	s_mov_b32 s1, 0
.LBB275_81:
	s_delay_alu instid0(SALU_CYCLE_1)
	s_and_b32 vcc_lo, exec_lo, s1
	s_cbranch_vccz .LBB275_93
; %bb.82:
	s_and_not1_b32 vcc_lo, exec_lo, s7
	s_cbranch_vccnz .LBB275_86
; %bb.83:
	s_lshl_b32 s1, s24, 1
	s_mov_b32 s6, exec_lo
	s_sub_u32 s3, s16, s1
	s_subb_u32 s4, s17, 0
	s_sub_u32 s0, s18, s1
	s_subb_u32 s5, s19, 0
	;; [unrolled: 2-line block ×3, first 2 shown]
	v_cmpx_le_u32_e64 s24, v0
	s_cbranch_execz .LBB275_85
; %bb.84:
	v_mov_b32_e32 v1, 0
	s_mov_b32 s7, 0x3fb8aa3b
	s_delay_alu instid0(VALU_DEP_1) | instskip(NEXT) | instid1(VALU_DEP_1)
	v_lshlrev_b64 v[1:2], 1, v[0:1]
	v_add_co_u32 v3, vcc_lo, s0, v1
	s_delay_alu instid0(VALU_DEP_2)
	v_add_co_ci_u32_e32 v4, vcc_lo, s5, v2, vcc_lo
	global_load_u16 v5, v[3:4], off
	v_add_co_u32 v3, vcc_lo, s1, v1
	v_add_co_ci_u32_e32 v4, vcc_lo, s2, v2, vcc_lo
	global_load_u16 v3, v[3:4], off
	s_waitcnt vmcnt(1)
	v_cvt_f32_f16_e32 v4, v5
	s_delay_alu instid0(VALU_DEP_1) | instskip(SKIP_1) | instid1(VALU_DEP_2)
	v_mul_f32_e32 v6, 0x3fb8aa3b, v4
	v_cmp_ngt_f32_e32 vcc_lo, 0xc2ce8ed0, v4
	v_fma_mix_f32 v7, v5, s7, -v6 op_sel_hi:[1,0,0]
	v_rndne_f32_e32 v9, v6
	s_mov_b32 s7, 0x32a5705f
	s_delay_alu instid0(VALU_DEP_2) | instid1(SALU_CYCLE_1)
	v_fma_mix_f32 v5, v5, s7, v7 op_sel_hi:[1,0,0]
	s_delay_alu instid0(VALU_DEP_2) | instskip(NEXT) | instid1(VALU_DEP_1)
	v_sub_f32_e32 v6, v6, v9
	v_add_f32_e32 v5, v6, v5
	v_cvt_i32_f32_e32 v6, v9
	s_delay_alu instid0(VALU_DEP_2) | instskip(SKIP_2) | instid1(VALU_DEP_1)
	v_exp_f32_e32 v5, v5
	s_waitcnt_depctr 0xfff
	v_ldexp_f32 v5, v5, v6
	v_cndmask_b32_e32 v5, 0, v5, vcc_lo
	v_cmp_nlt_f32_e32 vcc_lo, 0x42b17218, v4
	s_delay_alu instid0(VALU_DEP_2) | instskip(SKIP_3) | instid1(VALU_DEP_3)
	v_cndmask_b32_e32 v4, 0x7f800000, v5, vcc_lo
	v_add_co_u32 v1, vcc_lo, s3, v1
	v_add_co_ci_u32_e32 v2, vcc_lo, s4, v2, vcc_lo
	s_waitcnt vmcnt(0) lgkmcnt(0)
	v_fma_mixlo_f16 v3, -v8, v4, v3 op_sel_hi:[0,0,1]
	global_store_b16 v[1:2], v3, off
.LBB275_85:
	s_or_b32 exec_lo, exec_lo, s6
	s_add_i32 s6, s24, s10
	s_delay_alu instid0(SALU_CYCLE_1) | instskip(SKIP_1) | instid1(SALU_CYCLE_1)
	v_sub_nc_u32_e64 v1, s6, s22 clamp
	s_lshl_b32 s6, s22, 1
	s_add_u32 s16, s3, s6
	s_addc_u32 s17, s4, 0
	s_delay_alu instid0(VALU_DEP_1)
	v_readfirstlane_b32 s10, v1
	s_add_u32 s18, s0, s6
	s_addc_u32 s19, s5, 0
	s_add_u32 s12, s1, s6
	s_addc_u32 s13, s2, 0
.LBB275_86:
	s_load_b32 s0, s[20:21], 0x0
	v_mov_b32_e32 v1, 0
	s_waitcnt lgkmcnt(0)
	s_cmp_lt_u32 s15, s0
	s_cselect_b32 s0, 12, 18
	s_delay_alu instid0(SALU_CYCLE_1) | instskip(SKIP_4) | instid1(VALU_DEP_1)
	s_add_u32 s0, s20, s0
	s_addc_u32 s1, s21, 0
	global_load_u16 v3, v1, s[0:1]
	s_waitcnt vmcnt(0)
	v_readfirstlane_b32 s0, v3
	s_lshl_b32 s0, s0, 3
	s_delay_alu instid0(SALU_CYCLE_1) | instskip(SKIP_1) | instid1(VALU_DEP_1)
	v_cvt_f32_u32_e32 v1, s0
	s_sub_i32 s2, 0, s0
	v_rcp_iflag_f32_e32 v1, v1
	s_waitcnt_depctr 0xfff
	v_mul_f32_e32 v1, 0x4f7ffffe, v1
	s_delay_alu instid0(VALU_DEP_1) | instskip(NEXT) | instid1(VALU_DEP_1)
	v_cvt_u32_f32_e32 v1, v1
	v_readfirstlane_b32 s1, v1
	v_lshlrev_b32_e32 v1, 3, v0
	s_delay_alu instid0(VALU_DEP_2) | instskip(NEXT) | instid1(SALU_CYCLE_1)
	s_mul_i32 s2, s2, s1
	s_mul_hi_u32 s2, s1, s2
	s_delay_alu instid0(SALU_CYCLE_1) | instskip(NEXT) | instid1(SALU_CYCLE_1)
	s_add_i32 s1, s1, s2
	s_mul_hi_u32 s1, s10, s1
	s_delay_alu instid0(SALU_CYCLE_1) | instskip(NEXT) | instid1(SALU_CYCLE_1)
	s_mul_i32 s1, s1, s0
	s_sub_i32 s1, s10, s1
	s_delay_alu instid0(SALU_CYCLE_1) | instskip(SKIP_2) | instid1(SALU_CYCLE_1)
	s_sub_i32 s2, s1, s0
	s_cmp_ge_u32 s1, s0
	s_cselect_b32 s1, s2, s1
	s_sub_i32 s2, s1, s0
	s_cmp_ge_u32 s1, s0
	s_cselect_b32 s0, s2, s1
	s_mov_b32 s2, 0
	s_sub_i32 s0, s10, s0
	s_mov_b32 s1, exec_lo
	v_cmpx_gt_i32_e64 s0, v1
	s_cbranch_execz .LBB275_89
; %bb.87:
	v_mov_b32_e32 v1, v0
	s_mov_b32 s3, 0x3fb8aa3b
	s_mov_b32 s4, 0x32a5705f
.LBB275_88:                             ; =>This Inner Loop Header: Depth=1
	s_delay_alu instid0(VALU_DEP_1) | instskip(NEXT) | instid1(VALU_DEP_1)
	v_ashrrev_i32_e32 v2, 31, v1
	v_lshlrev_b64 v[13:14], 4, v[1:2]
	s_delay_alu instid0(VALU_DEP_1) | instskip(NEXT) | instid1(VALU_DEP_2)
	v_add_co_u32 v4, vcc_lo, s18, v13
	v_add_co_ci_u32_e32 v5, vcc_lo, s19, v14, vcc_lo
	v_add_co_u32 v9, vcc_lo, s12, v13
	v_add_co_ci_u32_e32 v10, vcc_lo, s13, v14, vcc_lo
	global_load_b128 v[4:7], v[4:5], off
	v_add_co_u32 v13, vcc_lo, s16, v13
	global_load_b128 v[9:12], v[9:10], off
	v_add_co_ci_u32_e32 v14, vcc_lo, s17, v14, vcc_lo
	s_waitcnt vmcnt(1)
	v_cvt_f32_f16_e32 v18, v4
	v_cvt_f32_f16_e32 v20, v5
	v_add_nc_u32_e32 v1, v1, v3
	v_cvt_f32_f16_e32 v21, v6
	v_cvt_f32_f16_e32 v22, v7
	s_delay_alu instid0(VALU_DEP_4) | instskip(NEXT) | instid1(VALU_DEP_4)
	v_dual_mul_f32 v23, 0x3fb8aa3b, v18 :: v_dual_mul_f32 v24, 0x3fb8aa3b, v20
	v_lshlrev_b32_e32 v2, 3, v1
	s_delay_alu instid0(VALU_DEP_3) | instskip(NEXT) | instid1(VALU_DEP_3)
	v_dual_mul_f32 v25, 0x3fb8aa3b, v21 :: v_dual_mul_f32 v26, 0x3fb8aa3b, v22
	v_fma_mix_f32 v27, v4, s3, -v23 op_sel_hi:[1,0,0]
	v_rndne_f32_e32 v28, v23
	v_fma_mix_f32 v30, v5, s3, -v24 op_sel_hi:[1,0,0]
	v_rndne_f32_e32 v31, v24
	v_lshrrev_b32_e32 v15, 16, v4
	v_fma_mix_f32 v27, v4, s4, v27 op_sel_hi:[1,0,0]
	v_sub_f32_e32 v23, v23, v28
	v_fma_mix_f32 v33, v6, s3, -v25 op_sel_hi:[1,0,0]
	v_sub_f32_e32 v24, v24, v31
	v_rndne_f32_e32 v34, v25
	v_fma_mix_f32 v30, v5, s4, v30 op_sel_hi:[1,0,0]
	v_add_f32_e32 v23, v23, v27
	v_lshrrev_b32_e32 v16, 16, v5
	v_cvt_f32_f16_e32 v15, v15
	v_fma_mix_f32 v36, v7, s3, -v26 op_sel_hi:[1,0,0]
	v_add_f32_e32 v24, v24, v30
	v_rndne_f32_e32 v37, v26
	v_fma_mix_f32 v33, v6, s4, v33 op_sel_hi:[1,0,0]
	v_sub_f32_e32 v25, v25, v34
	v_exp_f32_e32 v23, v23
	v_cvt_f32_f16_e32 v16, v16
	v_dual_sub_f32 v26, v26, v37 :: v_dual_mul_f32 v29, 0x3fb8aa3b, v15
	v_cvt_i32_f32_e32 v28, v28
	v_fma_mix_f32 v36, v7, s4, v36 op_sel_hi:[1,0,0]
	s_delay_alu instid0(VALU_DEP_4) | instskip(SKIP_2) | instid1(VALU_DEP_3)
	v_dual_mul_f32 v32, 0x3fb8aa3b, v16 :: v_dual_add_f32 v25, v25, v33
	v_exp_f32_e32 v24, v24
	v_fma_mix_f32 v39, v4, s3, -v29 op_sel:[1,0,0] op_sel_hi:[1,0,0]
	v_add_f32_e32 v26, v26, v36
	v_rndne_f32_e32 v40, v29
	v_cvt_i32_f32_e32 v31, v31
	v_exp_f32_e32 v25, v25
	v_ldexp_f32 v23, v23, v28
	v_cmp_ngt_f32_e32 vcc_lo, 0xc2ce8ed0, v18
	v_lshrrev_b32_e32 v17, 16, v6
	v_fma_mix_f32 v41, v5, s3, -v32 op_sel:[1,0,0] op_sel_hi:[1,0,0]
	v_rndne_f32_e32 v42, v32
	v_cvt_i32_f32_e32 v34, v34
	v_fma_mix_f32 v4, v4, s4, v39 op_sel:[1,0,0] op_sel_hi:[1,0,0]
	v_sub_f32_e32 v27, v29, v40
	v_exp_f32_e32 v26, v26
	v_sub_f32_e32 v30, v32, v42
	v_ldexp_f32 v24, v24, v31
	v_cndmask_b32_e32 v23, 0, v23, vcc_lo
	v_cmp_ngt_f32_e32 vcc_lo, 0xc2ce8ed0, v20
	v_lshrrev_b32_e32 v19, 16, v7
	v_cvt_f32_f16_e32 v17, v17
	v_cvt_i32_f32_e32 v37, v37
	v_fma_mix_f32 v5, v5, s4, v41 op_sel:[1,0,0] op_sel_hi:[1,0,0]
	v_cndmask_b32_e32 v24, 0, v24, vcc_lo
	v_add_f32_e32 v4, v27, v4
	v_ldexp_f32 v25, v25, v34
	v_cmp_ngt_f32_e32 vcc_lo, 0xc2ce8ed0, v21
	v_add_f32_e32 v5, v30, v5
	v_cvt_f32_f16_e32 v19, v19
	v_mul_f32_e32 v35, 0x3fb8aa3b, v17
	v_exp_f32_e32 v4, v4
	v_ldexp_f32 v26, v26, v37
	v_cndmask_b32_e32 v25, 0, v25, vcc_lo
	v_cmp_ngt_f32_e32 vcc_lo, 0xc2ce8ed0, v22
	v_mul_f32_e32 v38, 0x3fb8aa3b, v19
	v_fma_mix_f32 v43, v6, s3, -v35 op_sel:[1,0,0] op_sel_hi:[1,0,0]
	v_rndne_f32_e32 v44, v35
	v_cvt_i32_f32_e32 v29, v40
	v_cndmask_b32_e32 v26, 0, v26, vcc_lo
	v_exp_f32_e32 v5, v5
	v_cmp_nlt_f32_e32 vcc_lo, 0x42b17218, v18
	v_fma_mix_f32 v45, v7, s3, -v38 op_sel:[1,0,0] op_sel_hi:[1,0,0]
	v_rndne_f32_e32 v46, v38
	v_cvt_i32_f32_e32 v32, v42
	v_fma_mix_f32 v6, v6, s4, v43 op_sel:[1,0,0] op_sel_hi:[1,0,0]
	v_sub_f32_e32 v33, v35, v44
	v_ldexp_f32 v4, v4, v29
	v_sub_f32_e32 v36, v38, v46
	v_cndmask_b32_e32 v18, 0x7f800000, v23, vcc_lo
	v_cmp_ngt_f32_e32 vcc_lo, 0xc2ce8ed0, v15
	v_fma_mix_f32 v7, v7, s4, v45 op_sel:[1,0,0] op_sel_hi:[1,0,0]
	v_add_f32_e32 v6, v33, v6
	v_ldexp_f32 v5, v5, v32
	v_cvt_i32_f32_e32 v35, v44
	v_cndmask_b32_e32 v23, 0, v4, vcc_lo
	v_cmp_nlt_f32_e32 vcc_lo, 0x42b17218, v20
	v_add_f32_e32 v7, v36, v7
	v_exp_f32_e32 v6, v6
	v_cvt_i32_f32_e32 v27, v46
	s_waitcnt vmcnt(0)
	v_fma_mixlo_f16 v4, -v8, v18, v9 op_sel_hi:[0,0,1]
	v_cndmask_b32_e32 v20, 0x7f800000, v24, vcc_lo
	v_cmp_ngt_f32_e32 vcc_lo, 0xc2ce8ed0, v16
	v_exp_f32_e32 v7, v7
	v_cndmask_b32_e32 v24, 0, v5, vcc_lo
	v_cmp_nlt_f32_e32 vcc_lo, 0x42b17218, v21
	s_delay_alu instid0(TRANS32_DEP_2) | instskip(SKIP_3) | instid1(TRANS32_DEP_1)
	v_ldexp_f32 v6, v6, v35
	v_fma_mixlo_f16 v5, -v8, v20, v10 op_sel_hi:[0,0,1]
	v_cndmask_b32_e32 v21, 0x7f800000, v25, vcc_lo
	v_cmp_ngt_f32_e32 vcc_lo, 0xc2ce8ed0, v17
	v_ldexp_f32 v7, v7, v27
	v_cndmask_b32_e32 v25, 0, v6, vcc_lo
	v_cmp_nlt_f32_e32 vcc_lo, 0x42b17218, v22
	v_fma_mixlo_f16 v6, -v8, v21, v11 op_sel_hi:[0,0,1]
	v_cndmask_b32_e32 v22, 0x7f800000, v26, vcc_lo
	v_cmp_ngt_f32_e32 vcc_lo, 0xc2ce8ed0, v19
	v_cndmask_b32_e32 v26, 0, v7, vcc_lo
	v_cmp_nlt_f32_e32 vcc_lo, 0x42b17218, v16
	s_delay_alu instid0(VALU_DEP_4) | instskip(SKIP_2) | instid1(VALU_DEP_2)
	v_fma_mixlo_f16 v7, -v8, v22, v12 op_sel_hi:[0,0,1]
	v_cndmask_b32_e32 v16, 0x7f800000, v24, vcc_lo
	v_cmp_nlt_f32_e32 vcc_lo, 0x42b17218, v19
	v_fma_mixhi_f16 v5, -v8, v16, v10 op_sel:[0,0,1] op_sel_hi:[0,0,1]
	v_cndmask_b32_e32 v18, 0x7f800000, v26, vcc_lo
	v_cmp_nlt_f32_e32 vcc_lo, 0x42b17218, v17
	s_delay_alu instid0(VALU_DEP_2) | instskip(SKIP_2) | instid1(VALU_DEP_2)
	v_fma_mixhi_f16 v7, -v8, v18, v12 op_sel:[0,0,1] op_sel_hi:[0,0,1]
	v_cndmask_b32_e32 v17, 0x7f800000, v25, vcc_lo
	v_cmp_nlt_f32_e32 vcc_lo, 0x42b17218, v15
	v_fma_mixhi_f16 v6, -v8, v17, v11 op_sel:[0,0,1] op_sel_hi:[0,0,1]
	v_cndmask_b32_e32 v15, 0x7f800000, v23, vcc_lo
	v_cmp_le_i32_e32 vcc_lo, s0, v2
	s_delay_alu instid0(VALU_DEP_2)
	v_fma_mixhi_f16 v4, -v8, v15, v9 op_sel:[0,0,1] op_sel_hi:[0,0,1]
	s_or_b32 s2, vcc_lo, s2
	global_store_b128 v[13:14], v[4:7], off
	s_and_not1_b32 exec_lo, exec_lo, s2
	s_cbranch_execnz .LBB275_88
.LBB275_89:
	s_or_b32 exec_lo, exec_lo, s1
	v_add_nc_u32_e32 v0, s0, v0
	s_mov_b32 s0, exec_lo
	s_delay_alu instid0(VALU_DEP_1)
	v_cmpx_gt_i32_e64 s10, v0
	s_cbranch_execz .LBB275_93
; %bb.90:
	s_mov_b32 s1, 0
	s_mov_b32 s2, 0x3fb8aa3b
	;; [unrolled: 1-line block ×3, first 2 shown]
	s_set_inst_prefetch_distance 0x1
	.p2align	6
.LBB275_91:                             ; =>This Inner Loop Header: Depth=1
	v_ashrrev_i32_e32 v1, 31, v0
	s_delay_alu instid0(VALU_DEP_1) | instskip(SKIP_1) | instid1(VALU_DEP_2)
	v_lshlrev_b64 v[1:2], 1, v[0:1]
	v_add_nc_u32_e32 v0, v0, v3
	v_add_co_u32 v4, vcc_lo, s18, v1
	s_delay_alu instid0(VALU_DEP_3) | instskip(SKIP_4) | instid1(VALU_DEP_1)
	v_add_co_ci_u32_e32 v5, vcc_lo, s19, v2, vcc_lo
	global_load_u16 v6, v[4:5], off
	v_add_co_u32 v4, vcc_lo, s12, v1
	v_add_co_ci_u32_e32 v5, vcc_lo, s13, v2, vcc_lo
	v_add_co_u32 v1, s0, s16, v1
	v_add_co_ci_u32_e64 v2, s0, s17, v2, s0
	global_load_u16 v4, v[4:5], off
	s_waitcnt vmcnt(1)
	v_cvt_f32_f16_e32 v5, v6
	s_delay_alu instid0(VALU_DEP_1) | instskip(SKIP_1) | instid1(VALU_DEP_1)
	v_cmp_ngt_f32_e32 vcc_lo, 0xc2ce8ed0, v5
	v_mul_f32_e32 v7, 0x3fb8aa3b, v5
	v_fma_mix_f32 v9, v6, s2, -v7 op_sel_hi:[1,0,0]
	v_rndne_f32_e32 v10, v7
	s_delay_alu instid0(VALU_DEP_2) | instskip(NEXT) | instid1(VALU_DEP_2)
	v_fma_mix_f32 v6, v6, s3, v9 op_sel_hi:[1,0,0]
	v_sub_f32_e32 v7, v7, v10
	s_delay_alu instid0(VALU_DEP_1) | instskip(SKIP_1) | instid1(VALU_DEP_2)
	v_add_f32_e32 v6, v7, v6
	v_cvt_i32_f32_e32 v7, v10
	v_exp_f32_e32 v6, v6
	s_waitcnt_depctr 0xfff
	v_ldexp_f32 v6, v6, v7
	s_delay_alu instid0(VALU_DEP_1) | instskip(SKIP_1) | instid1(VALU_DEP_2)
	v_cndmask_b32_e32 v6, 0, v6, vcc_lo
	v_cmp_nlt_f32_e32 vcc_lo, 0x42b17218, v5
	v_cndmask_b32_e32 v5, 0x7f800000, v6, vcc_lo
	v_cmp_le_i32_e32 vcc_lo, s10, v0
	s_waitcnt vmcnt(0)
	s_delay_alu instid0(VALU_DEP_2)
	v_fma_mixlo_f16 v4, -v8, v5, v4 op_sel_hi:[0,0,1]
	s_or_b32 s1, vcc_lo, s1
	global_store_b16 v[1:2], v4, off
	s_and_not1_b32 exec_lo, exec_lo, s1
	s_cbranch_execnz .LBB275_91
	s_branch .LBB275_93
.LBB275_92:
	s_cbranch_execz .LBB275_66
.LBB275_93:
	s_set_inst_prefetch_distance 0x2
	s_nop 0
	s_sendmsg sendmsg(MSG_DEALLOC_VGPRS)
	s_endpgm
.LBB275_94:
                                        ; implicit-def: $vgpr2_vgpr3
	s_branch .LBB275_73
	.section	.rodata,"a",@progbits
	.p2align	6, 0x0
	.amdhsa_kernel _ZN2at6native12_GLOBAL__N_120cunn_SoftMaxBackwardILi8EN3c104HalfEfS4_NS1_26LogSoftMaxBackwardEpilogueEEEvPT0_PKT2_SA_l
		.amdhsa_group_segment_fixed_size 0
		.amdhsa_private_segment_fixed_size 0
		.amdhsa_kernarg_size 288
		.amdhsa_user_sgpr_count 15
		.amdhsa_user_sgpr_dispatch_ptr 0
		.amdhsa_user_sgpr_queue_ptr 0
		.amdhsa_user_sgpr_kernarg_segment_ptr 1
		.amdhsa_user_sgpr_dispatch_id 0
		.amdhsa_user_sgpr_private_segment_size 0
		.amdhsa_wavefront_size32 1
		.amdhsa_uses_dynamic_stack 0
		.amdhsa_enable_private_segment 0
		.amdhsa_system_sgpr_workgroup_id_x 1
		.amdhsa_system_sgpr_workgroup_id_y 0
		.amdhsa_system_sgpr_workgroup_id_z 0
		.amdhsa_system_sgpr_workgroup_info 0
		.amdhsa_system_vgpr_workitem_id 0
		.amdhsa_next_free_vgpr 67
		.amdhsa_next_free_sgpr 41
		.amdhsa_reserve_vcc 1
		.amdhsa_float_round_mode_32 0
		.amdhsa_float_round_mode_16_64 0
		.amdhsa_float_denorm_mode_32 3
		.amdhsa_float_denorm_mode_16_64 3
		.amdhsa_dx10_clamp 1
		.amdhsa_ieee_mode 1
		.amdhsa_fp16_overflow 0
		.amdhsa_workgroup_processor_mode 1
		.amdhsa_memory_ordered 1
		.amdhsa_forward_progress 0
		.amdhsa_shared_vgpr_count 0
		.amdhsa_exception_fp_ieee_invalid_op 0
		.amdhsa_exception_fp_denorm_src 0
		.amdhsa_exception_fp_ieee_div_zero 0
		.amdhsa_exception_fp_ieee_overflow 0
		.amdhsa_exception_fp_ieee_underflow 0
		.amdhsa_exception_fp_ieee_inexact 0
		.amdhsa_exception_int_div_zero 0
	.end_amdhsa_kernel
	.section	.text._ZN2at6native12_GLOBAL__N_120cunn_SoftMaxBackwardILi8EN3c104HalfEfS4_NS1_26LogSoftMaxBackwardEpilogueEEEvPT0_PKT2_SA_l,"axG",@progbits,_ZN2at6native12_GLOBAL__N_120cunn_SoftMaxBackwardILi8EN3c104HalfEfS4_NS1_26LogSoftMaxBackwardEpilogueEEEvPT0_PKT2_SA_l,comdat
.Lfunc_end275:
	.size	_ZN2at6native12_GLOBAL__N_120cunn_SoftMaxBackwardILi8EN3c104HalfEfS4_NS1_26LogSoftMaxBackwardEpilogueEEEvPT0_PKT2_SA_l, .Lfunc_end275-_ZN2at6native12_GLOBAL__N_120cunn_SoftMaxBackwardILi8EN3c104HalfEfS4_NS1_26LogSoftMaxBackwardEpilogueEEEvPT0_PKT2_SA_l
                                        ; -- End function
	.section	.AMDGPU.csdata,"",@progbits
; Kernel info:
; codeLenInByte = 11436
; NumSgprs: 43
; NumVgprs: 67
; ScratchSize: 0
; MemoryBound: 0
; FloatMode: 240
; IeeeMode: 1
; LDSByteSize: 0 bytes/workgroup (compile time only)
; SGPRBlocks: 5
; VGPRBlocks: 8
; NumSGPRsForWavesPerEU: 43
; NumVGPRsForWavesPerEU: 67
; Occupancy: 16
; WaveLimiterHint : 0
; COMPUTE_PGM_RSRC2:SCRATCH_EN: 0
; COMPUTE_PGM_RSRC2:USER_SGPR: 15
; COMPUTE_PGM_RSRC2:TRAP_HANDLER: 0
; COMPUTE_PGM_RSRC2:TGID_X_EN: 1
; COMPUTE_PGM_RSRC2:TGID_Y_EN: 0
; COMPUTE_PGM_RSRC2:TGID_Z_EN: 0
; COMPUTE_PGM_RSRC2:TIDIG_COMP_CNT: 0
	.section	.text._ZN12_GLOBAL__N_121softmax_warp_backwardIfN3c104HalfEfLi0ELb1ELb0ELi64EEEvPT0_PKT_S7_iiiPKb,"axG",@progbits,_ZN12_GLOBAL__N_121softmax_warp_backwardIfN3c104HalfEfLi0ELb1ELb0ELi64EEEvPT0_PKT_S7_iiiPKb,comdat
	.globl	_ZN12_GLOBAL__N_121softmax_warp_backwardIfN3c104HalfEfLi0ELb1ELb0ELi64EEEvPT0_PKT_S7_iiiPKb ; -- Begin function _ZN12_GLOBAL__N_121softmax_warp_backwardIfN3c104HalfEfLi0ELb1ELb0ELi64EEEvPT0_PKT_S7_iiiPKb
	.p2align	8
	.type	_ZN12_GLOBAL__N_121softmax_warp_backwardIfN3c104HalfEfLi0ELb1ELb0ELi64EEEvPT0_PKT_S7_iiiPKb,@function
_ZN12_GLOBAL__N_121softmax_warp_backwardIfN3c104HalfEfLi0ELb1ELb0ELi64EEEvPT0_PKT_S7_iiiPKb: ; @_ZN12_GLOBAL__N_121softmax_warp_backwardIfN3c104HalfEfLi0ELb1ELb0ELi64EEEvPT0_PKT_S7_iiiPKb
; %bb.0:
	s_clause 0x1
	s_load_b32 s2, s[0:1], 0x3c
	s_load_b128 s[4:7], s[0:1], 0x18
	v_bfe_u32 v0, v0, 10, 10
	s_load_b128 s[8:11], s[0:1], 0x0
	v_dual_mov_b32 v6, 0 :: v_dual_mov_b32 v9, 0
	v_mov_b32_e32 v8, 0
	s_waitcnt lgkmcnt(0)
	s_lshr_b32 s2, s2, 16
	s_cmp_gt_i32 s6, 0
	s_mul_i32 s15, s15, s2
	s_load_b64 s[2:3], s[0:1], 0x10
	v_add_lshl_u32 v2, s15, v0, 1
	s_cselect_b32 s1, -1, 0
	s_delay_alu instid0(VALU_DEP_1) | instskip(SKIP_1) | instid1(VALU_DEP_1)
	v_mul_lo_u32 v0, v2, s5
	v_sub_nc_u32_e32 v7, s4, v2
	v_cmp_lt_i32_e32 vcc_lo, 0, v7
	s_delay_alu instid0(VALU_DEP_3) | instskip(NEXT) | instid1(VALU_DEP_1)
	v_ashrrev_i32_e32 v1, 31, v0
	v_lshlrev_b64 v[2:3], 2, v[0:1]
	s_delay_alu instid0(VALU_DEP_1) | instskip(NEXT) | instid1(VALU_DEP_1)
	v_add_co_u32 v4, s0, s10, v2
	v_add_co_ci_u32_e64 v5, s0, s11, v3, s0
	s_waitcnt lgkmcnt(0)
	v_add_co_u32 v2, s0, s2, v2
	s_delay_alu instid0(VALU_DEP_1) | instskip(SKIP_1) | instid1(SALU_CYCLE_1)
	v_add_co_ci_u32_e64 v3, s0, s3, v3, s0
	s_and_b32 s2, s1, vcc_lo
	s_and_saveexec_b32 s0, s2
	s_cbranch_execz .LBB276_2
; %bb.1:
	global_load_b32 v8, v[4:5], off
	global_load_b32 v9, v[2:3], off
.LBB276_2:
	s_or_b32 exec_lo, exec_lo, s0
	v_cmp_lt_i32_e64 s0, 1, v7
	v_mov_b32_e32 v10, 0
	s_mov_b32 s7, 0
	s_delay_alu instid0(VALU_DEP_2) | instskip(NEXT) | instid1(SALU_CYCLE_1)
	s_and_b32 s0, s1, s0
	s_and_saveexec_b32 s2, s0
	s_cbranch_execz .LBB276_4
; %bb.3:
	s_lshl_b64 s[4:5], s[6:7], 2
	s_delay_alu instid0(SALU_CYCLE_1) | instskip(NEXT) | instid1(VALU_DEP_1)
	v_add_co_u32 v4, s0, v4, s4
	v_add_co_ci_u32_e64 v5, s0, s5, v5, s0
	v_add_co_u32 v2, s0, v2, s4
	s_delay_alu instid0(VALU_DEP_1)
	v_add_co_ci_u32_e64 v3, s0, s5, v3, s0
	global_load_b32 v6, v[4:5], off
	global_load_b32 v10, v[2:3], off
.LBB276_4:
	s_or_b32 exec_lo, exec_lo, s2
	s_and_saveexec_b32 s0, vcc_lo
	s_cbranch_execz .LBB276_10
; %bb.5:
	v_lshlrev_b64 v[0:1], 1, v[0:1]
	v_cndmask_b32_e64 v2, 0, 1, s1
	s_delay_alu instid0(VALU_DEP_2) | instskip(NEXT) | instid1(VALU_DEP_3)
	v_add_co_u32 v0, vcc_lo, s8, v0
	v_add_co_ci_u32_e32 v1, vcc_lo, s9, v1, vcc_lo
	s_and_not1_b32 vcc_lo, exec_lo, s1
	s_cbranch_vccnz .LBB276_7
; %bb.6:
	s_waitcnt vmcnt(0)
	v_mul_f32_e32 v3, 0x3fb8aa3b, v9
	v_cmp_ngt_f32_e32 vcc_lo, 0xc2ce8ed0, v9
	s_delay_alu instid0(VALU_DEP_2) | instskip(SKIP_1) | instid1(VALU_DEP_2)
	v_rndne_f32_e32 v4, v3
	v_fma_f32 v5, 0x3fb8aa3b, v9, -v3
	v_sub_f32_e32 v3, v3, v4
	s_delay_alu instid0(VALU_DEP_2) | instskip(SKIP_1) | instid1(VALU_DEP_2)
	v_fmamk_f32 v5, v9, 0x32a5705f, v5
	v_cvt_i32_f32_e32 v4, v4
	v_add_f32_e32 v3, v3, v5
	s_delay_alu instid0(VALU_DEP_1) | instskip(SKIP_2) | instid1(VALU_DEP_1)
	v_exp_f32_e32 v3, v3
	s_waitcnt_depctr 0xfff
	v_ldexp_f32 v3, v3, v4
	v_dual_add_f32 v4, 0, v8 :: v_dual_cndmask_b32 v3, 0, v3
	v_cmp_nlt_f32_e32 vcc_lo, 0x42b17218, v9
	s_delay_alu instid0(VALU_DEP_2) | instskip(NEXT) | instid1(VALU_DEP_1)
	v_cndmask_b32_e32 v3, 0x7f800000, v3, vcc_lo
	v_fma_mixlo_f16 v3, -v4, v3, v8
	global_store_b16 v[0:1], v3, off
.LBB276_7:
	v_cmp_ne_u32_e32 vcc_lo, 1, v7
	s_and_b32 exec_lo, exec_lo, vcc_lo
	s_cbranch_execz .LBB276_10
; %bb.8:
	v_cmp_ne_u32_e32 vcc_lo, 1, v2
	s_cbranch_vccnz .LBB276_10
; %bb.9:
	s_waitcnt vmcnt(0)
	v_mul_f32_e32 v2, 0x3fb8aa3b, v10
	v_cmp_ngt_f32_e32 vcc_lo, 0xc2ce8ed0, v10
	s_lshl_b64 s[0:1], s[6:7], 1
	s_delay_alu instid0(VALU_DEP_2) | instskip(SKIP_1) | instid1(VALU_DEP_2)
	v_rndne_f32_e32 v3, v2
	v_fma_f32 v4, 0x3fb8aa3b, v10, -v2
	v_sub_f32_e32 v2, v2, v3
	s_delay_alu instid0(VALU_DEP_2) | instskip(SKIP_1) | instid1(VALU_DEP_2)
	v_fmamk_f32 v4, v10, 0x32a5705f, v4
	v_cvt_i32_f32_e32 v3, v3
	v_add_f32_e32 v2, v2, v4
	s_delay_alu instid0(VALU_DEP_1) | instskip(SKIP_3) | instid1(VALU_DEP_2)
	v_exp_f32_e32 v2, v2
	s_waitcnt_depctr 0xfff
	v_ldexp_f32 v2, v2, v3
	v_add_f32_e32 v3, 0, v6
	v_cndmask_b32_e32 v2, 0, v2, vcc_lo
	v_cmp_nlt_f32_e32 vcc_lo, 0x42b17218, v10
	s_delay_alu instid0(VALU_DEP_2) | instskip(SKIP_2) | instid1(VALU_DEP_3)
	v_cndmask_b32_e32 v2, 0x7f800000, v2, vcc_lo
	v_add_co_u32 v0, vcc_lo, v0, s0
	v_add_co_ci_u32_e32 v1, vcc_lo, s1, v1, vcc_lo
	v_fma_mixlo_f16 v2, -v3, v2, v6
	global_store_b16 v[0:1], v2, off
.LBB276_10:
	s_nop 0
	s_sendmsg sendmsg(MSG_DEALLOC_VGPRS)
	s_endpgm
	.section	.rodata,"a",@progbits
	.p2align	6, 0x0
	.amdhsa_kernel _ZN12_GLOBAL__N_121softmax_warp_backwardIfN3c104HalfEfLi0ELb1ELb0ELi64EEEvPT0_PKT_S7_iiiPKb
		.amdhsa_group_segment_fixed_size 0
		.amdhsa_private_segment_fixed_size 0
		.amdhsa_kernarg_size 304
		.amdhsa_user_sgpr_count 15
		.amdhsa_user_sgpr_dispatch_ptr 0
		.amdhsa_user_sgpr_queue_ptr 0
		.amdhsa_user_sgpr_kernarg_segment_ptr 1
		.amdhsa_user_sgpr_dispatch_id 0
		.amdhsa_user_sgpr_private_segment_size 0
		.amdhsa_wavefront_size32 1
		.amdhsa_uses_dynamic_stack 0
		.amdhsa_enable_private_segment 0
		.amdhsa_system_sgpr_workgroup_id_x 1
		.amdhsa_system_sgpr_workgroup_id_y 0
		.amdhsa_system_sgpr_workgroup_id_z 0
		.amdhsa_system_sgpr_workgroup_info 0
		.amdhsa_system_vgpr_workitem_id 1
		.amdhsa_next_free_vgpr 11
		.amdhsa_next_free_sgpr 16
		.amdhsa_reserve_vcc 1
		.amdhsa_float_round_mode_32 0
		.amdhsa_float_round_mode_16_64 0
		.amdhsa_float_denorm_mode_32 3
		.amdhsa_float_denorm_mode_16_64 3
		.amdhsa_dx10_clamp 1
		.amdhsa_ieee_mode 1
		.amdhsa_fp16_overflow 0
		.amdhsa_workgroup_processor_mode 1
		.amdhsa_memory_ordered 1
		.amdhsa_forward_progress 0
		.amdhsa_shared_vgpr_count 0
		.amdhsa_exception_fp_ieee_invalid_op 0
		.amdhsa_exception_fp_denorm_src 0
		.amdhsa_exception_fp_ieee_div_zero 0
		.amdhsa_exception_fp_ieee_overflow 0
		.amdhsa_exception_fp_ieee_underflow 0
		.amdhsa_exception_fp_ieee_inexact 0
		.amdhsa_exception_int_div_zero 0
	.end_amdhsa_kernel
	.section	.text._ZN12_GLOBAL__N_121softmax_warp_backwardIfN3c104HalfEfLi0ELb1ELb0ELi64EEEvPT0_PKT_S7_iiiPKb,"axG",@progbits,_ZN12_GLOBAL__N_121softmax_warp_backwardIfN3c104HalfEfLi0ELb1ELb0ELi64EEEvPT0_PKT_S7_iiiPKb,comdat
.Lfunc_end276:
	.size	_ZN12_GLOBAL__N_121softmax_warp_backwardIfN3c104HalfEfLi0ELb1ELb0ELi64EEEvPT0_PKT_S7_iiiPKb, .Lfunc_end276-_ZN12_GLOBAL__N_121softmax_warp_backwardIfN3c104HalfEfLi0ELb1ELb0ELi64EEEvPT0_PKT_S7_iiiPKb
                                        ; -- End function
	.section	.AMDGPU.csdata,"",@progbits
; Kernel info:
; codeLenInByte = 644
; NumSgprs: 18
; NumVgprs: 11
; ScratchSize: 0
; MemoryBound: 0
; FloatMode: 240
; IeeeMode: 1
; LDSByteSize: 0 bytes/workgroup (compile time only)
; SGPRBlocks: 2
; VGPRBlocks: 1
; NumSGPRsForWavesPerEU: 18
; NumVGPRsForWavesPerEU: 11
; Occupancy: 16
; WaveLimiterHint : 0
; COMPUTE_PGM_RSRC2:SCRATCH_EN: 0
; COMPUTE_PGM_RSRC2:USER_SGPR: 15
; COMPUTE_PGM_RSRC2:TRAP_HANDLER: 0
; COMPUTE_PGM_RSRC2:TGID_X_EN: 1
; COMPUTE_PGM_RSRC2:TGID_Y_EN: 0
; COMPUTE_PGM_RSRC2:TGID_Z_EN: 0
; COMPUTE_PGM_RSRC2:TIDIG_COMP_CNT: 1
	.section	.text._ZN12_GLOBAL__N_121softmax_warp_backwardIfN3c104HalfEfLi0ELb1ELb0ELi32EEEvPT0_PKT_S7_iiiPKb,"axG",@progbits,_ZN12_GLOBAL__N_121softmax_warp_backwardIfN3c104HalfEfLi0ELb1ELb0ELi32EEEvPT0_PKT_S7_iiiPKb,comdat
	.globl	_ZN12_GLOBAL__N_121softmax_warp_backwardIfN3c104HalfEfLi0ELb1ELb0ELi32EEEvPT0_PKT_S7_iiiPKb ; -- Begin function _ZN12_GLOBAL__N_121softmax_warp_backwardIfN3c104HalfEfLi0ELb1ELb0ELi32EEEvPT0_PKT_S7_iiiPKb
	.p2align	8
	.type	_ZN12_GLOBAL__N_121softmax_warp_backwardIfN3c104HalfEfLi0ELb1ELb0ELi32EEEvPT0_PKT_S7_iiiPKb,@function
_ZN12_GLOBAL__N_121softmax_warp_backwardIfN3c104HalfEfLi0ELb1ELb0ELi32EEEvPT0_PKT_S7_iiiPKb: ; @_ZN12_GLOBAL__N_121softmax_warp_backwardIfN3c104HalfEfLi0ELb1ELb0ELi32EEEvPT0_PKT_S7_iiiPKb
; %bb.0:
	s_clause 0x1
	s_load_b32 s2, s[0:1], 0x3c
	s_load_b128 s[4:7], s[0:1], 0x18
	v_bfe_u32 v0, v0, 10, 10
	s_load_b128 s[8:11], s[0:1], 0x0
	v_dual_mov_b32 v6, 0 :: v_dual_mov_b32 v9, 0
	v_mov_b32_e32 v8, 0
	s_waitcnt lgkmcnt(0)
	s_lshr_b32 s2, s2, 16
	s_cmp_gt_i32 s6, 0
	s_mul_i32 s15, s15, s2
	s_load_b64 s[2:3], s[0:1], 0x10
	v_add_lshl_u32 v2, s15, v0, 1
	s_cselect_b32 s1, -1, 0
	s_delay_alu instid0(VALU_DEP_1) | instskip(SKIP_1) | instid1(VALU_DEP_1)
	v_mul_lo_u32 v0, v2, s5
	v_sub_nc_u32_e32 v7, s4, v2
	v_cmp_lt_i32_e32 vcc_lo, 0, v7
	s_delay_alu instid0(VALU_DEP_3) | instskip(NEXT) | instid1(VALU_DEP_1)
	v_ashrrev_i32_e32 v1, 31, v0
	v_lshlrev_b64 v[2:3], 2, v[0:1]
	s_delay_alu instid0(VALU_DEP_1) | instskip(NEXT) | instid1(VALU_DEP_1)
	v_add_co_u32 v4, s0, s10, v2
	v_add_co_ci_u32_e64 v5, s0, s11, v3, s0
	s_waitcnt lgkmcnt(0)
	v_add_co_u32 v2, s0, s2, v2
	s_delay_alu instid0(VALU_DEP_1) | instskip(SKIP_1) | instid1(SALU_CYCLE_1)
	v_add_co_ci_u32_e64 v3, s0, s3, v3, s0
	s_and_b32 s2, s1, vcc_lo
	s_and_saveexec_b32 s0, s2
	s_cbranch_execz .LBB277_2
; %bb.1:
	global_load_b32 v8, v[4:5], off
	global_load_b32 v9, v[2:3], off
.LBB277_2:
	s_or_b32 exec_lo, exec_lo, s0
	v_cmp_lt_i32_e64 s0, 1, v7
	v_mov_b32_e32 v10, 0
	s_mov_b32 s7, 0
	s_delay_alu instid0(VALU_DEP_2) | instskip(NEXT) | instid1(SALU_CYCLE_1)
	s_and_b32 s0, s1, s0
	s_and_saveexec_b32 s2, s0
	s_cbranch_execz .LBB277_4
; %bb.3:
	s_lshl_b64 s[4:5], s[6:7], 2
	s_delay_alu instid0(SALU_CYCLE_1) | instskip(NEXT) | instid1(VALU_DEP_1)
	v_add_co_u32 v4, s0, v4, s4
	v_add_co_ci_u32_e64 v5, s0, s5, v5, s0
	v_add_co_u32 v2, s0, v2, s4
	s_delay_alu instid0(VALU_DEP_1)
	v_add_co_ci_u32_e64 v3, s0, s5, v3, s0
	global_load_b32 v6, v[4:5], off
	global_load_b32 v10, v[2:3], off
.LBB277_4:
	s_or_b32 exec_lo, exec_lo, s2
	s_and_saveexec_b32 s0, vcc_lo
	s_cbranch_execz .LBB277_10
; %bb.5:
	v_lshlrev_b64 v[0:1], 1, v[0:1]
	v_cndmask_b32_e64 v2, 0, 1, s1
	s_delay_alu instid0(VALU_DEP_2) | instskip(NEXT) | instid1(VALU_DEP_3)
	v_add_co_u32 v0, vcc_lo, s8, v0
	v_add_co_ci_u32_e32 v1, vcc_lo, s9, v1, vcc_lo
	s_and_not1_b32 vcc_lo, exec_lo, s1
	s_cbranch_vccnz .LBB277_7
; %bb.6:
	s_waitcnt vmcnt(0)
	v_mul_f32_e32 v3, 0x3fb8aa3b, v9
	v_cmp_ngt_f32_e32 vcc_lo, 0xc2ce8ed0, v9
	s_delay_alu instid0(VALU_DEP_2) | instskip(SKIP_1) | instid1(VALU_DEP_2)
	v_rndne_f32_e32 v4, v3
	v_fma_f32 v5, 0x3fb8aa3b, v9, -v3
	v_sub_f32_e32 v3, v3, v4
	s_delay_alu instid0(VALU_DEP_2) | instskip(SKIP_1) | instid1(VALU_DEP_2)
	v_fmamk_f32 v5, v9, 0x32a5705f, v5
	v_cvt_i32_f32_e32 v4, v4
	v_add_f32_e32 v3, v3, v5
	s_delay_alu instid0(VALU_DEP_1) | instskip(SKIP_2) | instid1(VALU_DEP_1)
	v_exp_f32_e32 v3, v3
	s_waitcnt_depctr 0xfff
	v_ldexp_f32 v3, v3, v4
	v_dual_add_f32 v4, 0, v8 :: v_dual_cndmask_b32 v3, 0, v3
	v_cmp_nlt_f32_e32 vcc_lo, 0x42b17218, v9
	s_delay_alu instid0(VALU_DEP_2) | instskip(NEXT) | instid1(VALU_DEP_1)
	v_cndmask_b32_e32 v3, 0x7f800000, v3, vcc_lo
	v_fma_mixlo_f16 v3, -v4, v3, v8
	global_store_b16 v[0:1], v3, off
.LBB277_7:
	v_cmp_ne_u32_e32 vcc_lo, 1, v7
	s_and_b32 exec_lo, exec_lo, vcc_lo
	s_cbranch_execz .LBB277_10
; %bb.8:
	v_cmp_ne_u32_e32 vcc_lo, 1, v2
	s_cbranch_vccnz .LBB277_10
; %bb.9:
	s_waitcnt vmcnt(0)
	v_mul_f32_e32 v2, 0x3fb8aa3b, v10
	v_cmp_ngt_f32_e32 vcc_lo, 0xc2ce8ed0, v10
	s_lshl_b64 s[0:1], s[6:7], 1
	s_delay_alu instid0(VALU_DEP_2) | instskip(SKIP_1) | instid1(VALU_DEP_2)
	v_rndne_f32_e32 v3, v2
	v_fma_f32 v4, 0x3fb8aa3b, v10, -v2
	v_sub_f32_e32 v2, v2, v3
	s_delay_alu instid0(VALU_DEP_2) | instskip(SKIP_1) | instid1(VALU_DEP_2)
	v_fmamk_f32 v4, v10, 0x32a5705f, v4
	v_cvt_i32_f32_e32 v3, v3
	v_add_f32_e32 v2, v2, v4
	s_delay_alu instid0(VALU_DEP_1) | instskip(SKIP_3) | instid1(VALU_DEP_2)
	v_exp_f32_e32 v2, v2
	s_waitcnt_depctr 0xfff
	v_ldexp_f32 v2, v2, v3
	v_add_f32_e32 v3, 0, v6
	v_cndmask_b32_e32 v2, 0, v2, vcc_lo
	v_cmp_nlt_f32_e32 vcc_lo, 0x42b17218, v10
	s_delay_alu instid0(VALU_DEP_2) | instskip(SKIP_2) | instid1(VALU_DEP_3)
	v_cndmask_b32_e32 v2, 0x7f800000, v2, vcc_lo
	v_add_co_u32 v0, vcc_lo, v0, s0
	v_add_co_ci_u32_e32 v1, vcc_lo, s1, v1, vcc_lo
	v_fma_mixlo_f16 v2, -v3, v2, v6
	global_store_b16 v[0:1], v2, off
.LBB277_10:
	s_nop 0
	s_sendmsg sendmsg(MSG_DEALLOC_VGPRS)
	s_endpgm
	.section	.rodata,"a",@progbits
	.p2align	6, 0x0
	.amdhsa_kernel _ZN12_GLOBAL__N_121softmax_warp_backwardIfN3c104HalfEfLi0ELb1ELb0ELi32EEEvPT0_PKT_S7_iiiPKb
		.amdhsa_group_segment_fixed_size 0
		.amdhsa_private_segment_fixed_size 0
		.amdhsa_kernarg_size 304
		.amdhsa_user_sgpr_count 15
		.amdhsa_user_sgpr_dispatch_ptr 0
		.amdhsa_user_sgpr_queue_ptr 0
		.amdhsa_user_sgpr_kernarg_segment_ptr 1
		.amdhsa_user_sgpr_dispatch_id 0
		.amdhsa_user_sgpr_private_segment_size 0
		.amdhsa_wavefront_size32 1
		.amdhsa_uses_dynamic_stack 0
		.amdhsa_enable_private_segment 0
		.amdhsa_system_sgpr_workgroup_id_x 1
		.amdhsa_system_sgpr_workgroup_id_y 0
		.amdhsa_system_sgpr_workgroup_id_z 0
		.amdhsa_system_sgpr_workgroup_info 0
		.amdhsa_system_vgpr_workitem_id 1
		.amdhsa_next_free_vgpr 11
		.amdhsa_next_free_sgpr 16
		.amdhsa_reserve_vcc 1
		.amdhsa_float_round_mode_32 0
		.amdhsa_float_round_mode_16_64 0
		.amdhsa_float_denorm_mode_32 3
		.amdhsa_float_denorm_mode_16_64 3
		.amdhsa_dx10_clamp 1
		.amdhsa_ieee_mode 1
		.amdhsa_fp16_overflow 0
		.amdhsa_workgroup_processor_mode 1
		.amdhsa_memory_ordered 1
		.amdhsa_forward_progress 0
		.amdhsa_shared_vgpr_count 0
		.amdhsa_exception_fp_ieee_invalid_op 0
		.amdhsa_exception_fp_denorm_src 0
		.amdhsa_exception_fp_ieee_div_zero 0
		.amdhsa_exception_fp_ieee_overflow 0
		.amdhsa_exception_fp_ieee_underflow 0
		.amdhsa_exception_fp_ieee_inexact 0
		.amdhsa_exception_int_div_zero 0
	.end_amdhsa_kernel
	.section	.text._ZN12_GLOBAL__N_121softmax_warp_backwardIfN3c104HalfEfLi0ELb1ELb0ELi32EEEvPT0_PKT_S7_iiiPKb,"axG",@progbits,_ZN12_GLOBAL__N_121softmax_warp_backwardIfN3c104HalfEfLi0ELb1ELb0ELi32EEEvPT0_PKT_S7_iiiPKb,comdat
.Lfunc_end277:
	.size	_ZN12_GLOBAL__N_121softmax_warp_backwardIfN3c104HalfEfLi0ELb1ELb0ELi32EEEvPT0_PKT_S7_iiiPKb, .Lfunc_end277-_ZN12_GLOBAL__N_121softmax_warp_backwardIfN3c104HalfEfLi0ELb1ELb0ELi32EEEvPT0_PKT_S7_iiiPKb
                                        ; -- End function
	.section	.AMDGPU.csdata,"",@progbits
; Kernel info:
; codeLenInByte = 644
; NumSgprs: 18
; NumVgprs: 11
; ScratchSize: 0
; MemoryBound: 0
; FloatMode: 240
; IeeeMode: 1
; LDSByteSize: 0 bytes/workgroup (compile time only)
; SGPRBlocks: 2
; VGPRBlocks: 1
; NumSGPRsForWavesPerEU: 18
; NumVGPRsForWavesPerEU: 11
; Occupancy: 16
; WaveLimiterHint : 0
; COMPUTE_PGM_RSRC2:SCRATCH_EN: 0
; COMPUTE_PGM_RSRC2:USER_SGPR: 15
; COMPUTE_PGM_RSRC2:TRAP_HANDLER: 0
; COMPUTE_PGM_RSRC2:TGID_X_EN: 1
; COMPUTE_PGM_RSRC2:TGID_Y_EN: 0
; COMPUTE_PGM_RSRC2:TGID_Z_EN: 0
; COMPUTE_PGM_RSRC2:TIDIG_COMP_CNT: 1
	.section	.text._ZN12_GLOBAL__N_121softmax_warp_backwardIfN3c104HalfEfLi1ELb1ELb0ELi64EEEvPT0_PKT_S7_iiiPKb,"axG",@progbits,_ZN12_GLOBAL__N_121softmax_warp_backwardIfN3c104HalfEfLi1ELb1ELb0ELi64EEEvPT0_PKT_S7_iiiPKb,comdat
	.globl	_ZN12_GLOBAL__N_121softmax_warp_backwardIfN3c104HalfEfLi1ELb1ELb0ELi64EEEvPT0_PKT_S7_iiiPKb ; -- Begin function _ZN12_GLOBAL__N_121softmax_warp_backwardIfN3c104HalfEfLi1ELb1ELb0ELi64EEEvPT0_PKT_S7_iiiPKb
	.p2align	8
	.type	_ZN12_GLOBAL__N_121softmax_warp_backwardIfN3c104HalfEfLi1ELb1ELb0ELi64EEEvPT0_PKT_S7_iiiPKb,@function
_ZN12_GLOBAL__N_121softmax_warp_backwardIfN3c104HalfEfLi1ELb1ELb0ELi64EEEvPT0_PKT_S7_iiiPKb: ; @_ZN12_GLOBAL__N_121softmax_warp_backwardIfN3c104HalfEfLi1ELb1ELb0ELi64EEEvPT0_PKT_S7_iiiPKb
; %bb.0:
	s_clause 0x1
	s_load_b32 s2, s[0:1], 0x3c
	s_load_b128 s[4:7], s[0:1], 0x18
	v_bfe_u32 v1, v0, 10, 10
	v_and_b32_e32 v4, 1, v0
	v_mov_b32_e32 v6, 0
	v_mov_b32_e32 v8, 0
	;; [unrolled: 1-line block ×3, first 2 shown]
	s_waitcnt lgkmcnt(0)
	s_lshr_b32 s2, s2, 16
	v_cmp_gt_i32_e32 vcc_lo, s6, v4
	s_mul_i32 s15, s15, s2
	s_clause 0x1
	s_load_b128 s[8:11], s[0:1], 0x0
	s_load_b64 s[2:3], s[0:1], 0x10
	v_add_lshl_u32 v2, s15, v1, 1
	s_delay_alu instid0(VALU_DEP_1) | instskip(SKIP_1) | instid1(VALU_DEP_1)
	v_mul_lo_u32 v1, v2, s5
	v_sub_nc_u32_e32 v7, s4, v2
	v_cmp_lt_i32_e64 s0, 0, v7
	s_delay_alu instid0(VALU_DEP_3) | instskip(NEXT) | instid1(VALU_DEP_1)
	v_or_b32_e32 v0, v1, v4
	v_ashrrev_i32_e32 v1, 31, v0
	s_delay_alu instid0(VALU_DEP_1) | instskip(SKIP_1) | instid1(VALU_DEP_1)
	v_lshlrev_b64 v[2:3], 2, v[0:1]
	s_waitcnt lgkmcnt(0)
	v_add_co_u32 v4, s1, s10, v2
	s_delay_alu instid0(VALU_DEP_1) | instskip(SKIP_1) | instid1(VALU_DEP_1)
	v_add_co_ci_u32_e64 v5, s1, s11, v3, s1
	v_add_co_u32 v2, s1, s2, v2
	v_add_co_ci_u32_e64 v3, s1, s3, v3, s1
	s_and_b32 s2, vcc_lo, s0
	s_delay_alu instid0(SALU_CYCLE_1)
	s_and_saveexec_b32 s1, s2
	s_cbranch_execz .LBB278_2
; %bb.1:
	global_load_b32 v8, v[4:5], off
	global_load_b32 v10, v[2:3], off
.LBB278_2:
	s_or_b32 exec_lo, exec_lo, s1
	v_cmp_lt_i32_e64 s1, 1, v7
	v_mov_b32_e32 v9, 0
	s_mov_b32 s7, 0
	s_delay_alu instid0(VALU_DEP_2) | instskip(NEXT) | instid1(SALU_CYCLE_1)
	s_and_b32 s1, vcc_lo, s1
	s_and_saveexec_b32 s2, s1
	s_cbranch_execz .LBB278_4
; %bb.3:
	s_lshl_b64 s[4:5], s[6:7], 2
	s_delay_alu instid0(SALU_CYCLE_1) | instskip(NEXT) | instid1(VALU_DEP_1)
	v_add_co_u32 v4, s1, v4, s4
	v_add_co_ci_u32_e64 v5, s1, s5, v5, s1
	v_add_co_u32 v2, s1, v2, s4
	s_delay_alu instid0(VALU_DEP_1)
	v_add_co_ci_u32_e64 v3, s1, s5, v3, s1
	global_load_b32 v6, v[4:5], off
	global_load_b32 v9, v[2:3], off
.LBB278_4:
	s_or_b32 exec_lo, exec_lo, s2
	v_mbcnt_lo_u32_b32 v2, -1, 0
	s_delay_alu instid0(VALU_DEP_1) | instskip(SKIP_1) | instid1(VALU_DEP_2)
	v_and_b32_e32 v3, 30, v2
	v_xor_b32_e32 v4, 1, v2
	v_add_nc_u32_e32 v3, 2, v3
	s_delay_alu instid0(VALU_DEP_1) | instskip(NEXT) | instid1(VALU_DEP_1)
	v_cmp_lt_i32_e64 s1, v4, v3
	v_cndmask_b32_e64 v2, v2, v4, s1
	s_waitcnt vmcnt(1)
	s_delay_alu instid0(VALU_DEP_1)
	v_dual_add_f32 v4, 0, v8 :: v_dual_lshlrev_b32 v3, 2, v2
	v_add_f32_e32 v2, 0, v6
	ds_bpermute_b32 v5, v3, v4
	ds_bpermute_b32 v3, v3, v2
	s_and_saveexec_b32 s1, s0
	s_cbranch_execz .LBB278_10
; %bb.5:
	v_lshlrev_b64 v[0:1], 1, v[0:1]
	s_delay_alu instid0(VALU_DEP_1) | instskip(NEXT) | instid1(VALU_DEP_1)
	v_add_co_u32 v0, s0, s8, v0
	v_add_co_ci_u32_e64 v1, s0, s9, v1, s0
	s_and_saveexec_b32 s1, vcc_lo
	s_cbranch_execz .LBB278_7
; %bb.6:
	s_waitcnt vmcnt(0) lgkmcnt(1)
	v_dual_mul_f32 v11, 0x3fb8aa3b, v10 :: v_dual_add_f32 v4, v4, v5
	v_cmp_ngt_f32_e64 s0, 0xc2ce8ed0, v10
	s_delay_alu instid0(VALU_DEP_2) | instskip(SKIP_1) | instid1(VALU_DEP_2)
	v_rndne_f32_e32 v12, v11
	v_fma_f32 v13, 0x3fb8aa3b, v10, -v11
	v_sub_f32_e32 v11, v11, v12
	s_delay_alu instid0(VALU_DEP_2) | instskip(SKIP_1) | instid1(VALU_DEP_2)
	v_fmamk_f32 v13, v10, 0x32a5705f, v13
	v_cvt_i32_f32_e32 v12, v12
	v_add_f32_e32 v11, v11, v13
	s_delay_alu instid0(VALU_DEP_1) | instskip(SKIP_2) | instid1(VALU_DEP_1)
	v_exp_f32_e32 v11, v11
	s_waitcnt_depctr 0xfff
	v_ldexp_f32 v11, v11, v12
	v_cndmask_b32_e64 v11, 0, v11, s0
	v_cmp_nlt_f32_e64 s0, 0x42b17218, v10
	s_delay_alu instid0(VALU_DEP_1) | instskip(NEXT) | instid1(VALU_DEP_1)
	v_cndmask_b32_e64 v5, 0x7f800000, v11, s0
	v_fma_mixlo_f16 v4, -v4, v5, v8
	global_store_b16 v[0:1], v4, off
.LBB278_7:
	s_or_b32 exec_lo, exec_lo, s1
	v_cmp_ne_u32_e64 s0, 1, v7
	s_delay_alu instid0(VALU_DEP_1)
	s_and_b32 exec_lo, exec_lo, s0
	s_cbranch_execz .LBB278_10
; %bb.8:
	s_and_b32 exec_lo, exec_lo, vcc_lo
	s_cbranch_execz .LBB278_10
; %bb.9:
	s_waitcnt vmcnt(0)
	v_mul_f32_e32 v4, 0x3fb8aa3b, v9
	v_cmp_ngt_f32_e32 vcc_lo, 0xc2ce8ed0, v9
	s_lshl_b64 s[0:1], s[6:7], 1
	s_waitcnt lgkmcnt(1)
	s_delay_alu instid0(VALU_DEP_2) | instskip(SKIP_1) | instid1(VALU_DEP_1)
	v_rndne_f32_e32 v5, v4
	v_fma_f32 v7, 0x3fb8aa3b, v9, -v4
	v_dual_sub_f32 v4, v4, v5 :: v_dual_fmamk_f32 v7, v9, 0x32a5705f, v7
	v_cvt_i32_f32_e32 v5, v5
	s_delay_alu instid0(VALU_DEP_2) | instskip(NEXT) | instid1(VALU_DEP_1)
	v_add_f32_e32 v4, v4, v7
	v_exp_f32_e32 v4, v4
	s_waitcnt_depctr 0xfff
	v_ldexp_f32 v4, v4, v5
	s_delay_alu instid0(VALU_DEP_1) | instskip(SKIP_2) | instid1(VALU_DEP_2)
	v_cndmask_b32_e32 v4, 0, v4, vcc_lo
	v_cmp_nlt_f32_e32 vcc_lo, 0x42b17218, v9
	s_waitcnt lgkmcnt(0)
	v_dual_add_f32 v2, v2, v3 :: v_dual_cndmask_b32 v3, 0x7f800000, v4
	v_add_co_u32 v0, vcc_lo, v0, s0
	v_add_co_ci_u32_e32 v1, vcc_lo, s1, v1, vcc_lo
	s_delay_alu instid0(VALU_DEP_3)
	v_fma_mixlo_f16 v2, -v2, v3, v6
	global_store_b16 v[0:1], v2, off
.LBB278_10:
	s_nop 0
	s_sendmsg sendmsg(MSG_DEALLOC_VGPRS)
	s_endpgm
	.section	.rodata,"a",@progbits
	.p2align	6, 0x0
	.amdhsa_kernel _ZN12_GLOBAL__N_121softmax_warp_backwardIfN3c104HalfEfLi1ELb1ELb0ELi64EEEvPT0_PKT_S7_iiiPKb
		.amdhsa_group_segment_fixed_size 0
		.amdhsa_private_segment_fixed_size 0
		.amdhsa_kernarg_size 304
		.amdhsa_user_sgpr_count 15
		.amdhsa_user_sgpr_dispatch_ptr 0
		.amdhsa_user_sgpr_queue_ptr 0
		.amdhsa_user_sgpr_kernarg_segment_ptr 1
		.amdhsa_user_sgpr_dispatch_id 0
		.amdhsa_user_sgpr_private_segment_size 0
		.amdhsa_wavefront_size32 1
		.amdhsa_uses_dynamic_stack 0
		.amdhsa_enable_private_segment 0
		.amdhsa_system_sgpr_workgroup_id_x 1
		.amdhsa_system_sgpr_workgroup_id_y 0
		.amdhsa_system_sgpr_workgroup_id_z 0
		.amdhsa_system_sgpr_workgroup_info 0
		.amdhsa_system_vgpr_workitem_id 1
		.amdhsa_next_free_vgpr 14
		.amdhsa_next_free_sgpr 16
		.amdhsa_reserve_vcc 1
		.amdhsa_float_round_mode_32 0
		.amdhsa_float_round_mode_16_64 0
		.amdhsa_float_denorm_mode_32 3
		.amdhsa_float_denorm_mode_16_64 3
		.amdhsa_dx10_clamp 1
		.amdhsa_ieee_mode 1
		.amdhsa_fp16_overflow 0
		.amdhsa_workgroup_processor_mode 1
		.amdhsa_memory_ordered 1
		.amdhsa_forward_progress 0
		.amdhsa_shared_vgpr_count 0
		.amdhsa_exception_fp_ieee_invalid_op 0
		.amdhsa_exception_fp_denorm_src 0
		.amdhsa_exception_fp_ieee_div_zero 0
		.amdhsa_exception_fp_ieee_overflow 0
		.amdhsa_exception_fp_ieee_underflow 0
		.amdhsa_exception_fp_ieee_inexact 0
		.amdhsa_exception_int_div_zero 0
	.end_amdhsa_kernel
	.section	.text._ZN12_GLOBAL__N_121softmax_warp_backwardIfN3c104HalfEfLi1ELb1ELb0ELi64EEEvPT0_PKT_S7_iiiPKb,"axG",@progbits,_ZN12_GLOBAL__N_121softmax_warp_backwardIfN3c104HalfEfLi1ELb1ELb0ELi64EEEvPT0_PKT_S7_iiiPKb,comdat
.Lfunc_end278:
	.size	_ZN12_GLOBAL__N_121softmax_warp_backwardIfN3c104HalfEfLi1ELb1ELb0ELi64EEEvPT0_PKT_S7_iiiPKb, .Lfunc_end278-_ZN12_GLOBAL__N_121softmax_warp_backwardIfN3c104HalfEfLi1ELb1ELb0ELi64EEEvPT0_PKT_S7_iiiPKb
                                        ; -- End function
	.section	.AMDGPU.csdata,"",@progbits
; Kernel info:
; codeLenInByte = 772
; NumSgprs: 18
; NumVgprs: 14
; ScratchSize: 0
; MemoryBound: 0
; FloatMode: 240
; IeeeMode: 1
; LDSByteSize: 0 bytes/workgroup (compile time only)
; SGPRBlocks: 2
; VGPRBlocks: 1
; NumSGPRsForWavesPerEU: 18
; NumVGPRsForWavesPerEU: 14
; Occupancy: 16
; WaveLimiterHint : 0
; COMPUTE_PGM_RSRC2:SCRATCH_EN: 0
; COMPUTE_PGM_RSRC2:USER_SGPR: 15
; COMPUTE_PGM_RSRC2:TRAP_HANDLER: 0
; COMPUTE_PGM_RSRC2:TGID_X_EN: 1
; COMPUTE_PGM_RSRC2:TGID_Y_EN: 0
; COMPUTE_PGM_RSRC2:TGID_Z_EN: 0
; COMPUTE_PGM_RSRC2:TIDIG_COMP_CNT: 1
	.section	.text._ZN12_GLOBAL__N_121softmax_warp_backwardIfN3c104HalfEfLi1ELb1ELb0ELi32EEEvPT0_PKT_S7_iiiPKb,"axG",@progbits,_ZN12_GLOBAL__N_121softmax_warp_backwardIfN3c104HalfEfLi1ELb1ELb0ELi32EEEvPT0_PKT_S7_iiiPKb,comdat
	.globl	_ZN12_GLOBAL__N_121softmax_warp_backwardIfN3c104HalfEfLi1ELb1ELb0ELi32EEEvPT0_PKT_S7_iiiPKb ; -- Begin function _ZN12_GLOBAL__N_121softmax_warp_backwardIfN3c104HalfEfLi1ELb1ELb0ELi32EEEvPT0_PKT_S7_iiiPKb
	.p2align	8
	.type	_ZN12_GLOBAL__N_121softmax_warp_backwardIfN3c104HalfEfLi1ELb1ELb0ELi32EEEvPT0_PKT_S7_iiiPKb,@function
_ZN12_GLOBAL__N_121softmax_warp_backwardIfN3c104HalfEfLi1ELb1ELb0ELi32EEEvPT0_PKT_S7_iiiPKb: ; @_ZN12_GLOBAL__N_121softmax_warp_backwardIfN3c104HalfEfLi1ELb1ELb0ELi32EEEvPT0_PKT_S7_iiiPKb
; %bb.0:
	s_clause 0x1
	s_load_b32 s2, s[0:1], 0x3c
	s_load_b128 s[4:7], s[0:1], 0x18
	v_bfe_u32 v1, v0, 10, 10
	v_and_b32_e32 v4, 1, v0
	v_mov_b32_e32 v6, 0
	v_mov_b32_e32 v8, 0
	;; [unrolled: 1-line block ×3, first 2 shown]
	s_waitcnt lgkmcnt(0)
	s_lshr_b32 s2, s2, 16
	v_cmp_gt_i32_e32 vcc_lo, s6, v4
	s_mul_i32 s15, s15, s2
	s_clause 0x1
	s_load_b128 s[8:11], s[0:1], 0x0
	s_load_b64 s[2:3], s[0:1], 0x10
	v_add_lshl_u32 v2, s15, v1, 1
	s_delay_alu instid0(VALU_DEP_1) | instskip(SKIP_1) | instid1(VALU_DEP_1)
	v_mul_lo_u32 v1, v2, s5
	v_sub_nc_u32_e32 v7, s4, v2
	v_cmp_lt_i32_e64 s0, 0, v7
	s_delay_alu instid0(VALU_DEP_3) | instskip(NEXT) | instid1(VALU_DEP_1)
	v_or_b32_e32 v0, v1, v4
	v_ashrrev_i32_e32 v1, 31, v0
	s_delay_alu instid0(VALU_DEP_1) | instskip(SKIP_1) | instid1(VALU_DEP_1)
	v_lshlrev_b64 v[2:3], 2, v[0:1]
	s_waitcnt lgkmcnt(0)
	v_add_co_u32 v4, s1, s10, v2
	s_delay_alu instid0(VALU_DEP_1) | instskip(SKIP_1) | instid1(VALU_DEP_1)
	v_add_co_ci_u32_e64 v5, s1, s11, v3, s1
	v_add_co_u32 v2, s1, s2, v2
	v_add_co_ci_u32_e64 v3, s1, s3, v3, s1
	s_and_b32 s2, vcc_lo, s0
	s_delay_alu instid0(SALU_CYCLE_1)
	s_and_saveexec_b32 s1, s2
	s_cbranch_execz .LBB279_2
; %bb.1:
	global_load_b32 v8, v[4:5], off
	global_load_b32 v10, v[2:3], off
.LBB279_2:
	s_or_b32 exec_lo, exec_lo, s1
	v_cmp_lt_i32_e64 s1, 1, v7
	v_mov_b32_e32 v9, 0
	s_mov_b32 s7, 0
	s_delay_alu instid0(VALU_DEP_2) | instskip(NEXT) | instid1(SALU_CYCLE_1)
	s_and_b32 s1, vcc_lo, s1
	s_and_saveexec_b32 s2, s1
	s_cbranch_execz .LBB279_4
; %bb.3:
	s_lshl_b64 s[4:5], s[6:7], 2
	s_delay_alu instid0(SALU_CYCLE_1) | instskip(NEXT) | instid1(VALU_DEP_1)
	v_add_co_u32 v4, s1, v4, s4
	v_add_co_ci_u32_e64 v5, s1, s5, v5, s1
	v_add_co_u32 v2, s1, v2, s4
	s_delay_alu instid0(VALU_DEP_1)
	v_add_co_ci_u32_e64 v3, s1, s5, v3, s1
	global_load_b32 v6, v[4:5], off
	global_load_b32 v9, v[2:3], off
.LBB279_4:
	s_or_b32 exec_lo, exec_lo, s2
	v_mbcnt_lo_u32_b32 v2, -1, 0
	s_delay_alu instid0(VALU_DEP_1) | instskip(SKIP_1) | instid1(VALU_DEP_2)
	v_and_b32_e32 v3, 30, v2
	v_xor_b32_e32 v4, 1, v2
	v_add_nc_u32_e32 v3, 2, v3
	s_delay_alu instid0(VALU_DEP_1) | instskip(NEXT) | instid1(VALU_DEP_1)
	v_cmp_lt_i32_e64 s1, v4, v3
	v_cndmask_b32_e64 v2, v2, v4, s1
	s_waitcnt vmcnt(1)
	s_delay_alu instid0(VALU_DEP_1)
	v_dual_add_f32 v4, 0, v8 :: v_dual_lshlrev_b32 v3, 2, v2
	v_add_f32_e32 v2, 0, v6
	ds_bpermute_b32 v5, v3, v4
	ds_bpermute_b32 v3, v3, v2
	s_and_saveexec_b32 s1, s0
	s_cbranch_execz .LBB279_10
; %bb.5:
	v_lshlrev_b64 v[0:1], 1, v[0:1]
	s_delay_alu instid0(VALU_DEP_1) | instskip(NEXT) | instid1(VALU_DEP_1)
	v_add_co_u32 v0, s0, s8, v0
	v_add_co_ci_u32_e64 v1, s0, s9, v1, s0
	s_and_saveexec_b32 s1, vcc_lo
	s_cbranch_execz .LBB279_7
; %bb.6:
	s_waitcnt vmcnt(0) lgkmcnt(1)
	v_dual_mul_f32 v11, 0x3fb8aa3b, v10 :: v_dual_add_f32 v4, v4, v5
	v_cmp_ngt_f32_e64 s0, 0xc2ce8ed0, v10
	s_delay_alu instid0(VALU_DEP_2) | instskip(SKIP_1) | instid1(VALU_DEP_2)
	v_rndne_f32_e32 v12, v11
	v_fma_f32 v13, 0x3fb8aa3b, v10, -v11
	v_sub_f32_e32 v11, v11, v12
	s_delay_alu instid0(VALU_DEP_2) | instskip(SKIP_1) | instid1(VALU_DEP_2)
	v_fmamk_f32 v13, v10, 0x32a5705f, v13
	v_cvt_i32_f32_e32 v12, v12
	v_add_f32_e32 v11, v11, v13
	s_delay_alu instid0(VALU_DEP_1) | instskip(SKIP_2) | instid1(VALU_DEP_1)
	v_exp_f32_e32 v11, v11
	s_waitcnt_depctr 0xfff
	v_ldexp_f32 v11, v11, v12
	v_cndmask_b32_e64 v11, 0, v11, s0
	v_cmp_nlt_f32_e64 s0, 0x42b17218, v10
	s_delay_alu instid0(VALU_DEP_1) | instskip(NEXT) | instid1(VALU_DEP_1)
	v_cndmask_b32_e64 v5, 0x7f800000, v11, s0
	v_fma_mixlo_f16 v4, -v4, v5, v8
	global_store_b16 v[0:1], v4, off
.LBB279_7:
	s_or_b32 exec_lo, exec_lo, s1
	v_cmp_ne_u32_e64 s0, 1, v7
	s_delay_alu instid0(VALU_DEP_1)
	s_and_b32 exec_lo, exec_lo, s0
	s_cbranch_execz .LBB279_10
; %bb.8:
	s_and_b32 exec_lo, exec_lo, vcc_lo
	s_cbranch_execz .LBB279_10
; %bb.9:
	s_waitcnt vmcnt(0)
	v_mul_f32_e32 v4, 0x3fb8aa3b, v9
	v_cmp_ngt_f32_e32 vcc_lo, 0xc2ce8ed0, v9
	s_lshl_b64 s[0:1], s[6:7], 1
	s_waitcnt lgkmcnt(1)
	s_delay_alu instid0(VALU_DEP_2) | instskip(SKIP_1) | instid1(VALU_DEP_1)
	v_rndne_f32_e32 v5, v4
	v_fma_f32 v7, 0x3fb8aa3b, v9, -v4
	v_dual_sub_f32 v4, v4, v5 :: v_dual_fmamk_f32 v7, v9, 0x32a5705f, v7
	v_cvt_i32_f32_e32 v5, v5
	s_delay_alu instid0(VALU_DEP_2) | instskip(NEXT) | instid1(VALU_DEP_1)
	v_add_f32_e32 v4, v4, v7
	v_exp_f32_e32 v4, v4
	s_waitcnt_depctr 0xfff
	v_ldexp_f32 v4, v4, v5
	s_delay_alu instid0(VALU_DEP_1) | instskip(SKIP_2) | instid1(VALU_DEP_2)
	v_cndmask_b32_e32 v4, 0, v4, vcc_lo
	v_cmp_nlt_f32_e32 vcc_lo, 0x42b17218, v9
	s_waitcnt lgkmcnt(0)
	v_dual_add_f32 v2, v2, v3 :: v_dual_cndmask_b32 v3, 0x7f800000, v4
	v_add_co_u32 v0, vcc_lo, v0, s0
	v_add_co_ci_u32_e32 v1, vcc_lo, s1, v1, vcc_lo
	s_delay_alu instid0(VALU_DEP_3)
	v_fma_mixlo_f16 v2, -v2, v3, v6
	global_store_b16 v[0:1], v2, off
.LBB279_10:
	s_nop 0
	s_sendmsg sendmsg(MSG_DEALLOC_VGPRS)
	s_endpgm
	.section	.rodata,"a",@progbits
	.p2align	6, 0x0
	.amdhsa_kernel _ZN12_GLOBAL__N_121softmax_warp_backwardIfN3c104HalfEfLi1ELb1ELb0ELi32EEEvPT0_PKT_S7_iiiPKb
		.amdhsa_group_segment_fixed_size 0
		.amdhsa_private_segment_fixed_size 0
		.amdhsa_kernarg_size 304
		.amdhsa_user_sgpr_count 15
		.amdhsa_user_sgpr_dispatch_ptr 0
		.amdhsa_user_sgpr_queue_ptr 0
		.amdhsa_user_sgpr_kernarg_segment_ptr 1
		.amdhsa_user_sgpr_dispatch_id 0
		.amdhsa_user_sgpr_private_segment_size 0
		.amdhsa_wavefront_size32 1
		.amdhsa_uses_dynamic_stack 0
		.amdhsa_enable_private_segment 0
		.amdhsa_system_sgpr_workgroup_id_x 1
		.amdhsa_system_sgpr_workgroup_id_y 0
		.amdhsa_system_sgpr_workgroup_id_z 0
		.amdhsa_system_sgpr_workgroup_info 0
		.amdhsa_system_vgpr_workitem_id 1
		.amdhsa_next_free_vgpr 14
		.amdhsa_next_free_sgpr 16
		.amdhsa_reserve_vcc 1
		.amdhsa_float_round_mode_32 0
		.amdhsa_float_round_mode_16_64 0
		.amdhsa_float_denorm_mode_32 3
		.amdhsa_float_denorm_mode_16_64 3
		.amdhsa_dx10_clamp 1
		.amdhsa_ieee_mode 1
		.amdhsa_fp16_overflow 0
		.amdhsa_workgroup_processor_mode 1
		.amdhsa_memory_ordered 1
		.amdhsa_forward_progress 0
		.amdhsa_shared_vgpr_count 0
		.amdhsa_exception_fp_ieee_invalid_op 0
		.amdhsa_exception_fp_denorm_src 0
		.amdhsa_exception_fp_ieee_div_zero 0
		.amdhsa_exception_fp_ieee_overflow 0
		.amdhsa_exception_fp_ieee_underflow 0
		.amdhsa_exception_fp_ieee_inexact 0
		.amdhsa_exception_int_div_zero 0
	.end_amdhsa_kernel
	.section	.text._ZN12_GLOBAL__N_121softmax_warp_backwardIfN3c104HalfEfLi1ELb1ELb0ELi32EEEvPT0_PKT_S7_iiiPKb,"axG",@progbits,_ZN12_GLOBAL__N_121softmax_warp_backwardIfN3c104HalfEfLi1ELb1ELb0ELi32EEEvPT0_PKT_S7_iiiPKb,comdat
.Lfunc_end279:
	.size	_ZN12_GLOBAL__N_121softmax_warp_backwardIfN3c104HalfEfLi1ELb1ELb0ELi32EEEvPT0_PKT_S7_iiiPKb, .Lfunc_end279-_ZN12_GLOBAL__N_121softmax_warp_backwardIfN3c104HalfEfLi1ELb1ELb0ELi32EEEvPT0_PKT_S7_iiiPKb
                                        ; -- End function
	.section	.AMDGPU.csdata,"",@progbits
; Kernel info:
; codeLenInByte = 772
; NumSgprs: 18
; NumVgprs: 14
; ScratchSize: 0
; MemoryBound: 0
; FloatMode: 240
; IeeeMode: 1
; LDSByteSize: 0 bytes/workgroup (compile time only)
; SGPRBlocks: 2
; VGPRBlocks: 1
; NumSGPRsForWavesPerEU: 18
; NumVGPRsForWavesPerEU: 14
; Occupancy: 16
; WaveLimiterHint : 0
; COMPUTE_PGM_RSRC2:SCRATCH_EN: 0
; COMPUTE_PGM_RSRC2:USER_SGPR: 15
; COMPUTE_PGM_RSRC2:TRAP_HANDLER: 0
; COMPUTE_PGM_RSRC2:TGID_X_EN: 1
; COMPUTE_PGM_RSRC2:TGID_Y_EN: 0
; COMPUTE_PGM_RSRC2:TGID_Z_EN: 0
; COMPUTE_PGM_RSRC2:TIDIG_COMP_CNT: 1
	.section	.text._ZN12_GLOBAL__N_121softmax_warp_backwardIfN3c104HalfEfLi2ELb1ELb0ELi64EEEvPT0_PKT_S7_iiiPKb,"axG",@progbits,_ZN12_GLOBAL__N_121softmax_warp_backwardIfN3c104HalfEfLi2ELb1ELb0ELi64EEEvPT0_PKT_S7_iiiPKb,comdat
	.globl	_ZN12_GLOBAL__N_121softmax_warp_backwardIfN3c104HalfEfLi2ELb1ELb0ELi64EEEvPT0_PKT_S7_iiiPKb ; -- Begin function _ZN12_GLOBAL__N_121softmax_warp_backwardIfN3c104HalfEfLi2ELb1ELb0ELi64EEEvPT0_PKT_S7_iiiPKb
	.p2align	8
	.type	_ZN12_GLOBAL__N_121softmax_warp_backwardIfN3c104HalfEfLi2ELb1ELb0ELi64EEEvPT0_PKT_S7_iiiPKb,@function
_ZN12_GLOBAL__N_121softmax_warp_backwardIfN3c104HalfEfLi2ELb1ELb0ELi64EEEvPT0_PKT_S7_iiiPKb: ; @_ZN12_GLOBAL__N_121softmax_warp_backwardIfN3c104HalfEfLi2ELb1ELb0ELi64EEEvPT0_PKT_S7_iiiPKb
; %bb.0:
	s_clause 0x1
	s_load_b32 s2, s[0:1], 0x3c
	s_load_b128 s[4:7], s[0:1], 0x18
	v_bfe_u32 v1, v0, 10, 10
	v_and_b32_e32 v2, 3, v0
	s_load_b128 s[8:11], s[0:1], 0x0
	v_mov_b32_e32 v6, 0
	v_mov_b32_e32 v8, 0
	s_waitcnt lgkmcnt(0)
	s_lshr_b32 s2, s2, 16
	v_cmp_gt_i32_e32 vcc_lo, s6, v2
	s_mul_i32 s15, s15, s2
	s_load_b64 s[2:3], s[0:1], 0x10
	v_add_lshl_u32 v3, s15, v1, 1
	s_delay_alu instid0(VALU_DEP_1) | instskip(SKIP_1) | instid1(VALU_DEP_1)
	v_mad_u64_u32 v[0:1], null, v3, s5, v[2:3]
	v_sub_nc_u32_e32 v7, s4, v3
	v_cmp_lt_i32_e64 s0, 0, v7
	s_delay_alu instid0(VALU_DEP_3) | instskip(NEXT) | instid1(VALU_DEP_1)
	v_ashrrev_i32_e32 v1, 31, v0
	v_lshlrev_b64 v[9:10], 2, v[0:1]
	s_delay_alu instid0(VALU_DEP_1) | instskip(NEXT) | instid1(VALU_DEP_1)
	v_add_co_u32 v4, s1, s10, v9
	v_add_co_ci_u32_e64 v5, s1, s11, v10, s1
	s_waitcnt lgkmcnt(0)
	v_add_co_u32 v2, s1, s2, v9
	s_delay_alu instid0(VALU_DEP_1) | instskip(SKIP_2) | instid1(SALU_CYCLE_1)
	v_add_co_ci_u32_e64 v3, s1, s3, v10, s1
	v_mov_b32_e32 v10, 0
	s_and_b32 s2, vcc_lo, s0
	s_and_saveexec_b32 s1, s2
	s_cbranch_execz .LBB280_2
; %bb.1:
	global_load_b32 v8, v[4:5], off
	global_load_b32 v10, v[2:3], off
.LBB280_2:
	s_or_b32 exec_lo, exec_lo, s1
	v_cmp_lt_i32_e64 s1, 1, v7
	v_mov_b32_e32 v9, 0
	s_mov_b32 s7, 0
	s_delay_alu instid0(VALU_DEP_2) | instskip(NEXT) | instid1(SALU_CYCLE_1)
	s_and_b32 s1, vcc_lo, s1
	s_and_saveexec_b32 s2, s1
	s_cbranch_execz .LBB280_4
; %bb.3:
	s_lshl_b64 s[4:5], s[6:7], 2
	s_delay_alu instid0(SALU_CYCLE_1) | instskip(NEXT) | instid1(VALU_DEP_1)
	v_add_co_u32 v4, s1, v4, s4
	v_add_co_ci_u32_e64 v5, s1, s5, v5, s1
	v_add_co_u32 v2, s1, v2, s4
	s_delay_alu instid0(VALU_DEP_1)
	v_add_co_ci_u32_e64 v3, s1, s5, v3, s1
	global_load_b32 v6, v[4:5], off
	global_load_b32 v9, v[2:3], off
.LBB280_4:
	s_or_b32 exec_lo, exec_lo, s2
	v_mbcnt_lo_u32_b32 v2, -1, 0
	s_waitcnt vmcnt(1)
	v_add_f32_e32 v5, 0, v8
	v_add_f32_e32 v11, 0, v6
	s_delay_alu instid0(VALU_DEP_3) | instskip(SKIP_1) | instid1(VALU_DEP_2)
	v_and_b32_e32 v3, 28, v2
	v_xor_b32_e32 v4, 2, v2
	v_add_nc_u32_e32 v3, 4, v3
	s_delay_alu instid0(VALU_DEP_1) | instskip(NEXT) | instid1(VALU_DEP_1)
	v_cmp_lt_i32_e64 s1, v4, v3
	v_cndmask_b32_e64 v4, v2, v4, s1
	s_delay_alu instid0(VALU_DEP_1) | instskip(SKIP_3) | instid1(VALU_DEP_1)
	v_lshlrev_b32_e32 v4, 2, v4
	ds_bpermute_b32 v12, v4, v5
	ds_bpermute_b32 v13, v4, v11
	v_xor_b32_e32 v4, 1, v2
	v_cmp_lt_i32_e64 s1, v4, v3
	s_delay_alu instid0(VALU_DEP_1) | instskip(SKIP_1) | instid1(VALU_DEP_1)
	v_cndmask_b32_e64 v2, v2, v4, s1
	s_waitcnt lgkmcnt(1)
	v_dual_add_f32 v4, v5, v12 :: v_dual_lshlrev_b32 v3, 2, v2
	s_waitcnt lgkmcnt(0)
	v_add_f32_e32 v2, v11, v13
	ds_bpermute_b32 v5, v3, v4
	ds_bpermute_b32 v3, v3, v2
	s_and_saveexec_b32 s1, s0
	s_cbranch_execz .LBB280_10
; %bb.5:
	v_lshlrev_b64 v[0:1], 1, v[0:1]
	s_delay_alu instid0(VALU_DEP_1) | instskip(NEXT) | instid1(VALU_DEP_1)
	v_add_co_u32 v0, s0, s8, v0
	v_add_co_ci_u32_e64 v1, s0, s9, v1, s0
	s_and_saveexec_b32 s1, vcc_lo
	s_cbranch_execz .LBB280_7
; %bb.6:
	s_waitcnt vmcnt(0) lgkmcnt(1)
	v_dual_mul_f32 v11, 0x3fb8aa3b, v10 :: v_dual_add_f32 v4, v4, v5
	v_cmp_ngt_f32_e64 s0, 0xc2ce8ed0, v10
	s_delay_alu instid0(VALU_DEP_2) | instskip(SKIP_1) | instid1(VALU_DEP_2)
	v_rndne_f32_e32 v12, v11
	v_fma_f32 v13, 0x3fb8aa3b, v10, -v11
	v_sub_f32_e32 v11, v11, v12
	s_delay_alu instid0(VALU_DEP_2) | instskip(SKIP_1) | instid1(VALU_DEP_2)
	v_fmamk_f32 v13, v10, 0x32a5705f, v13
	v_cvt_i32_f32_e32 v12, v12
	v_add_f32_e32 v11, v11, v13
	s_delay_alu instid0(VALU_DEP_1) | instskip(SKIP_2) | instid1(VALU_DEP_1)
	v_exp_f32_e32 v11, v11
	s_waitcnt_depctr 0xfff
	v_ldexp_f32 v11, v11, v12
	v_cndmask_b32_e64 v11, 0, v11, s0
	v_cmp_nlt_f32_e64 s0, 0x42b17218, v10
	s_delay_alu instid0(VALU_DEP_1) | instskip(NEXT) | instid1(VALU_DEP_1)
	v_cndmask_b32_e64 v5, 0x7f800000, v11, s0
	v_fma_mixlo_f16 v4, -v4, v5, v8
	global_store_b16 v[0:1], v4, off
.LBB280_7:
	s_or_b32 exec_lo, exec_lo, s1
	v_cmp_ne_u32_e64 s0, 1, v7
	s_delay_alu instid0(VALU_DEP_1)
	s_and_b32 exec_lo, exec_lo, s0
	s_cbranch_execz .LBB280_10
; %bb.8:
	s_and_b32 exec_lo, exec_lo, vcc_lo
	s_cbranch_execz .LBB280_10
; %bb.9:
	s_waitcnt vmcnt(0)
	v_mul_f32_e32 v4, 0x3fb8aa3b, v9
	v_cmp_ngt_f32_e32 vcc_lo, 0xc2ce8ed0, v9
	s_lshl_b64 s[0:1], s[6:7], 1
	s_waitcnt lgkmcnt(1)
	s_delay_alu instid0(VALU_DEP_2) | instskip(SKIP_1) | instid1(VALU_DEP_1)
	v_rndne_f32_e32 v5, v4
	v_fma_f32 v7, 0x3fb8aa3b, v9, -v4
	v_dual_sub_f32 v4, v4, v5 :: v_dual_fmamk_f32 v7, v9, 0x32a5705f, v7
	v_cvt_i32_f32_e32 v5, v5
	s_delay_alu instid0(VALU_DEP_2) | instskip(NEXT) | instid1(VALU_DEP_1)
	v_add_f32_e32 v4, v4, v7
	v_exp_f32_e32 v4, v4
	s_waitcnt_depctr 0xfff
	v_ldexp_f32 v4, v4, v5
	s_delay_alu instid0(VALU_DEP_1) | instskip(SKIP_2) | instid1(VALU_DEP_2)
	v_cndmask_b32_e32 v4, 0, v4, vcc_lo
	v_cmp_nlt_f32_e32 vcc_lo, 0x42b17218, v9
	s_waitcnt lgkmcnt(0)
	v_dual_add_f32 v2, v2, v3 :: v_dual_cndmask_b32 v3, 0x7f800000, v4
	v_add_co_u32 v0, vcc_lo, v0, s0
	v_add_co_ci_u32_e32 v1, vcc_lo, s1, v1, vcc_lo
	s_delay_alu instid0(VALU_DEP_3)
	v_fma_mixlo_f16 v2, -v2, v3, v6
	global_store_b16 v[0:1], v2, off
.LBB280_10:
	s_nop 0
	s_sendmsg sendmsg(MSG_DEALLOC_VGPRS)
	s_endpgm
	.section	.rodata,"a",@progbits
	.p2align	6, 0x0
	.amdhsa_kernel _ZN12_GLOBAL__N_121softmax_warp_backwardIfN3c104HalfEfLi2ELb1ELb0ELi64EEEvPT0_PKT_S7_iiiPKb
		.amdhsa_group_segment_fixed_size 0
		.amdhsa_private_segment_fixed_size 0
		.amdhsa_kernarg_size 304
		.amdhsa_user_sgpr_count 15
		.amdhsa_user_sgpr_dispatch_ptr 0
		.amdhsa_user_sgpr_queue_ptr 0
		.amdhsa_user_sgpr_kernarg_segment_ptr 1
		.amdhsa_user_sgpr_dispatch_id 0
		.amdhsa_user_sgpr_private_segment_size 0
		.amdhsa_wavefront_size32 1
		.amdhsa_uses_dynamic_stack 0
		.amdhsa_enable_private_segment 0
		.amdhsa_system_sgpr_workgroup_id_x 1
		.amdhsa_system_sgpr_workgroup_id_y 0
		.amdhsa_system_sgpr_workgroup_id_z 0
		.amdhsa_system_sgpr_workgroup_info 0
		.amdhsa_system_vgpr_workitem_id 1
		.amdhsa_next_free_vgpr 14
		.amdhsa_next_free_sgpr 16
		.amdhsa_reserve_vcc 1
		.amdhsa_float_round_mode_32 0
		.amdhsa_float_round_mode_16_64 0
		.amdhsa_float_denorm_mode_32 3
		.amdhsa_float_denorm_mode_16_64 3
		.amdhsa_dx10_clamp 1
		.amdhsa_ieee_mode 1
		.amdhsa_fp16_overflow 0
		.amdhsa_workgroup_processor_mode 1
		.amdhsa_memory_ordered 1
		.amdhsa_forward_progress 0
		.amdhsa_shared_vgpr_count 0
		.amdhsa_exception_fp_ieee_invalid_op 0
		.amdhsa_exception_fp_denorm_src 0
		.amdhsa_exception_fp_ieee_div_zero 0
		.amdhsa_exception_fp_ieee_overflow 0
		.amdhsa_exception_fp_ieee_underflow 0
		.amdhsa_exception_fp_ieee_inexact 0
		.amdhsa_exception_int_div_zero 0
	.end_amdhsa_kernel
	.section	.text._ZN12_GLOBAL__N_121softmax_warp_backwardIfN3c104HalfEfLi2ELb1ELb0ELi64EEEvPT0_PKT_S7_iiiPKb,"axG",@progbits,_ZN12_GLOBAL__N_121softmax_warp_backwardIfN3c104HalfEfLi2ELb1ELb0ELi64EEEvPT0_PKT_S7_iiiPKb,comdat
.Lfunc_end280:
	.size	_ZN12_GLOBAL__N_121softmax_warp_backwardIfN3c104HalfEfLi2ELb1ELb0ELi64EEEvPT0_PKT_S7_iiiPKb, .Lfunc_end280-_ZN12_GLOBAL__N_121softmax_warp_backwardIfN3c104HalfEfLi2ELb1ELb0ELi64EEEvPT0_PKT_S7_iiiPKb
                                        ; -- End function
	.section	.AMDGPU.csdata,"",@progbits
; Kernel info:
; codeLenInByte = 820
; NumSgprs: 18
; NumVgprs: 14
; ScratchSize: 0
; MemoryBound: 0
; FloatMode: 240
; IeeeMode: 1
; LDSByteSize: 0 bytes/workgroup (compile time only)
; SGPRBlocks: 2
; VGPRBlocks: 1
; NumSGPRsForWavesPerEU: 18
; NumVGPRsForWavesPerEU: 14
; Occupancy: 16
; WaveLimiterHint : 0
; COMPUTE_PGM_RSRC2:SCRATCH_EN: 0
; COMPUTE_PGM_RSRC2:USER_SGPR: 15
; COMPUTE_PGM_RSRC2:TRAP_HANDLER: 0
; COMPUTE_PGM_RSRC2:TGID_X_EN: 1
; COMPUTE_PGM_RSRC2:TGID_Y_EN: 0
; COMPUTE_PGM_RSRC2:TGID_Z_EN: 0
; COMPUTE_PGM_RSRC2:TIDIG_COMP_CNT: 1
	.section	.text._ZN12_GLOBAL__N_121softmax_warp_backwardIfN3c104HalfEfLi2ELb1ELb0ELi32EEEvPT0_PKT_S7_iiiPKb,"axG",@progbits,_ZN12_GLOBAL__N_121softmax_warp_backwardIfN3c104HalfEfLi2ELb1ELb0ELi32EEEvPT0_PKT_S7_iiiPKb,comdat
	.globl	_ZN12_GLOBAL__N_121softmax_warp_backwardIfN3c104HalfEfLi2ELb1ELb0ELi32EEEvPT0_PKT_S7_iiiPKb ; -- Begin function _ZN12_GLOBAL__N_121softmax_warp_backwardIfN3c104HalfEfLi2ELb1ELb0ELi32EEEvPT0_PKT_S7_iiiPKb
	.p2align	8
	.type	_ZN12_GLOBAL__N_121softmax_warp_backwardIfN3c104HalfEfLi2ELb1ELb0ELi32EEEvPT0_PKT_S7_iiiPKb,@function
_ZN12_GLOBAL__N_121softmax_warp_backwardIfN3c104HalfEfLi2ELb1ELb0ELi32EEEvPT0_PKT_S7_iiiPKb: ; @_ZN12_GLOBAL__N_121softmax_warp_backwardIfN3c104HalfEfLi2ELb1ELb0ELi32EEEvPT0_PKT_S7_iiiPKb
; %bb.0:
	s_clause 0x1
	s_load_b32 s2, s[0:1], 0x3c
	s_load_b128 s[4:7], s[0:1], 0x18
	v_bfe_u32 v1, v0, 10, 10
	v_and_b32_e32 v2, 3, v0
	s_load_b128 s[8:11], s[0:1], 0x0
	v_mov_b32_e32 v6, 0
	v_mov_b32_e32 v8, 0
	s_waitcnt lgkmcnt(0)
	s_lshr_b32 s2, s2, 16
	v_cmp_gt_i32_e32 vcc_lo, s6, v2
	s_mul_i32 s15, s15, s2
	s_load_b64 s[2:3], s[0:1], 0x10
	v_add_lshl_u32 v3, s15, v1, 1
	s_delay_alu instid0(VALU_DEP_1) | instskip(SKIP_1) | instid1(VALU_DEP_1)
	v_mad_u64_u32 v[0:1], null, v3, s5, v[2:3]
	v_sub_nc_u32_e32 v7, s4, v3
	v_cmp_lt_i32_e64 s0, 0, v7
	s_delay_alu instid0(VALU_DEP_3) | instskip(NEXT) | instid1(VALU_DEP_1)
	v_ashrrev_i32_e32 v1, 31, v0
	v_lshlrev_b64 v[9:10], 2, v[0:1]
	s_delay_alu instid0(VALU_DEP_1) | instskip(NEXT) | instid1(VALU_DEP_1)
	v_add_co_u32 v4, s1, s10, v9
	v_add_co_ci_u32_e64 v5, s1, s11, v10, s1
	s_waitcnt lgkmcnt(0)
	v_add_co_u32 v2, s1, s2, v9
	s_delay_alu instid0(VALU_DEP_1) | instskip(SKIP_2) | instid1(SALU_CYCLE_1)
	v_add_co_ci_u32_e64 v3, s1, s3, v10, s1
	v_mov_b32_e32 v10, 0
	s_and_b32 s2, vcc_lo, s0
	s_and_saveexec_b32 s1, s2
	s_cbranch_execz .LBB281_2
; %bb.1:
	global_load_b32 v8, v[4:5], off
	global_load_b32 v10, v[2:3], off
.LBB281_2:
	s_or_b32 exec_lo, exec_lo, s1
	v_cmp_lt_i32_e64 s1, 1, v7
	v_mov_b32_e32 v9, 0
	s_mov_b32 s7, 0
	s_delay_alu instid0(VALU_DEP_2) | instskip(NEXT) | instid1(SALU_CYCLE_1)
	s_and_b32 s1, vcc_lo, s1
	s_and_saveexec_b32 s2, s1
	s_cbranch_execz .LBB281_4
; %bb.3:
	s_lshl_b64 s[4:5], s[6:7], 2
	s_delay_alu instid0(SALU_CYCLE_1) | instskip(NEXT) | instid1(VALU_DEP_1)
	v_add_co_u32 v4, s1, v4, s4
	v_add_co_ci_u32_e64 v5, s1, s5, v5, s1
	v_add_co_u32 v2, s1, v2, s4
	s_delay_alu instid0(VALU_DEP_1)
	v_add_co_ci_u32_e64 v3, s1, s5, v3, s1
	global_load_b32 v6, v[4:5], off
	global_load_b32 v9, v[2:3], off
.LBB281_4:
	s_or_b32 exec_lo, exec_lo, s2
	v_mbcnt_lo_u32_b32 v2, -1, 0
	s_waitcnt vmcnt(1)
	v_add_f32_e32 v5, 0, v8
	v_add_f32_e32 v11, 0, v6
	s_delay_alu instid0(VALU_DEP_3) | instskip(SKIP_1) | instid1(VALU_DEP_2)
	v_and_b32_e32 v3, 28, v2
	v_xor_b32_e32 v4, 2, v2
	v_add_nc_u32_e32 v3, 4, v3
	s_delay_alu instid0(VALU_DEP_1) | instskip(NEXT) | instid1(VALU_DEP_1)
	v_cmp_lt_i32_e64 s1, v4, v3
	v_cndmask_b32_e64 v4, v2, v4, s1
	s_delay_alu instid0(VALU_DEP_1) | instskip(SKIP_3) | instid1(VALU_DEP_1)
	v_lshlrev_b32_e32 v4, 2, v4
	ds_bpermute_b32 v12, v4, v5
	ds_bpermute_b32 v13, v4, v11
	v_xor_b32_e32 v4, 1, v2
	v_cmp_lt_i32_e64 s1, v4, v3
	s_delay_alu instid0(VALU_DEP_1) | instskip(SKIP_1) | instid1(VALU_DEP_1)
	v_cndmask_b32_e64 v2, v2, v4, s1
	s_waitcnt lgkmcnt(1)
	v_dual_add_f32 v4, v5, v12 :: v_dual_lshlrev_b32 v3, 2, v2
	s_waitcnt lgkmcnt(0)
	v_add_f32_e32 v2, v11, v13
	ds_bpermute_b32 v5, v3, v4
	ds_bpermute_b32 v3, v3, v2
	s_and_saveexec_b32 s1, s0
	s_cbranch_execz .LBB281_10
; %bb.5:
	v_lshlrev_b64 v[0:1], 1, v[0:1]
	s_delay_alu instid0(VALU_DEP_1) | instskip(NEXT) | instid1(VALU_DEP_1)
	v_add_co_u32 v0, s0, s8, v0
	v_add_co_ci_u32_e64 v1, s0, s9, v1, s0
	s_and_saveexec_b32 s1, vcc_lo
	s_cbranch_execz .LBB281_7
; %bb.6:
	s_waitcnt vmcnt(0) lgkmcnt(1)
	v_dual_mul_f32 v11, 0x3fb8aa3b, v10 :: v_dual_add_f32 v4, v4, v5
	v_cmp_ngt_f32_e64 s0, 0xc2ce8ed0, v10
	s_delay_alu instid0(VALU_DEP_2) | instskip(SKIP_1) | instid1(VALU_DEP_2)
	v_rndne_f32_e32 v12, v11
	v_fma_f32 v13, 0x3fb8aa3b, v10, -v11
	v_sub_f32_e32 v11, v11, v12
	s_delay_alu instid0(VALU_DEP_2) | instskip(SKIP_1) | instid1(VALU_DEP_2)
	v_fmamk_f32 v13, v10, 0x32a5705f, v13
	v_cvt_i32_f32_e32 v12, v12
	v_add_f32_e32 v11, v11, v13
	s_delay_alu instid0(VALU_DEP_1) | instskip(SKIP_2) | instid1(VALU_DEP_1)
	v_exp_f32_e32 v11, v11
	s_waitcnt_depctr 0xfff
	v_ldexp_f32 v11, v11, v12
	v_cndmask_b32_e64 v11, 0, v11, s0
	v_cmp_nlt_f32_e64 s0, 0x42b17218, v10
	s_delay_alu instid0(VALU_DEP_1) | instskip(NEXT) | instid1(VALU_DEP_1)
	v_cndmask_b32_e64 v5, 0x7f800000, v11, s0
	v_fma_mixlo_f16 v4, -v4, v5, v8
	global_store_b16 v[0:1], v4, off
.LBB281_7:
	s_or_b32 exec_lo, exec_lo, s1
	v_cmp_ne_u32_e64 s0, 1, v7
	s_delay_alu instid0(VALU_DEP_1)
	s_and_b32 exec_lo, exec_lo, s0
	s_cbranch_execz .LBB281_10
; %bb.8:
	s_and_b32 exec_lo, exec_lo, vcc_lo
	s_cbranch_execz .LBB281_10
; %bb.9:
	s_waitcnt vmcnt(0)
	v_mul_f32_e32 v4, 0x3fb8aa3b, v9
	v_cmp_ngt_f32_e32 vcc_lo, 0xc2ce8ed0, v9
	s_lshl_b64 s[0:1], s[6:7], 1
	s_waitcnt lgkmcnt(1)
	s_delay_alu instid0(VALU_DEP_2) | instskip(SKIP_1) | instid1(VALU_DEP_1)
	v_rndne_f32_e32 v5, v4
	v_fma_f32 v7, 0x3fb8aa3b, v9, -v4
	v_dual_sub_f32 v4, v4, v5 :: v_dual_fmamk_f32 v7, v9, 0x32a5705f, v7
	v_cvt_i32_f32_e32 v5, v5
	s_delay_alu instid0(VALU_DEP_2) | instskip(NEXT) | instid1(VALU_DEP_1)
	v_add_f32_e32 v4, v4, v7
	v_exp_f32_e32 v4, v4
	s_waitcnt_depctr 0xfff
	v_ldexp_f32 v4, v4, v5
	s_delay_alu instid0(VALU_DEP_1) | instskip(SKIP_2) | instid1(VALU_DEP_2)
	v_cndmask_b32_e32 v4, 0, v4, vcc_lo
	v_cmp_nlt_f32_e32 vcc_lo, 0x42b17218, v9
	s_waitcnt lgkmcnt(0)
	v_dual_add_f32 v2, v2, v3 :: v_dual_cndmask_b32 v3, 0x7f800000, v4
	v_add_co_u32 v0, vcc_lo, v0, s0
	v_add_co_ci_u32_e32 v1, vcc_lo, s1, v1, vcc_lo
	s_delay_alu instid0(VALU_DEP_3)
	v_fma_mixlo_f16 v2, -v2, v3, v6
	global_store_b16 v[0:1], v2, off
.LBB281_10:
	s_nop 0
	s_sendmsg sendmsg(MSG_DEALLOC_VGPRS)
	s_endpgm
	.section	.rodata,"a",@progbits
	.p2align	6, 0x0
	.amdhsa_kernel _ZN12_GLOBAL__N_121softmax_warp_backwardIfN3c104HalfEfLi2ELb1ELb0ELi32EEEvPT0_PKT_S7_iiiPKb
		.amdhsa_group_segment_fixed_size 0
		.amdhsa_private_segment_fixed_size 0
		.amdhsa_kernarg_size 304
		.amdhsa_user_sgpr_count 15
		.amdhsa_user_sgpr_dispatch_ptr 0
		.amdhsa_user_sgpr_queue_ptr 0
		.amdhsa_user_sgpr_kernarg_segment_ptr 1
		.amdhsa_user_sgpr_dispatch_id 0
		.amdhsa_user_sgpr_private_segment_size 0
		.amdhsa_wavefront_size32 1
		.amdhsa_uses_dynamic_stack 0
		.amdhsa_enable_private_segment 0
		.amdhsa_system_sgpr_workgroup_id_x 1
		.amdhsa_system_sgpr_workgroup_id_y 0
		.amdhsa_system_sgpr_workgroup_id_z 0
		.amdhsa_system_sgpr_workgroup_info 0
		.amdhsa_system_vgpr_workitem_id 1
		.amdhsa_next_free_vgpr 14
		.amdhsa_next_free_sgpr 16
		.amdhsa_reserve_vcc 1
		.amdhsa_float_round_mode_32 0
		.amdhsa_float_round_mode_16_64 0
		.amdhsa_float_denorm_mode_32 3
		.amdhsa_float_denorm_mode_16_64 3
		.amdhsa_dx10_clamp 1
		.amdhsa_ieee_mode 1
		.amdhsa_fp16_overflow 0
		.amdhsa_workgroup_processor_mode 1
		.amdhsa_memory_ordered 1
		.amdhsa_forward_progress 0
		.amdhsa_shared_vgpr_count 0
		.amdhsa_exception_fp_ieee_invalid_op 0
		.amdhsa_exception_fp_denorm_src 0
		.amdhsa_exception_fp_ieee_div_zero 0
		.amdhsa_exception_fp_ieee_overflow 0
		.amdhsa_exception_fp_ieee_underflow 0
		.amdhsa_exception_fp_ieee_inexact 0
		.amdhsa_exception_int_div_zero 0
	.end_amdhsa_kernel
	.section	.text._ZN12_GLOBAL__N_121softmax_warp_backwardIfN3c104HalfEfLi2ELb1ELb0ELi32EEEvPT0_PKT_S7_iiiPKb,"axG",@progbits,_ZN12_GLOBAL__N_121softmax_warp_backwardIfN3c104HalfEfLi2ELb1ELb0ELi32EEEvPT0_PKT_S7_iiiPKb,comdat
.Lfunc_end281:
	.size	_ZN12_GLOBAL__N_121softmax_warp_backwardIfN3c104HalfEfLi2ELb1ELb0ELi32EEEvPT0_PKT_S7_iiiPKb, .Lfunc_end281-_ZN12_GLOBAL__N_121softmax_warp_backwardIfN3c104HalfEfLi2ELb1ELb0ELi32EEEvPT0_PKT_S7_iiiPKb
                                        ; -- End function
	.section	.AMDGPU.csdata,"",@progbits
; Kernel info:
; codeLenInByte = 820
; NumSgprs: 18
; NumVgprs: 14
; ScratchSize: 0
; MemoryBound: 0
; FloatMode: 240
; IeeeMode: 1
; LDSByteSize: 0 bytes/workgroup (compile time only)
; SGPRBlocks: 2
; VGPRBlocks: 1
; NumSGPRsForWavesPerEU: 18
; NumVGPRsForWavesPerEU: 14
; Occupancy: 16
; WaveLimiterHint : 0
; COMPUTE_PGM_RSRC2:SCRATCH_EN: 0
; COMPUTE_PGM_RSRC2:USER_SGPR: 15
; COMPUTE_PGM_RSRC2:TRAP_HANDLER: 0
; COMPUTE_PGM_RSRC2:TGID_X_EN: 1
; COMPUTE_PGM_RSRC2:TGID_Y_EN: 0
; COMPUTE_PGM_RSRC2:TGID_Z_EN: 0
; COMPUTE_PGM_RSRC2:TIDIG_COMP_CNT: 1
	.section	.text._ZN12_GLOBAL__N_121softmax_warp_backwardIfN3c104HalfEfLi3ELb1ELb0ELi64EEEvPT0_PKT_S7_iiiPKb,"axG",@progbits,_ZN12_GLOBAL__N_121softmax_warp_backwardIfN3c104HalfEfLi3ELb1ELb0ELi64EEEvPT0_PKT_S7_iiiPKb,comdat
	.globl	_ZN12_GLOBAL__N_121softmax_warp_backwardIfN3c104HalfEfLi3ELb1ELb0ELi64EEEvPT0_PKT_S7_iiiPKb ; -- Begin function _ZN12_GLOBAL__N_121softmax_warp_backwardIfN3c104HalfEfLi3ELb1ELb0ELi64EEEvPT0_PKT_S7_iiiPKb
	.p2align	8
	.type	_ZN12_GLOBAL__N_121softmax_warp_backwardIfN3c104HalfEfLi3ELb1ELb0ELi64EEEvPT0_PKT_S7_iiiPKb,@function
_ZN12_GLOBAL__N_121softmax_warp_backwardIfN3c104HalfEfLi3ELb1ELb0ELi64EEEvPT0_PKT_S7_iiiPKb: ; @_ZN12_GLOBAL__N_121softmax_warp_backwardIfN3c104HalfEfLi3ELb1ELb0ELi64EEEvPT0_PKT_S7_iiiPKb
; %bb.0:
	s_clause 0x1
	s_load_b32 s2, s[0:1], 0x3c
	s_load_b128 s[4:7], s[0:1], 0x18
	v_bfe_u32 v1, v0, 10, 10
	v_and_b32_e32 v2, 7, v0
	s_load_b128 s[8:11], s[0:1], 0x0
	v_mov_b32_e32 v6, 0
	v_mov_b32_e32 v8, 0
	s_waitcnt lgkmcnt(0)
	s_lshr_b32 s2, s2, 16
	v_cmp_gt_i32_e32 vcc_lo, s6, v2
	s_mul_i32 s15, s15, s2
	s_load_b64 s[2:3], s[0:1], 0x10
	v_add_lshl_u32 v3, s15, v1, 1
	s_delay_alu instid0(VALU_DEP_1) | instskip(SKIP_1) | instid1(VALU_DEP_1)
	v_mad_u64_u32 v[0:1], null, v3, s5, v[2:3]
	v_sub_nc_u32_e32 v7, s4, v3
	v_cmp_lt_i32_e64 s0, 0, v7
	s_delay_alu instid0(VALU_DEP_3) | instskip(NEXT) | instid1(VALU_DEP_1)
	v_ashrrev_i32_e32 v1, 31, v0
	v_lshlrev_b64 v[9:10], 2, v[0:1]
	s_delay_alu instid0(VALU_DEP_1) | instskip(NEXT) | instid1(VALU_DEP_1)
	v_add_co_u32 v4, s1, s10, v9
	v_add_co_ci_u32_e64 v5, s1, s11, v10, s1
	s_waitcnt lgkmcnt(0)
	v_add_co_u32 v2, s1, s2, v9
	s_delay_alu instid0(VALU_DEP_1) | instskip(SKIP_2) | instid1(SALU_CYCLE_1)
	v_add_co_ci_u32_e64 v3, s1, s3, v10, s1
	v_mov_b32_e32 v10, 0
	s_and_b32 s2, vcc_lo, s0
	s_and_saveexec_b32 s1, s2
	s_cbranch_execz .LBB282_2
; %bb.1:
	global_load_b32 v8, v[4:5], off
	global_load_b32 v10, v[2:3], off
.LBB282_2:
	s_or_b32 exec_lo, exec_lo, s1
	v_cmp_lt_i32_e64 s1, 1, v7
	v_mov_b32_e32 v9, 0
	s_mov_b32 s7, 0
	s_delay_alu instid0(VALU_DEP_2) | instskip(NEXT) | instid1(SALU_CYCLE_1)
	s_and_b32 s1, vcc_lo, s1
	s_and_saveexec_b32 s2, s1
	s_cbranch_execz .LBB282_4
; %bb.3:
	s_lshl_b64 s[4:5], s[6:7], 2
	s_delay_alu instid0(SALU_CYCLE_1) | instskip(NEXT) | instid1(VALU_DEP_1)
	v_add_co_u32 v4, s1, v4, s4
	v_add_co_ci_u32_e64 v5, s1, s5, v5, s1
	v_add_co_u32 v2, s1, v2, s4
	s_delay_alu instid0(VALU_DEP_1)
	v_add_co_ci_u32_e64 v3, s1, s5, v3, s1
	global_load_b32 v6, v[4:5], off
	global_load_b32 v9, v[2:3], off
.LBB282_4:
	s_or_b32 exec_lo, exec_lo, s2
	v_mbcnt_lo_u32_b32 v2, -1, 0
	s_waitcnt vmcnt(1)
	v_add_f32_e32 v5, 0, v8
	v_add_f32_e32 v11, 0, v6
	s_delay_alu instid0(VALU_DEP_3) | instskip(SKIP_2) | instid1(VALU_DEP_3)
	v_and_b32_e32 v3, 24, v2
	v_xor_b32_e32 v4, 4, v2
	v_xor_b32_e32 v13, 2, v2
	v_add_nc_u32_e32 v3, 8, v3
	s_delay_alu instid0(VALU_DEP_1) | instskip(NEXT) | instid1(VALU_DEP_1)
	v_cmp_lt_i32_e64 s1, v4, v3
	v_cndmask_b32_e64 v4, v2, v4, s1
	s_delay_alu instid0(VALU_DEP_4) | instskip(NEXT) | instid1(VALU_DEP_2)
	v_cmp_lt_i32_e64 s1, v13, v3
	v_lshlrev_b32_e32 v4, 2, v4
	s_delay_alu instid0(VALU_DEP_2)
	v_cndmask_b32_e64 v13, v2, v13, s1
	ds_bpermute_b32 v12, v4, v5
	ds_bpermute_b32 v4, v4, v11
	v_lshlrev_b32_e32 v13, 2, v13
	s_waitcnt lgkmcnt(1)
	v_add_f32_e32 v5, v5, v12
	s_waitcnt lgkmcnt(0)
	v_add_f32_e32 v11, v11, v4
	ds_bpermute_b32 v4, v13, v5
	ds_bpermute_b32 v12, v13, v11
	v_xor_b32_e32 v13, 1, v2
	s_delay_alu instid0(VALU_DEP_1) | instskip(NEXT) | instid1(VALU_DEP_1)
	v_cmp_lt_i32_e64 s1, v13, v3
	v_cndmask_b32_e64 v2, v2, v13, s1
	s_waitcnt lgkmcnt(1)
	s_delay_alu instid0(VALU_DEP_1)
	v_dual_add_f32 v4, v5, v4 :: v_dual_lshlrev_b32 v3, 2, v2
	s_waitcnt lgkmcnt(0)
	v_add_f32_e32 v2, v11, v12
	ds_bpermute_b32 v5, v3, v4
	ds_bpermute_b32 v3, v3, v2
	s_and_saveexec_b32 s1, s0
	s_cbranch_execz .LBB282_10
; %bb.5:
	v_lshlrev_b64 v[0:1], 1, v[0:1]
	s_delay_alu instid0(VALU_DEP_1) | instskip(NEXT) | instid1(VALU_DEP_1)
	v_add_co_u32 v0, s0, s8, v0
	v_add_co_ci_u32_e64 v1, s0, s9, v1, s0
	s_and_saveexec_b32 s1, vcc_lo
	s_cbranch_execz .LBB282_7
; %bb.6:
	s_waitcnt vmcnt(0) lgkmcnt(1)
	v_dual_mul_f32 v11, 0x3fb8aa3b, v10 :: v_dual_add_f32 v4, v4, v5
	v_cmp_ngt_f32_e64 s0, 0xc2ce8ed0, v10
	s_delay_alu instid0(VALU_DEP_2) | instskip(SKIP_1) | instid1(VALU_DEP_2)
	v_rndne_f32_e32 v12, v11
	v_fma_f32 v13, 0x3fb8aa3b, v10, -v11
	v_sub_f32_e32 v11, v11, v12
	s_delay_alu instid0(VALU_DEP_2) | instskip(SKIP_1) | instid1(VALU_DEP_2)
	v_fmamk_f32 v13, v10, 0x32a5705f, v13
	v_cvt_i32_f32_e32 v12, v12
	v_add_f32_e32 v11, v11, v13
	s_delay_alu instid0(VALU_DEP_1) | instskip(SKIP_2) | instid1(VALU_DEP_1)
	v_exp_f32_e32 v11, v11
	s_waitcnt_depctr 0xfff
	v_ldexp_f32 v11, v11, v12
	v_cndmask_b32_e64 v11, 0, v11, s0
	v_cmp_nlt_f32_e64 s0, 0x42b17218, v10
	s_delay_alu instid0(VALU_DEP_1) | instskip(NEXT) | instid1(VALU_DEP_1)
	v_cndmask_b32_e64 v5, 0x7f800000, v11, s0
	v_fma_mixlo_f16 v4, -v4, v5, v8
	global_store_b16 v[0:1], v4, off
.LBB282_7:
	s_or_b32 exec_lo, exec_lo, s1
	v_cmp_ne_u32_e64 s0, 1, v7
	s_delay_alu instid0(VALU_DEP_1)
	s_and_b32 exec_lo, exec_lo, s0
	s_cbranch_execz .LBB282_10
; %bb.8:
	s_and_b32 exec_lo, exec_lo, vcc_lo
	s_cbranch_execz .LBB282_10
; %bb.9:
	s_waitcnt vmcnt(0)
	v_mul_f32_e32 v4, 0x3fb8aa3b, v9
	v_cmp_ngt_f32_e32 vcc_lo, 0xc2ce8ed0, v9
	s_lshl_b64 s[0:1], s[6:7], 1
	s_waitcnt lgkmcnt(1)
	s_delay_alu instid0(VALU_DEP_2) | instskip(SKIP_1) | instid1(VALU_DEP_1)
	v_rndne_f32_e32 v5, v4
	v_fma_f32 v7, 0x3fb8aa3b, v9, -v4
	v_dual_sub_f32 v4, v4, v5 :: v_dual_fmamk_f32 v7, v9, 0x32a5705f, v7
	v_cvt_i32_f32_e32 v5, v5
	s_delay_alu instid0(VALU_DEP_2) | instskip(NEXT) | instid1(VALU_DEP_1)
	v_add_f32_e32 v4, v4, v7
	v_exp_f32_e32 v4, v4
	s_waitcnt_depctr 0xfff
	v_ldexp_f32 v4, v4, v5
	s_delay_alu instid0(VALU_DEP_1) | instskip(SKIP_2) | instid1(VALU_DEP_2)
	v_cndmask_b32_e32 v4, 0, v4, vcc_lo
	v_cmp_nlt_f32_e32 vcc_lo, 0x42b17218, v9
	s_waitcnt lgkmcnt(0)
	v_dual_add_f32 v2, v2, v3 :: v_dual_cndmask_b32 v3, 0x7f800000, v4
	v_add_co_u32 v0, vcc_lo, v0, s0
	v_add_co_ci_u32_e32 v1, vcc_lo, s1, v1, vcc_lo
	s_delay_alu instid0(VALU_DEP_3)
	v_fma_mixlo_f16 v2, -v2, v3, v6
	global_store_b16 v[0:1], v2, off
.LBB282_10:
	s_nop 0
	s_sendmsg sendmsg(MSG_DEALLOC_VGPRS)
	s_endpgm
	.section	.rodata,"a",@progbits
	.p2align	6, 0x0
	.amdhsa_kernel _ZN12_GLOBAL__N_121softmax_warp_backwardIfN3c104HalfEfLi3ELb1ELb0ELi64EEEvPT0_PKT_S7_iiiPKb
		.amdhsa_group_segment_fixed_size 0
		.amdhsa_private_segment_fixed_size 0
		.amdhsa_kernarg_size 304
		.amdhsa_user_sgpr_count 15
		.amdhsa_user_sgpr_dispatch_ptr 0
		.amdhsa_user_sgpr_queue_ptr 0
		.amdhsa_user_sgpr_kernarg_segment_ptr 1
		.amdhsa_user_sgpr_dispatch_id 0
		.amdhsa_user_sgpr_private_segment_size 0
		.amdhsa_wavefront_size32 1
		.amdhsa_uses_dynamic_stack 0
		.amdhsa_enable_private_segment 0
		.amdhsa_system_sgpr_workgroup_id_x 1
		.amdhsa_system_sgpr_workgroup_id_y 0
		.amdhsa_system_sgpr_workgroup_id_z 0
		.amdhsa_system_sgpr_workgroup_info 0
		.amdhsa_system_vgpr_workitem_id 1
		.amdhsa_next_free_vgpr 14
		.amdhsa_next_free_sgpr 16
		.amdhsa_reserve_vcc 1
		.amdhsa_float_round_mode_32 0
		.amdhsa_float_round_mode_16_64 0
		.amdhsa_float_denorm_mode_32 3
		.amdhsa_float_denorm_mode_16_64 3
		.amdhsa_dx10_clamp 1
		.amdhsa_ieee_mode 1
		.amdhsa_fp16_overflow 0
		.amdhsa_workgroup_processor_mode 1
		.amdhsa_memory_ordered 1
		.amdhsa_forward_progress 0
		.amdhsa_shared_vgpr_count 0
		.amdhsa_exception_fp_ieee_invalid_op 0
		.amdhsa_exception_fp_denorm_src 0
		.amdhsa_exception_fp_ieee_div_zero 0
		.amdhsa_exception_fp_ieee_overflow 0
		.amdhsa_exception_fp_ieee_underflow 0
		.amdhsa_exception_fp_ieee_inexact 0
		.amdhsa_exception_int_div_zero 0
	.end_amdhsa_kernel
	.section	.text._ZN12_GLOBAL__N_121softmax_warp_backwardIfN3c104HalfEfLi3ELb1ELb0ELi64EEEvPT0_PKT_S7_iiiPKb,"axG",@progbits,_ZN12_GLOBAL__N_121softmax_warp_backwardIfN3c104HalfEfLi3ELb1ELb0ELi64EEEvPT0_PKT_S7_iiiPKb,comdat
.Lfunc_end282:
	.size	_ZN12_GLOBAL__N_121softmax_warp_backwardIfN3c104HalfEfLi3ELb1ELb0ELi64EEEvPT0_PKT_S7_iiiPKb, .Lfunc_end282-_ZN12_GLOBAL__N_121softmax_warp_backwardIfN3c104HalfEfLi3ELb1ELb0ELi64EEEvPT0_PKT_S7_iiiPKb
                                        ; -- End function
	.section	.AMDGPU.csdata,"",@progbits
; Kernel info:
; codeLenInByte = 884
; NumSgprs: 18
; NumVgprs: 14
; ScratchSize: 0
; MemoryBound: 0
; FloatMode: 240
; IeeeMode: 1
; LDSByteSize: 0 bytes/workgroup (compile time only)
; SGPRBlocks: 2
; VGPRBlocks: 1
; NumSGPRsForWavesPerEU: 18
; NumVGPRsForWavesPerEU: 14
; Occupancy: 16
; WaveLimiterHint : 0
; COMPUTE_PGM_RSRC2:SCRATCH_EN: 0
; COMPUTE_PGM_RSRC2:USER_SGPR: 15
; COMPUTE_PGM_RSRC2:TRAP_HANDLER: 0
; COMPUTE_PGM_RSRC2:TGID_X_EN: 1
; COMPUTE_PGM_RSRC2:TGID_Y_EN: 0
; COMPUTE_PGM_RSRC2:TGID_Z_EN: 0
; COMPUTE_PGM_RSRC2:TIDIG_COMP_CNT: 1
	.section	.text._ZN12_GLOBAL__N_121softmax_warp_backwardIfN3c104HalfEfLi3ELb1ELb0ELi32EEEvPT0_PKT_S7_iiiPKb,"axG",@progbits,_ZN12_GLOBAL__N_121softmax_warp_backwardIfN3c104HalfEfLi3ELb1ELb0ELi32EEEvPT0_PKT_S7_iiiPKb,comdat
	.globl	_ZN12_GLOBAL__N_121softmax_warp_backwardIfN3c104HalfEfLi3ELb1ELb0ELi32EEEvPT0_PKT_S7_iiiPKb ; -- Begin function _ZN12_GLOBAL__N_121softmax_warp_backwardIfN3c104HalfEfLi3ELb1ELb0ELi32EEEvPT0_PKT_S7_iiiPKb
	.p2align	8
	.type	_ZN12_GLOBAL__N_121softmax_warp_backwardIfN3c104HalfEfLi3ELb1ELb0ELi32EEEvPT0_PKT_S7_iiiPKb,@function
_ZN12_GLOBAL__N_121softmax_warp_backwardIfN3c104HalfEfLi3ELb1ELb0ELi32EEEvPT0_PKT_S7_iiiPKb: ; @_ZN12_GLOBAL__N_121softmax_warp_backwardIfN3c104HalfEfLi3ELb1ELb0ELi32EEEvPT0_PKT_S7_iiiPKb
; %bb.0:
	s_clause 0x1
	s_load_b32 s2, s[0:1], 0x3c
	s_load_b128 s[4:7], s[0:1], 0x18
	v_bfe_u32 v1, v0, 10, 10
	v_and_b32_e32 v2, 7, v0
	s_load_b128 s[8:11], s[0:1], 0x0
	v_mov_b32_e32 v6, 0
	v_mov_b32_e32 v8, 0
	s_waitcnt lgkmcnt(0)
	s_lshr_b32 s2, s2, 16
	v_cmp_gt_i32_e32 vcc_lo, s6, v2
	s_mul_i32 s15, s15, s2
	s_load_b64 s[2:3], s[0:1], 0x10
	v_add_lshl_u32 v3, s15, v1, 1
	s_delay_alu instid0(VALU_DEP_1) | instskip(SKIP_1) | instid1(VALU_DEP_1)
	v_mad_u64_u32 v[0:1], null, v3, s5, v[2:3]
	v_sub_nc_u32_e32 v7, s4, v3
	v_cmp_lt_i32_e64 s0, 0, v7
	s_delay_alu instid0(VALU_DEP_3) | instskip(NEXT) | instid1(VALU_DEP_1)
	v_ashrrev_i32_e32 v1, 31, v0
	v_lshlrev_b64 v[9:10], 2, v[0:1]
	s_delay_alu instid0(VALU_DEP_1) | instskip(NEXT) | instid1(VALU_DEP_1)
	v_add_co_u32 v4, s1, s10, v9
	v_add_co_ci_u32_e64 v5, s1, s11, v10, s1
	s_waitcnt lgkmcnt(0)
	v_add_co_u32 v2, s1, s2, v9
	s_delay_alu instid0(VALU_DEP_1) | instskip(SKIP_2) | instid1(SALU_CYCLE_1)
	v_add_co_ci_u32_e64 v3, s1, s3, v10, s1
	v_mov_b32_e32 v10, 0
	s_and_b32 s2, vcc_lo, s0
	s_and_saveexec_b32 s1, s2
	s_cbranch_execz .LBB283_2
; %bb.1:
	global_load_b32 v8, v[4:5], off
	global_load_b32 v10, v[2:3], off
.LBB283_2:
	s_or_b32 exec_lo, exec_lo, s1
	v_cmp_lt_i32_e64 s1, 1, v7
	v_mov_b32_e32 v9, 0
	s_mov_b32 s7, 0
	s_delay_alu instid0(VALU_DEP_2) | instskip(NEXT) | instid1(SALU_CYCLE_1)
	s_and_b32 s1, vcc_lo, s1
	s_and_saveexec_b32 s2, s1
	s_cbranch_execz .LBB283_4
; %bb.3:
	s_lshl_b64 s[4:5], s[6:7], 2
	s_delay_alu instid0(SALU_CYCLE_1) | instskip(NEXT) | instid1(VALU_DEP_1)
	v_add_co_u32 v4, s1, v4, s4
	v_add_co_ci_u32_e64 v5, s1, s5, v5, s1
	v_add_co_u32 v2, s1, v2, s4
	s_delay_alu instid0(VALU_DEP_1)
	v_add_co_ci_u32_e64 v3, s1, s5, v3, s1
	global_load_b32 v6, v[4:5], off
	global_load_b32 v9, v[2:3], off
.LBB283_4:
	s_or_b32 exec_lo, exec_lo, s2
	v_mbcnt_lo_u32_b32 v2, -1, 0
	s_waitcnt vmcnt(1)
	v_add_f32_e32 v5, 0, v8
	v_add_f32_e32 v11, 0, v6
	s_delay_alu instid0(VALU_DEP_3) | instskip(SKIP_2) | instid1(VALU_DEP_3)
	v_and_b32_e32 v3, 24, v2
	v_xor_b32_e32 v4, 4, v2
	v_xor_b32_e32 v13, 2, v2
	v_add_nc_u32_e32 v3, 8, v3
	s_delay_alu instid0(VALU_DEP_1) | instskip(NEXT) | instid1(VALU_DEP_1)
	v_cmp_lt_i32_e64 s1, v4, v3
	v_cndmask_b32_e64 v4, v2, v4, s1
	s_delay_alu instid0(VALU_DEP_4) | instskip(NEXT) | instid1(VALU_DEP_2)
	v_cmp_lt_i32_e64 s1, v13, v3
	v_lshlrev_b32_e32 v4, 2, v4
	s_delay_alu instid0(VALU_DEP_2)
	v_cndmask_b32_e64 v13, v2, v13, s1
	ds_bpermute_b32 v12, v4, v5
	ds_bpermute_b32 v4, v4, v11
	v_lshlrev_b32_e32 v13, 2, v13
	s_waitcnt lgkmcnt(1)
	v_add_f32_e32 v5, v5, v12
	s_waitcnt lgkmcnt(0)
	v_add_f32_e32 v11, v11, v4
	ds_bpermute_b32 v4, v13, v5
	ds_bpermute_b32 v12, v13, v11
	v_xor_b32_e32 v13, 1, v2
	s_delay_alu instid0(VALU_DEP_1) | instskip(NEXT) | instid1(VALU_DEP_1)
	v_cmp_lt_i32_e64 s1, v13, v3
	v_cndmask_b32_e64 v2, v2, v13, s1
	s_waitcnt lgkmcnt(1)
	s_delay_alu instid0(VALU_DEP_1)
	v_dual_add_f32 v4, v5, v4 :: v_dual_lshlrev_b32 v3, 2, v2
	s_waitcnt lgkmcnt(0)
	v_add_f32_e32 v2, v11, v12
	ds_bpermute_b32 v5, v3, v4
	ds_bpermute_b32 v3, v3, v2
	s_and_saveexec_b32 s1, s0
	s_cbranch_execz .LBB283_10
; %bb.5:
	v_lshlrev_b64 v[0:1], 1, v[0:1]
	s_delay_alu instid0(VALU_DEP_1) | instskip(NEXT) | instid1(VALU_DEP_1)
	v_add_co_u32 v0, s0, s8, v0
	v_add_co_ci_u32_e64 v1, s0, s9, v1, s0
	s_and_saveexec_b32 s1, vcc_lo
	s_cbranch_execz .LBB283_7
; %bb.6:
	s_waitcnt vmcnt(0) lgkmcnt(1)
	v_dual_mul_f32 v11, 0x3fb8aa3b, v10 :: v_dual_add_f32 v4, v4, v5
	v_cmp_ngt_f32_e64 s0, 0xc2ce8ed0, v10
	s_delay_alu instid0(VALU_DEP_2) | instskip(SKIP_1) | instid1(VALU_DEP_2)
	v_rndne_f32_e32 v12, v11
	v_fma_f32 v13, 0x3fb8aa3b, v10, -v11
	v_sub_f32_e32 v11, v11, v12
	s_delay_alu instid0(VALU_DEP_2) | instskip(SKIP_1) | instid1(VALU_DEP_2)
	v_fmamk_f32 v13, v10, 0x32a5705f, v13
	v_cvt_i32_f32_e32 v12, v12
	v_add_f32_e32 v11, v11, v13
	s_delay_alu instid0(VALU_DEP_1) | instskip(SKIP_2) | instid1(VALU_DEP_1)
	v_exp_f32_e32 v11, v11
	s_waitcnt_depctr 0xfff
	v_ldexp_f32 v11, v11, v12
	v_cndmask_b32_e64 v11, 0, v11, s0
	v_cmp_nlt_f32_e64 s0, 0x42b17218, v10
	s_delay_alu instid0(VALU_DEP_1) | instskip(NEXT) | instid1(VALU_DEP_1)
	v_cndmask_b32_e64 v5, 0x7f800000, v11, s0
	v_fma_mixlo_f16 v4, -v4, v5, v8
	global_store_b16 v[0:1], v4, off
.LBB283_7:
	s_or_b32 exec_lo, exec_lo, s1
	v_cmp_ne_u32_e64 s0, 1, v7
	s_delay_alu instid0(VALU_DEP_1)
	s_and_b32 exec_lo, exec_lo, s0
	s_cbranch_execz .LBB283_10
; %bb.8:
	s_and_b32 exec_lo, exec_lo, vcc_lo
	s_cbranch_execz .LBB283_10
; %bb.9:
	s_waitcnt vmcnt(0)
	v_mul_f32_e32 v4, 0x3fb8aa3b, v9
	v_cmp_ngt_f32_e32 vcc_lo, 0xc2ce8ed0, v9
	s_lshl_b64 s[0:1], s[6:7], 1
	s_waitcnt lgkmcnt(1)
	s_delay_alu instid0(VALU_DEP_2) | instskip(SKIP_1) | instid1(VALU_DEP_1)
	v_rndne_f32_e32 v5, v4
	v_fma_f32 v7, 0x3fb8aa3b, v9, -v4
	v_dual_sub_f32 v4, v4, v5 :: v_dual_fmamk_f32 v7, v9, 0x32a5705f, v7
	v_cvt_i32_f32_e32 v5, v5
	s_delay_alu instid0(VALU_DEP_2) | instskip(NEXT) | instid1(VALU_DEP_1)
	v_add_f32_e32 v4, v4, v7
	v_exp_f32_e32 v4, v4
	s_waitcnt_depctr 0xfff
	v_ldexp_f32 v4, v4, v5
	s_delay_alu instid0(VALU_DEP_1) | instskip(SKIP_2) | instid1(VALU_DEP_2)
	v_cndmask_b32_e32 v4, 0, v4, vcc_lo
	v_cmp_nlt_f32_e32 vcc_lo, 0x42b17218, v9
	s_waitcnt lgkmcnt(0)
	v_dual_add_f32 v2, v2, v3 :: v_dual_cndmask_b32 v3, 0x7f800000, v4
	v_add_co_u32 v0, vcc_lo, v0, s0
	v_add_co_ci_u32_e32 v1, vcc_lo, s1, v1, vcc_lo
	s_delay_alu instid0(VALU_DEP_3)
	v_fma_mixlo_f16 v2, -v2, v3, v6
	global_store_b16 v[0:1], v2, off
.LBB283_10:
	s_nop 0
	s_sendmsg sendmsg(MSG_DEALLOC_VGPRS)
	s_endpgm
	.section	.rodata,"a",@progbits
	.p2align	6, 0x0
	.amdhsa_kernel _ZN12_GLOBAL__N_121softmax_warp_backwardIfN3c104HalfEfLi3ELb1ELb0ELi32EEEvPT0_PKT_S7_iiiPKb
		.amdhsa_group_segment_fixed_size 0
		.amdhsa_private_segment_fixed_size 0
		.amdhsa_kernarg_size 304
		.amdhsa_user_sgpr_count 15
		.amdhsa_user_sgpr_dispatch_ptr 0
		.amdhsa_user_sgpr_queue_ptr 0
		.amdhsa_user_sgpr_kernarg_segment_ptr 1
		.amdhsa_user_sgpr_dispatch_id 0
		.amdhsa_user_sgpr_private_segment_size 0
		.amdhsa_wavefront_size32 1
		.amdhsa_uses_dynamic_stack 0
		.amdhsa_enable_private_segment 0
		.amdhsa_system_sgpr_workgroup_id_x 1
		.amdhsa_system_sgpr_workgroup_id_y 0
		.amdhsa_system_sgpr_workgroup_id_z 0
		.amdhsa_system_sgpr_workgroup_info 0
		.amdhsa_system_vgpr_workitem_id 1
		.amdhsa_next_free_vgpr 14
		.amdhsa_next_free_sgpr 16
		.amdhsa_reserve_vcc 1
		.amdhsa_float_round_mode_32 0
		.amdhsa_float_round_mode_16_64 0
		.amdhsa_float_denorm_mode_32 3
		.amdhsa_float_denorm_mode_16_64 3
		.amdhsa_dx10_clamp 1
		.amdhsa_ieee_mode 1
		.amdhsa_fp16_overflow 0
		.amdhsa_workgroup_processor_mode 1
		.amdhsa_memory_ordered 1
		.amdhsa_forward_progress 0
		.amdhsa_shared_vgpr_count 0
		.amdhsa_exception_fp_ieee_invalid_op 0
		.amdhsa_exception_fp_denorm_src 0
		.amdhsa_exception_fp_ieee_div_zero 0
		.amdhsa_exception_fp_ieee_overflow 0
		.amdhsa_exception_fp_ieee_underflow 0
		.amdhsa_exception_fp_ieee_inexact 0
		.amdhsa_exception_int_div_zero 0
	.end_amdhsa_kernel
	.section	.text._ZN12_GLOBAL__N_121softmax_warp_backwardIfN3c104HalfEfLi3ELb1ELb0ELi32EEEvPT0_PKT_S7_iiiPKb,"axG",@progbits,_ZN12_GLOBAL__N_121softmax_warp_backwardIfN3c104HalfEfLi3ELb1ELb0ELi32EEEvPT0_PKT_S7_iiiPKb,comdat
.Lfunc_end283:
	.size	_ZN12_GLOBAL__N_121softmax_warp_backwardIfN3c104HalfEfLi3ELb1ELb0ELi32EEEvPT0_PKT_S7_iiiPKb, .Lfunc_end283-_ZN12_GLOBAL__N_121softmax_warp_backwardIfN3c104HalfEfLi3ELb1ELb0ELi32EEEvPT0_PKT_S7_iiiPKb
                                        ; -- End function
	.section	.AMDGPU.csdata,"",@progbits
; Kernel info:
; codeLenInByte = 884
; NumSgprs: 18
; NumVgprs: 14
; ScratchSize: 0
; MemoryBound: 0
; FloatMode: 240
; IeeeMode: 1
; LDSByteSize: 0 bytes/workgroup (compile time only)
; SGPRBlocks: 2
; VGPRBlocks: 1
; NumSGPRsForWavesPerEU: 18
; NumVGPRsForWavesPerEU: 14
; Occupancy: 16
; WaveLimiterHint : 0
; COMPUTE_PGM_RSRC2:SCRATCH_EN: 0
; COMPUTE_PGM_RSRC2:USER_SGPR: 15
; COMPUTE_PGM_RSRC2:TRAP_HANDLER: 0
; COMPUTE_PGM_RSRC2:TGID_X_EN: 1
; COMPUTE_PGM_RSRC2:TGID_Y_EN: 0
; COMPUTE_PGM_RSRC2:TGID_Z_EN: 0
; COMPUTE_PGM_RSRC2:TIDIG_COMP_CNT: 1
	.section	.text._ZN12_GLOBAL__N_121softmax_warp_backwardIfN3c104HalfEfLi4ELb1ELb0ELi64EEEvPT0_PKT_S7_iiiPKb,"axG",@progbits,_ZN12_GLOBAL__N_121softmax_warp_backwardIfN3c104HalfEfLi4ELb1ELb0ELi64EEEvPT0_PKT_S7_iiiPKb,comdat
	.globl	_ZN12_GLOBAL__N_121softmax_warp_backwardIfN3c104HalfEfLi4ELb1ELb0ELi64EEEvPT0_PKT_S7_iiiPKb ; -- Begin function _ZN12_GLOBAL__N_121softmax_warp_backwardIfN3c104HalfEfLi4ELb1ELb0ELi64EEEvPT0_PKT_S7_iiiPKb
	.p2align	8
	.type	_ZN12_GLOBAL__N_121softmax_warp_backwardIfN3c104HalfEfLi4ELb1ELb0ELi64EEEvPT0_PKT_S7_iiiPKb,@function
_ZN12_GLOBAL__N_121softmax_warp_backwardIfN3c104HalfEfLi4ELb1ELb0ELi64EEEvPT0_PKT_S7_iiiPKb: ; @_ZN12_GLOBAL__N_121softmax_warp_backwardIfN3c104HalfEfLi4ELb1ELb0ELi64EEEvPT0_PKT_S7_iiiPKb
; %bb.0:
	s_clause 0x1
	s_load_b32 s2, s[0:1], 0x3c
	s_load_b128 s[4:7], s[0:1], 0x18
	v_bfe_u32 v1, v0, 10, 10
	v_and_b32_e32 v2, 15, v0
	s_load_b128 s[8:11], s[0:1], 0x0
	v_mov_b32_e32 v6, 0
	v_mov_b32_e32 v8, 0
	s_waitcnt lgkmcnt(0)
	s_lshr_b32 s2, s2, 16
	v_cmp_gt_i32_e32 vcc_lo, s6, v2
	s_mul_i32 s15, s15, s2
	s_load_b64 s[2:3], s[0:1], 0x10
	v_add_lshl_u32 v3, s15, v1, 1
	s_delay_alu instid0(VALU_DEP_1) | instskip(SKIP_1) | instid1(VALU_DEP_1)
	v_mad_u64_u32 v[0:1], null, v3, s5, v[2:3]
	v_sub_nc_u32_e32 v7, s4, v3
	v_cmp_lt_i32_e64 s0, 0, v7
	s_delay_alu instid0(VALU_DEP_3) | instskip(NEXT) | instid1(VALU_DEP_1)
	v_ashrrev_i32_e32 v1, 31, v0
	v_lshlrev_b64 v[9:10], 2, v[0:1]
	s_delay_alu instid0(VALU_DEP_1) | instskip(NEXT) | instid1(VALU_DEP_1)
	v_add_co_u32 v4, s1, s10, v9
	v_add_co_ci_u32_e64 v5, s1, s11, v10, s1
	s_waitcnt lgkmcnt(0)
	v_add_co_u32 v2, s1, s2, v9
	s_delay_alu instid0(VALU_DEP_1) | instskip(SKIP_2) | instid1(SALU_CYCLE_1)
	v_add_co_ci_u32_e64 v3, s1, s3, v10, s1
	v_mov_b32_e32 v10, 0
	s_and_b32 s2, vcc_lo, s0
	s_and_saveexec_b32 s1, s2
	s_cbranch_execz .LBB284_2
; %bb.1:
	global_load_b32 v8, v[4:5], off
	global_load_b32 v10, v[2:3], off
.LBB284_2:
	s_or_b32 exec_lo, exec_lo, s1
	v_cmp_lt_i32_e64 s1, 1, v7
	v_mov_b32_e32 v9, 0
	s_mov_b32 s7, 0
	s_delay_alu instid0(VALU_DEP_2) | instskip(NEXT) | instid1(SALU_CYCLE_1)
	s_and_b32 s1, vcc_lo, s1
	s_and_saveexec_b32 s2, s1
	s_cbranch_execz .LBB284_4
; %bb.3:
	s_lshl_b64 s[4:5], s[6:7], 2
	s_delay_alu instid0(SALU_CYCLE_1) | instskip(NEXT) | instid1(VALU_DEP_1)
	v_add_co_u32 v4, s1, v4, s4
	v_add_co_ci_u32_e64 v5, s1, s5, v5, s1
	v_add_co_u32 v2, s1, v2, s4
	s_delay_alu instid0(VALU_DEP_1)
	v_add_co_ci_u32_e64 v3, s1, s5, v3, s1
	global_load_b32 v6, v[4:5], off
	global_load_b32 v9, v[2:3], off
.LBB284_4:
	s_or_b32 exec_lo, exec_lo, s2
	v_mbcnt_lo_u32_b32 v2, -1, 0
	s_waitcnt vmcnt(1)
	v_add_f32_e32 v11, 0, v6
	v_add_f32_e32 v5, 0, v8
	s_delay_alu instid0(VALU_DEP_3) | instskip(SKIP_2) | instid1(VALU_DEP_3)
	v_and_b32_e32 v3, 16, v2
	v_xor_b32_e32 v4, 8, v2
	v_xor_b32_e32 v13, 4, v2
	v_add_nc_u32_e32 v3, 16, v3
	s_delay_alu instid0(VALU_DEP_1) | instskip(NEXT) | instid1(VALU_DEP_1)
	v_cmp_lt_i32_e64 s1, v4, v3
	v_cndmask_b32_e64 v4, v2, v4, s1
	s_delay_alu instid0(VALU_DEP_4) | instskip(NEXT) | instid1(VALU_DEP_2)
	v_cmp_lt_i32_e64 s1, v13, v3
	v_lshlrev_b32_e32 v4, 2, v4
	s_delay_alu instid0(VALU_DEP_2)
	v_cndmask_b32_e64 v13, v2, v13, s1
	ds_bpermute_b32 v12, v4, v5
	ds_bpermute_b32 v4, v4, v11
	v_lshlrev_b32_e32 v13, 2, v13
	s_waitcnt lgkmcnt(1)
	v_add_f32_e32 v5, v5, v12
	s_waitcnt lgkmcnt(0)
	v_add_f32_e32 v4, v11, v4
	ds_bpermute_b32 v11, v13, v5
	ds_bpermute_b32 v12, v13, v4
	v_xor_b32_e32 v13, 2, v2
	s_delay_alu instid0(VALU_DEP_1) | instskip(NEXT) | instid1(VALU_DEP_1)
	v_cmp_lt_i32_e64 s1, v13, v3
	v_cndmask_b32_e64 v13, v2, v13, s1
	s_delay_alu instid0(VALU_DEP_1)
	v_lshlrev_b32_e32 v13, 2, v13
	s_waitcnt lgkmcnt(1)
	v_add_f32_e32 v5, v5, v11
	s_waitcnt lgkmcnt(0)
	v_add_f32_e32 v11, v4, v12
	ds_bpermute_b32 v4, v13, v5
	ds_bpermute_b32 v12, v13, v11
	v_xor_b32_e32 v13, 1, v2
	s_waitcnt lgkmcnt(1)
	v_add_f32_e32 v4, v5, v4
	s_delay_alu instid0(VALU_DEP_2) | instskip(NEXT) | instid1(VALU_DEP_1)
	v_cmp_lt_i32_e64 s1, v13, v3
	v_cndmask_b32_e64 v2, v2, v13, s1
	s_waitcnt lgkmcnt(0)
	s_delay_alu instid0(VALU_DEP_1)
	v_dual_add_f32 v2, v11, v12 :: v_dual_lshlrev_b32 v3, 2, v2
	ds_bpermute_b32 v5, v3, v4
	ds_bpermute_b32 v3, v3, v2
	s_and_saveexec_b32 s1, s0
	s_cbranch_execz .LBB284_10
; %bb.5:
	v_lshlrev_b64 v[0:1], 1, v[0:1]
	s_delay_alu instid0(VALU_DEP_1) | instskip(NEXT) | instid1(VALU_DEP_1)
	v_add_co_u32 v0, s0, s8, v0
	v_add_co_ci_u32_e64 v1, s0, s9, v1, s0
	s_and_saveexec_b32 s1, vcc_lo
	s_cbranch_execz .LBB284_7
; %bb.6:
	s_waitcnt vmcnt(0) lgkmcnt(1)
	v_dual_mul_f32 v11, 0x3fb8aa3b, v10 :: v_dual_add_f32 v4, v4, v5
	v_cmp_ngt_f32_e64 s0, 0xc2ce8ed0, v10
	s_delay_alu instid0(VALU_DEP_2) | instskip(SKIP_1) | instid1(VALU_DEP_2)
	v_rndne_f32_e32 v12, v11
	v_fma_f32 v13, 0x3fb8aa3b, v10, -v11
	v_sub_f32_e32 v11, v11, v12
	s_delay_alu instid0(VALU_DEP_2) | instskip(SKIP_1) | instid1(VALU_DEP_2)
	v_fmamk_f32 v13, v10, 0x32a5705f, v13
	v_cvt_i32_f32_e32 v12, v12
	v_add_f32_e32 v11, v11, v13
	s_delay_alu instid0(VALU_DEP_1) | instskip(SKIP_2) | instid1(VALU_DEP_1)
	v_exp_f32_e32 v11, v11
	s_waitcnt_depctr 0xfff
	v_ldexp_f32 v11, v11, v12
	v_cndmask_b32_e64 v11, 0, v11, s0
	v_cmp_nlt_f32_e64 s0, 0x42b17218, v10
	s_delay_alu instid0(VALU_DEP_1) | instskip(NEXT) | instid1(VALU_DEP_1)
	v_cndmask_b32_e64 v5, 0x7f800000, v11, s0
	v_fma_mixlo_f16 v4, -v4, v5, v8
	global_store_b16 v[0:1], v4, off
.LBB284_7:
	s_or_b32 exec_lo, exec_lo, s1
	v_cmp_ne_u32_e64 s0, 1, v7
	s_delay_alu instid0(VALU_DEP_1)
	s_and_b32 exec_lo, exec_lo, s0
	s_cbranch_execz .LBB284_10
; %bb.8:
	s_and_b32 exec_lo, exec_lo, vcc_lo
	s_cbranch_execz .LBB284_10
; %bb.9:
	s_waitcnt vmcnt(0)
	v_mul_f32_e32 v4, 0x3fb8aa3b, v9
	v_cmp_ngt_f32_e32 vcc_lo, 0xc2ce8ed0, v9
	s_lshl_b64 s[0:1], s[6:7], 1
	s_waitcnt lgkmcnt(1)
	s_delay_alu instid0(VALU_DEP_2) | instskip(SKIP_1) | instid1(VALU_DEP_1)
	v_rndne_f32_e32 v5, v4
	v_fma_f32 v7, 0x3fb8aa3b, v9, -v4
	v_dual_sub_f32 v4, v4, v5 :: v_dual_fmamk_f32 v7, v9, 0x32a5705f, v7
	v_cvt_i32_f32_e32 v5, v5
	s_delay_alu instid0(VALU_DEP_2) | instskip(NEXT) | instid1(VALU_DEP_1)
	v_add_f32_e32 v4, v4, v7
	v_exp_f32_e32 v4, v4
	s_waitcnt_depctr 0xfff
	v_ldexp_f32 v4, v4, v5
	s_delay_alu instid0(VALU_DEP_1) | instskip(SKIP_2) | instid1(VALU_DEP_2)
	v_cndmask_b32_e32 v4, 0, v4, vcc_lo
	v_cmp_nlt_f32_e32 vcc_lo, 0x42b17218, v9
	s_waitcnt lgkmcnt(0)
	v_dual_add_f32 v2, v2, v3 :: v_dual_cndmask_b32 v3, 0x7f800000, v4
	v_add_co_u32 v0, vcc_lo, v0, s0
	v_add_co_ci_u32_e32 v1, vcc_lo, s1, v1, vcc_lo
	s_delay_alu instid0(VALU_DEP_3)
	v_fma_mixlo_f16 v2, -v2, v3, v6
	global_store_b16 v[0:1], v2, off
.LBB284_10:
	s_nop 0
	s_sendmsg sendmsg(MSG_DEALLOC_VGPRS)
	s_endpgm
	.section	.rodata,"a",@progbits
	.p2align	6, 0x0
	.amdhsa_kernel _ZN12_GLOBAL__N_121softmax_warp_backwardIfN3c104HalfEfLi4ELb1ELb0ELi64EEEvPT0_PKT_S7_iiiPKb
		.amdhsa_group_segment_fixed_size 0
		.amdhsa_private_segment_fixed_size 0
		.amdhsa_kernarg_size 304
		.amdhsa_user_sgpr_count 15
		.amdhsa_user_sgpr_dispatch_ptr 0
		.amdhsa_user_sgpr_queue_ptr 0
		.amdhsa_user_sgpr_kernarg_segment_ptr 1
		.amdhsa_user_sgpr_dispatch_id 0
		.amdhsa_user_sgpr_private_segment_size 0
		.amdhsa_wavefront_size32 1
		.amdhsa_uses_dynamic_stack 0
		.amdhsa_enable_private_segment 0
		.amdhsa_system_sgpr_workgroup_id_x 1
		.amdhsa_system_sgpr_workgroup_id_y 0
		.amdhsa_system_sgpr_workgroup_id_z 0
		.amdhsa_system_sgpr_workgroup_info 0
		.amdhsa_system_vgpr_workitem_id 1
		.amdhsa_next_free_vgpr 14
		.amdhsa_next_free_sgpr 16
		.amdhsa_reserve_vcc 1
		.amdhsa_float_round_mode_32 0
		.amdhsa_float_round_mode_16_64 0
		.amdhsa_float_denorm_mode_32 3
		.amdhsa_float_denorm_mode_16_64 3
		.amdhsa_dx10_clamp 1
		.amdhsa_ieee_mode 1
		.amdhsa_fp16_overflow 0
		.amdhsa_workgroup_processor_mode 1
		.amdhsa_memory_ordered 1
		.amdhsa_forward_progress 0
		.amdhsa_shared_vgpr_count 0
		.amdhsa_exception_fp_ieee_invalid_op 0
		.amdhsa_exception_fp_denorm_src 0
		.amdhsa_exception_fp_ieee_div_zero 0
		.amdhsa_exception_fp_ieee_overflow 0
		.amdhsa_exception_fp_ieee_underflow 0
		.amdhsa_exception_fp_ieee_inexact 0
		.amdhsa_exception_int_div_zero 0
	.end_amdhsa_kernel
	.section	.text._ZN12_GLOBAL__N_121softmax_warp_backwardIfN3c104HalfEfLi4ELb1ELb0ELi64EEEvPT0_PKT_S7_iiiPKb,"axG",@progbits,_ZN12_GLOBAL__N_121softmax_warp_backwardIfN3c104HalfEfLi4ELb1ELb0ELi64EEEvPT0_PKT_S7_iiiPKb,comdat
.Lfunc_end284:
	.size	_ZN12_GLOBAL__N_121softmax_warp_backwardIfN3c104HalfEfLi4ELb1ELb0ELi64EEEvPT0_PKT_S7_iiiPKb, .Lfunc_end284-_ZN12_GLOBAL__N_121softmax_warp_backwardIfN3c104HalfEfLi4ELb1ELb0ELi64EEEvPT0_PKT_S7_iiiPKb
                                        ; -- End function
	.section	.AMDGPU.csdata,"",@progbits
; Kernel info:
; codeLenInByte = 948
; NumSgprs: 18
; NumVgprs: 14
; ScratchSize: 0
; MemoryBound: 0
; FloatMode: 240
; IeeeMode: 1
; LDSByteSize: 0 bytes/workgroup (compile time only)
; SGPRBlocks: 2
; VGPRBlocks: 1
; NumSGPRsForWavesPerEU: 18
; NumVGPRsForWavesPerEU: 14
; Occupancy: 16
; WaveLimiterHint : 0
; COMPUTE_PGM_RSRC2:SCRATCH_EN: 0
; COMPUTE_PGM_RSRC2:USER_SGPR: 15
; COMPUTE_PGM_RSRC2:TRAP_HANDLER: 0
; COMPUTE_PGM_RSRC2:TGID_X_EN: 1
; COMPUTE_PGM_RSRC2:TGID_Y_EN: 0
; COMPUTE_PGM_RSRC2:TGID_Z_EN: 0
; COMPUTE_PGM_RSRC2:TIDIG_COMP_CNT: 1
	.section	.text._ZN12_GLOBAL__N_121softmax_warp_backwardIfN3c104HalfEfLi4ELb1ELb0ELi32EEEvPT0_PKT_S7_iiiPKb,"axG",@progbits,_ZN12_GLOBAL__N_121softmax_warp_backwardIfN3c104HalfEfLi4ELb1ELb0ELi32EEEvPT0_PKT_S7_iiiPKb,comdat
	.globl	_ZN12_GLOBAL__N_121softmax_warp_backwardIfN3c104HalfEfLi4ELb1ELb0ELi32EEEvPT0_PKT_S7_iiiPKb ; -- Begin function _ZN12_GLOBAL__N_121softmax_warp_backwardIfN3c104HalfEfLi4ELb1ELb0ELi32EEEvPT0_PKT_S7_iiiPKb
	.p2align	8
	.type	_ZN12_GLOBAL__N_121softmax_warp_backwardIfN3c104HalfEfLi4ELb1ELb0ELi32EEEvPT0_PKT_S7_iiiPKb,@function
_ZN12_GLOBAL__N_121softmax_warp_backwardIfN3c104HalfEfLi4ELb1ELb0ELi32EEEvPT0_PKT_S7_iiiPKb: ; @_ZN12_GLOBAL__N_121softmax_warp_backwardIfN3c104HalfEfLi4ELb1ELb0ELi32EEEvPT0_PKT_S7_iiiPKb
; %bb.0:
	s_clause 0x1
	s_load_b32 s2, s[0:1], 0x3c
	s_load_b128 s[4:7], s[0:1], 0x18
	v_bfe_u32 v1, v0, 10, 10
	v_and_b32_e32 v2, 15, v0
	s_load_b128 s[8:11], s[0:1], 0x0
	v_mov_b32_e32 v6, 0
	v_mov_b32_e32 v8, 0
	s_waitcnt lgkmcnt(0)
	s_lshr_b32 s2, s2, 16
	v_cmp_gt_i32_e32 vcc_lo, s6, v2
	s_mul_i32 s15, s15, s2
	s_load_b64 s[2:3], s[0:1], 0x10
	v_add_lshl_u32 v3, s15, v1, 1
	s_delay_alu instid0(VALU_DEP_1) | instskip(SKIP_1) | instid1(VALU_DEP_1)
	v_mad_u64_u32 v[0:1], null, v3, s5, v[2:3]
	v_sub_nc_u32_e32 v7, s4, v3
	v_cmp_lt_i32_e64 s0, 0, v7
	s_delay_alu instid0(VALU_DEP_3) | instskip(NEXT) | instid1(VALU_DEP_1)
	v_ashrrev_i32_e32 v1, 31, v0
	v_lshlrev_b64 v[9:10], 2, v[0:1]
	s_delay_alu instid0(VALU_DEP_1) | instskip(NEXT) | instid1(VALU_DEP_1)
	v_add_co_u32 v4, s1, s10, v9
	v_add_co_ci_u32_e64 v5, s1, s11, v10, s1
	s_waitcnt lgkmcnt(0)
	v_add_co_u32 v2, s1, s2, v9
	s_delay_alu instid0(VALU_DEP_1) | instskip(SKIP_2) | instid1(SALU_CYCLE_1)
	v_add_co_ci_u32_e64 v3, s1, s3, v10, s1
	v_mov_b32_e32 v10, 0
	s_and_b32 s2, vcc_lo, s0
	s_and_saveexec_b32 s1, s2
	s_cbranch_execz .LBB285_2
; %bb.1:
	global_load_b32 v8, v[4:5], off
	global_load_b32 v10, v[2:3], off
.LBB285_2:
	s_or_b32 exec_lo, exec_lo, s1
	v_cmp_lt_i32_e64 s1, 1, v7
	v_mov_b32_e32 v9, 0
	s_mov_b32 s7, 0
	s_delay_alu instid0(VALU_DEP_2) | instskip(NEXT) | instid1(SALU_CYCLE_1)
	s_and_b32 s1, vcc_lo, s1
	s_and_saveexec_b32 s2, s1
	s_cbranch_execz .LBB285_4
; %bb.3:
	s_lshl_b64 s[4:5], s[6:7], 2
	s_delay_alu instid0(SALU_CYCLE_1) | instskip(NEXT) | instid1(VALU_DEP_1)
	v_add_co_u32 v4, s1, v4, s4
	v_add_co_ci_u32_e64 v5, s1, s5, v5, s1
	v_add_co_u32 v2, s1, v2, s4
	s_delay_alu instid0(VALU_DEP_1)
	v_add_co_ci_u32_e64 v3, s1, s5, v3, s1
	global_load_b32 v6, v[4:5], off
	global_load_b32 v9, v[2:3], off
.LBB285_4:
	s_or_b32 exec_lo, exec_lo, s2
	v_mbcnt_lo_u32_b32 v2, -1, 0
	s_waitcnt vmcnt(1)
	v_add_f32_e32 v11, 0, v6
	v_add_f32_e32 v5, 0, v8
	s_delay_alu instid0(VALU_DEP_3) | instskip(SKIP_2) | instid1(VALU_DEP_3)
	v_and_b32_e32 v3, 16, v2
	v_xor_b32_e32 v4, 8, v2
	v_xor_b32_e32 v13, 4, v2
	v_add_nc_u32_e32 v3, 16, v3
	s_delay_alu instid0(VALU_DEP_1) | instskip(NEXT) | instid1(VALU_DEP_1)
	v_cmp_lt_i32_e64 s1, v4, v3
	v_cndmask_b32_e64 v4, v2, v4, s1
	s_delay_alu instid0(VALU_DEP_4) | instskip(NEXT) | instid1(VALU_DEP_2)
	v_cmp_lt_i32_e64 s1, v13, v3
	v_lshlrev_b32_e32 v4, 2, v4
	s_delay_alu instid0(VALU_DEP_2)
	v_cndmask_b32_e64 v13, v2, v13, s1
	ds_bpermute_b32 v12, v4, v5
	ds_bpermute_b32 v4, v4, v11
	v_lshlrev_b32_e32 v13, 2, v13
	s_waitcnt lgkmcnt(1)
	v_add_f32_e32 v5, v5, v12
	s_waitcnt lgkmcnt(0)
	v_add_f32_e32 v4, v11, v4
	ds_bpermute_b32 v11, v13, v5
	ds_bpermute_b32 v12, v13, v4
	v_xor_b32_e32 v13, 2, v2
	s_delay_alu instid0(VALU_DEP_1) | instskip(NEXT) | instid1(VALU_DEP_1)
	v_cmp_lt_i32_e64 s1, v13, v3
	v_cndmask_b32_e64 v13, v2, v13, s1
	s_delay_alu instid0(VALU_DEP_1)
	v_lshlrev_b32_e32 v13, 2, v13
	s_waitcnt lgkmcnt(1)
	v_add_f32_e32 v5, v5, v11
	s_waitcnt lgkmcnt(0)
	v_add_f32_e32 v11, v4, v12
	ds_bpermute_b32 v4, v13, v5
	ds_bpermute_b32 v12, v13, v11
	v_xor_b32_e32 v13, 1, v2
	s_waitcnt lgkmcnt(1)
	v_add_f32_e32 v4, v5, v4
	s_delay_alu instid0(VALU_DEP_2) | instskip(NEXT) | instid1(VALU_DEP_1)
	v_cmp_lt_i32_e64 s1, v13, v3
	v_cndmask_b32_e64 v2, v2, v13, s1
	s_waitcnt lgkmcnt(0)
	s_delay_alu instid0(VALU_DEP_1)
	v_dual_add_f32 v2, v11, v12 :: v_dual_lshlrev_b32 v3, 2, v2
	ds_bpermute_b32 v5, v3, v4
	ds_bpermute_b32 v3, v3, v2
	s_and_saveexec_b32 s1, s0
	s_cbranch_execz .LBB285_10
; %bb.5:
	v_lshlrev_b64 v[0:1], 1, v[0:1]
	s_delay_alu instid0(VALU_DEP_1) | instskip(NEXT) | instid1(VALU_DEP_1)
	v_add_co_u32 v0, s0, s8, v0
	v_add_co_ci_u32_e64 v1, s0, s9, v1, s0
	s_and_saveexec_b32 s1, vcc_lo
	s_cbranch_execz .LBB285_7
; %bb.6:
	s_waitcnt vmcnt(0) lgkmcnt(1)
	v_dual_mul_f32 v11, 0x3fb8aa3b, v10 :: v_dual_add_f32 v4, v4, v5
	v_cmp_ngt_f32_e64 s0, 0xc2ce8ed0, v10
	s_delay_alu instid0(VALU_DEP_2) | instskip(SKIP_1) | instid1(VALU_DEP_2)
	v_rndne_f32_e32 v12, v11
	v_fma_f32 v13, 0x3fb8aa3b, v10, -v11
	v_sub_f32_e32 v11, v11, v12
	s_delay_alu instid0(VALU_DEP_2) | instskip(SKIP_1) | instid1(VALU_DEP_2)
	v_fmamk_f32 v13, v10, 0x32a5705f, v13
	v_cvt_i32_f32_e32 v12, v12
	v_add_f32_e32 v11, v11, v13
	s_delay_alu instid0(VALU_DEP_1) | instskip(SKIP_2) | instid1(VALU_DEP_1)
	v_exp_f32_e32 v11, v11
	s_waitcnt_depctr 0xfff
	v_ldexp_f32 v11, v11, v12
	v_cndmask_b32_e64 v11, 0, v11, s0
	v_cmp_nlt_f32_e64 s0, 0x42b17218, v10
	s_delay_alu instid0(VALU_DEP_1) | instskip(NEXT) | instid1(VALU_DEP_1)
	v_cndmask_b32_e64 v5, 0x7f800000, v11, s0
	v_fma_mixlo_f16 v4, -v4, v5, v8
	global_store_b16 v[0:1], v4, off
.LBB285_7:
	s_or_b32 exec_lo, exec_lo, s1
	v_cmp_ne_u32_e64 s0, 1, v7
	s_delay_alu instid0(VALU_DEP_1)
	s_and_b32 exec_lo, exec_lo, s0
	s_cbranch_execz .LBB285_10
; %bb.8:
	s_and_b32 exec_lo, exec_lo, vcc_lo
	s_cbranch_execz .LBB285_10
; %bb.9:
	s_waitcnt vmcnt(0)
	v_mul_f32_e32 v4, 0x3fb8aa3b, v9
	v_cmp_ngt_f32_e32 vcc_lo, 0xc2ce8ed0, v9
	s_lshl_b64 s[0:1], s[6:7], 1
	s_waitcnt lgkmcnt(1)
	s_delay_alu instid0(VALU_DEP_2) | instskip(SKIP_1) | instid1(VALU_DEP_1)
	v_rndne_f32_e32 v5, v4
	v_fma_f32 v7, 0x3fb8aa3b, v9, -v4
	v_dual_sub_f32 v4, v4, v5 :: v_dual_fmamk_f32 v7, v9, 0x32a5705f, v7
	v_cvt_i32_f32_e32 v5, v5
	s_delay_alu instid0(VALU_DEP_2) | instskip(NEXT) | instid1(VALU_DEP_1)
	v_add_f32_e32 v4, v4, v7
	v_exp_f32_e32 v4, v4
	s_waitcnt_depctr 0xfff
	v_ldexp_f32 v4, v4, v5
	s_delay_alu instid0(VALU_DEP_1) | instskip(SKIP_2) | instid1(VALU_DEP_2)
	v_cndmask_b32_e32 v4, 0, v4, vcc_lo
	v_cmp_nlt_f32_e32 vcc_lo, 0x42b17218, v9
	s_waitcnt lgkmcnt(0)
	v_dual_add_f32 v2, v2, v3 :: v_dual_cndmask_b32 v3, 0x7f800000, v4
	v_add_co_u32 v0, vcc_lo, v0, s0
	v_add_co_ci_u32_e32 v1, vcc_lo, s1, v1, vcc_lo
	s_delay_alu instid0(VALU_DEP_3)
	v_fma_mixlo_f16 v2, -v2, v3, v6
	global_store_b16 v[0:1], v2, off
.LBB285_10:
	s_nop 0
	s_sendmsg sendmsg(MSG_DEALLOC_VGPRS)
	s_endpgm
	.section	.rodata,"a",@progbits
	.p2align	6, 0x0
	.amdhsa_kernel _ZN12_GLOBAL__N_121softmax_warp_backwardIfN3c104HalfEfLi4ELb1ELb0ELi32EEEvPT0_PKT_S7_iiiPKb
		.amdhsa_group_segment_fixed_size 0
		.amdhsa_private_segment_fixed_size 0
		.amdhsa_kernarg_size 304
		.amdhsa_user_sgpr_count 15
		.amdhsa_user_sgpr_dispatch_ptr 0
		.amdhsa_user_sgpr_queue_ptr 0
		.amdhsa_user_sgpr_kernarg_segment_ptr 1
		.amdhsa_user_sgpr_dispatch_id 0
		.amdhsa_user_sgpr_private_segment_size 0
		.amdhsa_wavefront_size32 1
		.amdhsa_uses_dynamic_stack 0
		.amdhsa_enable_private_segment 0
		.amdhsa_system_sgpr_workgroup_id_x 1
		.amdhsa_system_sgpr_workgroup_id_y 0
		.amdhsa_system_sgpr_workgroup_id_z 0
		.amdhsa_system_sgpr_workgroup_info 0
		.amdhsa_system_vgpr_workitem_id 1
		.amdhsa_next_free_vgpr 14
		.amdhsa_next_free_sgpr 16
		.amdhsa_reserve_vcc 1
		.amdhsa_float_round_mode_32 0
		.amdhsa_float_round_mode_16_64 0
		.amdhsa_float_denorm_mode_32 3
		.amdhsa_float_denorm_mode_16_64 3
		.amdhsa_dx10_clamp 1
		.amdhsa_ieee_mode 1
		.amdhsa_fp16_overflow 0
		.amdhsa_workgroup_processor_mode 1
		.amdhsa_memory_ordered 1
		.amdhsa_forward_progress 0
		.amdhsa_shared_vgpr_count 0
		.amdhsa_exception_fp_ieee_invalid_op 0
		.amdhsa_exception_fp_denorm_src 0
		.amdhsa_exception_fp_ieee_div_zero 0
		.amdhsa_exception_fp_ieee_overflow 0
		.amdhsa_exception_fp_ieee_underflow 0
		.amdhsa_exception_fp_ieee_inexact 0
		.amdhsa_exception_int_div_zero 0
	.end_amdhsa_kernel
	.section	.text._ZN12_GLOBAL__N_121softmax_warp_backwardIfN3c104HalfEfLi4ELb1ELb0ELi32EEEvPT0_PKT_S7_iiiPKb,"axG",@progbits,_ZN12_GLOBAL__N_121softmax_warp_backwardIfN3c104HalfEfLi4ELb1ELb0ELi32EEEvPT0_PKT_S7_iiiPKb,comdat
.Lfunc_end285:
	.size	_ZN12_GLOBAL__N_121softmax_warp_backwardIfN3c104HalfEfLi4ELb1ELb0ELi32EEEvPT0_PKT_S7_iiiPKb, .Lfunc_end285-_ZN12_GLOBAL__N_121softmax_warp_backwardIfN3c104HalfEfLi4ELb1ELb0ELi32EEEvPT0_PKT_S7_iiiPKb
                                        ; -- End function
	.section	.AMDGPU.csdata,"",@progbits
; Kernel info:
; codeLenInByte = 948
; NumSgprs: 18
; NumVgprs: 14
; ScratchSize: 0
; MemoryBound: 0
; FloatMode: 240
; IeeeMode: 1
; LDSByteSize: 0 bytes/workgroup (compile time only)
; SGPRBlocks: 2
; VGPRBlocks: 1
; NumSGPRsForWavesPerEU: 18
; NumVGPRsForWavesPerEU: 14
; Occupancy: 16
; WaveLimiterHint : 0
; COMPUTE_PGM_RSRC2:SCRATCH_EN: 0
; COMPUTE_PGM_RSRC2:USER_SGPR: 15
; COMPUTE_PGM_RSRC2:TRAP_HANDLER: 0
; COMPUTE_PGM_RSRC2:TGID_X_EN: 1
; COMPUTE_PGM_RSRC2:TGID_Y_EN: 0
; COMPUTE_PGM_RSRC2:TGID_Z_EN: 0
; COMPUTE_PGM_RSRC2:TIDIG_COMP_CNT: 1
	.section	.text._ZN12_GLOBAL__N_121softmax_warp_backwardIfN3c104HalfEfLi5ELb1ELb0ELi64EEEvPT0_PKT_S7_iiiPKb,"axG",@progbits,_ZN12_GLOBAL__N_121softmax_warp_backwardIfN3c104HalfEfLi5ELb1ELb0ELi64EEEvPT0_PKT_S7_iiiPKb,comdat
	.globl	_ZN12_GLOBAL__N_121softmax_warp_backwardIfN3c104HalfEfLi5ELb1ELb0ELi64EEEvPT0_PKT_S7_iiiPKb ; -- Begin function _ZN12_GLOBAL__N_121softmax_warp_backwardIfN3c104HalfEfLi5ELb1ELb0ELi64EEEvPT0_PKT_S7_iiiPKb
	.p2align	8
	.type	_ZN12_GLOBAL__N_121softmax_warp_backwardIfN3c104HalfEfLi5ELb1ELb0ELi64EEEvPT0_PKT_S7_iiiPKb,@function
_ZN12_GLOBAL__N_121softmax_warp_backwardIfN3c104HalfEfLi5ELb1ELb0ELi64EEEvPT0_PKT_S7_iiiPKb: ; @_ZN12_GLOBAL__N_121softmax_warp_backwardIfN3c104HalfEfLi5ELb1ELb0ELi64EEEvPT0_PKT_S7_iiiPKb
; %bb.0:
	s_clause 0x1
	s_load_b32 s2, s[0:1], 0x3c
	s_load_b128 s[4:7], s[0:1], 0x18
	v_bfe_u32 v1, v0, 10, 10
	v_and_b32_e32 v2, 31, v0
	s_load_b128 s[8:11], s[0:1], 0x0
	v_mov_b32_e32 v6, 0
	v_mov_b32_e32 v8, 0
	s_waitcnt lgkmcnt(0)
	s_lshr_b32 s2, s2, 16
	v_cmp_gt_i32_e32 vcc_lo, s6, v2
	s_mul_i32 s15, s15, s2
	s_load_b64 s[2:3], s[0:1], 0x10
	v_add_lshl_u32 v3, s15, v1, 1
	s_delay_alu instid0(VALU_DEP_1) | instskip(SKIP_1) | instid1(VALU_DEP_1)
	v_mad_u64_u32 v[0:1], null, v3, s5, v[2:3]
	v_sub_nc_u32_e32 v7, s4, v3
	v_cmp_lt_i32_e64 s0, 0, v7
	s_delay_alu instid0(VALU_DEP_3) | instskip(NEXT) | instid1(VALU_DEP_1)
	v_ashrrev_i32_e32 v1, 31, v0
	v_lshlrev_b64 v[9:10], 2, v[0:1]
	s_delay_alu instid0(VALU_DEP_1) | instskip(NEXT) | instid1(VALU_DEP_1)
	v_add_co_u32 v4, s1, s10, v9
	v_add_co_ci_u32_e64 v5, s1, s11, v10, s1
	s_waitcnt lgkmcnt(0)
	v_add_co_u32 v2, s1, s2, v9
	s_delay_alu instid0(VALU_DEP_1) | instskip(SKIP_2) | instid1(SALU_CYCLE_1)
	v_add_co_ci_u32_e64 v3, s1, s3, v10, s1
	v_mov_b32_e32 v10, 0
	s_and_b32 s2, vcc_lo, s0
	s_and_saveexec_b32 s1, s2
	s_cbranch_execz .LBB286_2
; %bb.1:
	global_load_b32 v8, v[4:5], off
	global_load_b32 v10, v[2:3], off
.LBB286_2:
	s_or_b32 exec_lo, exec_lo, s1
	v_cmp_lt_i32_e64 s1, 1, v7
	v_mov_b32_e32 v9, 0
	s_mov_b32 s7, 0
	s_delay_alu instid0(VALU_DEP_2) | instskip(NEXT) | instid1(SALU_CYCLE_1)
	s_and_b32 s1, vcc_lo, s1
	s_and_saveexec_b32 s2, s1
	s_cbranch_execz .LBB286_4
; %bb.3:
	s_lshl_b64 s[4:5], s[6:7], 2
	s_delay_alu instid0(SALU_CYCLE_1) | instskip(NEXT) | instid1(VALU_DEP_1)
	v_add_co_u32 v4, s1, v4, s4
	v_add_co_ci_u32_e64 v5, s1, s5, v5, s1
	v_add_co_u32 v2, s1, v2, s4
	s_delay_alu instid0(VALU_DEP_1)
	v_add_co_ci_u32_e64 v3, s1, s5, v3, s1
	global_load_b32 v6, v[4:5], off
	global_load_b32 v9, v[2:3], off
.LBB286_4:
	s_or_b32 exec_lo, exec_lo, s2
	v_mbcnt_lo_u32_b32 v2, -1, 0
	s_delay_alu instid0(VALU_DEP_1) | instskip(SKIP_1) | instid1(VALU_DEP_2)
	v_xor_b32_e32 v3, 16, v2
	v_xor_b32_e32 v12, 8, v2
	v_cmp_gt_i32_e64 s1, 32, v3
	s_delay_alu instid0(VALU_DEP_1) | instskip(NEXT) | instid1(VALU_DEP_3)
	v_cndmask_b32_e64 v3, v2, v3, s1
	v_cmp_gt_i32_e64 s1, 32, v12
	s_waitcnt vmcnt(1)
	s_delay_alu instid0(VALU_DEP_2) | instskip(NEXT) | instid1(VALU_DEP_2)
	v_dual_add_f32 v4, 0, v8 :: v_dual_lshlrev_b32 v3, 2, v3
	v_cndmask_b32_e64 v12, v2, v12, s1
	v_add_f32_e32 v5, 0, v6
	ds_bpermute_b32 v11, v3, v4
	v_lshlrev_b32_e32 v12, 2, v12
	ds_bpermute_b32 v3, v3, v5
	s_waitcnt lgkmcnt(1)
	v_add_f32_e32 v4, v4, v11
	s_waitcnt lgkmcnt(0)
	v_add_f32_e32 v3, v5, v3
	ds_bpermute_b32 v5, v12, v4
	ds_bpermute_b32 v11, v12, v3
	v_xor_b32_e32 v12, 4, v2
	s_delay_alu instid0(VALU_DEP_1) | instskip(NEXT) | instid1(VALU_DEP_1)
	v_cmp_gt_i32_e64 s1, 32, v12
	v_cndmask_b32_e64 v12, v2, v12, s1
	s_delay_alu instid0(VALU_DEP_1)
	v_lshlrev_b32_e32 v12, 2, v12
	s_waitcnt lgkmcnt(0)
	v_dual_add_f32 v4, v4, v5 :: v_dual_add_f32 v3, v3, v11
	ds_bpermute_b32 v5, v12, v4
	ds_bpermute_b32 v11, v12, v3
	v_xor_b32_e32 v12, 2, v2
	s_delay_alu instid0(VALU_DEP_1) | instskip(NEXT) | instid1(VALU_DEP_1)
	v_cmp_gt_i32_e64 s1, 32, v12
	v_cndmask_b32_e64 v12, v2, v12, s1
	s_delay_alu instid0(VALU_DEP_1)
	v_lshlrev_b32_e32 v12, 2, v12
	s_waitcnt lgkmcnt(0)
	v_dual_add_f32 v4, v4, v5 :: v_dual_add_f32 v3, v3, v11
	ds_bpermute_b32 v5, v12, v4
	ds_bpermute_b32 v11, v12, v3
	v_xor_b32_e32 v12, 1, v2
	s_delay_alu instid0(VALU_DEP_1) | instskip(NEXT) | instid1(VALU_DEP_1)
	v_cmp_gt_i32_e64 s1, 32, v12
	v_cndmask_b32_e64 v2, v2, v12, s1
	s_delay_alu instid0(VALU_DEP_1)
	v_lshlrev_b32_e32 v12, 2, v2
	s_waitcnt lgkmcnt(1)
	v_add_f32_e32 v4, v4, v5
	s_waitcnt lgkmcnt(0)
	v_add_f32_e32 v2, v3, v11
	ds_bpermute_b32 v5, v12, v4
	ds_bpermute_b32 v3, v12, v2
	s_and_saveexec_b32 s1, s0
	s_cbranch_execz .LBB286_10
; %bb.5:
	v_lshlrev_b64 v[0:1], 1, v[0:1]
	s_delay_alu instid0(VALU_DEP_1) | instskip(NEXT) | instid1(VALU_DEP_1)
	v_add_co_u32 v0, s0, s8, v0
	v_add_co_ci_u32_e64 v1, s0, s9, v1, s0
	s_and_saveexec_b32 s1, vcc_lo
	s_cbranch_execz .LBB286_7
; %bb.6:
	s_waitcnt vmcnt(0) lgkmcnt(1)
	v_dual_mul_f32 v11, 0x3fb8aa3b, v10 :: v_dual_add_f32 v4, v4, v5
	v_cmp_ngt_f32_e64 s0, 0xc2ce8ed0, v10
	s_delay_alu instid0(VALU_DEP_2) | instskip(SKIP_1) | instid1(VALU_DEP_2)
	v_rndne_f32_e32 v12, v11
	v_fma_f32 v13, 0x3fb8aa3b, v10, -v11
	v_sub_f32_e32 v11, v11, v12
	s_delay_alu instid0(VALU_DEP_2) | instskip(SKIP_1) | instid1(VALU_DEP_2)
	v_fmamk_f32 v13, v10, 0x32a5705f, v13
	v_cvt_i32_f32_e32 v12, v12
	v_add_f32_e32 v11, v11, v13
	s_delay_alu instid0(VALU_DEP_1) | instskip(SKIP_2) | instid1(VALU_DEP_1)
	v_exp_f32_e32 v11, v11
	s_waitcnt_depctr 0xfff
	v_ldexp_f32 v11, v11, v12
	v_cndmask_b32_e64 v11, 0, v11, s0
	v_cmp_nlt_f32_e64 s0, 0x42b17218, v10
	s_delay_alu instid0(VALU_DEP_1) | instskip(NEXT) | instid1(VALU_DEP_1)
	v_cndmask_b32_e64 v5, 0x7f800000, v11, s0
	v_fma_mixlo_f16 v4, -v4, v5, v8
	global_store_b16 v[0:1], v4, off
.LBB286_7:
	s_or_b32 exec_lo, exec_lo, s1
	v_cmp_ne_u32_e64 s0, 1, v7
	s_delay_alu instid0(VALU_DEP_1)
	s_and_b32 exec_lo, exec_lo, s0
	s_cbranch_execz .LBB286_10
; %bb.8:
	s_and_b32 exec_lo, exec_lo, vcc_lo
	s_cbranch_execz .LBB286_10
; %bb.9:
	s_waitcnt vmcnt(0)
	v_mul_f32_e32 v4, 0x3fb8aa3b, v9
	v_cmp_ngt_f32_e32 vcc_lo, 0xc2ce8ed0, v9
	s_lshl_b64 s[0:1], s[6:7], 1
	s_waitcnt lgkmcnt(1)
	s_delay_alu instid0(VALU_DEP_2) | instskip(SKIP_1) | instid1(VALU_DEP_1)
	v_rndne_f32_e32 v5, v4
	v_fma_f32 v7, 0x3fb8aa3b, v9, -v4
	v_dual_sub_f32 v4, v4, v5 :: v_dual_fmamk_f32 v7, v9, 0x32a5705f, v7
	v_cvt_i32_f32_e32 v5, v5
	s_delay_alu instid0(VALU_DEP_2) | instskip(NEXT) | instid1(VALU_DEP_1)
	v_add_f32_e32 v4, v4, v7
	v_exp_f32_e32 v4, v4
	s_waitcnt_depctr 0xfff
	v_ldexp_f32 v4, v4, v5
	s_delay_alu instid0(VALU_DEP_1) | instskip(SKIP_2) | instid1(VALU_DEP_2)
	v_cndmask_b32_e32 v4, 0, v4, vcc_lo
	v_cmp_nlt_f32_e32 vcc_lo, 0x42b17218, v9
	s_waitcnt lgkmcnt(0)
	v_dual_add_f32 v2, v2, v3 :: v_dual_cndmask_b32 v3, 0x7f800000, v4
	v_add_co_u32 v0, vcc_lo, v0, s0
	v_add_co_ci_u32_e32 v1, vcc_lo, s1, v1, vcc_lo
	s_delay_alu instid0(VALU_DEP_3)
	v_fma_mixlo_f16 v2, -v2, v3, v6
	global_store_b16 v[0:1], v2, off
.LBB286_10:
	s_nop 0
	s_sendmsg sendmsg(MSG_DEALLOC_VGPRS)
	s_endpgm
	.section	.rodata,"a",@progbits
	.p2align	6, 0x0
	.amdhsa_kernel _ZN12_GLOBAL__N_121softmax_warp_backwardIfN3c104HalfEfLi5ELb1ELb0ELi64EEEvPT0_PKT_S7_iiiPKb
		.amdhsa_group_segment_fixed_size 0
		.amdhsa_private_segment_fixed_size 0
		.amdhsa_kernarg_size 304
		.amdhsa_user_sgpr_count 15
		.amdhsa_user_sgpr_dispatch_ptr 0
		.amdhsa_user_sgpr_queue_ptr 0
		.amdhsa_user_sgpr_kernarg_segment_ptr 1
		.amdhsa_user_sgpr_dispatch_id 0
		.amdhsa_user_sgpr_private_segment_size 0
		.amdhsa_wavefront_size32 1
		.amdhsa_uses_dynamic_stack 0
		.amdhsa_enable_private_segment 0
		.amdhsa_system_sgpr_workgroup_id_x 1
		.amdhsa_system_sgpr_workgroup_id_y 0
		.amdhsa_system_sgpr_workgroup_id_z 0
		.amdhsa_system_sgpr_workgroup_info 0
		.amdhsa_system_vgpr_workitem_id 1
		.amdhsa_next_free_vgpr 14
		.amdhsa_next_free_sgpr 16
		.amdhsa_reserve_vcc 1
		.amdhsa_float_round_mode_32 0
		.amdhsa_float_round_mode_16_64 0
		.amdhsa_float_denorm_mode_32 3
		.amdhsa_float_denorm_mode_16_64 3
		.amdhsa_dx10_clamp 1
		.amdhsa_ieee_mode 1
		.amdhsa_fp16_overflow 0
		.amdhsa_workgroup_processor_mode 1
		.amdhsa_memory_ordered 1
		.amdhsa_forward_progress 0
		.amdhsa_shared_vgpr_count 0
		.amdhsa_exception_fp_ieee_invalid_op 0
		.amdhsa_exception_fp_denorm_src 0
		.amdhsa_exception_fp_ieee_div_zero 0
		.amdhsa_exception_fp_ieee_overflow 0
		.amdhsa_exception_fp_ieee_underflow 0
		.amdhsa_exception_fp_ieee_inexact 0
		.amdhsa_exception_int_div_zero 0
	.end_amdhsa_kernel
	.section	.text._ZN12_GLOBAL__N_121softmax_warp_backwardIfN3c104HalfEfLi5ELb1ELb0ELi64EEEvPT0_PKT_S7_iiiPKb,"axG",@progbits,_ZN12_GLOBAL__N_121softmax_warp_backwardIfN3c104HalfEfLi5ELb1ELb0ELi64EEEvPT0_PKT_S7_iiiPKb,comdat
.Lfunc_end286:
	.size	_ZN12_GLOBAL__N_121softmax_warp_backwardIfN3c104HalfEfLi5ELb1ELb0ELi64EEEvPT0_PKT_S7_iiiPKb, .Lfunc_end286-_ZN12_GLOBAL__N_121softmax_warp_backwardIfN3c104HalfEfLi5ELb1ELb0ELi64EEEvPT0_PKT_S7_iiiPKb
                                        ; -- End function
	.section	.AMDGPU.csdata,"",@progbits
; Kernel info:
; codeLenInByte = 992
; NumSgprs: 18
; NumVgprs: 14
; ScratchSize: 0
; MemoryBound: 0
; FloatMode: 240
; IeeeMode: 1
; LDSByteSize: 0 bytes/workgroup (compile time only)
; SGPRBlocks: 2
; VGPRBlocks: 1
; NumSGPRsForWavesPerEU: 18
; NumVGPRsForWavesPerEU: 14
; Occupancy: 16
; WaveLimiterHint : 0
; COMPUTE_PGM_RSRC2:SCRATCH_EN: 0
; COMPUTE_PGM_RSRC2:USER_SGPR: 15
; COMPUTE_PGM_RSRC2:TRAP_HANDLER: 0
; COMPUTE_PGM_RSRC2:TGID_X_EN: 1
; COMPUTE_PGM_RSRC2:TGID_Y_EN: 0
; COMPUTE_PGM_RSRC2:TGID_Z_EN: 0
; COMPUTE_PGM_RSRC2:TIDIG_COMP_CNT: 1
	.section	.text._ZN12_GLOBAL__N_121softmax_warp_backwardIfN3c104HalfEfLi5ELb1ELb0ELi32EEEvPT0_PKT_S7_iiiPKb,"axG",@progbits,_ZN12_GLOBAL__N_121softmax_warp_backwardIfN3c104HalfEfLi5ELb1ELb0ELi32EEEvPT0_PKT_S7_iiiPKb,comdat
	.globl	_ZN12_GLOBAL__N_121softmax_warp_backwardIfN3c104HalfEfLi5ELb1ELb0ELi32EEEvPT0_PKT_S7_iiiPKb ; -- Begin function _ZN12_GLOBAL__N_121softmax_warp_backwardIfN3c104HalfEfLi5ELb1ELb0ELi32EEEvPT0_PKT_S7_iiiPKb
	.p2align	8
	.type	_ZN12_GLOBAL__N_121softmax_warp_backwardIfN3c104HalfEfLi5ELb1ELb0ELi32EEEvPT0_PKT_S7_iiiPKb,@function
_ZN12_GLOBAL__N_121softmax_warp_backwardIfN3c104HalfEfLi5ELb1ELb0ELi32EEEvPT0_PKT_S7_iiiPKb: ; @_ZN12_GLOBAL__N_121softmax_warp_backwardIfN3c104HalfEfLi5ELb1ELb0ELi32EEEvPT0_PKT_S7_iiiPKb
; %bb.0:
	s_clause 0x1
	s_load_b32 s2, s[0:1], 0x3c
	s_load_b128 s[4:7], s[0:1], 0x18
	v_bfe_u32 v1, v0, 10, 10
	v_and_b32_e32 v2, 31, v0
	s_load_b128 s[8:11], s[0:1], 0x0
	v_mov_b32_e32 v6, 0
	v_mov_b32_e32 v8, 0
	s_waitcnt lgkmcnt(0)
	s_lshr_b32 s2, s2, 16
	v_cmp_gt_i32_e32 vcc_lo, s6, v2
	s_mul_i32 s15, s15, s2
	s_load_b64 s[2:3], s[0:1], 0x10
	v_add_lshl_u32 v3, s15, v1, 1
	s_delay_alu instid0(VALU_DEP_1) | instskip(SKIP_1) | instid1(VALU_DEP_1)
	v_mad_u64_u32 v[0:1], null, v3, s5, v[2:3]
	v_sub_nc_u32_e32 v7, s4, v3
	v_cmp_lt_i32_e64 s0, 0, v7
	s_delay_alu instid0(VALU_DEP_3) | instskip(NEXT) | instid1(VALU_DEP_1)
	v_ashrrev_i32_e32 v1, 31, v0
	v_lshlrev_b64 v[9:10], 2, v[0:1]
	s_delay_alu instid0(VALU_DEP_1) | instskip(NEXT) | instid1(VALU_DEP_1)
	v_add_co_u32 v4, s1, s10, v9
	v_add_co_ci_u32_e64 v5, s1, s11, v10, s1
	s_waitcnt lgkmcnt(0)
	v_add_co_u32 v2, s1, s2, v9
	s_delay_alu instid0(VALU_DEP_1) | instskip(SKIP_2) | instid1(SALU_CYCLE_1)
	v_add_co_ci_u32_e64 v3, s1, s3, v10, s1
	v_mov_b32_e32 v10, 0
	s_and_b32 s2, vcc_lo, s0
	s_and_saveexec_b32 s1, s2
	s_cbranch_execz .LBB287_2
; %bb.1:
	global_load_b32 v8, v[4:5], off
	global_load_b32 v10, v[2:3], off
.LBB287_2:
	s_or_b32 exec_lo, exec_lo, s1
	v_cmp_lt_i32_e64 s1, 1, v7
	v_mov_b32_e32 v9, 0
	s_mov_b32 s7, 0
	s_delay_alu instid0(VALU_DEP_2) | instskip(NEXT) | instid1(SALU_CYCLE_1)
	s_and_b32 s1, vcc_lo, s1
	s_and_saveexec_b32 s2, s1
	s_cbranch_execz .LBB287_4
; %bb.3:
	s_lshl_b64 s[4:5], s[6:7], 2
	s_delay_alu instid0(SALU_CYCLE_1) | instskip(NEXT) | instid1(VALU_DEP_1)
	v_add_co_u32 v4, s1, v4, s4
	v_add_co_ci_u32_e64 v5, s1, s5, v5, s1
	v_add_co_u32 v2, s1, v2, s4
	s_delay_alu instid0(VALU_DEP_1)
	v_add_co_ci_u32_e64 v3, s1, s5, v3, s1
	global_load_b32 v6, v[4:5], off
	global_load_b32 v9, v[2:3], off
.LBB287_4:
	s_or_b32 exec_lo, exec_lo, s2
	v_mbcnt_lo_u32_b32 v2, -1, 0
	s_delay_alu instid0(VALU_DEP_1) | instskip(SKIP_1) | instid1(VALU_DEP_2)
	v_xor_b32_e32 v3, 16, v2
	v_xor_b32_e32 v12, 8, v2
	v_cmp_gt_i32_e64 s1, 32, v3
	s_delay_alu instid0(VALU_DEP_1) | instskip(NEXT) | instid1(VALU_DEP_3)
	v_cndmask_b32_e64 v3, v2, v3, s1
	v_cmp_gt_i32_e64 s1, 32, v12
	s_waitcnt vmcnt(1)
	s_delay_alu instid0(VALU_DEP_2) | instskip(NEXT) | instid1(VALU_DEP_2)
	v_dual_add_f32 v4, 0, v8 :: v_dual_lshlrev_b32 v3, 2, v3
	v_cndmask_b32_e64 v12, v2, v12, s1
	v_add_f32_e32 v5, 0, v6
	ds_bpermute_b32 v11, v3, v4
	v_lshlrev_b32_e32 v12, 2, v12
	ds_bpermute_b32 v3, v3, v5
	s_waitcnt lgkmcnt(1)
	v_add_f32_e32 v4, v4, v11
	s_waitcnt lgkmcnt(0)
	v_add_f32_e32 v3, v5, v3
	ds_bpermute_b32 v5, v12, v4
	ds_bpermute_b32 v11, v12, v3
	v_xor_b32_e32 v12, 4, v2
	s_delay_alu instid0(VALU_DEP_1) | instskip(NEXT) | instid1(VALU_DEP_1)
	v_cmp_gt_i32_e64 s1, 32, v12
	v_cndmask_b32_e64 v12, v2, v12, s1
	s_delay_alu instid0(VALU_DEP_1)
	v_lshlrev_b32_e32 v12, 2, v12
	s_waitcnt lgkmcnt(0)
	v_dual_add_f32 v4, v4, v5 :: v_dual_add_f32 v3, v3, v11
	ds_bpermute_b32 v5, v12, v4
	ds_bpermute_b32 v11, v12, v3
	v_xor_b32_e32 v12, 2, v2
	s_delay_alu instid0(VALU_DEP_1) | instskip(NEXT) | instid1(VALU_DEP_1)
	v_cmp_gt_i32_e64 s1, 32, v12
	v_cndmask_b32_e64 v12, v2, v12, s1
	s_delay_alu instid0(VALU_DEP_1)
	v_lshlrev_b32_e32 v12, 2, v12
	s_waitcnt lgkmcnt(0)
	v_dual_add_f32 v4, v4, v5 :: v_dual_add_f32 v3, v3, v11
	ds_bpermute_b32 v5, v12, v4
	ds_bpermute_b32 v11, v12, v3
	v_xor_b32_e32 v12, 1, v2
	s_delay_alu instid0(VALU_DEP_1) | instskip(NEXT) | instid1(VALU_DEP_1)
	v_cmp_gt_i32_e64 s1, 32, v12
	v_cndmask_b32_e64 v2, v2, v12, s1
	s_delay_alu instid0(VALU_DEP_1)
	v_lshlrev_b32_e32 v12, 2, v2
	s_waitcnt lgkmcnt(1)
	v_add_f32_e32 v4, v4, v5
	s_waitcnt lgkmcnt(0)
	v_add_f32_e32 v2, v3, v11
	ds_bpermute_b32 v5, v12, v4
	ds_bpermute_b32 v3, v12, v2
	s_and_saveexec_b32 s1, s0
	s_cbranch_execz .LBB287_10
; %bb.5:
	v_lshlrev_b64 v[0:1], 1, v[0:1]
	s_delay_alu instid0(VALU_DEP_1) | instskip(NEXT) | instid1(VALU_DEP_1)
	v_add_co_u32 v0, s0, s8, v0
	v_add_co_ci_u32_e64 v1, s0, s9, v1, s0
	s_and_saveexec_b32 s1, vcc_lo
	s_cbranch_execz .LBB287_7
; %bb.6:
	s_waitcnt vmcnt(0) lgkmcnt(1)
	v_dual_mul_f32 v11, 0x3fb8aa3b, v10 :: v_dual_add_f32 v4, v4, v5
	v_cmp_ngt_f32_e64 s0, 0xc2ce8ed0, v10
	s_delay_alu instid0(VALU_DEP_2) | instskip(SKIP_1) | instid1(VALU_DEP_2)
	v_rndne_f32_e32 v12, v11
	v_fma_f32 v13, 0x3fb8aa3b, v10, -v11
	v_sub_f32_e32 v11, v11, v12
	s_delay_alu instid0(VALU_DEP_2) | instskip(SKIP_1) | instid1(VALU_DEP_2)
	v_fmamk_f32 v13, v10, 0x32a5705f, v13
	v_cvt_i32_f32_e32 v12, v12
	v_add_f32_e32 v11, v11, v13
	s_delay_alu instid0(VALU_DEP_1) | instskip(SKIP_2) | instid1(VALU_DEP_1)
	v_exp_f32_e32 v11, v11
	s_waitcnt_depctr 0xfff
	v_ldexp_f32 v11, v11, v12
	v_cndmask_b32_e64 v11, 0, v11, s0
	v_cmp_nlt_f32_e64 s0, 0x42b17218, v10
	s_delay_alu instid0(VALU_DEP_1) | instskip(NEXT) | instid1(VALU_DEP_1)
	v_cndmask_b32_e64 v5, 0x7f800000, v11, s0
	v_fma_mixlo_f16 v4, -v4, v5, v8
	global_store_b16 v[0:1], v4, off
.LBB287_7:
	s_or_b32 exec_lo, exec_lo, s1
	v_cmp_ne_u32_e64 s0, 1, v7
	s_delay_alu instid0(VALU_DEP_1)
	s_and_b32 exec_lo, exec_lo, s0
	s_cbranch_execz .LBB287_10
; %bb.8:
	s_and_b32 exec_lo, exec_lo, vcc_lo
	s_cbranch_execz .LBB287_10
; %bb.9:
	s_waitcnt vmcnt(0)
	v_mul_f32_e32 v4, 0x3fb8aa3b, v9
	v_cmp_ngt_f32_e32 vcc_lo, 0xc2ce8ed0, v9
	s_lshl_b64 s[0:1], s[6:7], 1
	s_waitcnt lgkmcnt(1)
	s_delay_alu instid0(VALU_DEP_2) | instskip(SKIP_1) | instid1(VALU_DEP_1)
	v_rndne_f32_e32 v5, v4
	v_fma_f32 v7, 0x3fb8aa3b, v9, -v4
	v_dual_sub_f32 v4, v4, v5 :: v_dual_fmamk_f32 v7, v9, 0x32a5705f, v7
	v_cvt_i32_f32_e32 v5, v5
	s_delay_alu instid0(VALU_DEP_2) | instskip(NEXT) | instid1(VALU_DEP_1)
	v_add_f32_e32 v4, v4, v7
	v_exp_f32_e32 v4, v4
	s_waitcnt_depctr 0xfff
	v_ldexp_f32 v4, v4, v5
	s_delay_alu instid0(VALU_DEP_1) | instskip(SKIP_2) | instid1(VALU_DEP_2)
	v_cndmask_b32_e32 v4, 0, v4, vcc_lo
	v_cmp_nlt_f32_e32 vcc_lo, 0x42b17218, v9
	s_waitcnt lgkmcnt(0)
	v_dual_add_f32 v2, v2, v3 :: v_dual_cndmask_b32 v3, 0x7f800000, v4
	v_add_co_u32 v0, vcc_lo, v0, s0
	v_add_co_ci_u32_e32 v1, vcc_lo, s1, v1, vcc_lo
	s_delay_alu instid0(VALU_DEP_3)
	v_fma_mixlo_f16 v2, -v2, v3, v6
	global_store_b16 v[0:1], v2, off
.LBB287_10:
	s_nop 0
	s_sendmsg sendmsg(MSG_DEALLOC_VGPRS)
	s_endpgm
	.section	.rodata,"a",@progbits
	.p2align	6, 0x0
	.amdhsa_kernel _ZN12_GLOBAL__N_121softmax_warp_backwardIfN3c104HalfEfLi5ELb1ELb0ELi32EEEvPT0_PKT_S7_iiiPKb
		.amdhsa_group_segment_fixed_size 0
		.amdhsa_private_segment_fixed_size 0
		.amdhsa_kernarg_size 304
		.amdhsa_user_sgpr_count 15
		.amdhsa_user_sgpr_dispatch_ptr 0
		.amdhsa_user_sgpr_queue_ptr 0
		.amdhsa_user_sgpr_kernarg_segment_ptr 1
		.amdhsa_user_sgpr_dispatch_id 0
		.amdhsa_user_sgpr_private_segment_size 0
		.amdhsa_wavefront_size32 1
		.amdhsa_uses_dynamic_stack 0
		.amdhsa_enable_private_segment 0
		.amdhsa_system_sgpr_workgroup_id_x 1
		.amdhsa_system_sgpr_workgroup_id_y 0
		.amdhsa_system_sgpr_workgroup_id_z 0
		.amdhsa_system_sgpr_workgroup_info 0
		.amdhsa_system_vgpr_workitem_id 1
		.amdhsa_next_free_vgpr 14
		.amdhsa_next_free_sgpr 16
		.amdhsa_reserve_vcc 1
		.amdhsa_float_round_mode_32 0
		.amdhsa_float_round_mode_16_64 0
		.amdhsa_float_denorm_mode_32 3
		.amdhsa_float_denorm_mode_16_64 3
		.amdhsa_dx10_clamp 1
		.amdhsa_ieee_mode 1
		.amdhsa_fp16_overflow 0
		.amdhsa_workgroup_processor_mode 1
		.amdhsa_memory_ordered 1
		.amdhsa_forward_progress 0
		.amdhsa_shared_vgpr_count 0
		.amdhsa_exception_fp_ieee_invalid_op 0
		.amdhsa_exception_fp_denorm_src 0
		.amdhsa_exception_fp_ieee_div_zero 0
		.amdhsa_exception_fp_ieee_overflow 0
		.amdhsa_exception_fp_ieee_underflow 0
		.amdhsa_exception_fp_ieee_inexact 0
		.amdhsa_exception_int_div_zero 0
	.end_amdhsa_kernel
	.section	.text._ZN12_GLOBAL__N_121softmax_warp_backwardIfN3c104HalfEfLi5ELb1ELb0ELi32EEEvPT0_PKT_S7_iiiPKb,"axG",@progbits,_ZN12_GLOBAL__N_121softmax_warp_backwardIfN3c104HalfEfLi5ELb1ELb0ELi32EEEvPT0_PKT_S7_iiiPKb,comdat
.Lfunc_end287:
	.size	_ZN12_GLOBAL__N_121softmax_warp_backwardIfN3c104HalfEfLi5ELb1ELb0ELi32EEEvPT0_PKT_S7_iiiPKb, .Lfunc_end287-_ZN12_GLOBAL__N_121softmax_warp_backwardIfN3c104HalfEfLi5ELb1ELb0ELi32EEEvPT0_PKT_S7_iiiPKb
                                        ; -- End function
	.section	.AMDGPU.csdata,"",@progbits
; Kernel info:
; codeLenInByte = 992
; NumSgprs: 18
; NumVgprs: 14
; ScratchSize: 0
; MemoryBound: 0
; FloatMode: 240
; IeeeMode: 1
; LDSByteSize: 0 bytes/workgroup (compile time only)
; SGPRBlocks: 2
; VGPRBlocks: 1
; NumSGPRsForWavesPerEU: 18
; NumVGPRsForWavesPerEU: 14
; Occupancy: 16
; WaveLimiterHint : 0
; COMPUTE_PGM_RSRC2:SCRATCH_EN: 0
; COMPUTE_PGM_RSRC2:USER_SGPR: 15
; COMPUTE_PGM_RSRC2:TRAP_HANDLER: 0
; COMPUTE_PGM_RSRC2:TGID_X_EN: 1
; COMPUTE_PGM_RSRC2:TGID_Y_EN: 0
; COMPUTE_PGM_RSRC2:TGID_Z_EN: 0
; COMPUTE_PGM_RSRC2:TIDIG_COMP_CNT: 1
	.section	.text._ZN12_GLOBAL__N_121softmax_warp_backwardIfN3c104HalfEfLi6ELb1ELb0ELi64EEEvPT0_PKT_S7_iiiPKb,"axG",@progbits,_ZN12_GLOBAL__N_121softmax_warp_backwardIfN3c104HalfEfLi6ELb1ELb0ELi64EEEvPT0_PKT_S7_iiiPKb,comdat
	.globl	_ZN12_GLOBAL__N_121softmax_warp_backwardIfN3c104HalfEfLi6ELb1ELb0ELi64EEEvPT0_PKT_S7_iiiPKb ; -- Begin function _ZN12_GLOBAL__N_121softmax_warp_backwardIfN3c104HalfEfLi6ELb1ELb0ELi64EEEvPT0_PKT_S7_iiiPKb
	.p2align	8
	.type	_ZN12_GLOBAL__N_121softmax_warp_backwardIfN3c104HalfEfLi6ELb1ELb0ELi64EEEvPT0_PKT_S7_iiiPKb,@function
_ZN12_GLOBAL__N_121softmax_warp_backwardIfN3c104HalfEfLi6ELb1ELb0ELi64EEEvPT0_PKT_S7_iiiPKb: ; @_ZN12_GLOBAL__N_121softmax_warp_backwardIfN3c104HalfEfLi6ELb1ELb0ELi64EEEvPT0_PKT_S7_iiiPKb
; %bb.0:
	s_clause 0x1
	s_load_b32 s2, s[0:1], 0x3c
	s_load_b128 s[4:7], s[0:1], 0x18
	v_bfe_u32 v1, v0, 10, 10
	v_and_b32_e32 v2, 63, v0
	s_load_b128 s[8:11], s[0:1], 0x0
	v_mov_b32_e32 v6, 0
	v_mov_b32_e32 v8, 0
	s_waitcnt lgkmcnt(0)
	s_lshr_b32 s2, s2, 16
	v_cmp_gt_i32_e32 vcc_lo, s6, v2
	s_mul_i32 s15, s15, s2
	s_load_b64 s[2:3], s[0:1], 0x10
	v_add_lshl_u32 v3, s15, v1, 1
	s_delay_alu instid0(VALU_DEP_1) | instskip(SKIP_1) | instid1(VALU_DEP_1)
	v_mad_u64_u32 v[0:1], null, v3, s5, v[2:3]
	v_sub_nc_u32_e32 v7, s4, v3
	v_cmp_lt_i32_e64 s0, 0, v7
	s_delay_alu instid0(VALU_DEP_3) | instskip(NEXT) | instid1(VALU_DEP_1)
	v_ashrrev_i32_e32 v1, 31, v0
	v_lshlrev_b64 v[9:10], 2, v[0:1]
	s_delay_alu instid0(VALU_DEP_1) | instskip(NEXT) | instid1(VALU_DEP_1)
	v_add_co_u32 v4, s1, s10, v9
	v_add_co_ci_u32_e64 v5, s1, s11, v10, s1
	s_waitcnt lgkmcnt(0)
	v_add_co_u32 v2, s1, s2, v9
	s_delay_alu instid0(VALU_DEP_1) | instskip(SKIP_2) | instid1(SALU_CYCLE_1)
	v_add_co_ci_u32_e64 v3, s1, s3, v10, s1
	v_mov_b32_e32 v10, 0
	s_and_b32 s2, vcc_lo, s0
	s_and_saveexec_b32 s1, s2
	s_cbranch_execz .LBB288_2
; %bb.1:
	global_load_b32 v8, v[4:5], off
	global_load_b32 v10, v[2:3], off
.LBB288_2:
	s_or_b32 exec_lo, exec_lo, s1
	v_cmp_lt_i32_e64 s1, 1, v7
	v_mov_b32_e32 v9, 0
	s_mov_b32 s7, 0
	s_delay_alu instid0(VALU_DEP_2) | instskip(NEXT) | instid1(SALU_CYCLE_1)
	s_and_b32 s1, vcc_lo, s1
	s_and_saveexec_b32 s2, s1
	s_cbranch_execz .LBB288_4
; %bb.3:
	s_lshl_b64 s[4:5], s[6:7], 2
	s_delay_alu instid0(SALU_CYCLE_1) | instskip(NEXT) | instid1(VALU_DEP_1)
	v_add_co_u32 v4, s1, v4, s4
	v_add_co_ci_u32_e64 v5, s1, s5, v5, s1
	v_add_co_u32 v2, s1, v2, s4
	s_delay_alu instid0(VALU_DEP_1)
	v_add_co_ci_u32_e64 v3, s1, s5, v3, s1
	global_load_b32 v6, v[4:5], off
	global_load_b32 v9, v[2:3], off
.LBB288_4:
	s_or_b32 exec_lo, exec_lo, s2
	v_mbcnt_lo_u32_b32 v2, -1, 0
	s_delay_alu instid0(VALU_DEP_1) | instskip(SKIP_1) | instid1(VALU_DEP_2)
	v_or_b32_e32 v3, 32, v2
	v_xor_b32_e32 v12, 16, v2
	v_cmp_gt_i32_e64 s1, 64, v3
	s_delay_alu instid0(VALU_DEP_1) | instskip(NEXT) | instid1(VALU_DEP_3)
	v_cndmask_b32_e64 v3, v2, v3, s1
	v_cmp_gt_i32_e64 s1, 64, v12
	s_waitcnt vmcnt(1)
	s_delay_alu instid0(VALU_DEP_2) | instskip(NEXT) | instid1(VALU_DEP_2)
	v_dual_add_f32 v4, 0, v8 :: v_dual_lshlrev_b32 v3, 2, v3
	v_cndmask_b32_e64 v12, v2, v12, s1
	v_add_f32_e32 v5, 0, v6
	ds_bpermute_b32 v11, v3, v4
	v_lshlrev_b32_e32 v12, 2, v12
	ds_bpermute_b32 v3, v3, v5
	s_waitcnt lgkmcnt(1)
	v_add_f32_e32 v4, v4, v11
	s_waitcnt lgkmcnt(0)
	v_add_f32_e32 v3, v5, v3
	ds_bpermute_b32 v5, v12, v4
	ds_bpermute_b32 v11, v12, v3
	v_xor_b32_e32 v12, 8, v2
	s_delay_alu instid0(VALU_DEP_1) | instskip(NEXT) | instid1(VALU_DEP_1)
	v_cmp_gt_i32_e64 s1, 64, v12
	v_cndmask_b32_e64 v12, v2, v12, s1
	s_delay_alu instid0(VALU_DEP_1)
	v_lshlrev_b32_e32 v12, 2, v12
	s_waitcnt lgkmcnt(0)
	v_dual_add_f32 v4, v4, v5 :: v_dual_add_f32 v3, v3, v11
	ds_bpermute_b32 v5, v12, v4
	ds_bpermute_b32 v11, v12, v3
	v_xor_b32_e32 v12, 4, v2
	s_delay_alu instid0(VALU_DEP_1) | instskip(NEXT) | instid1(VALU_DEP_1)
	v_cmp_gt_i32_e64 s1, 64, v12
	v_cndmask_b32_e64 v12, v2, v12, s1
	s_waitcnt lgkmcnt(0)
	s_delay_alu instid0(VALU_DEP_1)
	v_dual_add_f32 v3, v3, v11 :: v_dual_lshlrev_b32 v12, 2, v12
	ds_bpermute_b32 v11, v12, v3
	s_waitcnt lgkmcnt(0)
	v_dual_add_f32 v4, v4, v5 :: v_dual_add_f32 v3, v3, v11
	ds_bpermute_b32 v5, v12, v4
	v_xor_b32_e32 v12, 2, v2
	s_delay_alu instid0(VALU_DEP_1) | instskip(NEXT) | instid1(VALU_DEP_1)
	v_cmp_gt_i32_e64 s1, 64, v12
	v_cndmask_b32_e64 v12, v2, v12, s1
	s_delay_alu instid0(VALU_DEP_1)
	v_lshlrev_b32_e32 v12, 2, v12
	s_waitcnt lgkmcnt(0)
	v_add_f32_e32 v4, v4, v5
	ds_bpermute_b32 v11, v12, v3
	ds_bpermute_b32 v5, v12, v4
	v_xor_b32_e32 v12, 1, v2
	s_delay_alu instid0(VALU_DEP_1) | instskip(NEXT) | instid1(VALU_DEP_1)
	v_cmp_gt_i32_e64 s1, 64, v12
	v_cndmask_b32_e64 v2, v2, v12, s1
	s_delay_alu instid0(VALU_DEP_1)
	v_lshlrev_b32_e32 v12, 2, v2
	s_waitcnt lgkmcnt(1)
	v_add_f32_e32 v2, v3, v11
	s_waitcnt lgkmcnt(0)
	v_add_f32_e32 v4, v4, v5
	ds_bpermute_b32 v3, v12, v2
	ds_bpermute_b32 v5, v12, v4
	s_and_saveexec_b32 s1, s0
	s_cbranch_execz .LBB288_10
; %bb.5:
	v_lshlrev_b64 v[0:1], 1, v[0:1]
	s_delay_alu instid0(VALU_DEP_1) | instskip(NEXT) | instid1(VALU_DEP_1)
	v_add_co_u32 v0, s0, s8, v0
	v_add_co_ci_u32_e64 v1, s0, s9, v1, s0
	s_and_saveexec_b32 s1, vcc_lo
	s_cbranch_execz .LBB288_7
; %bb.6:
	s_waitcnt vmcnt(0) lgkmcnt(0)
	v_dual_mul_f32 v11, 0x3fb8aa3b, v10 :: v_dual_add_f32 v4, v4, v5
	v_cmp_ngt_f32_e64 s0, 0xc2ce8ed0, v10
	s_delay_alu instid0(VALU_DEP_2) | instskip(SKIP_1) | instid1(VALU_DEP_2)
	v_rndne_f32_e32 v12, v11
	v_fma_f32 v13, 0x3fb8aa3b, v10, -v11
	v_sub_f32_e32 v11, v11, v12
	s_delay_alu instid0(VALU_DEP_2) | instskip(SKIP_1) | instid1(VALU_DEP_2)
	v_fmamk_f32 v13, v10, 0x32a5705f, v13
	v_cvt_i32_f32_e32 v12, v12
	v_add_f32_e32 v11, v11, v13
	s_delay_alu instid0(VALU_DEP_1) | instskip(SKIP_2) | instid1(VALU_DEP_1)
	v_exp_f32_e32 v11, v11
	s_waitcnt_depctr 0xfff
	v_ldexp_f32 v11, v11, v12
	v_cndmask_b32_e64 v11, 0, v11, s0
	v_cmp_nlt_f32_e64 s0, 0x42b17218, v10
	s_delay_alu instid0(VALU_DEP_1) | instskip(NEXT) | instid1(VALU_DEP_1)
	v_cndmask_b32_e64 v5, 0x7f800000, v11, s0
	v_fma_mixlo_f16 v4, -v4, v5, v8
	global_store_b16 v[0:1], v4, off
.LBB288_7:
	s_or_b32 exec_lo, exec_lo, s1
	v_cmp_ne_u32_e64 s0, 1, v7
	s_delay_alu instid0(VALU_DEP_1)
	s_and_b32 exec_lo, exec_lo, s0
	s_cbranch_execz .LBB288_10
; %bb.8:
	s_and_b32 exec_lo, exec_lo, vcc_lo
	s_cbranch_execz .LBB288_10
; %bb.9:
	s_waitcnt vmcnt(0)
	v_mul_f32_e32 v4, 0x3fb8aa3b, v9
	v_cmp_ngt_f32_e32 vcc_lo, 0xc2ce8ed0, v9
	s_lshl_b64 s[0:1], s[6:7], 1
	s_waitcnt lgkmcnt(0)
	s_delay_alu instid0(VALU_DEP_2) | instskip(SKIP_1) | instid1(VALU_DEP_1)
	v_rndne_f32_e32 v5, v4
	v_fma_f32 v7, 0x3fb8aa3b, v9, -v4
	v_dual_sub_f32 v4, v4, v5 :: v_dual_fmamk_f32 v7, v9, 0x32a5705f, v7
	v_cvt_i32_f32_e32 v5, v5
	s_delay_alu instid0(VALU_DEP_2) | instskip(NEXT) | instid1(VALU_DEP_1)
	v_add_f32_e32 v4, v4, v7
	v_exp_f32_e32 v4, v4
	s_waitcnt_depctr 0xfff
	v_ldexp_f32 v4, v4, v5
	s_delay_alu instid0(VALU_DEP_1) | instskip(SKIP_1) | instid1(VALU_DEP_2)
	v_cndmask_b32_e32 v4, 0, v4, vcc_lo
	v_cmp_nlt_f32_e32 vcc_lo, 0x42b17218, v9
	v_dual_add_f32 v2, v2, v3 :: v_dual_cndmask_b32 v3, 0x7f800000, v4
	v_add_co_u32 v0, vcc_lo, v0, s0
	v_add_co_ci_u32_e32 v1, vcc_lo, s1, v1, vcc_lo
	s_delay_alu instid0(VALU_DEP_3)
	v_fma_mixlo_f16 v2, -v2, v3, v6
	global_store_b16 v[0:1], v2, off
.LBB288_10:
	s_nop 0
	s_sendmsg sendmsg(MSG_DEALLOC_VGPRS)
	s_endpgm
	.section	.rodata,"a",@progbits
	.p2align	6, 0x0
	.amdhsa_kernel _ZN12_GLOBAL__N_121softmax_warp_backwardIfN3c104HalfEfLi6ELb1ELb0ELi64EEEvPT0_PKT_S7_iiiPKb
		.amdhsa_group_segment_fixed_size 0
		.amdhsa_private_segment_fixed_size 0
		.amdhsa_kernarg_size 304
		.amdhsa_user_sgpr_count 15
		.amdhsa_user_sgpr_dispatch_ptr 0
		.amdhsa_user_sgpr_queue_ptr 0
		.amdhsa_user_sgpr_kernarg_segment_ptr 1
		.amdhsa_user_sgpr_dispatch_id 0
		.amdhsa_user_sgpr_private_segment_size 0
		.amdhsa_wavefront_size32 1
		.amdhsa_uses_dynamic_stack 0
		.amdhsa_enable_private_segment 0
		.amdhsa_system_sgpr_workgroup_id_x 1
		.amdhsa_system_sgpr_workgroup_id_y 0
		.amdhsa_system_sgpr_workgroup_id_z 0
		.amdhsa_system_sgpr_workgroup_info 0
		.amdhsa_system_vgpr_workitem_id 1
		.amdhsa_next_free_vgpr 14
		.amdhsa_next_free_sgpr 16
		.amdhsa_reserve_vcc 1
		.amdhsa_float_round_mode_32 0
		.amdhsa_float_round_mode_16_64 0
		.amdhsa_float_denorm_mode_32 3
		.amdhsa_float_denorm_mode_16_64 3
		.amdhsa_dx10_clamp 1
		.amdhsa_ieee_mode 1
		.amdhsa_fp16_overflow 0
		.amdhsa_workgroup_processor_mode 1
		.amdhsa_memory_ordered 1
		.amdhsa_forward_progress 0
		.amdhsa_shared_vgpr_count 0
		.amdhsa_exception_fp_ieee_invalid_op 0
		.amdhsa_exception_fp_denorm_src 0
		.amdhsa_exception_fp_ieee_div_zero 0
		.amdhsa_exception_fp_ieee_overflow 0
		.amdhsa_exception_fp_ieee_underflow 0
		.amdhsa_exception_fp_ieee_inexact 0
		.amdhsa_exception_int_div_zero 0
	.end_amdhsa_kernel
	.section	.text._ZN12_GLOBAL__N_121softmax_warp_backwardIfN3c104HalfEfLi6ELb1ELb0ELi64EEEvPT0_PKT_S7_iiiPKb,"axG",@progbits,_ZN12_GLOBAL__N_121softmax_warp_backwardIfN3c104HalfEfLi6ELb1ELb0ELi64EEEvPT0_PKT_S7_iiiPKb,comdat
.Lfunc_end288:
	.size	_ZN12_GLOBAL__N_121softmax_warp_backwardIfN3c104HalfEfLi6ELb1ELb0ELi64EEEvPT0_PKT_S7_iiiPKb, .Lfunc_end288-_ZN12_GLOBAL__N_121softmax_warp_backwardIfN3c104HalfEfLi6ELb1ELb0ELi64EEEvPT0_PKT_S7_iiiPKb
                                        ; -- End function
	.section	.AMDGPU.csdata,"",@progbits
; Kernel info:
; codeLenInByte = 1052
; NumSgprs: 18
; NumVgprs: 14
; ScratchSize: 0
; MemoryBound: 0
; FloatMode: 240
; IeeeMode: 1
; LDSByteSize: 0 bytes/workgroup (compile time only)
; SGPRBlocks: 2
; VGPRBlocks: 1
; NumSGPRsForWavesPerEU: 18
; NumVGPRsForWavesPerEU: 14
; Occupancy: 16
; WaveLimiterHint : 0
; COMPUTE_PGM_RSRC2:SCRATCH_EN: 0
; COMPUTE_PGM_RSRC2:USER_SGPR: 15
; COMPUTE_PGM_RSRC2:TRAP_HANDLER: 0
; COMPUTE_PGM_RSRC2:TGID_X_EN: 1
; COMPUTE_PGM_RSRC2:TGID_Y_EN: 0
; COMPUTE_PGM_RSRC2:TGID_Z_EN: 0
; COMPUTE_PGM_RSRC2:TIDIG_COMP_CNT: 1
	.section	.text._ZN12_GLOBAL__N_121softmax_warp_backwardIfN3c104HalfEfLi6ELb1ELb0ELi32EEEvPT0_PKT_S7_iiiPKb,"axG",@progbits,_ZN12_GLOBAL__N_121softmax_warp_backwardIfN3c104HalfEfLi6ELb1ELb0ELi32EEEvPT0_PKT_S7_iiiPKb,comdat
	.globl	_ZN12_GLOBAL__N_121softmax_warp_backwardIfN3c104HalfEfLi6ELb1ELb0ELi32EEEvPT0_PKT_S7_iiiPKb ; -- Begin function _ZN12_GLOBAL__N_121softmax_warp_backwardIfN3c104HalfEfLi6ELb1ELb0ELi32EEEvPT0_PKT_S7_iiiPKb
	.p2align	8
	.type	_ZN12_GLOBAL__N_121softmax_warp_backwardIfN3c104HalfEfLi6ELb1ELb0ELi32EEEvPT0_PKT_S7_iiiPKb,@function
_ZN12_GLOBAL__N_121softmax_warp_backwardIfN3c104HalfEfLi6ELb1ELb0ELi32EEEvPT0_PKT_S7_iiiPKb: ; @_ZN12_GLOBAL__N_121softmax_warp_backwardIfN3c104HalfEfLi6ELb1ELb0ELi32EEEvPT0_PKT_S7_iiiPKb
; %bb.0:
	s_clause 0x1
	s_load_b32 s2, s[0:1], 0x3c
	s_load_b128 s[4:7], s[0:1], 0x18
	v_bfe_u32 v1, v0, 10, 10
	v_and_b32_e32 v6, 31, v0
	s_load_b128 s[8:11], s[0:1], 0x0
	v_mov_b32_e32 v8, 0
	v_mov_b32_e32 v10, 0
	;; [unrolled: 1-line block ×3, first 2 shown]
	s_waitcnt lgkmcnt(0)
	s_lshr_b32 s2, s2, 16
	s_delay_alu instid0(SALU_CYCLE_1) | instskip(SKIP_3) | instid1(VALU_DEP_2)
	s_mul_i32 s15, s15, s2
	s_load_b64 s[2:3], s[0:1], 0x10
	v_add_lshl_u32 v2, s15, v1, 1
	v_cmp_gt_i32_e64 s0, s6, v6
	v_mad_u64_u32 v[0:1], null, v2, s5, v[6:7]
	v_sub_nc_u32_e32 v7, s4, v2
	s_delay_alu instid0(VALU_DEP_1) | instskip(NEXT) | instid1(VALU_DEP_3)
	v_cmp_lt_i32_e64 s1, 0, v7
	v_ashrrev_i32_e32 v1, 31, v0
	s_delay_alu instid0(VALU_DEP_1) | instskip(NEXT) | instid1(VALU_DEP_1)
	v_lshlrev_b64 v[2:3], 2, v[0:1]
	v_add_co_u32 v4, vcc_lo, s10, v2
	s_delay_alu instid0(VALU_DEP_2) | instskip(SKIP_4) | instid1(SALU_CYCLE_1)
	v_add_co_ci_u32_e32 v5, vcc_lo, s11, v3, vcc_lo
	s_waitcnt lgkmcnt(0)
	v_add_co_u32 v2, vcc_lo, s2, v2
	v_add_co_ci_u32_e32 v3, vcc_lo, s3, v3, vcc_lo
	s_and_b32 s3, s1, s0
	s_and_saveexec_b32 s2, s3
	s_cbranch_execz .LBB289_2
; %bb.1:
	global_load_b32 v10, v[4:5], off
	global_load_b32 v14, v[2:3], off
.LBB289_2:
	s_or_b32 exec_lo, exec_lo, s2
	v_or_b32_e32 v6, 32, v6
	v_mov_b32_e32 v12, 0
	s_delay_alu instid0(VALU_DEP_2) | instskip(SKIP_1) | instid1(SALU_CYCLE_1)
	v_cmp_gt_i32_e32 vcc_lo, s6, v6
	s_and_b32 s3, s1, vcc_lo
	s_and_saveexec_b32 s2, s3
	s_cbranch_execz .LBB289_4
; %bb.3:
	global_load_b32 v8, v[4:5], off offset:128
	global_load_b32 v12, v[2:3], off offset:128
.LBB289_4:
	s_or_b32 exec_lo, exec_lo, s2
	v_cmp_lt_i32_e64 s2, 1, v7
	v_dual_mov_b32 v6, 0 :: v_dual_mov_b32 v9, 0
	v_mov_b32_e32 v13, 0
	s_mov_b32 s7, 0
	s_delay_alu instid0(VALU_DEP_3) | instskip(NEXT) | instid1(SALU_CYCLE_1)
	s_and_b32 s3, s2, s0
	s_and_saveexec_b32 s4, s3
	s_cbranch_execz .LBB289_6
; %bb.5:
	s_lshl_b64 s[10:11], s[6:7], 2
	s_delay_alu instid0(SALU_CYCLE_1) | instskip(NEXT) | instid1(VALU_DEP_1)
	v_add_co_u32 v15, s3, v4, s10
	v_add_co_ci_u32_e64 v16, s3, s11, v5, s3
	v_add_co_u32 v17, s3, v2, s10
	s_delay_alu instid0(VALU_DEP_1)
	v_add_co_ci_u32_e64 v18, s3, s11, v3, s3
	global_load_b32 v9, v[15:16], off
	global_load_b32 v13, v[17:18], off
.LBB289_6:
	s_or_b32 exec_lo, exec_lo, s4
	v_mov_b32_e32 v11, 0
	s_and_b32 s2, s2, vcc_lo
	s_delay_alu instid0(SALU_CYCLE_1)
	s_and_saveexec_b32 s3, s2
	s_cbranch_execz .LBB289_8
; %bb.7:
	s_lshl_b64 s[4:5], s[6:7], 2
	s_delay_alu instid0(SALU_CYCLE_1) | instskip(NEXT) | instid1(VALU_DEP_1)
	v_add_co_u32 v4, s2, v4, s4
	v_add_co_ci_u32_e64 v5, s2, s5, v5, s2
	v_add_co_u32 v2, s2, v2, s4
	s_delay_alu instid0(VALU_DEP_1)
	v_add_co_ci_u32_e64 v3, s2, s5, v3, s2
	global_load_b32 v6, v[4:5], off offset:128
	global_load_b32 v11, v[2:3], off offset:128
.LBB289_8:
	s_or_b32 exec_lo, exec_lo, s3
	v_mbcnt_lo_u32_b32 v2, -1, 0
	s_waitcnt vmcnt(1)
	v_dual_add_f32 v4, 0, v10 :: v_dual_add_f32 v5, 0, v9
	s_delay_alu instid0(VALU_DEP_2) | instskip(SKIP_1) | instid1(VALU_DEP_2)
	v_xor_b32_e32 v3, 16, v2
	v_xor_b32_e32 v16, 8, v2
	v_cmp_gt_i32_e64 s2, 32, v3
	s_delay_alu instid0(VALU_DEP_1) | instskip(NEXT) | instid1(VALU_DEP_3)
	v_cndmask_b32_e64 v3, v2, v3, s2
	v_cmp_gt_i32_e64 s2, 32, v16
	s_delay_alu instid0(VALU_DEP_2) | instskip(NEXT) | instid1(VALU_DEP_2)
	v_dual_add_f32 v4, v4, v8 :: v_dual_lshlrev_b32 v3, 2, v3
	v_cndmask_b32_e64 v16, v2, v16, s2
	v_add_f32_e32 v5, v5, v6
	ds_bpermute_b32 v15, v3, v4
	v_lshlrev_b32_e32 v16, 2, v16
	ds_bpermute_b32 v3, v3, v5
	s_waitcnt lgkmcnt(1)
	v_add_f32_e32 v4, v4, v15
	s_waitcnt lgkmcnt(0)
	v_add_f32_e32 v3, v5, v3
	ds_bpermute_b32 v5, v16, v4
	ds_bpermute_b32 v15, v16, v3
	v_xor_b32_e32 v16, 4, v2
	s_delay_alu instid0(VALU_DEP_1) | instskip(NEXT) | instid1(VALU_DEP_1)
	v_cmp_gt_i32_e64 s2, 32, v16
	v_cndmask_b32_e64 v16, v2, v16, s2
	s_delay_alu instid0(VALU_DEP_1)
	v_lshlrev_b32_e32 v16, 2, v16
	s_waitcnt lgkmcnt(0)
	v_dual_add_f32 v4, v4, v5 :: v_dual_add_f32 v3, v3, v15
	ds_bpermute_b32 v5, v16, v4
	ds_bpermute_b32 v15, v16, v3
	v_xor_b32_e32 v16, 2, v2
	s_delay_alu instid0(VALU_DEP_1) | instskip(NEXT) | instid1(VALU_DEP_1)
	v_cmp_gt_i32_e64 s2, 32, v16
	v_cndmask_b32_e64 v16, v2, v16, s2
	s_delay_alu instid0(VALU_DEP_1)
	v_lshlrev_b32_e32 v16, 2, v16
	s_waitcnt lgkmcnt(0)
	v_dual_add_f32 v4, v4, v5 :: v_dual_add_f32 v3, v3, v15
	ds_bpermute_b32 v5, v16, v4
	ds_bpermute_b32 v15, v16, v3
	v_xor_b32_e32 v16, 1, v2
	s_delay_alu instid0(VALU_DEP_1) | instskip(NEXT) | instid1(VALU_DEP_1)
	v_cmp_gt_i32_e64 s2, 32, v16
	v_cndmask_b32_e64 v2, v2, v16, s2
	s_delay_alu instid0(VALU_DEP_1)
	v_lshlrev_b32_e32 v16, 2, v2
	s_waitcnt lgkmcnt(1)
	v_add_f32_e32 v4, v4, v5
	s_waitcnt lgkmcnt(0)
	v_add_f32_e32 v2, v3, v15
	ds_bpermute_b32 v5, v16, v4
	ds_bpermute_b32 v3, v16, v2
	s_and_saveexec_b32 s2, s1
	s_cbranch_execz .LBB289_12
; %bb.9:
	v_lshlrev_b64 v[0:1], 1, v[0:1]
	s_waitcnt lgkmcnt(1)
	v_add_f32_e32 v4, v4, v5
	s_delay_alu instid0(VALU_DEP_2) | instskip(NEXT) | instid1(VALU_DEP_1)
	v_add_co_u32 v0, s1, s8, v0
	v_add_co_ci_u32_e64 v1, s1, s9, v1, s1
	s_and_saveexec_b32 s2, s0
	s_cbranch_execnz .LBB289_13
; %bb.10:
	s_or_b32 exec_lo, exec_lo, s2
	s_and_saveexec_b32 s2, vcc_lo
	s_cbranch_execnz .LBB289_14
.LBB289_11:
	s_or_b32 exec_lo, exec_lo, s2
	v_cmp_ne_u32_e64 s1, 1, v7
	s_delay_alu instid0(VALU_DEP_1)
	s_and_b32 exec_lo, exec_lo, s1
	s_cbranch_execnz .LBB289_15
.LBB289_12:
	s_nop 0
	s_sendmsg sendmsg(MSG_DEALLOC_VGPRS)
	s_endpgm
.LBB289_13:
	s_waitcnt vmcnt(0)
	v_mul_f32_e32 v5, 0x3fb8aa3b, v14
	v_cmp_ngt_f32_e64 s1, 0xc2ce8ed0, v14
	s_delay_alu instid0(VALU_DEP_2) | instskip(SKIP_1) | instid1(VALU_DEP_1)
	v_rndne_f32_e32 v15, v5
	v_fma_f32 v16, 0x3fb8aa3b, v14, -v5
	v_dual_sub_f32 v5, v5, v15 :: v_dual_fmamk_f32 v16, v14, 0x32a5705f, v16
	v_cvt_i32_f32_e32 v15, v15
	s_delay_alu instid0(VALU_DEP_2) | instskip(NEXT) | instid1(VALU_DEP_1)
	v_add_f32_e32 v5, v5, v16
	v_exp_f32_e32 v5, v5
	s_waitcnt_depctr 0xfff
	v_ldexp_f32 v5, v5, v15
	s_delay_alu instid0(VALU_DEP_1) | instskip(SKIP_1) | instid1(VALU_DEP_1)
	v_cndmask_b32_e64 v5, 0, v5, s1
	v_cmp_nlt_f32_e64 s1, 0x42b17218, v14
	v_cndmask_b32_e64 v5, 0x7f800000, v5, s1
	s_delay_alu instid0(VALU_DEP_1)
	v_fma_mixlo_f16 v5, -v4, v5, v10
	global_store_b16 v[0:1], v5, off
	s_or_b32 exec_lo, exec_lo, s2
	s_and_saveexec_b32 s2, vcc_lo
	s_cbranch_execz .LBB289_11
.LBB289_14:
	s_waitcnt vmcnt(0)
	v_mul_f32_e32 v5, 0x3fb8aa3b, v12
	v_cmp_ngt_f32_e64 s1, 0xc2ce8ed0, v12
	s_delay_alu instid0(VALU_DEP_2) | instskip(SKIP_1) | instid1(VALU_DEP_1)
	v_rndne_f32_e32 v10, v5
	v_fma_f32 v14, 0x3fb8aa3b, v12, -v5
	v_dual_sub_f32 v5, v5, v10 :: v_dual_fmamk_f32 v14, v12, 0x32a5705f, v14
	v_cvt_i32_f32_e32 v10, v10
	s_delay_alu instid0(VALU_DEP_2) | instskip(NEXT) | instid1(VALU_DEP_1)
	v_add_f32_e32 v5, v5, v14
	v_exp_f32_e32 v5, v5
	s_waitcnt_depctr 0xfff
	v_ldexp_f32 v5, v5, v10
	s_delay_alu instid0(VALU_DEP_1) | instskip(SKIP_1) | instid1(VALU_DEP_1)
	v_cndmask_b32_e64 v5, 0, v5, s1
	v_cmp_nlt_f32_e64 s1, 0x42b17218, v12
	v_cndmask_b32_e64 v5, 0x7f800000, v5, s1
	s_delay_alu instid0(VALU_DEP_1) | instskip(SKIP_3) | instid1(VALU_DEP_1)
	v_fma_mixlo_f16 v4, -v4, v5, v8
	global_store_b16 v[0:1], v4, off offset:64
	s_or_b32 exec_lo, exec_lo, s2
	v_cmp_ne_u32_e64 s1, 1, v7
	s_and_b32 exec_lo, exec_lo, s1
	s_cbranch_execz .LBB289_12
.LBB289_15:
	s_waitcnt lgkmcnt(0)
	v_add_f32_e32 v2, v2, v3
	s_and_saveexec_b32 s1, s0
	s_cbranch_execz .LBB289_17
; %bb.16:
	s_waitcnt vmcnt(0)
	v_mul_f32_e32 v3, 0x3fb8aa3b, v13
	v_cmp_ngt_f32_e64 s0, 0xc2ce8ed0, v13
	s_lshl_b64 s[2:3], s[6:7], 1
	s_delay_alu instid0(VALU_DEP_2) | instskip(SKIP_1) | instid1(VALU_DEP_2)
	v_rndne_f32_e32 v4, v3
	v_fma_f32 v5, 0x3fb8aa3b, v13, -v3
	v_sub_f32_e32 v3, v3, v4
	s_delay_alu instid0(VALU_DEP_2) | instskip(SKIP_1) | instid1(VALU_DEP_2)
	v_fmamk_f32 v5, v13, 0x32a5705f, v5
	v_cvt_i32_f32_e32 v4, v4
	v_add_f32_e32 v3, v3, v5
	s_delay_alu instid0(VALU_DEP_1) | instskip(SKIP_2) | instid1(VALU_DEP_1)
	v_exp_f32_e32 v3, v3
	s_waitcnt_depctr 0xfff
	v_ldexp_f32 v3, v3, v4
	v_cndmask_b32_e64 v3, 0, v3, s0
	v_cmp_nlt_f32_e64 s0, 0x42b17218, v13
	s_delay_alu instid0(VALU_DEP_1) | instskip(NEXT) | instid1(VALU_DEP_1)
	v_cndmask_b32_e64 v3, 0x7f800000, v3, s0
	v_fma_mixlo_f16 v5, -v2, v3, v9
	v_add_co_u32 v3, s0, v0, s2
	s_delay_alu instid0(VALU_DEP_1)
	v_add_co_ci_u32_e64 v4, s0, s3, v1, s0
	global_store_b16 v[3:4], v5, off
.LBB289_17:
	s_or_b32 exec_lo, exec_lo, s1
	s_delay_alu instid0(SALU_CYCLE_1)
	s_and_b32 exec_lo, exec_lo, vcc_lo
	s_cbranch_execz .LBB289_12
; %bb.18:
	s_waitcnt vmcnt(0)
	v_mul_f32_e32 v3, 0x3fb8aa3b, v11
	v_cmp_ngt_f32_e32 vcc_lo, 0xc2ce8ed0, v11
	s_ashr_i32 s7, s6, 31
	s_delay_alu instid0(SALU_CYCLE_1) | instskip(NEXT) | instid1(VALU_DEP_2)
	s_lshl_b64 s[0:1], s[6:7], 1
	v_rndne_f32_e32 v4, v3
	v_fma_f32 v5, 0x3fb8aa3b, v11, -v3
	s_delay_alu instid0(VALU_DEP_2) | instskip(NEXT) | instid1(VALU_DEP_2)
	v_sub_f32_e32 v3, v3, v4
	v_fmamk_f32 v5, v11, 0x32a5705f, v5
	v_cvt_i32_f32_e32 v4, v4
	s_delay_alu instid0(VALU_DEP_2) | instskip(NEXT) | instid1(VALU_DEP_1)
	v_add_f32_e32 v3, v3, v5
	v_exp_f32_e32 v3, v3
	s_waitcnt_depctr 0xfff
	v_ldexp_f32 v3, v3, v4
	s_delay_alu instid0(VALU_DEP_1) | instskip(SKIP_1) | instid1(VALU_DEP_2)
	v_cndmask_b32_e32 v3, 0, v3, vcc_lo
	v_cmp_nlt_f32_e32 vcc_lo, 0x42b17218, v11
	v_cndmask_b32_e32 v3, 0x7f800000, v3, vcc_lo
	v_add_co_u32 v0, vcc_lo, v0, s0
	v_add_co_ci_u32_e32 v1, vcc_lo, s1, v1, vcc_lo
	s_delay_alu instid0(VALU_DEP_3)
	v_fma_mixlo_f16 v2, -v2, v3, v6
	global_store_b16 v[0:1], v2, off offset:64
	s_nop 0
	s_sendmsg sendmsg(MSG_DEALLOC_VGPRS)
	s_endpgm
	.section	.rodata,"a",@progbits
	.p2align	6, 0x0
	.amdhsa_kernel _ZN12_GLOBAL__N_121softmax_warp_backwardIfN3c104HalfEfLi6ELb1ELb0ELi32EEEvPT0_PKT_S7_iiiPKb
		.amdhsa_group_segment_fixed_size 0
		.amdhsa_private_segment_fixed_size 0
		.amdhsa_kernarg_size 304
		.amdhsa_user_sgpr_count 15
		.amdhsa_user_sgpr_dispatch_ptr 0
		.amdhsa_user_sgpr_queue_ptr 0
		.amdhsa_user_sgpr_kernarg_segment_ptr 1
		.amdhsa_user_sgpr_dispatch_id 0
		.amdhsa_user_sgpr_private_segment_size 0
		.amdhsa_wavefront_size32 1
		.amdhsa_uses_dynamic_stack 0
		.amdhsa_enable_private_segment 0
		.amdhsa_system_sgpr_workgroup_id_x 1
		.amdhsa_system_sgpr_workgroup_id_y 0
		.amdhsa_system_sgpr_workgroup_id_z 0
		.amdhsa_system_sgpr_workgroup_info 0
		.amdhsa_system_vgpr_workitem_id 1
		.amdhsa_next_free_vgpr 19
		.amdhsa_next_free_sgpr 16
		.amdhsa_reserve_vcc 1
		.amdhsa_float_round_mode_32 0
		.amdhsa_float_round_mode_16_64 0
		.amdhsa_float_denorm_mode_32 3
		.amdhsa_float_denorm_mode_16_64 3
		.amdhsa_dx10_clamp 1
		.amdhsa_ieee_mode 1
		.amdhsa_fp16_overflow 0
		.amdhsa_workgroup_processor_mode 1
		.amdhsa_memory_ordered 1
		.amdhsa_forward_progress 0
		.amdhsa_shared_vgpr_count 0
		.amdhsa_exception_fp_ieee_invalid_op 0
		.amdhsa_exception_fp_denorm_src 0
		.amdhsa_exception_fp_ieee_div_zero 0
		.amdhsa_exception_fp_ieee_overflow 0
		.amdhsa_exception_fp_ieee_underflow 0
		.amdhsa_exception_fp_ieee_inexact 0
		.amdhsa_exception_int_div_zero 0
	.end_amdhsa_kernel
	.section	.text._ZN12_GLOBAL__N_121softmax_warp_backwardIfN3c104HalfEfLi6ELb1ELb0ELi32EEEvPT0_PKT_S7_iiiPKb,"axG",@progbits,_ZN12_GLOBAL__N_121softmax_warp_backwardIfN3c104HalfEfLi6ELb1ELb0ELi32EEEvPT0_PKT_S7_iiiPKb,comdat
.Lfunc_end289:
	.size	_ZN12_GLOBAL__N_121softmax_warp_backwardIfN3c104HalfEfLi6ELb1ELb0ELi32EEEvPT0_PKT_S7_iiiPKb, .Lfunc_end289-_ZN12_GLOBAL__N_121softmax_warp_backwardIfN3c104HalfEfLi6ELb1ELb0ELi32EEEvPT0_PKT_S7_iiiPKb
                                        ; -- End function
	.section	.AMDGPU.csdata,"",@progbits
; Kernel info:
; codeLenInByte = 1520
; NumSgprs: 18
; NumVgprs: 19
; ScratchSize: 0
; MemoryBound: 0
; FloatMode: 240
; IeeeMode: 1
; LDSByteSize: 0 bytes/workgroup (compile time only)
; SGPRBlocks: 2
; VGPRBlocks: 2
; NumSGPRsForWavesPerEU: 18
; NumVGPRsForWavesPerEU: 19
; Occupancy: 16
; WaveLimiterHint : 0
; COMPUTE_PGM_RSRC2:SCRATCH_EN: 0
; COMPUTE_PGM_RSRC2:USER_SGPR: 15
; COMPUTE_PGM_RSRC2:TRAP_HANDLER: 0
; COMPUTE_PGM_RSRC2:TGID_X_EN: 1
; COMPUTE_PGM_RSRC2:TGID_Y_EN: 0
; COMPUTE_PGM_RSRC2:TGID_Z_EN: 0
; COMPUTE_PGM_RSRC2:TIDIG_COMP_CNT: 1
	.section	.text._ZN12_GLOBAL__N_121softmax_warp_backwardIfN3c104HalfEfLi7ELb1ELb0ELi64EEEvPT0_PKT_S7_iiiPKb,"axG",@progbits,_ZN12_GLOBAL__N_121softmax_warp_backwardIfN3c104HalfEfLi7ELb1ELb0ELi64EEEvPT0_PKT_S7_iiiPKb,comdat
	.globl	_ZN12_GLOBAL__N_121softmax_warp_backwardIfN3c104HalfEfLi7ELb1ELb0ELi64EEEvPT0_PKT_S7_iiiPKb ; -- Begin function _ZN12_GLOBAL__N_121softmax_warp_backwardIfN3c104HalfEfLi7ELb1ELb0ELi64EEEvPT0_PKT_S7_iiiPKb
	.p2align	8
	.type	_ZN12_GLOBAL__N_121softmax_warp_backwardIfN3c104HalfEfLi7ELb1ELb0ELi64EEEvPT0_PKT_S7_iiiPKb,@function
_ZN12_GLOBAL__N_121softmax_warp_backwardIfN3c104HalfEfLi7ELb1ELb0ELi64EEEvPT0_PKT_S7_iiiPKb: ; @_ZN12_GLOBAL__N_121softmax_warp_backwardIfN3c104HalfEfLi7ELb1ELb0ELi64EEEvPT0_PKT_S7_iiiPKb
; %bb.0:
	s_clause 0x1
	s_load_b32 s2, s[0:1], 0x3c
	s_load_b128 s[4:7], s[0:1], 0x18
	v_bfe_u32 v1, v0, 10, 10
	v_and_b32_e32 v6, 63, v0
	s_load_b128 s[8:11], s[0:1], 0x0
	v_mov_b32_e32 v8, 0
	v_mov_b32_e32 v10, 0
	;; [unrolled: 1-line block ×3, first 2 shown]
	s_waitcnt lgkmcnt(0)
	s_lshr_b32 s2, s2, 16
	s_delay_alu instid0(SALU_CYCLE_1) | instskip(SKIP_3) | instid1(VALU_DEP_2)
	s_mul_i32 s15, s15, s2
	s_load_b64 s[2:3], s[0:1], 0x10
	v_add_lshl_u32 v2, s15, v1, 1
	v_cmp_gt_i32_e64 s0, s6, v6
	v_mad_u64_u32 v[0:1], null, v2, s5, v[6:7]
	v_sub_nc_u32_e32 v7, s4, v2
	s_delay_alu instid0(VALU_DEP_1) | instskip(NEXT) | instid1(VALU_DEP_3)
	v_cmp_lt_i32_e64 s1, 0, v7
	v_ashrrev_i32_e32 v1, 31, v0
	s_delay_alu instid0(VALU_DEP_1) | instskip(NEXT) | instid1(VALU_DEP_1)
	v_lshlrev_b64 v[2:3], 2, v[0:1]
	v_add_co_u32 v4, vcc_lo, s10, v2
	s_delay_alu instid0(VALU_DEP_2) | instskip(SKIP_4) | instid1(SALU_CYCLE_1)
	v_add_co_ci_u32_e32 v5, vcc_lo, s11, v3, vcc_lo
	s_waitcnt lgkmcnt(0)
	v_add_co_u32 v2, vcc_lo, s2, v2
	v_add_co_ci_u32_e32 v3, vcc_lo, s3, v3, vcc_lo
	s_and_b32 s3, s1, s0
	s_and_saveexec_b32 s2, s3
	s_cbranch_execz .LBB290_2
; %bb.1:
	global_load_b32 v10, v[4:5], off
	global_load_b32 v14, v[2:3], off
.LBB290_2:
	s_or_b32 exec_lo, exec_lo, s2
	v_or_b32_e32 v6, 64, v6
	v_mov_b32_e32 v12, 0
	s_delay_alu instid0(VALU_DEP_2) | instskip(SKIP_1) | instid1(SALU_CYCLE_1)
	v_cmp_gt_i32_e32 vcc_lo, s6, v6
	s_and_b32 s3, s1, vcc_lo
	s_and_saveexec_b32 s2, s3
	s_cbranch_execz .LBB290_4
; %bb.3:
	global_load_b32 v8, v[4:5], off offset:256
	global_load_b32 v12, v[2:3], off offset:256
.LBB290_4:
	s_or_b32 exec_lo, exec_lo, s2
	v_cmp_lt_i32_e64 s2, 1, v7
	v_dual_mov_b32 v6, 0 :: v_dual_mov_b32 v9, 0
	v_mov_b32_e32 v13, 0
	s_mov_b32 s7, 0
	s_delay_alu instid0(VALU_DEP_3) | instskip(NEXT) | instid1(SALU_CYCLE_1)
	s_and_b32 s3, s2, s0
	s_and_saveexec_b32 s4, s3
	s_cbranch_execz .LBB290_6
; %bb.5:
	s_lshl_b64 s[10:11], s[6:7], 2
	s_delay_alu instid0(SALU_CYCLE_1) | instskip(NEXT) | instid1(VALU_DEP_1)
	v_add_co_u32 v15, s3, v4, s10
	v_add_co_ci_u32_e64 v16, s3, s11, v5, s3
	v_add_co_u32 v17, s3, v2, s10
	s_delay_alu instid0(VALU_DEP_1)
	v_add_co_ci_u32_e64 v18, s3, s11, v3, s3
	global_load_b32 v9, v[15:16], off
	global_load_b32 v13, v[17:18], off
.LBB290_6:
	s_or_b32 exec_lo, exec_lo, s4
	v_mov_b32_e32 v11, 0
	s_and_b32 s2, s2, vcc_lo
	s_delay_alu instid0(SALU_CYCLE_1)
	s_and_saveexec_b32 s3, s2
	s_cbranch_execz .LBB290_8
; %bb.7:
	s_lshl_b64 s[4:5], s[6:7], 2
	s_delay_alu instid0(SALU_CYCLE_1) | instskip(NEXT) | instid1(VALU_DEP_1)
	v_add_co_u32 v4, s2, v4, s4
	v_add_co_ci_u32_e64 v5, s2, s5, v5, s2
	v_add_co_u32 v2, s2, v2, s4
	s_delay_alu instid0(VALU_DEP_1)
	v_add_co_ci_u32_e64 v3, s2, s5, v3, s2
	global_load_b32 v6, v[4:5], off offset:256
	global_load_b32 v11, v[2:3], off offset:256
.LBB290_8:
	s_or_b32 exec_lo, exec_lo, s3
	v_mbcnt_lo_u32_b32 v2, -1, 0
	s_waitcnt vmcnt(1)
	v_dual_add_f32 v4, 0, v10 :: v_dual_add_f32 v5, 0, v9
	s_delay_alu instid0(VALU_DEP_2) | instskip(SKIP_1) | instid1(VALU_DEP_2)
	v_or_b32_e32 v3, 32, v2
	v_xor_b32_e32 v16, 16, v2
	v_cmp_gt_i32_e64 s2, 64, v3
	s_delay_alu instid0(VALU_DEP_1) | instskip(NEXT) | instid1(VALU_DEP_3)
	v_cndmask_b32_e64 v3, v2, v3, s2
	v_cmp_gt_i32_e64 s2, 64, v16
	s_delay_alu instid0(VALU_DEP_2) | instskip(NEXT) | instid1(VALU_DEP_2)
	v_dual_add_f32 v4, v4, v8 :: v_dual_lshlrev_b32 v3, 2, v3
	v_cndmask_b32_e64 v16, v2, v16, s2
	v_add_f32_e32 v5, v5, v6
	ds_bpermute_b32 v15, v3, v4
	v_lshlrev_b32_e32 v16, 2, v16
	ds_bpermute_b32 v3, v3, v5
	s_waitcnt lgkmcnt(1)
	v_add_f32_e32 v4, v4, v15
	s_waitcnt lgkmcnt(0)
	v_add_f32_e32 v3, v5, v3
	ds_bpermute_b32 v5, v16, v4
	ds_bpermute_b32 v15, v16, v3
	v_xor_b32_e32 v16, 8, v2
	s_delay_alu instid0(VALU_DEP_1) | instskip(NEXT) | instid1(VALU_DEP_1)
	v_cmp_gt_i32_e64 s2, 64, v16
	v_cndmask_b32_e64 v16, v2, v16, s2
	s_delay_alu instid0(VALU_DEP_1)
	v_lshlrev_b32_e32 v16, 2, v16
	s_waitcnt lgkmcnt(0)
	v_dual_add_f32 v4, v4, v5 :: v_dual_add_f32 v3, v3, v15
	ds_bpermute_b32 v5, v16, v4
	ds_bpermute_b32 v15, v16, v3
	v_xor_b32_e32 v16, 4, v2
	s_delay_alu instid0(VALU_DEP_1) | instskip(NEXT) | instid1(VALU_DEP_1)
	v_cmp_gt_i32_e64 s2, 64, v16
	v_cndmask_b32_e64 v16, v2, v16, s2
	s_waitcnt lgkmcnt(0)
	s_delay_alu instid0(VALU_DEP_1)
	v_dual_add_f32 v3, v3, v15 :: v_dual_lshlrev_b32 v16, 2, v16
	ds_bpermute_b32 v15, v16, v3
	s_waitcnt lgkmcnt(0)
	v_dual_add_f32 v4, v4, v5 :: v_dual_add_f32 v3, v3, v15
	ds_bpermute_b32 v5, v16, v4
	v_xor_b32_e32 v16, 2, v2
	s_delay_alu instid0(VALU_DEP_1) | instskip(NEXT) | instid1(VALU_DEP_1)
	v_cmp_gt_i32_e64 s2, 64, v16
	v_cndmask_b32_e64 v16, v2, v16, s2
	s_delay_alu instid0(VALU_DEP_1)
	v_lshlrev_b32_e32 v16, 2, v16
	s_waitcnt lgkmcnt(0)
	v_add_f32_e32 v4, v4, v5
	ds_bpermute_b32 v15, v16, v3
	ds_bpermute_b32 v5, v16, v4
	v_xor_b32_e32 v16, 1, v2
	s_delay_alu instid0(VALU_DEP_1) | instskip(NEXT) | instid1(VALU_DEP_1)
	v_cmp_gt_i32_e64 s2, 64, v16
	v_cndmask_b32_e64 v2, v2, v16, s2
	s_delay_alu instid0(VALU_DEP_1)
	v_lshlrev_b32_e32 v16, 2, v2
	s_waitcnt lgkmcnt(1)
	v_add_f32_e32 v2, v3, v15
	s_waitcnt lgkmcnt(0)
	v_add_f32_e32 v4, v4, v5
	ds_bpermute_b32 v3, v16, v2
	ds_bpermute_b32 v5, v16, v4
	s_and_saveexec_b32 s2, s1
	s_cbranch_execz .LBB290_12
; %bb.9:
	v_lshlrev_b64 v[0:1], 1, v[0:1]
	s_waitcnt lgkmcnt(0)
	v_add_f32_e32 v4, v4, v5
	s_delay_alu instid0(VALU_DEP_2) | instskip(NEXT) | instid1(VALU_DEP_1)
	v_add_co_u32 v0, s1, s8, v0
	v_add_co_ci_u32_e64 v1, s1, s9, v1, s1
	s_and_saveexec_b32 s2, s0
	s_cbranch_execnz .LBB290_13
; %bb.10:
	s_or_b32 exec_lo, exec_lo, s2
	s_and_saveexec_b32 s2, vcc_lo
	s_cbranch_execnz .LBB290_14
.LBB290_11:
	s_or_b32 exec_lo, exec_lo, s2
	v_cmp_ne_u32_e64 s1, 1, v7
	s_delay_alu instid0(VALU_DEP_1)
	s_and_b32 exec_lo, exec_lo, s1
	s_cbranch_execnz .LBB290_15
.LBB290_12:
	s_nop 0
	s_sendmsg sendmsg(MSG_DEALLOC_VGPRS)
	s_endpgm
.LBB290_13:
	s_waitcnt vmcnt(0)
	v_mul_f32_e32 v5, 0x3fb8aa3b, v14
	v_cmp_ngt_f32_e64 s1, 0xc2ce8ed0, v14
	s_delay_alu instid0(VALU_DEP_2) | instskip(SKIP_1) | instid1(VALU_DEP_1)
	v_rndne_f32_e32 v15, v5
	v_fma_f32 v16, 0x3fb8aa3b, v14, -v5
	v_dual_sub_f32 v5, v5, v15 :: v_dual_fmamk_f32 v16, v14, 0x32a5705f, v16
	v_cvt_i32_f32_e32 v15, v15
	s_delay_alu instid0(VALU_DEP_2) | instskip(NEXT) | instid1(VALU_DEP_1)
	v_add_f32_e32 v5, v5, v16
	v_exp_f32_e32 v5, v5
	s_waitcnt_depctr 0xfff
	v_ldexp_f32 v5, v5, v15
	s_delay_alu instid0(VALU_DEP_1) | instskip(SKIP_1) | instid1(VALU_DEP_1)
	v_cndmask_b32_e64 v5, 0, v5, s1
	v_cmp_nlt_f32_e64 s1, 0x42b17218, v14
	v_cndmask_b32_e64 v5, 0x7f800000, v5, s1
	s_delay_alu instid0(VALU_DEP_1)
	v_fma_mixlo_f16 v5, -v4, v5, v10
	global_store_b16 v[0:1], v5, off
	s_or_b32 exec_lo, exec_lo, s2
	s_and_saveexec_b32 s2, vcc_lo
	s_cbranch_execz .LBB290_11
.LBB290_14:
	s_waitcnt vmcnt(0)
	v_mul_f32_e32 v5, 0x3fb8aa3b, v12
	v_cmp_ngt_f32_e64 s1, 0xc2ce8ed0, v12
	s_delay_alu instid0(VALU_DEP_2) | instskip(SKIP_1) | instid1(VALU_DEP_1)
	v_rndne_f32_e32 v10, v5
	v_fma_f32 v14, 0x3fb8aa3b, v12, -v5
	v_dual_sub_f32 v5, v5, v10 :: v_dual_fmamk_f32 v14, v12, 0x32a5705f, v14
	v_cvt_i32_f32_e32 v10, v10
	s_delay_alu instid0(VALU_DEP_2) | instskip(NEXT) | instid1(VALU_DEP_1)
	v_add_f32_e32 v5, v5, v14
	v_exp_f32_e32 v5, v5
	s_waitcnt_depctr 0xfff
	v_ldexp_f32 v5, v5, v10
	s_delay_alu instid0(VALU_DEP_1) | instskip(SKIP_1) | instid1(VALU_DEP_1)
	v_cndmask_b32_e64 v5, 0, v5, s1
	v_cmp_nlt_f32_e64 s1, 0x42b17218, v12
	v_cndmask_b32_e64 v5, 0x7f800000, v5, s1
	s_delay_alu instid0(VALU_DEP_1) | instskip(SKIP_3) | instid1(VALU_DEP_1)
	v_fma_mixlo_f16 v4, -v4, v5, v8
	global_store_b16 v[0:1], v4, off offset:128
	s_or_b32 exec_lo, exec_lo, s2
	v_cmp_ne_u32_e64 s1, 1, v7
	s_and_b32 exec_lo, exec_lo, s1
	s_cbranch_execz .LBB290_12
.LBB290_15:
	v_add_f32_e32 v2, v2, v3
	s_and_saveexec_b32 s1, s0
	s_cbranch_execz .LBB290_17
; %bb.16:
	s_waitcnt vmcnt(0)
	v_mul_f32_e32 v3, 0x3fb8aa3b, v13
	v_cmp_ngt_f32_e64 s0, 0xc2ce8ed0, v13
	s_lshl_b64 s[2:3], s[6:7], 1
	s_delay_alu instid0(VALU_DEP_2) | instskip(SKIP_1) | instid1(VALU_DEP_2)
	v_rndne_f32_e32 v4, v3
	v_fma_f32 v5, 0x3fb8aa3b, v13, -v3
	v_sub_f32_e32 v3, v3, v4
	s_delay_alu instid0(VALU_DEP_2) | instskip(SKIP_1) | instid1(VALU_DEP_2)
	v_fmamk_f32 v5, v13, 0x32a5705f, v5
	v_cvt_i32_f32_e32 v4, v4
	v_add_f32_e32 v3, v3, v5
	s_delay_alu instid0(VALU_DEP_1) | instskip(SKIP_2) | instid1(VALU_DEP_1)
	v_exp_f32_e32 v3, v3
	s_waitcnt_depctr 0xfff
	v_ldexp_f32 v3, v3, v4
	v_cndmask_b32_e64 v3, 0, v3, s0
	v_cmp_nlt_f32_e64 s0, 0x42b17218, v13
	s_delay_alu instid0(VALU_DEP_1) | instskip(NEXT) | instid1(VALU_DEP_1)
	v_cndmask_b32_e64 v3, 0x7f800000, v3, s0
	v_fma_mixlo_f16 v5, -v2, v3, v9
	v_add_co_u32 v3, s0, v0, s2
	s_delay_alu instid0(VALU_DEP_1)
	v_add_co_ci_u32_e64 v4, s0, s3, v1, s0
	global_store_b16 v[3:4], v5, off
.LBB290_17:
	s_or_b32 exec_lo, exec_lo, s1
	s_delay_alu instid0(SALU_CYCLE_1)
	s_and_b32 exec_lo, exec_lo, vcc_lo
	s_cbranch_execz .LBB290_12
; %bb.18:
	s_waitcnt vmcnt(0)
	v_mul_f32_e32 v3, 0x3fb8aa3b, v11
	v_cmp_ngt_f32_e32 vcc_lo, 0xc2ce8ed0, v11
	s_ashr_i32 s7, s6, 31
	s_delay_alu instid0(SALU_CYCLE_1) | instskip(NEXT) | instid1(VALU_DEP_2)
	s_lshl_b64 s[0:1], s[6:7], 1
	v_rndne_f32_e32 v4, v3
	v_fma_f32 v5, 0x3fb8aa3b, v11, -v3
	s_delay_alu instid0(VALU_DEP_2) | instskip(NEXT) | instid1(VALU_DEP_2)
	v_sub_f32_e32 v3, v3, v4
	v_fmamk_f32 v5, v11, 0x32a5705f, v5
	v_cvt_i32_f32_e32 v4, v4
	s_delay_alu instid0(VALU_DEP_2) | instskip(NEXT) | instid1(VALU_DEP_1)
	v_add_f32_e32 v3, v3, v5
	v_exp_f32_e32 v3, v3
	s_waitcnt_depctr 0xfff
	v_ldexp_f32 v3, v3, v4
	s_delay_alu instid0(VALU_DEP_1) | instskip(SKIP_1) | instid1(VALU_DEP_2)
	v_cndmask_b32_e32 v3, 0, v3, vcc_lo
	v_cmp_nlt_f32_e32 vcc_lo, 0x42b17218, v11
	v_cndmask_b32_e32 v3, 0x7f800000, v3, vcc_lo
	v_add_co_u32 v0, vcc_lo, v0, s0
	v_add_co_ci_u32_e32 v1, vcc_lo, s1, v1, vcc_lo
	s_delay_alu instid0(VALU_DEP_3)
	v_fma_mixlo_f16 v2, -v2, v3, v6
	global_store_b16 v[0:1], v2, off offset:128
	s_nop 0
	s_sendmsg sendmsg(MSG_DEALLOC_VGPRS)
	s_endpgm
	.section	.rodata,"a",@progbits
	.p2align	6, 0x0
	.amdhsa_kernel _ZN12_GLOBAL__N_121softmax_warp_backwardIfN3c104HalfEfLi7ELb1ELb0ELi64EEEvPT0_PKT_S7_iiiPKb
		.amdhsa_group_segment_fixed_size 0
		.amdhsa_private_segment_fixed_size 0
		.amdhsa_kernarg_size 304
		.amdhsa_user_sgpr_count 15
		.amdhsa_user_sgpr_dispatch_ptr 0
		.amdhsa_user_sgpr_queue_ptr 0
		.amdhsa_user_sgpr_kernarg_segment_ptr 1
		.amdhsa_user_sgpr_dispatch_id 0
		.amdhsa_user_sgpr_private_segment_size 0
		.amdhsa_wavefront_size32 1
		.amdhsa_uses_dynamic_stack 0
		.amdhsa_enable_private_segment 0
		.amdhsa_system_sgpr_workgroup_id_x 1
		.amdhsa_system_sgpr_workgroup_id_y 0
		.amdhsa_system_sgpr_workgroup_id_z 0
		.amdhsa_system_sgpr_workgroup_info 0
		.amdhsa_system_vgpr_workitem_id 1
		.amdhsa_next_free_vgpr 19
		.amdhsa_next_free_sgpr 16
		.amdhsa_reserve_vcc 1
		.amdhsa_float_round_mode_32 0
		.amdhsa_float_round_mode_16_64 0
		.amdhsa_float_denorm_mode_32 3
		.amdhsa_float_denorm_mode_16_64 3
		.amdhsa_dx10_clamp 1
		.amdhsa_ieee_mode 1
		.amdhsa_fp16_overflow 0
		.amdhsa_workgroup_processor_mode 1
		.amdhsa_memory_ordered 1
		.amdhsa_forward_progress 0
		.amdhsa_shared_vgpr_count 0
		.amdhsa_exception_fp_ieee_invalid_op 0
		.amdhsa_exception_fp_denorm_src 0
		.amdhsa_exception_fp_ieee_div_zero 0
		.amdhsa_exception_fp_ieee_overflow 0
		.amdhsa_exception_fp_ieee_underflow 0
		.amdhsa_exception_fp_ieee_inexact 0
		.amdhsa_exception_int_div_zero 0
	.end_amdhsa_kernel
	.section	.text._ZN12_GLOBAL__N_121softmax_warp_backwardIfN3c104HalfEfLi7ELb1ELb0ELi64EEEvPT0_PKT_S7_iiiPKb,"axG",@progbits,_ZN12_GLOBAL__N_121softmax_warp_backwardIfN3c104HalfEfLi7ELb1ELb0ELi64EEEvPT0_PKT_S7_iiiPKb,comdat
.Lfunc_end290:
	.size	_ZN12_GLOBAL__N_121softmax_warp_backwardIfN3c104HalfEfLi7ELb1ELb0ELi64EEEvPT0_PKT_S7_iiiPKb, .Lfunc_end290-_ZN12_GLOBAL__N_121softmax_warp_backwardIfN3c104HalfEfLi7ELb1ELb0ELi64EEEvPT0_PKT_S7_iiiPKb
                                        ; -- End function
	.section	.AMDGPU.csdata,"",@progbits
; Kernel info:
; codeLenInByte = 1580
; NumSgprs: 18
; NumVgprs: 19
; ScratchSize: 0
; MemoryBound: 0
; FloatMode: 240
; IeeeMode: 1
; LDSByteSize: 0 bytes/workgroup (compile time only)
; SGPRBlocks: 2
; VGPRBlocks: 2
; NumSGPRsForWavesPerEU: 18
; NumVGPRsForWavesPerEU: 19
; Occupancy: 16
; WaveLimiterHint : 0
; COMPUTE_PGM_RSRC2:SCRATCH_EN: 0
; COMPUTE_PGM_RSRC2:USER_SGPR: 15
; COMPUTE_PGM_RSRC2:TRAP_HANDLER: 0
; COMPUTE_PGM_RSRC2:TGID_X_EN: 1
; COMPUTE_PGM_RSRC2:TGID_Y_EN: 0
; COMPUTE_PGM_RSRC2:TGID_Z_EN: 0
; COMPUTE_PGM_RSRC2:TIDIG_COMP_CNT: 1
	.section	.text._ZN12_GLOBAL__N_121softmax_warp_backwardIfN3c104HalfEfLi7ELb1ELb0ELi32EEEvPT0_PKT_S7_iiiPKb,"axG",@progbits,_ZN12_GLOBAL__N_121softmax_warp_backwardIfN3c104HalfEfLi7ELb1ELb0ELi32EEEvPT0_PKT_S7_iiiPKb,comdat
	.globl	_ZN12_GLOBAL__N_121softmax_warp_backwardIfN3c104HalfEfLi7ELb1ELb0ELi32EEEvPT0_PKT_S7_iiiPKb ; -- Begin function _ZN12_GLOBAL__N_121softmax_warp_backwardIfN3c104HalfEfLi7ELb1ELb0ELi32EEEvPT0_PKT_S7_iiiPKb
	.p2align	8
	.type	_ZN12_GLOBAL__N_121softmax_warp_backwardIfN3c104HalfEfLi7ELb1ELb0ELi32EEEvPT0_PKT_S7_iiiPKb,@function
_ZN12_GLOBAL__N_121softmax_warp_backwardIfN3c104HalfEfLi7ELb1ELb0ELi32EEEvPT0_PKT_S7_iiiPKb: ; @_ZN12_GLOBAL__N_121softmax_warp_backwardIfN3c104HalfEfLi7ELb1ELb0ELi32EEEvPT0_PKT_S7_iiiPKb
; %bb.0:
	s_clause 0x1
	s_load_b32 s2, s[0:1], 0x3c
	s_load_b128 s[4:7], s[0:1], 0x18
	v_bfe_u32 v1, v0, 10, 10
	v_dual_mov_b32 v17, 0 :: v_dual_and_b32 v6, 31, v0
	s_clause 0x1
	s_load_b128 s[8:11], s[0:1], 0x0
	s_load_b64 s[0:1], s[0:1], 0x10
	v_dual_mov_b32 v10, 0 :: v_dual_mov_b32 v21, 0
	s_waitcnt lgkmcnt(0)
	s_lshr_b32 s2, s2, 16
	s_delay_alu instid0(SALU_CYCLE_1) | instskip(SKIP_2) | instid1(VALU_DEP_1)
	s_mul_i32 s15, s15, s2
	v_cmp_gt_i32_e64 s2, s6, v6
	v_add_lshl_u32 v2, s15, v1, 1
	v_mad_u64_u32 v[0:1], null, v2, s5, v[6:7]
	v_sub_nc_u32_e32 v7, s4, v2
	s_delay_alu instid0(VALU_DEP_1) | instskip(NEXT) | instid1(VALU_DEP_3)
	v_cmp_lt_i32_e64 s3, 0, v7
	v_ashrrev_i32_e32 v1, 31, v0
	s_delay_alu instid0(VALU_DEP_1) | instskip(NEXT) | instid1(VALU_DEP_1)
	v_lshlrev_b64 v[2:3], 2, v[0:1]
	v_add_co_u32 v4, vcc_lo, s10, v2
	s_delay_alu instid0(VALU_DEP_2) | instskip(SKIP_3) | instid1(SALU_CYCLE_1)
	v_add_co_ci_u32_e32 v5, vcc_lo, s11, v3, vcc_lo
	v_add_co_u32 v2, vcc_lo, s0, v2
	v_add_co_ci_u32_e32 v3, vcc_lo, s1, v3, vcc_lo
	s_and_b32 s1, s3, s2
	s_and_saveexec_b32 s0, s1
	s_cbranch_execz .LBB291_2
; %bb.1:
	global_load_b32 v17, v[4:5], off
	global_load_b32 v21, v[2:3], off
.LBB291_2:
	s_or_b32 exec_lo, exec_lo, s0
	v_or_b32_e32 v8, 32, v6
	v_mov_b32_e32 v20, 0
	s_delay_alu instid0(VALU_DEP_2) | instskip(NEXT) | instid1(VALU_DEP_1)
	v_cmp_gt_i32_e64 s1, s6, v8
	s_and_b32 s4, s3, s1
	s_delay_alu instid0(SALU_CYCLE_1)
	s_and_saveexec_b32 s0, s4
	s_cbranch_execz .LBB291_4
; %bb.3:
	global_load_b32 v10, v[4:5], off offset:128
	global_load_b32 v20, v[2:3], off offset:128
.LBB291_4:
	s_or_b32 exec_lo, exec_lo, s0
	v_or_b32_e32 v8, 64, v6
	v_mov_b32_e32 v14, 0
	v_mov_b32_e32 v18, 0
	s_delay_alu instid0(VALU_DEP_3) | instskip(SKIP_1) | instid1(VALU_DEP_2)
	v_cmp_gt_i32_e64 s0, s6, v8
	v_mov_b32_e32 v8, 0
	s_and_b32 s5, s3, s0
	s_delay_alu instid0(SALU_CYCLE_1)
	s_and_saveexec_b32 s4, s5
	s_cbranch_execz .LBB291_6
; %bb.5:
	global_load_b32 v14, v[4:5], off offset:256
	global_load_b32 v18, v[2:3], off offset:256
.LBB291_6:
	s_or_b32 exec_lo, exec_lo, s4
	v_or_b32_e32 v6, 0x60, v6
	v_mov_b32_e32 v15, 0
	s_delay_alu instid0(VALU_DEP_2) | instskip(SKIP_1) | instid1(SALU_CYCLE_1)
	v_cmp_gt_i32_e32 vcc_lo, s6, v6
	s_and_b32 s5, s3, vcc_lo
	s_and_saveexec_b32 s4, s5
	s_cbranch_execz .LBB291_8
; %bb.7:
	global_load_b32 v8, v[4:5], off offset:384
	global_load_b32 v15, v[2:3], off offset:384
.LBB291_8:
	s_or_b32 exec_lo, exec_lo, s4
	v_cmp_lt_i32_e64 s4, 1, v7
	v_dual_mov_b32 v6, 0 :: v_dual_mov_b32 v11, 0
	v_mov_b32_e32 v12, 0
	s_mov_b32 s7, 0
	s_delay_alu instid0(VALU_DEP_3) | instskip(NEXT) | instid1(SALU_CYCLE_1)
	s_and_b32 s5, s4, s2
	s_and_saveexec_b32 s10, s5
	s_cbranch_execz .LBB291_10
; %bb.9:
	s_lshl_b64 s[12:13], s[6:7], 2
	s_delay_alu instid0(SALU_CYCLE_1) | instskip(NEXT) | instid1(VALU_DEP_1)
	v_add_co_u32 v11, s5, v4, s12
	v_add_co_ci_u32_e64 v12, s5, s13, v5, s5
	v_add_co_u32 v22, s5, v2, s12
	s_delay_alu instid0(VALU_DEP_1)
	v_add_co_ci_u32_e64 v23, s5, s13, v3, s5
	global_load_b32 v11, v[11:12], off
	global_load_b32 v12, v[22:23], off
.LBB291_10:
	s_or_b32 exec_lo, exec_lo, s10
	v_mov_b32_e32 v13, 0
	s_and_b32 s5, s4, s1
	s_delay_alu instid0(SALU_CYCLE_1)
	s_and_saveexec_b32 s10, s5
	s_cbranch_execz .LBB291_12
; %bb.11:
	s_lshl_b64 s[12:13], s[6:7], 2
	s_delay_alu instid0(SALU_CYCLE_1) | instskip(NEXT) | instid1(VALU_DEP_1)
	v_add_co_u32 v22, s5, v4, s12
	v_add_co_ci_u32_e64 v23, s5, s13, v5, s5
	v_add_co_u32 v24, s5, v2, s12
	s_delay_alu instid0(VALU_DEP_1)
	v_add_co_ci_u32_e64 v25, s5, s13, v3, s5
	global_load_b32 v6, v[22:23], off offset:128
	global_load_b32 v13, v[24:25], off offset:128
.LBB291_12:
	s_or_b32 exec_lo, exec_lo, s10
	v_dual_mov_b32 v9, 0 :: v_dual_mov_b32 v16, 0
	v_mov_b32_e32 v19, 0
	s_and_b32 s5, s4, s0
	s_delay_alu instid0(SALU_CYCLE_1)
	s_and_saveexec_b32 s10, s5
	s_cbranch_execz .LBB291_14
; %bb.13:
	s_lshl_b64 s[12:13], s[6:7], 2
	s_delay_alu instid0(SALU_CYCLE_1) | instskip(NEXT) | instid1(VALU_DEP_1)
	v_add_co_u32 v22, s5, v4, s12
	v_add_co_ci_u32_e64 v23, s5, s13, v5, s5
	v_add_co_u32 v24, s5, v2, s12
	s_delay_alu instid0(VALU_DEP_1)
	v_add_co_ci_u32_e64 v25, s5, s13, v3, s5
	global_load_b32 v16, v[22:23], off offset:256
	global_load_b32 v19, v[24:25], off offset:256
.LBB291_14:
	s_or_b32 exec_lo, exec_lo, s10
	v_mov_b32_e32 v22, 0
	s_and_b32 s4, s4, vcc_lo
	s_delay_alu instid0(SALU_CYCLE_1)
	s_and_saveexec_b32 s5, s4
	s_cbranch_execz .LBB291_16
; %bb.15:
	s_lshl_b64 s[10:11], s[6:7], 2
	s_delay_alu instid0(SALU_CYCLE_1) | instskip(NEXT) | instid1(VALU_DEP_1)
	v_add_co_u32 v4, s4, v4, s10
	v_add_co_ci_u32_e64 v5, s4, s11, v5, s4
	v_add_co_u32 v2, s4, v2, s10
	s_delay_alu instid0(VALU_DEP_1)
	v_add_co_ci_u32_e64 v3, s4, s11, v3, s4
	global_load_b32 v9, v[4:5], off offset:384
	global_load_b32 v22, v[2:3], off offset:384
.LBB291_16:
	s_or_b32 exec_lo, exec_lo, s5
	v_mbcnt_lo_u32_b32 v3, -1, 0
	s_waitcnt vmcnt(1)
	v_add_f32_e32 v2, 0, v17
	s_delay_alu instid0(VALU_DEP_2) | instskip(NEXT) | instid1(VALU_DEP_2)
	v_xor_b32_e32 v5, 16, v3
	v_add_f32_e32 v2, v2, v10
	v_xor_b32_e32 v24, 8, v3
	s_delay_alu instid0(VALU_DEP_3) | instskip(NEXT) | instid1(VALU_DEP_3)
	v_cmp_gt_i32_e64 s4, 32, v5
	v_add_f32_e32 v2, v2, v14
	s_delay_alu instid0(VALU_DEP_2) | instskip(SKIP_1) | instid1(VALU_DEP_3)
	v_cndmask_b32_e64 v5, v3, v5, s4
	v_add_f32_e32 v4, 0, v11
	v_add_f32_e32 v2, v2, v8
	v_cmp_gt_i32_e64 s4, 32, v24
	s_delay_alu instid0(VALU_DEP_3) | instskip(NEXT) | instid1(VALU_DEP_2)
	v_dual_add_f32 v4, v4, v6 :: v_dual_lshlrev_b32 v5, 2, v5
	v_cndmask_b32_e64 v24, v3, v24, s4
	ds_bpermute_b32 v23, v5, v2
	v_add_f32_e32 v4, v4, v16
	v_lshlrev_b32_e32 v24, 2, v24
	s_delay_alu instid0(VALU_DEP_2)
	v_add_f32_e32 v4, v4, v9
	ds_bpermute_b32 v5, v5, v4
	s_waitcnt lgkmcnt(1)
	v_add_f32_e32 v2, v2, v23
	s_waitcnt lgkmcnt(0)
	v_add_f32_e32 v4, v4, v5
	ds_bpermute_b32 v5, v24, v2
	ds_bpermute_b32 v23, v24, v4
	v_xor_b32_e32 v24, 4, v3
	s_delay_alu instid0(VALU_DEP_1) | instskip(NEXT) | instid1(VALU_DEP_1)
	v_cmp_gt_i32_e64 s4, 32, v24
	v_cndmask_b32_e64 v24, v3, v24, s4
	s_delay_alu instid0(VALU_DEP_1)
	v_lshlrev_b32_e32 v24, 2, v24
	s_waitcnt lgkmcnt(1)
	v_add_f32_e32 v2, v2, v5
	s_waitcnt lgkmcnt(0)
	v_add_f32_e32 v4, v4, v23
	ds_bpermute_b32 v5, v24, v2
	ds_bpermute_b32 v23, v24, v4
	v_xor_b32_e32 v24, 2, v3
	s_delay_alu instid0(VALU_DEP_1) | instskip(NEXT) | instid1(VALU_DEP_1)
	v_cmp_gt_i32_e64 s4, 32, v24
	v_cndmask_b32_e64 v24, v3, v24, s4
	s_delay_alu instid0(VALU_DEP_1)
	v_lshlrev_b32_e32 v24, 2, v24
	s_waitcnt lgkmcnt(0)
	v_dual_add_f32 v2, v2, v5 :: v_dual_add_f32 v5, v4, v23
	ds_bpermute_b32 v4, v24, v2
	ds_bpermute_b32 v23, v24, v5
	v_xor_b32_e32 v24, 1, v3
	s_delay_alu instid0(VALU_DEP_1) | instskip(NEXT) | instid1(VALU_DEP_1)
	v_cmp_gt_i32_e64 s4, 32, v24
	v_cndmask_b32_e64 v3, v3, v24, s4
	s_waitcnt lgkmcnt(1)
	s_delay_alu instid0(VALU_DEP_1)
	v_dual_add_f32 v4, v2, v4 :: v_dual_lshlrev_b32 v3, 2, v3
	s_waitcnt lgkmcnt(0)
	v_add_f32_e32 v2, v5, v23
	ds_bpermute_b32 v5, v3, v4
	ds_bpermute_b32 v3, v3, v2
	s_and_saveexec_b32 s4, s3
	s_cbranch_execz .LBB291_22
; %bb.17:
	v_lshlrev_b64 v[0:1], 1, v[0:1]
	s_waitcnt lgkmcnt(1)
	v_add_f32_e32 v4, v4, v5
	s_delay_alu instid0(VALU_DEP_2) | instskip(NEXT) | instid1(VALU_DEP_1)
	v_add_co_u32 v0, s3, s8, v0
	v_add_co_ci_u32_e64 v1, s3, s9, v1, s3
	s_and_saveexec_b32 s4, s2
	s_cbranch_execnz .LBB291_23
; %bb.18:
	s_or_b32 exec_lo, exec_lo, s4
	s_and_saveexec_b32 s4, s1
	s_cbranch_execnz .LBB291_24
.LBB291_19:
	s_or_b32 exec_lo, exec_lo, s4
	s_and_saveexec_b32 s4, s0
	s_cbranch_execnz .LBB291_25
.LBB291_20:
	s_or_b32 exec_lo, exec_lo, s4
	s_and_saveexec_b32 s4, vcc_lo
	s_cbranch_execnz .LBB291_26
.LBB291_21:
	s_or_b32 exec_lo, exec_lo, s4
	v_cmp_ne_u32_e64 s3, 1, v7
	s_delay_alu instid0(VALU_DEP_1)
	s_and_b32 exec_lo, exec_lo, s3
	s_cbranch_execnz .LBB291_27
.LBB291_22:
	s_nop 0
	s_sendmsg sendmsg(MSG_DEALLOC_VGPRS)
	s_endpgm
.LBB291_23:
	s_waitcnt vmcnt(0)
	v_mul_f32_e32 v5, 0x3fb8aa3b, v21
	v_cmp_ngt_f32_e64 s3, 0xc2ce8ed0, v21
	s_delay_alu instid0(VALU_DEP_2) | instskip(SKIP_1) | instid1(VALU_DEP_2)
	v_rndne_f32_e32 v23, v5
	v_fma_f32 v24, 0x3fb8aa3b, v21, -v5
	v_sub_f32_e32 v5, v5, v23
	s_delay_alu instid0(VALU_DEP_2) | instskip(SKIP_1) | instid1(VALU_DEP_2)
	v_fmamk_f32 v24, v21, 0x32a5705f, v24
	v_cvt_i32_f32_e32 v23, v23
	v_add_f32_e32 v5, v5, v24
	s_delay_alu instid0(VALU_DEP_1) | instskip(SKIP_2) | instid1(VALU_DEP_1)
	v_exp_f32_e32 v5, v5
	s_waitcnt_depctr 0xfff
	v_ldexp_f32 v5, v5, v23
	v_cndmask_b32_e64 v5, 0, v5, s3
	v_cmp_nlt_f32_e64 s3, 0x42b17218, v21
	s_delay_alu instid0(VALU_DEP_1) | instskip(NEXT) | instid1(VALU_DEP_1)
	v_cndmask_b32_e64 v5, 0x7f800000, v5, s3
	v_fma_mixlo_f16 v5, -v4, v5, v17
	global_store_b16 v[0:1], v5, off
	s_or_b32 exec_lo, exec_lo, s4
	s_and_saveexec_b32 s4, s1
	s_cbranch_execz .LBB291_19
.LBB291_24:
	s_waitcnt vmcnt(0)
	v_mul_f32_e32 v5, 0x3fb8aa3b, v20
	v_cmp_ngt_f32_e64 s3, 0xc2ce8ed0, v20
	s_delay_alu instid0(VALU_DEP_2) | instskip(SKIP_1) | instid1(VALU_DEP_2)
	v_rndne_f32_e32 v17, v5
	v_fma_f32 v21, 0x3fb8aa3b, v20, -v5
	v_sub_f32_e32 v5, v5, v17
	s_delay_alu instid0(VALU_DEP_2) | instskip(SKIP_1) | instid1(VALU_DEP_2)
	v_fmamk_f32 v21, v20, 0x32a5705f, v21
	v_cvt_i32_f32_e32 v17, v17
	v_add_f32_e32 v5, v5, v21
	s_delay_alu instid0(VALU_DEP_1) | instskip(SKIP_2) | instid1(VALU_DEP_1)
	v_exp_f32_e32 v5, v5
	s_waitcnt_depctr 0xfff
	v_ldexp_f32 v5, v5, v17
	v_cndmask_b32_e64 v5, 0, v5, s3
	v_cmp_nlt_f32_e64 s3, 0x42b17218, v20
	s_delay_alu instid0(VALU_DEP_1) | instskip(NEXT) | instid1(VALU_DEP_1)
	v_cndmask_b32_e64 v5, 0x7f800000, v5, s3
	v_fma_mixlo_f16 v5, -v4, v5, v10
	global_store_b16 v[0:1], v5, off offset:64
	s_or_b32 exec_lo, exec_lo, s4
	s_and_saveexec_b32 s4, s0
	s_cbranch_execz .LBB291_20
.LBB291_25:
	s_waitcnt vmcnt(0)
	v_mul_f32_e32 v5, 0x3fb8aa3b, v18
	v_cmp_ngt_f32_e64 s3, 0xc2ce8ed0, v18
	s_delay_alu instid0(VALU_DEP_2) | instskip(SKIP_1) | instid1(VALU_DEP_2)
	v_rndne_f32_e32 v10, v5
	v_fma_f32 v17, 0x3fb8aa3b, v18, -v5
	v_sub_f32_e32 v5, v5, v10
	s_delay_alu instid0(VALU_DEP_2) | instskip(SKIP_1) | instid1(VALU_DEP_2)
	v_fmamk_f32 v17, v18, 0x32a5705f, v17
	v_cvt_i32_f32_e32 v10, v10
	v_add_f32_e32 v5, v5, v17
	s_delay_alu instid0(VALU_DEP_1) | instskip(SKIP_2) | instid1(VALU_DEP_1)
	v_exp_f32_e32 v5, v5
	s_waitcnt_depctr 0xfff
	v_ldexp_f32 v5, v5, v10
	v_cndmask_b32_e64 v5, 0, v5, s3
	v_cmp_nlt_f32_e64 s3, 0x42b17218, v18
	s_delay_alu instid0(VALU_DEP_1) | instskip(NEXT) | instid1(VALU_DEP_1)
	v_cndmask_b32_e64 v5, 0x7f800000, v5, s3
	v_fma_mixlo_f16 v5, -v4, v5, v14
	global_store_b16 v[0:1], v5, off offset:128
	s_or_b32 exec_lo, exec_lo, s4
	s_and_saveexec_b32 s4, vcc_lo
	s_cbranch_execz .LBB291_21
.LBB291_26:
	s_waitcnt vmcnt(0)
	v_mul_f32_e32 v5, 0x3fb8aa3b, v15
	v_cmp_ngt_f32_e64 s3, 0xc2ce8ed0, v15
	s_delay_alu instid0(VALU_DEP_2) | instskip(SKIP_1) | instid1(VALU_DEP_1)
	v_rndne_f32_e32 v10, v5
	v_fma_f32 v14, 0x3fb8aa3b, v15, -v5
	v_dual_sub_f32 v5, v5, v10 :: v_dual_fmamk_f32 v14, v15, 0x32a5705f, v14
	v_cvt_i32_f32_e32 v10, v10
	s_delay_alu instid0(VALU_DEP_2) | instskip(NEXT) | instid1(VALU_DEP_1)
	v_add_f32_e32 v5, v5, v14
	v_exp_f32_e32 v5, v5
	s_waitcnt_depctr 0xfff
	v_ldexp_f32 v5, v5, v10
	s_delay_alu instid0(VALU_DEP_1) | instskip(SKIP_1) | instid1(VALU_DEP_1)
	v_cndmask_b32_e64 v5, 0, v5, s3
	v_cmp_nlt_f32_e64 s3, 0x42b17218, v15
	v_cndmask_b32_e64 v5, 0x7f800000, v5, s3
	s_delay_alu instid0(VALU_DEP_1) | instskip(SKIP_3) | instid1(VALU_DEP_1)
	v_fma_mixlo_f16 v4, -v4, v5, v8
	global_store_b16 v[0:1], v4, off offset:192
	s_or_b32 exec_lo, exec_lo, s4
	v_cmp_ne_u32_e64 s3, 1, v7
	s_and_b32 exec_lo, exec_lo, s3
	s_cbranch_execz .LBB291_22
.LBB291_27:
	s_ashr_i32 s7, s6, 31
	s_waitcnt lgkmcnt(0)
	v_add_f32_e32 v2, v2, v3
	s_lshl_b64 s[4:5], s[6:7], 1
	s_delay_alu instid0(SALU_CYCLE_1) | instskip(NEXT) | instid1(VALU_DEP_1)
	v_add_co_u32 v0, s3, v0, s4
	v_add_co_ci_u32_e64 v1, s3, s5, v1, s3
	s_and_saveexec_b32 s3, s2
	s_cbranch_execnz .LBB291_31
; %bb.28:
	s_or_b32 exec_lo, exec_lo, s3
	s_and_saveexec_b32 s2, s1
	s_cbranch_execnz .LBB291_32
.LBB291_29:
	s_or_b32 exec_lo, exec_lo, s2
	s_and_saveexec_b32 s1, s0
	s_cbranch_execnz .LBB291_33
.LBB291_30:
	s_or_b32 exec_lo, exec_lo, s1
	s_delay_alu instid0(SALU_CYCLE_1)
	s_and_b32 exec_lo, exec_lo, vcc_lo
	s_cbranch_execz .LBB291_22
	s_branch .LBB291_34
.LBB291_31:
	s_waitcnt vmcnt(0)
	v_mul_f32_e32 v3, 0x3fb8aa3b, v12
	v_cmp_ngt_f32_e64 s2, 0xc2ce8ed0, v12
	s_delay_alu instid0(VALU_DEP_2) | instskip(SKIP_1) | instid1(VALU_DEP_2)
	v_rndne_f32_e32 v4, v3
	v_fma_f32 v5, 0x3fb8aa3b, v12, -v3
	v_sub_f32_e32 v3, v3, v4
	s_delay_alu instid0(VALU_DEP_2) | instskip(SKIP_1) | instid1(VALU_DEP_2)
	v_fmamk_f32 v5, v12, 0x32a5705f, v5
	v_cvt_i32_f32_e32 v4, v4
	v_add_f32_e32 v3, v3, v5
	s_delay_alu instid0(VALU_DEP_1) | instskip(SKIP_2) | instid1(VALU_DEP_1)
	v_exp_f32_e32 v3, v3
	s_waitcnt_depctr 0xfff
	v_ldexp_f32 v3, v3, v4
	v_cndmask_b32_e64 v3, 0, v3, s2
	v_cmp_nlt_f32_e64 s2, 0x42b17218, v12
	s_delay_alu instid0(VALU_DEP_1) | instskip(NEXT) | instid1(VALU_DEP_1)
	v_cndmask_b32_e64 v3, 0x7f800000, v3, s2
	v_fma_mixlo_f16 v3, -v2, v3, v11
	global_store_b16 v[0:1], v3, off
	s_or_b32 exec_lo, exec_lo, s3
	s_and_saveexec_b32 s2, s1
	s_cbranch_execz .LBB291_29
.LBB291_32:
	s_waitcnt vmcnt(0)
	v_mul_f32_e32 v3, 0x3fb8aa3b, v13
	v_cmp_ngt_f32_e64 s1, 0xc2ce8ed0, v13
	s_delay_alu instid0(VALU_DEP_2) | instskip(SKIP_1) | instid1(VALU_DEP_2)
	v_rndne_f32_e32 v4, v3
	v_fma_f32 v5, 0x3fb8aa3b, v13, -v3
	v_sub_f32_e32 v3, v3, v4
	s_delay_alu instid0(VALU_DEP_2) | instskip(SKIP_1) | instid1(VALU_DEP_2)
	v_fmamk_f32 v5, v13, 0x32a5705f, v5
	v_cvt_i32_f32_e32 v4, v4
	v_add_f32_e32 v3, v3, v5
	s_delay_alu instid0(VALU_DEP_1) | instskip(SKIP_2) | instid1(VALU_DEP_1)
	v_exp_f32_e32 v3, v3
	s_waitcnt_depctr 0xfff
	v_ldexp_f32 v3, v3, v4
	v_cndmask_b32_e64 v3, 0, v3, s1
	v_cmp_nlt_f32_e64 s1, 0x42b17218, v13
	s_delay_alu instid0(VALU_DEP_1) | instskip(NEXT) | instid1(VALU_DEP_1)
	v_cndmask_b32_e64 v3, 0x7f800000, v3, s1
	v_fma_mixlo_f16 v3, -v2, v3, v6
	global_store_b16 v[0:1], v3, off offset:64
	s_or_b32 exec_lo, exec_lo, s2
	s_and_saveexec_b32 s1, s0
	s_cbranch_execz .LBB291_30
.LBB291_33:
	s_waitcnt vmcnt(0)
	v_mul_f32_e32 v3, 0x3fb8aa3b, v19
	v_cmp_ngt_f32_e64 s0, 0xc2ce8ed0, v19
	s_delay_alu instid0(VALU_DEP_2) | instskip(SKIP_1) | instid1(VALU_DEP_2)
	v_rndne_f32_e32 v4, v3
	v_fma_f32 v5, 0x3fb8aa3b, v19, -v3
	v_sub_f32_e32 v3, v3, v4
	s_delay_alu instid0(VALU_DEP_2) | instskip(SKIP_1) | instid1(VALU_DEP_2)
	v_fmamk_f32 v5, v19, 0x32a5705f, v5
	v_cvt_i32_f32_e32 v4, v4
	v_add_f32_e32 v3, v3, v5
	s_delay_alu instid0(VALU_DEP_1) | instskip(SKIP_2) | instid1(VALU_DEP_1)
	v_exp_f32_e32 v3, v3
	s_waitcnt_depctr 0xfff
	v_ldexp_f32 v3, v3, v4
	v_cndmask_b32_e64 v3, 0, v3, s0
	v_cmp_nlt_f32_e64 s0, 0x42b17218, v19
	s_delay_alu instid0(VALU_DEP_1) | instskip(NEXT) | instid1(VALU_DEP_1)
	v_cndmask_b32_e64 v3, 0x7f800000, v3, s0
	v_fma_mixlo_f16 v3, -v2, v3, v16
	global_store_b16 v[0:1], v3, off offset:128
	s_or_b32 exec_lo, exec_lo, s1
	s_delay_alu instid0(SALU_CYCLE_1)
	s_and_b32 exec_lo, exec_lo, vcc_lo
	s_cbranch_execz .LBB291_22
.LBB291_34:
	s_waitcnt vmcnt(0)
	v_mul_f32_e32 v3, 0x3fb8aa3b, v22
	v_cmp_ngt_f32_e32 vcc_lo, 0xc2ce8ed0, v22
	s_delay_alu instid0(VALU_DEP_2) | instskip(SKIP_1) | instid1(VALU_DEP_2)
	v_rndne_f32_e32 v4, v3
	v_fma_f32 v5, 0x3fb8aa3b, v22, -v3
	v_sub_f32_e32 v3, v3, v4
	s_delay_alu instid0(VALU_DEP_2) | instskip(SKIP_1) | instid1(VALU_DEP_2)
	v_fmamk_f32 v5, v22, 0x32a5705f, v5
	v_cvt_i32_f32_e32 v4, v4
	v_add_f32_e32 v3, v3, v5
	s_delay_alu instid0(VALU_DEP_1) | instskip(SKIP_2) | instid1(VALU_DEP_1)
	v_exp_f32_e32 v3, v3
	s_waitcnt_depctr 0xfff
	v_ldexp_f32 v3, v3, v4
	v_cndmask_b32_e32 v3, 0, v3, vcc_lo
	v_cmp_nlt_f32_e32 vcc_lo, 0x42b17218, v22
	s_delay_alu instid0(VALU_DEP_2) | instskip(NEXT) | instid1(VALU_DEP_1)
	v_cndmask_b32_e32 v3, 0x7f800000, v3, vcc_lo
	v_fma_mixlo_f16 v2, -v2, v3, v9
	global_store_b16 v[0:1], v2, off offset:192
	s_nop 0
	s_sendmsg sendmsg(MSG_DEALLOC_VGPRS)
	s_endpgm
	.section	.rodata,"a",@progbits
	.p2align	6, 0x0
	.amdhsa_kernel _ZN12_GLOBAL__N_121softmax_warp_backwardIfN3c104HalfEfLi7ELb1ELb0ELi32EEEvPT0_PKT_S7_iiiPKb
		.amdhsa_group_segment_fixed_size 0
		.amdhsa_private_segment_fixed_size 0
		.amdhsa_kernarg_size 304
		.amdhsa_user_sgpr_count 15
		.amdhsa_user_sgpr_dispatch_ptr 0
		.amdhsa_user_sgpr_queue_ptr 0
		.amdhsa_user_sgpr_kernarg_segment_ptr 1
		.amdhsa_user_sgpr_dispatch_id 0
		.amdhsa_user_sgpr_private_segment_size 0
		.amdhsa_wavefront_size32 1
		.amdhsa_uses_dynamic_stack 0
		.amdhsa_enable_private_segment 0
		.amdhsa_system_sgpr_workgroup_id_x 1
		.amdhsa_system_sgpr_workgroup_id_y 0
		.amdhsa_system_sgpr_workgroup_id_z 0
		.amdhsa_system_sgpr_workgroup_info 0
		.amdhsa_system_vgpr_workitem_id 1
		.amdhsa_next_free_vgpr 26
		.amdhsa_next_free_sgpr 16
		.amdhsa_reserve_vcc 1
		.amdhsa_float_round_mode_32 0
		.amdhsa_float_round_mode_16_64 0
		.amdhsa_float_denorm_mode_32 3
		.amdhsa_float_denorm_mode_16_64 3
		.amdhsa_dx10_clamp 1
		.amdhsa_ieee_mode 1
		.amdhsa_fp16_overflow 0
		.amdhsa_workgroup_processor_mode 1
		.amdhsa_memory_ordered 1
		.amdhsa_forward_progress 0
		.amdhsa_shared_vgpr_count 0
		.amdhsa_exception_fp_ieee_invalid_op 0
		.amdhsa_exception_fp_denorm_src 0
		.amdhsa_exception_fp_ieee_div_zero 0
		.amdhsa_exception_fp_ieee_overflow 0
		.amdhsa_exception_fp_ieee_underflow 0
		.amdhsa_exception_fp_ieee_inexact 0
		.amdhsa_exception_int_div_zero 0
	.end_amdhsa_kernel
	.section	.text._ZN12_GLOBAL__N_121softmax_warp_backwardIfN3c104HalfEfLi7ELb1ELb0ELi32EEEvPT0_PKT_S7_iiiPKb,"axG",@progbits,_ZN12_GLOBAL__N_121softmax_warp_backwardIfN3c104HalfEfLi7ELb1ELb0ELi32EEEvPT0_PKT_S7_iiiPKb,comdat
.Lfunc_end291:
	.size	_ZN12_GLOBAL__N_121softmax_warp_backwardIfN3c104HalfEfLi7ELb1ELb0ELi32EEEvPT0_PKT_S7_iiiPKb, .Lfunc_end291-_ZN12_GLOBAL__N_121softmax_warp_backwardIfN3c104HalfEfLi7ELb1ELb0ELi32EEEvPT0_PKT_S7_iiiPKb
                                        ; -- End function
	.section	.AMDGPU.csdata,"",@progbits
; Kernel info:
; codeLenInByte = 2504
; NumSgprs: 18
; NumVgprs: 26
; ScratchSize: 0
; MemoryBound: 0
; FloatMode: 240
; IeeeMode: 1
; LDSByteSize: 0 bytes/workgroup (compile time only)
; SGPRBlocks: 2
; VGPRBlocks: 3
; NumSGPRsForWavesPerEU: 18
; NumVGPRsForWavesPerEU: 26
; Occupancy: 16
; WaveLimiterHint : 0
; COMPUTE_PGM_RSRC2:SCRATCH_EN: 0
; COMPUTE_PGM_RSRC2:USER_SGPR: 15
; COMPUTE_PGM_RSRC2:TRAP_HANDLER: 0
; COMPUTE_PGM_RSRC2:TGID_X_EN: 1
; COMPUTE_PGM_RSRC2:TGID_Y_EN: 0
; COMPUTE_PGM_RSRC2:TGID_Z_EN: 0
; COMPUTE_PGM_RSRC2:TIDIG_COMP_CNT: 1
	.section	.text._ZN12_GLOBAL__N_121softmax_warp_backwardIfN3c104HalfEfLi8ELb1ELb0ELi64EEEvPT0_PKT_S7_iiiPKb,"axG",@progbits,_ZN12_GLOBAL__N_121softmax_warp_backwardIfN3c104HalfEfLi8ELb1ELb0ELi64EEEvPT0_PKT_S7_iiiPKb,comdat
	.globl	_ZN12_GLOBAL__N_121softmax_warp_backwardIfN3c104HalfEfLi8ELb1ELb0ELi64EEEvPT0_PKT_S7_iiiPKb ; -- Begin function _ZN12_GLOBAL__N_121softmax_warp_backwardIfN3c104HalfEfLi8ELb1ELb0ELi64EEEvPT0_PKT_S7_iiiPKb
	.p2align	8
	.type	_ZN12_GLOBAL__N_121softmax_warp_backwardIfN3c104HalfEfLi8ELb1ELb0ELi64EEEvPT0_PKT_S7_iiiPKb,@function
_ZN12_GLOBAL__N_121softmax_warp_backwardIfN3c104HalfEfLi8ELb1ELb0ELi64EEEvPT0_PKT_S7_iiiPKb: ; @_ZN12_GLOBAL__N_121softmax_warp_backwardIfN3c104HalfEfLi8ELb1ELb0ELi64EEEvPT0_PKT_S7_iiiPKb
; %bb.0:
	s_clause 0x1
	s_load_b32 s2, s[0:1], 0x3c
	s_load_b128 s[8:11], s[0:1], 0x18
	v_bfe_u32 v1, v0, 10, 10
	s_clause 0x1
	s_load_b128 s[4:7], s[0:1], 0x0
	s_load_b64 s[0:1], s[0:1], 0x10
	v_mov_b32_e32 v8, 0
	v_dual_mov_b32 v10, 0 :: v_dual_mov_b32 v13, 0
	s_waitcnt lgkmcnt(0)
	s_lshr_b32 s2, s2, 16
	s_delay_alu instid0(SALU_CYCLE_1) | instskip(SKIP_1) | instid1(VALU_DEP_1)
	v_mad_u64_u32 v[3:4], null, s15, s2, v[1:2]
	v_and_b32_e32 v2, 63, v0
	v_cmp_gt_i32_e64 s2, s10, v2
	s_delay_alu instid0(VALU_DEP_3) | instskip(SKIP_1) | instid1(VALU_DEP_1)
	v_mad_u64_u32 v[0:1], null, v3, s9, v[2:3]
	v_sub_nc_u32_e32 v14, s8, v3
	v_cmp_lt_i32_e64 s3, 0, v14
	s_delay_alu instid0(VALU_DEP_3) | instskip(NEXT) | instid1(VALU_DEP_1)
	v_ashrrev_i32_e32 v1, 31, v0
	v_lshlrev_b64 v[5:6], 2, v[0:1]
	s_delay_alu instid0(VALU_DEP_1) | instskip(NEXT) | instid1(VALU_DEP_2)
	v_add_co_u32 v3, vcc_lo, s6, v5
	v_add_co_ci_u32_e32 v4, vcc_lo, s7, v6, vcc_lo
	v_add_co_u32 v5, vcc_lo, s0, v5
	v_add_co_ci_u32_e32 v6, vcc_lo, s1, v6, vcc_lo
	s_and_b32 s1, s3, s2
	s_delay_alu instid0(SALU_CYCLE_1)
	s_and_saveexec_b32 s0, s1
	s_cbranch_execz .LBB292_2
; %bb.1:
	global_load_b32 v10, v[3:4], off
	global_load_b32 v13, v[5:6], off
.LBB292_2:
	s_or_b32 exec_lo, exec_lo, s0
	v_or_b32_e32 v7, 64, v2
	v_mov_b32_e32 v12, 0
	s_delay_alu instid0(VALU_DEP_2) | instskip(NEXT) | instid1(VALU_DEP_1)
	v_cmp_gt_i32_e64 s1, s10, v7
	s_and_b32 s6, s3, s1
	s_delay_alu instid0(SALU_CYCLE_1)
	s_and_saveexec_b32 s0, s6
	s_cbranch_execz .LBB292_4
; %bb.3:
	global_load_b32 v8, v[3:4], off offset:256
	global_load_b32 v12, v[5:6], off offset:256
.LBB292_4:
	s_or_b32 exec_lo, exec_lo, s0
	v_or_b32_e32 v7, 0x80, v2
	v_mov_b32_e32 v9, 0
	v_mov_b32_e32 v11, 0
	s_delay_alu instid0(VALU_DEP_3) | instskip(SKIP_1) | instid1(VALU_DEP_2)
	v_cmp_gt_i32_e64 s0, s10, v7
	v_mov_b32_e32 v7, 0
	s_and_b32 s7, s3, s0
	s_delay_alu instid0(SALU_CYCLE_1)
	s_and_saveexec_b32 s6, s7
	s_cbranch_execz .LBB292_6
; %bb.5:
	global_load_b32 v9, v[3:4], off offset:512
	global_load_b32 v11, v[5:6], off offset:512
.LBB292_6:
	s_or_b32 exec_lo, exec_lo, s6
	v_or_b32_e32 v2, 0xc0, v2
	s_delay_alu instid0(VALU_DEP_1) | instskip(SKIP_2) | instid1(SALU_CYCLE_1)
	v_cmp_gt_i32_e32 vcc_lo, s10, v2
	v_mov_b32_e32 v2, 0
	s_and_b32 s6, s3, vcc_lo
	s_and_saveexec_b32 s3, s6
	s_cbranch_execz .LBB292_8
; %bb.7:
	global_load_b32 v7, v[3:4], off offset:768
	global_load_b32 v2, v[5:6], off offset:768
.LBB292_8:
	s_or_b32 exec_lo, exec_lo, s3
	v_mbcnt_lo_u32_b32 v4, -1, 0
	s_waitcnt vmcnt(1)
	v_add_f32_e32 v3, 0, v10
	s_mov_b32 s6, exec_lo
	s_delay_alu instid0(VALU_DEP_2) | instskip(SKIP_1) | instid1(VALU_DEP_2)
	v_or_b32_e32 v5, 32, v4
	v_xor_b32_e32 v6, 16, v4
	v_cmp_gt_i32_e64 s3, 64, v5
	s_delay_alu instid0(VALU_DEP_1) | instskip(NEXT) | instid1(VALU_DEP_3)
	v_cndmask_b32_e64 v5, v4, v5, s3
	v_cmp_gt_i32_e64 s3, 64, v6
	s_delay_alu instid0(VALU_DEP_2) | instskip(NEXT) | instid1(VALU_DEP_2)
	v_lshlrev_b32_e32 v5, 2, v5
	v_cndmask_b32_e64 v6, v4, v6, s3
	s_delay_alu instid0(VALU_DEP_1) | instskip(NEXT) | instid1(VALU_DEP_1)
	v_dual_add_f32 v3, v3, v8 :: v_dual_lshlrev_b32 v6, 2, v6
	v_add_f32_e32 v3, v3, v9
	s_delay_alu instid0(VALU_DEP_1)
	v_add_f32_e32 v3, v3, v7
	ds_bpermute_b32 v5, v5, v3
	s_waitcnt lgkmcnt(0)
	v_add_f32_e32 v3, v3, v5
	ds_bpermute_b32 v5, v6, v3
	v_xor_b32_e32 v6, 8, v4
	s_delay_alu instid0(VALU_DEP_1) | instskip(NEXT) | instid1(VALU_DEP_1)
	v_cmp_gt_i32_e64 s3, 64, v6
	v_cndmask_b32_e64 v6, v4, v6, s3
	s_waitcnt lgkmcnt(0)
	s_delay_alu instid0(VALU_DEP_1) | instskip(SKIP_2) | instid1(VALU_DEP_1)
	v_dual_add_f32 v3, v3, v5 :: v_dual_lshlrev_b32 v6, 2, v6
	ds_bpermute_b32 v5, v6, v3
	v_xor_b32_e32 v6, 4, v4
	v_cmp_gt_i32_e64 s3, 64, v6
	s_delay_alu instid0(VALU_DEP_1) | instskip(SKIP_1) | instid1(VALU_DEP_1)
	v_cndmask_b32_e64 v6, v4, v6, s3
	s_waitcnt lgkmcnt(0)
	v_dual_add_f32 v3, v3, v5 :: v_dual_lshlrev_b32 v6, 2, v6
	ds_bpermute_b32 v5, v6, v3
	v_xor_b32_e32 v6, 2, v4
	s_delay_alu instid0(VALU_DEP_1) | instskip(NEXT) | instid1(VALU_DEP_1)
	v_cmp_gt_i32_e64 s3, 64, v6
	v_cndmask_b32_e64 v6, v4, v6, s3
	s_waitcnt lgkmcnt(0)
	s_delay_alu instid0(VALU_DEP_1) | instskip(SKIP_2) | instid1(VALU_DEP_1)
	v_dual_add_f32 v3, v3, v5 :: v_dual_lshlrev_b32 v6, 2, v6
	ds_bpermute_b32 v5, v6, v3
	v_xor_b32_e32 v6, 1, v4
	v_cmp_gt_i32_e64 s3, 64, v6
	s_delay_alu instid0(VALU_DEP_1) | instskip(SKIP_1) | instid1(VALU_DEP_1)
	v_cndmask_b32_e64 v4, v4, v6, s3
	s_waitcnt lgkmcnt(0)
	v_dual_add_f32 v3, v3, v5 :: v_dual_lshlrev_b32 v4, 2, v4
	ds_bpermute_b32 v4, v4, v3
	v_cmpx_lt_i32_e32 0, v14
	s_cbranch_execz .LBB292_14
; %bb.9:
	v_lshlrev_b64 v[0:1], 1, v[0:1]
	s_waitcnt lgkmcnt(0)
	v_add_f32_e32 v3, v3, v4
	s_delay_alu instid0(VALU_DEP_2) | instskip(NEXT) | instid1(VALU_DEP_1)
	v_add_co_u32 v0, s3, s4, v0
	v_add_co_ci_u32_e64 v1, s3, s5, v1, s3
	s_and_saveexec_b32 s3, s2
	s_cbranch_execnz .LBB292_15
; %bb.10:
	s_or_b32 exec_lo, exec_lo, s3
	s_and_saveexec_b32 s2, s1
	s_cbranch_execnz .LBB292_16
.LBB292_11:
	s_or_b32 exec_lo, exec_lo, s2
	s_and_saveexec_b32 s1, s0
	s_cbranch_execnz .LBB292_17
.LBB292_12:
	s_or_b32 exec_lo, exec_lo, s1
	s_delay_alu instid0(SALU_CYCLE_1)
	s_and_b32 exec_lo, exec_lo, vcc_lo
	s_cbranch_execz .LBB292_14
.LBB292_13:
	s_waitcnt vmcnt(0)
	v_mul_f32_e32 v4, 0x3fb8aa3b, v2
	v_cmp_ngt_f32_e32 vcc_lo, 0xc2ce8ed0, v2
	s_delay_alu instid0(VALU_DEP_2) | instskip(SKIP_1) | instid1(VALU_DEP_2)
	v_rndne_f32_e32 v5, v4
	v_fma_f32 v6, 0x3fb8aa3b, v2, -v4
	v_sub_f32_e32 v4, v4, v5
	s_delay_alu instid0(VALU_DEP_2) | instskip(SKIP_1) | instid1(VALU_DEP_2)
	v_fmamk_f32 v6, v2, 0x32a5705f, v6
	v_cvt_i32_f32_e32 v5, v5
	v_add_f32_e32 v4, v4, v6
	s_delay_alu instid0(VALU_DEP_1) | instskip(SKIP_2) | instid1(VALU_DEP_1)
	v_exp_f32_e32 v4, v4
	s_waitcnt_depctr 0xfff
	v_ldexp_f32 v4, v4, v5
	v_cndmask_b32_e32 v4, 0, v4, vcc_lo
	v_cmp_nlt_f32_e32 vcc_lo, 0x42b17218, v2
	s_delay_alu instid0(VALU_DEP_2) | instskip(NEXT) | instid1(VALU_DEP_1)
	v_cndmask_b32_e32 v2, 0x7f800000, v4, vcc_lo
	v_fma_mixlo_f16 v2, -v3, v2, v7
	global_store_b16 v[0:1], v2, off offset:384
.LBB292_14:
	s_nop 0
	s_sendmsg sendmsg(MSG_DEALLOC_VGPRS)
	s_endpgm
.LBB292_15:
	s_waitcnt vmcnt(0)
	v_mul_f32_e32 v4, 0x3fb8aa3b, v13
	v_cmp_ngt_f32_e64 s2, 0xc2ce8ed0, v13
	s_delay_alu instid0(VALU_DEP_2) | instskip(SKIP_1) | instid1(VALU_DEP_2)
	v_rndne_f32_e32 v5, v4
	v_fma_f32 v6, 0x3fb8aa3b, v13, -v4
	v_sub_f32_e32 v4, v4, v5
	s_delay_alu instid0(VALU_DEP_2) | instskip(SKIP_1) | instid1(VALU_DEP_2)
	v_fmamk_f32 v6, v13, 0x32a5705f, v6
	v_cvt_i32_f32_e32 v5, v5
	v_add_f32_e32 v4, v4, v6
	s_delay_alu instid0(VALU_DEP_1) | instskip(SKIP_2) | instid1(VALU_DEP_1)
	v_exp_f32_e32 v4, v4
	s_waitcnt_depctr 0xfff
	v_ldexp_f32 v4, v4, v5
	v_cndmask_b32_e64 v4, 0, v4, s2
	v_cmp_nlt_f32_e64 s2, 0x42b17218, v13
	s_delay_alu instid0(VALU_DEP_1) | instskip(NEXT) | instid1(VALU_DEP_1)
	v_cndmask_b32_e64 v4, 0x7f800000, v4, s2
	v_fma_mixlo_f16 v4, -v3, v4, v10
	global_store_b16 v[0:1], v4, off
	s_or_b32 exec_lo, exec_lo, s3
	s_and_saveexec_b32 s2, s1
	s_cbranch_execz .LBB292_11
.LBB292_16:
	s_waitcnt vmcnt(0)
	v_mul_f32_e32 v4, 0x3fb8aa3b, v12
	v_cmp_ngt_f32_e64 s1, 0xc2ce8ed0, v12
	s_delay_alu instid0(VALU_DEP_2) | instskip(SKIP_1) | instid1(VALU_DEP_2)
	v_rndne_f32_e32 v5, v4
	v_fma_f32 v6, 0x3fb8aa3b, v12, -v4
	v_sub_f32_e32 v4, v4, v5
	s_delay_alu instid0(VALU_DEP_2) | instskip(SKIP_1) | instid1(VALU_DEP_2)
	v_fmamk_f32 v6, v12, 0x32a5705f, v6
	v_cvt_i32_f32_e32 v5, v5
	v_add_f32_e32 v4, v4, v6
	s_delay_alu instid0(VALU_DEP_1) | instskip(SKIP_2) | instid1(VALU_DEP_1)
	v_exp_f32_e32 v4, v4
	s_waitcnt_depctr 0xfff
	v_ldexp_f32 v4, v4, v5
	v_cndmask_b32_e64 v4, 0, v4, s1
	v_cmp_nlt_f32_e64 s1, 0x42b17218, v12
	s_delay_alu instid0(VALU_DEP_1) | instskip(NEXT) | instid1(VALU_DEP_1)
	v_cndmask_b32_e64 v4, 0x7f800000, v4, s1
	v_fma_mixlo_f16 v4, -v3, v4, v8
	global_store_b16 v[0:1], v4, off offset:128
	s_or_b32 exec_lo, exec_lo, s2
	s_and_saveexec_b32 s1, s0
	s_cbranch_execz .LBB292_12
.LBB292_17:
	s_waitcnt vmcnt(0)
	v_mul_f32_e32 v4, 0x3fb8aa3b, v11
	v_cmp_ngt_f32_e64 s0, 0xc2ce8ed0, v11
	s_delay_alu instid0(VALU_DEP_2) | instskip(SKIP_1) | instid1(VALU_DEP_2)
	v_rndne_f32_e32 v5, v4
	v_fma_f32 v6, 0x3fb8aa3b, v11, -v4
	v_sub_f32_e32 v4, v4, v5
	s_delay_alu instid0(VALU_DEP_2) | instskip(SKIP_1) | instid1(VALU_DEP_2)
	v_fmamk_f32 v6, v11, 0x32a5705f, v6
	v_cvt_i32_f32_e32 v5, v5
	v_add_f32_e32 v4, v4, v6
	s_delay_alu instid0(VALU_DEP_1) | instskip(SKIP_2) | instid1(VALU_DEP_1)
	v_exp_f32_e32 v4, v4
	s_waitcnt_depctr 0xfff
	v_ldexp_f32 v4, v4, v5
	v_cndmask_b32_e64 v4, 0, v4, s0
	v_cmp_nlt_f32_e64 s0, 0x42b17218, v11
	s_delay_alu instid0(VALU_DEP_1) | instskip(NEXT) | instid1(VALU_DEP_1)
	v_cndmask_b32_e64 v4, 0x7f800000, v4, s0
	v_fma_mixlo_f16 v4, -v3, v4, v9
	global_store_b16 v[0:1], v4, off offset:256
	s_or_b32 exec_lo, exec_lo, s1
	s_delay_alu instid0(SALU_CYCLE_1)
	s_and_b32 exec_lo, exec_lo, vcc_lo
	s_cbranch_execnz .LBB292_13
	s_branch .LBB292_14
	.section	.rodata,"a",@progbits
	.p2align	6, 0x0
	.amdhsa_kernel _ZN12_GLOBAL__N_121softmax_warp_backwardIfN3c104HalfEfLi8ELb1ELb0ELi64EEEvPT0_PKT_S7_iiiPKb
		.amdhsa_group_segment_fixed_size 0
		.amdhsa_private_segment_fixed_size 0
		.amdhsa_kernarg_size 304
		.amdhsa_user_sgpr_count 15
		.amdhsa_user_sgpr_dispatch_ptr 0
		.amdhsa_user_sgpr_queue_ptr 0
		.amdhsa_user_sgpr_kernarg_segment_ptr 1
		.amdhsa_user_sgpr_dispatch_id 0
		.amdhsa_user_sgpr_private_segment_size 0
		.amdhsa_wavefront_size32 1
		.amdhsa_uses_dynamic_stack 0
		.amdhsa_enable_private_segment 0
		.amdhsa_system_sgpr_workgroup_id_x 1
		.amdhsa_system_sgpr_workgroup_id_y 0
		.amdhsa_system_sgpr_workgroup_id_z 0
		.amdhsa_system_sgpr_workgroup_info 0
		.amdhsa_system_vgpr_workitem_id 1
		.amdhsa_next_free_vgpr 15
		.amdhsa_next_free_sgpr 16
		.amdhsa_reserve_vcc 1
		.amdhsa_float_round_mode_32 0
		.amdhsa_float_round_mode_16_64 0
		.amdhsa_float_denorm_mode_32 3
		.amdhsa_float_denorm_mode_16_64 3
		.amdhsa_dx10_clamp 1
		.amdhsa_ieee_mode 1
		.amdhsa_fp16_overflow 0
		.amdhsa_workgroup_processor_mode 1
		.amdhsa_memory_ordered 1
		.amdhsa_forward_progress 0
		.amdhsa_shared_vgpr_count 0
		.amdhsa_exception_fp_ieee_invalid_op 0
		.amdhsa_exception_fp_denorm_src 0
		.amdhsa_exception_fp_ieee_div_zero 0
		.amdhsa_exception_fp_ieee_overflow 0
		.amdhsa_exception_fp_ieee_underflow 0
		.amdhsa_exception_fp_ieee_inexact 0
		.amdhsa_exception_int_div_zero 0
	.end_amdhsa_kernel
	.section	.text._ZN12_GLOBAL__N_121softmax_warp_backwardIfN3c104HalfEfLi8ELb1ELb0ELi64EEEvPT0_PKT_S7_iiiPKb,"axG",@progbits,_ZN12_GLOBAL__N_121softmax_warp_backwardIfN3c104HalfEfLi8ELb1ELb0ELi64EEEvPT0_PKT_S7_iiiPKb,comdat
.Lfunc_end292:
	.size	_ZN12_GLOBAL__N_121softmax_warp_backwardIfN3c104HalfEfLi8ELb1ELb0ELi64EEEvPT0_PKT_S7_iiiPKb, .Lfunc_end292-_ZN12_GLOBAL__N_121softmax_warp_backwardIfN3c104HalfEfLi8ELb1ELb0ELi64EEEvPT0_PKT_S7_iiiPKb
                                        ; -- End function
	.section	.AMDGPU.csdata,"",@progbits
; Kernel info:
; codeLenInByte = 1372
; NumSgprs: 18
; NumVgprs: 15
; ScratchSize: 0
; MemoryBound: 0
; FloatMode: 240
; IeeeMode: 1
; LDSByteSize: 0 bytes/workgroup (compile time only)
; SGPRBlocks: 2
; VGPRBlocks: 1
; NumSGPRsForWavesPerEU: 18
; NumVGPRsForWavesPerEU: 15
; Occupancy: 16
; WaveLimiterHint : 0
; COMPUTE_PGM_RSRC2:SCRATCH_EN: 0
; COMPUTE_PGM_RSRC2:USER_SGPR: 15
; COMPUTE_PGM_RSRC2:TRAP_HANDLER: 0
; COMPUTE_PGM_RSRC2:TGID_X_EN: 1
; COMPUTE_PGM_RSRC2:TGID_Y_EN: 0
; COMPUTE_PGM_RSRC2:TGID_Z_EN: 0
; COMPUTE_PGM_RSRC2:TIDIG_COMP_CNT: 1
	.section	.text._ZN12_GLOBAL__N_121softmax_warp_backwardIfN3c104HalfEfLi8ELb1ELb0ELi32EEEvPT0_PKT_S7_iiiPKb,"axG",@progbits,_ZN12_GLOBAL__N_121softmax_warp_backwardIfN3c104HalfEfLi8ELb1ELb0ELi32EEEvPT0_PKT_S7_iiiPKb,comdat
	.globl	_ZN12_GLOBAL__N_121softmax_warp_backwardIfN3c104HalfEfLi8ELb1ELb0ELi32EEEvPT0_PKT_S7_iiiPKb ; -- Begin function _ZN12_GLOBAL__N_121softmax_warp_backwardIfN3c104HalfEfLi8ELb1ELb0ELi32EEEvPT0_PKT_S7_iiiPKb
	.p2align	8
	.type	_ZN12_GLOBAL__N_121softmax_warp_backwardIfN3c104HalfEfLi8ELb1ELb0ELi32EEEvPT0_PKT_S7_iiiPKb,@function
_ZN12_GLOBAL__N_121softmax_warp_backwardIfN3c104HalfEfLi8ELb1ELb0ELi32EEEvPT0_PKT_S7_iiiPKb: ; @_ZN12_GLOBAL__N_121softmax_warp_backwardIfN3c104HalfEfLi8ELb1ELb0ELi32EEEvPT0_PKT_S7_iiiPKb
; %bb.0:
	s_clause 0x1
	s_load_b32 s2, s[0:1], 0x3c
	s_load_b128 s[16:19], s[0:1], 0x18
	v_bfe_u32 v1, v0, 10, 10
	s_clause 0x1
	s_load_b128 s[8:11], s[0:1], 0x0
	s_load_b64 s[0:1], s[0:1], 0x10
	v_mov_b32_e32 v10, 0
	v_dual_mov_b32 v18, 0 :: v_dual_mov_b32 v21, 0
	s_waitcnt lgkmcnt(0)
	s_lshr_b32 s2, s2, 16
	s_delay_alu instid0(SALU_CYCLE_1) | instskip(SKIP_1) | instid1(VALU_DEP_1)
	v_mad_u64_u32 v[3:4], null, s15, s2, v[1:2]
	v_and_b32_e32 v2, 31, v0
	v_cmp_gt_i32_e64 s6, s18, v2
	s_delay_alu instid0(VALU_DEP_3) | instskip(SKIP_1) | instid1(VALU_DEP_1)
	v_mad_u64_u32 v[0:1], null, v3, s17, v[2:3]
	v_sub_nc_u32_e32 v22, s16, v3
	v_cmp_lt_i32_e64 s7, 0, v22
	s_delay_alu instid0(VALU_DEP_3) | instskip(NEXT) | instid1(VALU_DEP_1)
	v_ashrrev_i32_e32 v1, 31, v0
	v_lshlrev_b64 v[5:6], 2, v[0:1]
	s_delay_alu instid0(VALU_DEP_1) | instskip(NEXT) | instid1(VALU_DEP_2)
	v_add_co_u32 v3, vcc_lo, s10, v5
	v_add_co_ci_u32_e32 v4, vcc_lo, s11, v6, vcc_lo
	v_add_co_u32 v5, vcc_lo, s0, v5
	v_add_co_ci_u32_e32 v6, vcc_lo, s1, v6, vcc_lo
	s_and_b32 s1, s7, s6
	s_delay_alu instid0(SALU_CYCLE_1)
	s_and_saveexec_b32 s0, s1
	s_cbranch_execz .LBB293_2
; %bb.1:
	global_load_b32 v18, v[3:4], off
	global_load_b32 v21, v[5:6], off
.LBB293_2:
	s_or_b32 exec_lo, exec_lo, s0
	v_or_b32_e32 v7, 32, v2
	v_mov_b32_e32 v20, 0
	s_delay_alu instid0(VALU_DEP_2) | instskip(NEXT) | instid1(VALU_DEP_1)
	v_cmp_gt_i32_e64 s5, s18, v7
	s_and_b32 s1, s7, s5
	s_delay_alu instid0(SALU_CYCLE_1)
	s_and_saveexec_b32 s0, s1
	s_cbranch_execz .LBB293_4
; %bb.3:
	global_load_b32 v10, v[3:4], off offset:128
	global_load_b32 v20, v[5:6], off offset:128
.LBB293_4:
	s_or_b32 exec_lo, exec_lo, s0
	v_or_b32_e32 v7, 64, v2
	v_dual_mov_b32 v9, 0 :: v_dual_mov_b32 v16, 0
	v_mov_b32_e32 v19, 0
	s_delay_alu instid0(VALU_DEP_3) | instskip(NEXT) | instid1(VALU_DEP_1)
	v_cmp_gt_i32_e64 s4, s18, v7
	s_and_b32 s1, s7, s4
	s_delay_alu instid0(SALU_CYCLE_1)
	s_and_saveexec_b32 s0, s1
	s_cbranch_execz .LBB293_6
; %bb.5:
	global_load_b32 v16, v[3:4], off offset:256
	global_load_b32 v19, v[5:6], off offset:256
.LBB293_6:
	s_or_b32 exec_lo, exec_lo, s0
	v_or_b32_e32 v7, 0x60, v2
	v_mov_b32_e32 v17, 0
	s_delay_alu instid0(VALU_DEP_2) | instskip(NEXT) | instid1(VALU_DEP_1)
	v_cmp_gt_i32_e64 s3, s18, v7
	s_and_b32 s1, s7, s3
	s_delay_alu instid0(SALU_CYCLE_1)
	s_and_saveexec_b32 s0, s1
	s_cbranch_execz .LBB293_8
; %bb.7:
	global_load_b32 v9, v[3:4], off offset:384
	global_load_b32 v17, v[5:6], off offset:384
.LBB293_8:
	s_or_b32 exec_lo, exec_lo, s0
	v_or_b32_e32 v7, 0x80, v2
	v_dual_mov_b32 v8, 0 :: v_dual_mov_b32 v13, 0
	v_mov_b32_e32 v15, 0
	s_delay_alu instid0(VALU_DEP_3) | instskip(NEXT) | instid1(VALU_DEP_1)
	v_cmp_gt_i32_e64 s2, s18, v7
	s_and_b32 s1, s7, s2
	s_delay_alu instid0(SALU_CYCLE_1)
	s_and_saveexec_b32 s0, s1
	s_cbranch_execz .LBB293_10
; %bb.9:
	global_load_b32 v13, v[3:4], off offset:512
	global_load_b32 v15, v[5:6], off offset:512
.LBB293_10:
	s_or_b32 exec_lo, exec_lo, s0
	v_or_b32_e32 v7, 0xa0, v2
	v_mov_b32_e32 v14, 0
	s_delay_alu instid0(VALU_DEP_2) | instskip(NEXT) | instid1(VALU_DEP_1)
	v_cmp_gt_i32_e64 s1, s18, v7
	s_and_b32 s10, s7, s1
	s_delay_alu instid0(SALU_CYCLE_1)
	s_and_saveexec_b32 s0, s10
	s_cbranch_execz .LBB293_12
; %bb.11:
	global_load_b32 v8, v[3:4], off offset:640
	global_load_b32 v14, v[5:6], off offset:640
.LBB293_12:
	s_or_b32 exec_lo, exec_lo, s0
	v_or_b32_e32 v7, 0xc0, v2
	v_dual_mov_b32 v11, 0 :: v_dual_mov_b32 v12, 0
	s_delay_alu instid0(VALU_DEP_2) | instskip(SKIP_1) | instid1(VALU_DEP_2)
	v_cmp_gt_i32_e64 s0, s18, v7
	v_mov_b32_e32 v7, 0
	s_and_b32 s11, s7, s0
	s_delay_alu instid0(SALU_CYCLE_1)
	s_and_saveexec_b32 s10, s11
	s_cbranch_execz .LBB293_14
; %bb.13:
	global_load_b32 v11, v[3:4], off offset:768
	global_load_b32 v12, v[5:6], off offset:768
.LBB293_14:
	s_or_b32 exec_lo, exec_lo, s10
	v_or_b32_e32 v2, 0xe0, v2
	s_delay_alu instid0(VALU_DEP_1) | instskip(SKIP_2) | instid1(SALU_CYCLE_1)
	v_cmp_gt_i32_e32 vcc_lo, s18, v2
	v_mov_b32_e32 v2, 0
	s_and_b32 s10, s7, vcc_lo
	s_and_saveexec_b32 s7, s10
	s_cbranch_execz .LBB293_16
; %bb.15:
	global_load_b32 v7, v[3:4], off offset:896
	global_load_b32 v2, v[5:6], off offset:896
.LBB293_16:
	s_or_b32 exec_lo, exec_lo, s7
	v_mbcnt_lo_u32_b32 v4, -1, 0
	s_waitcnt vmcnt(1)
	v_add_f32_e32 v3, 0, v18
	s_mov_b32 s10, exec_lo
	s_delay_alu instid0(VALU_DEP_2) | instskip(SKIP_1) | instid1(VALU_DEP_3)
	v_xor_b32_e32 v5, 16, v4
	v_xor_b32_e32 v6, 8, v4
	v_add_f32_e32 v3, v3, v10
	s_delay_alu instid0(VALU_DEP_3) | instskip(NEXT) | instid1(VALU_DEP_1)
	v_cmp_gt_i32_e64 s7, 32, v5
	v_cndmask_b32_e64 v5, v4, v5, s7
	s_delay_alu instid0(VALU_DEP_4) | instskip(NEXT) | instid1(VALU_DEP_2)
	v_cmp_gt_i32_e64 s7, 32, v6
	v_lshlrev_b32_e32 v5, 2, v5
	s_delay_alu instid0(VALU_DEP_2) | instskip(NEXT) | instid1(VALU_DEP_1)
	v_cndmask_b32_e64 v6, v4, v6, s7
	v_dual_add_f32 v3, v3, v16 :: v_dual_lshlrev_b32 v6, 2, v6
	s_delay_alu instid0(VALU_DEP_1) | instskip(NEXT) | instid1(VALU_DEP_1)
	v_add_f32_e32 v3, v3, v9
	v_add_f32_e32 v3, v3, v13
	s_delay_alu instid0(VALU_DEP_1) | instskip(NEXT) | instid1(VALU_DEP_1)
	v_add_f32_e32 v3, v3, v8
	v_add_f32_e32 v3, v3, v11
	s_delay_alu instid0(VALU_DEP_1)
	v_add_f32_e32 v3, v3, v7
	ds_bpermute_b32 v5, v5, v3
	s_waitcnt lgkmcnt(0)
	v_add_f32_e32 v3, v3, v5
	ds_bpermute_b32 v5, v6, v3
	v_xor_b32_e32 v6, 4, v4
	s_delay_alu instid0(VALU_DEP_1) | instskip(NEXT) | instid1(VALU_DEP_1)
	v_cmp_gt_i32_e64 s7, 32, v6
	v_cndmask_b32_e64 v6, v4, v6, s7
	s_waitcnt lgkmcnt(0)
	s_delay_alu instid0(VALU_DEP_1) | instskip(SKIP_2) | instid1(VALU_DEP_1)
	v_dual_add_f32 v3, v3, v5 :: v_dual_lshlrev_b32 v6, 2, v6
	ds_bpermute_b32 v5, v6, v3
	v_xor_b32_e32 v6, 2, v4
	v_cmp_gt_i32_e64 s7, 32, v6
	s_delay_alu instid0(VALU_DEP_1) | instskip(SKIP_1) | instid1(VALU_DEP_1)
	v_cndmask_b32_e64 v6, v4, v6, s7
	s_waitcnt lgkmcnt(0)
	v_dual_add_f32 v3, v3, v5 :: v_dual_lshlrev_b32 v6, 2, v6
	ds_bpermute_b32 v5, v6, v3
	v_xor_b32_e32 v6, 1, v4
	s_delay_alu instid0(VALU_DEP_1) | instskip(NEXT) | instid1(VALU_DEP_1)
	v_cmp_gt_i32_e64 s7, 32, v6
	v_cndmask_b32_e64 v4, v4, v6, s7
	s_waitcnt lgkmcnt(0)
	s_delay_alu instid0(VALU_DEP_1)
	v_dual_add_f32 v3, v3, v5 :: v_dual_lshlrev_b32 v4, 2, v4
	ds_bpermute_b32 v4, v4, v3
	v_cmpx_lt_i32_e32 0, v22
	s_cbranch_execz .LBB293_26
; %bb.17:
	v_lshlrev_b64 v[0:1], 1, v[0:1]
	s_waitcnt lgkmcnt(0)
	v_add_f32_e32 v3, v3, v4
	s_delay_alu instid0(VALU_DEP_2) | instskip(NEXT) | instid1(VALU_DEP_1)
	v_add_co_u32 v0, s7, s8, v0
	v_add_co_ci_u32_e64 v1, s7, s9, v1, s7
	s_and_saveexec_b32 s7, s6
	s_cbranch_execnz .LBB293_27
; %bb.18:
	s_or_b32 exec_lo, exec_lo, s7
	s_and_saveexec_b32 s6, s5
	s_cbranch_execnz .LBB293_28
.LBB293_19:
	s_or_b32 exec_lo, exec_lo, s6
	s_and_saveexec_b32 s5, s4
	s_cbranch_execnz .LBB293_29
.LBB293_20:
	s_or_b32 exec_lo, exec_lo, s5
	s_and_saveexec_b32 s4, s3
	s_cbranch_execnz .LBB293_30
.LBB293_21:
	s_or_b32 exec_lo, exec_lo, s4
	s_and_saveexec_b32 s3, s2
	s_cbranch_execnz .LBB293_31
.LBB293_22:
	s_or_b32 exec_lo, exec_lo, s3
	s_and_saveexec_b32 s2, s1
	s_cbranch_execnz .LBB293_32
.LBB293_23:
	s_or_b32 exec_lo, exec_lo, s2
	s_and_saveexec_b32 s1, s0
	s_cbranch_execnz .LBB293_33
.LBB293_24:
	s_or_b32 exec_lo, exec_lo, s1
	s_delay_alu instid0(SALU_CYCLE_1)
	s_and_b32 exec_lo, exec_lo, vcc_lo
	s_cbranch_execz .LBB293_26
.LBB293_25:
	s_waitcnt vmcnt(0)
	v_mul_f32_e32 v4, 0x3fb8aa3b, v2
	v_cmp_ngt_f32_e32 vcc_lo, 0xc2ce8ed0, v2
	s_delay_alu instid0(VALU_DEP_2) | instskip(SKIP_1) | instid1(VALU_DEP_2)
	v_rndne_f32_e32 v5, v4
	v_fma_f32 v6, 0x3fb8aa3b, v2, -v4
	v_sub_f32_e32 v4, v4, v5
	s_delay_alu instid0(VALU_DEP_2) | instskip(SKIP_1) | instid1(VALU_DEP_2)
	v_fmamk_f32 v6, v2, 0x32a5705f, v6
	v_cvt_i32_f32_e32 v5, v5
	v_add_f32_e32 v4, v4, v6
	s_delay_alu instid0(VALU_DEP_1) | instskip(SKIP_2) | instid1(VALU_DEP_1)
	v_exp_f32_e32 v4, v4
	s_waitcnt_depctr 0xfff
	v_ldexp_f32 v4, v4, v5
	v_cndmask_b32_e32 v4, 0, v4, vcc_lo
	v_cmp_nlt_f32_e32 vcc_lo, 0x42b17218, v2
	s_delay_alu instid0(VALU_DEP_2) | instskip(NEXT) | instid1(VALU_DEP_1)
	v_cndmask_b32_e32 v2, 0x7f800000, v4, vcc_lo
	v_fma_mixlo_f16 v2, -v3, v2, v7
	global_store_b16 v[0:1], v2, off offset:448
.LBB293_26:
	s_nop 0
	s_sendmsg sendmsg(MSG_DEALLOC_VGPRS)
	s_endpgm
.LBB293_27:
	s_waitcnt vmcnt(0)
	v_mul_f32_e32 v4, 0x3fb8aa3b, v21
	v_cmp_ngt_f32_e64 s6, 0xc2ce8ed0, v21
	s_delay_alu instid0(VALU_DEP_2) | instskip(SKIP_1) | instid1(VALU_DEP_2)
	v_rndne_f32_e32 v5, v4
	v_fma_f32 v6, 0x3fb8aa3b, v21, -v4
	v_sub_f32_e32 v4, v4, v5
	s_delay_alu instid0(VALU_DEP_2) | instskip(SKIP_1) | instid1(VALU_DEP_2)
	v_fmamk_f32 v6, v21, 0x32a5705f, v6
	v_cvt_i32_f32_e32 v5, v5
	v_add_f32_e32 v4, v4, v6
	s_delay_alu instid0(VALU_DEP_1) | instskip(SKIP_2) | instid1(VALU_DEP_1)
	v_exp_f32_e32 v4, v4
	s_waitcnt_depctr 0xfff
	v_ldexp_f32 v4, v4, v5
	v_cndmask_b32_e64 v4, 0, v4, s6
	v_cmp_nlt_f32_e64 s6, 0x42b17218, v21
	s_delay_alu instid0(VALU_DEP_1) | instskip(NEXT) | instid1(VALU_DEP_1)
	v_cndmask_b32_e64 v4, 0x7f800000, v4, s6
	v_fma_mixlo_f16 v4, -v3, v4, v18
	global_store_b16 v[0:1], v4, off
	s_or_b32 exec_lo, exec_lo, s7
	s_and_saveexec_b32 s6, s5
	s_cbranch_execz .LBB293_19
.LBB293_28:
	s_waitcnt vmcnt(0)
	v_mul_f32_e32 v4, 0x3fb8aa3b, v20
	v_cmp_ngt_f32_e64 s5, 0xc2ce8ed0, v20
	s_delay_alu instid0(VALU_DEP_2) | instskip(SKIP_1) | instid1(VALU_DEP_2)
	v_rndne_f32_e32 v5, v4
	v_fma_f32 v6, 0x3fb8aa3b, v20, -v4
	v_sub_f32_e32 v4, v4, v5
	s_delay_alu instid0(VALU_DEP_2) | instskip(SKIP_1) | instid1(VALU_DEP_2)
	v_fmamk_f32 v6, v20, 0x32a5705f, v6
	v_cvt_i32_f32_e32 v5, v5
	v_add_f32_e32 v4, v4, v6
	s_delay_alu instid0(VALU_DEP_1) | instskip(SKIP_2) | instid1(VALU_DEP_1)
	v_exp_f32_e32 v4, v4
	s_waitcnt_depctr 0xfff
	v_ldexp_f32 v4, v4, v5
	v_cndmask_b32_e64 v4, 0, v4, s5
	v_cmp_nlt_f32_e64 s5, 0x42b17218, v20
	s_delay_alu instid0(VALU_DEP_1) | instskip(NEXT) | instid1(VALU_DEP_1)
	v_cndmask_b32_e64 v4, 0x7f800000, v4, s5
	v_fma_mixlo_f16 v4, -v3, v4, v10
	global_store_b16 v[0:1], v4, off offset:64
	s_or_b32 exec_lo, exec_lo, s6
	s_and_saveexec_b32 s5, s4
	s_cbranch_execz .LBB293_20
.LBB293_29:
	s_waitcnt vmcnt(0)
	v_mul_f32_e32 v4, 0x3fb8aa3b, v19
	v_cmp_ngt_f32_e64 s4, 0xc2ce8ed0, v19
	s_delay_alu instid0(VALU_DEP_2) | instskip(SKIP_1) | instid1(VALU_DEP_2)
	v_rndne_f32_e32 v5, v4
	v_fma_f32 v6, 0x3fb8aa3b, v19, -v4
	v_sub_f32_e32 v4, v4, v5
	s_delay_alu instid0(VALU_DEP_2) | instskip(SKIP_1) | instid1(VALU_DEP_2)
	v_fmamk_f32 v6, v19, 0x32a5705f, v6
	v_cvt_i32_f32_e32 v5, v5
	v_add_f32_e32 v4, v4, v6
	s_delay_alu instid0(VALU_DEP_1) | instskip(SKIP_2) | instid1(VALU_DEP_1)
	v_exp_f32_e32 v4, v4
	s_waitcnt_depctr 0xfff
	v_ldexp_f32 v4, v4, v5
	v_cndmask_b32_e64 v4, 0, v4, s4
	v_cmp_nlt_f32_e64 s4, 0x42b17218, v19
	s_delay_alu instid0(VALU_DEP_1) | instskip(NEXT) | instid1(VALU_DEP_1)
	v_cndmask_b32_e64 v4, 0x7f800000, v4, s4
	v_fma_mixlo_f16 v4, -v3, v4, v16
	global_store_b16 v[0:1], v4, off offset:128
	s_or_b32 exec_lo, exec_lo, s5
	s_and_saveexec_b32 s4, s3
	s_cbranch_execz .LBB293_21
.LBB293_30:
	s_waitcnt vmcnt(0)
	v_mul_f32_e32 v4, 0x3fb8aa3b, v17
	v_cmp_ngt_f32_e64 s3, 0xc2ce8ed0, v17
	s_delay_alu instid0(VALU_DEP_2) | instskip(SKIP_1) | instid1(VALU_DEP_2)
	v_rndne_f32_e32 v5, v4
	v_fma_f32 v6, 0x3fb8aa3b, v17, -v4
	v_sub_f32_e32 v4, v4, v5
	s_delay_alu instid0(VALU_DEP_2) | instskip(SKIP_1) | instid1(VALU_DEP_2)
	v_fmamk_f32 v6, v17, 0x32a5705f, v6
	v_cvt_i32_f32_e32 v5, v5
	v_add_f32_e32 v4, v4, v6
	s_delay_alu instid0(VALU_DEP_1) | instskip(SKIP_2) | instid1(VALU_DEP_1)
	v_exp_f32_e32 v4, v4
	s_waitcnt_depctr 0xfff
	v_ldexp_f32 v4, v4, v5
	v_cndmask_b32_e64 v4, 0, v4, s3
	v_cmp_nlt_f32_e64 s3, 0x42b17218, v17
	s_delay_alu instid0(VALU_DEP_1) | instskip(NEXT) | instid1(VALU_DEP_1)
	v_cndmask_b32_e64 v4, 0x7f800000, v4, s3
	v_fma_mixlo_f16 v4, -v3, v4, v9
	global_store_b16 v[0:1], v4, off offset:192
	s_or_b32 exec_lo, exec_lo, s4
	s_and_saveexec_b32 s3, s2
	s_cbranch_execz .LBB293_22
.LBB293_31:
	s_waitcnt vmcnt(0)
	v_mul_f32_e32 v4, 0x3fb8aa3b, v15
	v_cmp_ngt_f32_e64 s2, 0xc2ce8ed0, v15
	s_delay_alu instid0(VALU_DEP_2) | instskip(SKIP_1) | instid1(VALU_DEP_2)
	v_rndne_f32_e32 v5, v4
	v_fma_f32 v6, 0x3fb8aa3b, v15, -v4
	v_sub_f32_e32 v4, v4, v5
	s_delay_alu instid0(VALU_DEP_2) | instskip(SKIP_1) | instid1(VALU_DEP_2)
	v_fmamk_f32 v6, v15, 0x32a5705f, v6
	v_cvt_i32_f32_e32 v5, v5
	v_add_f32_e32 v4, v4, v6
	s_delay_alu instid0(VALU_DEP_1) | instskip(SKIP_2) | instid1(VALU_DEP_1)
	v_exp_f32_e32 v4, v4
	s_waitcnt_depctr 0xfff
	v_ldexp_f32 v4, v4, v5
	v_cndmask_b32_e64 v4, 0, v4, s2
	v_cmp_nlt_f32_e64 s2, 0x42b17218, v15
	s_delay_alu instid0(VALU_DEP_1) | instskip(NEXT) | instid1(VALU_DEP_1)
	v_cndmask_b32_e64 v4, 0x7f800000, v4, s2
	v_fma_mixlo_f16 v4, -v3, v4, v13
	global_store_b16 v[0:1], v4, off offset:256
	s_or_b32 exec_lo, exec_lo, s3
	s_and_saveexec_b32 s2, s1
	s_cbranch_execz .LBB293_23
.LBB293_32:
	s_waitcnt vmcnt(0)
	v_mul_f32_e32 v4, 0x3fb8aa3b, v14
	v_cmp_ngt_f32_e64 s1, 0xc2ce8ed0, v14
	s_delay_alu instid0(VALU_DEP_2) | instskip(SKIP_1) | instid1(VALU_DEP_2)
	v_rndne_f32_e32 v5, v4
	v_fma_f32 v6, 0x3fb8aa3b, v14, -v4
	v_sub_f32_e32 v4, v4, v5
	s_delay_alu instid0(VALU_DEP_2) | instskip(SKIP_1) | instid1(VALU_DEP_2)
	v_fmamk_f32 v6, v14, 0x32a5705f, v6
	v_cvt_i32_f32_e32 v5, v5
	v_add_f32_e32 v4, v4, v6
	s_delay_alu instid0(VALU_DEP_1) | instskip(SKIP_2) | instid1(VALU_DEP_1)
	v_exp_f32_e32 v4, v4
	s_waitcnt_depctr 0xfff
	v_ldexp_f32 v4, v4, v5
	v_cndmask_b32_e64 v4, 0, v4, s1
	v_cmp_nlt_f32_e64 s1, 0x42b17218, v14
	s_delay_alu instid0(VALU_DEP_1) | instskip(NEXT) | instid1(VALU_DEP_1)
	v_cndmask_b32_e64 v4, 0x7f800000, v4, s1
	v_fma_mixlo_f16 v4, -v3, v4, v8
	global_store_b16 v[0:1], v4, off offset:320
	s_or_b32 exec_lo, exec_lo, s2
	s_and_saveexec_b32 s1, s0
	s_cbranch_execz .LBB293_24
.LBB293_33:
	s_waitcnt vmcnt(0)
	v_mul_f32_e32 v4, 0x3fb8aa3b, v12
	v_cmp_ngt_f32_e64 s0, 0xc2ce8ed0, v12
	s_delay_alu instid0(VALU_DEP_2) | instskip(SKIP_1) | instid1(VALU_DEP_2)
	v_rndne_f32_e32 v5, v4
	v_fma_f32 v6, 0x3fb8aa3b, v12, -v4
	v_sub_f32_e32 v4, v4, v5
	s_delay_alu instid0(VALU_DEP_2) | instskip(SKIP_1) | instid1(VALU_DEP_2)
	v_fmamk_f32 v6, v12, 0x32a5705f, v6
	v_cvt_i32_f32_e32 v5, v5
	v_add_f32_e32 v4, v4, v6
	s_delay_alu instid0(VALU_DEP_1) | instskip(SKIP_2) | instid1(VALU_DEP_1)
	v_exp_f32_e32 v4, v4
	s_waitcnt_depctr 0xfff
	v_ldexp_f32 v4, v4, v5
	v_cndmask_b32_e64 v4, 0, v4, s0
	v_cmp_nlt_f32_e64 s0, 0x42b17218, v12
	s_delay_alu instid0(VALU_DEP_1) | instskip(NEXT) | instid1(VALU_DEP_1)
	v_cndmask_b32_e64 v4, 0x7f800000, v4, s0
	v_fma_mixlo_f16 v4, -v3, v4, v11
	global_store_b16 v[0:1], v4, off offset:384
	s_or_b32 exec_lo, exec_lo, s1
	s_delay_alu instid0(SALU_CYCLE_1)
	s_and_b32 exec_lo, exec_lo, vcc_lo
	s_cbranch_execnz .LBB293_25
	s_branch .LBB293_26
	.section	.rodata,"a",@progbits
	.p2align	6, 0x0
	.amdhsa_kernel _ZN12_GLOBAL__N_121softmax_warp_backwardIfN3c104HalfEfLi8ELb1ELb0ELi32EEEvPT0_PKT_S7_iiiPKb
		.amdhsa_group_segment_fixed_size 0
		.amdhsa_private_segment_fixed_size 0
		.amdhsa_kernarg_size 304
		.amdhsa_user_sgpr_count 15
		.amdhsa_user_sgpr_dispatch_ptr 0
		.amdhsa_user_sgpr_queue_ptr 0
		.amdhsa_user_sgpr_kernarg_segment_ptr 1
		.amdhsa_user_sgpr_dispatch_id 0
		.amdhsa_user_sgpr_private_segment_size 0
		.amdhsa_wavefront_size32 1
		.amdhsa_uses_dynamic_stack 0
		.amdhsa_enable_private_segment 0
		.amdhsa_system_sgpr_workgroup_id_x 1
		.amdhsa_system_sgpr_workgroup_id_y 0
		.amdhsa_system_sgpr_workgroup_id_z 0
		.amdhsa_system_sgpr_workgroup_info 0
		.amdhsa_system_vgpr_workitem_id 1
		.amdhsa_next_free_vgpr 23
		.amdhsa_next_free_sgpr 20
		.amdhsa_reserve_vcc 1
		.amdhsa_float_round_mode_32 0
		.amdhsa_float_round_mode_16_64 0
		.amdhsa_float_denorm_mode_32 3
		.amdhsa_float_denorm_mode_16_64 3
		.amdhsa_dx10_clamp 1
		.amdhsa_ieee_mode 1
		.amdhsa_fp16_overflow 0
		.amdhsa_workgroup_processor_mode 1
		.amdhsa_memory_ordered 1
		.amdhsa_forward_progress 0
		.amdhsa_shared_vgpr_count 0
		.amdhsa_exception_fp_ieee_invalid_op 0
		.amdhsa_exception_fp_denorm_src 0
		.amdhsa_exception_fp_ieee_div_zero 0
		.amdhsa_exception_fp_ieee_overflow 0
		.amdhsa_exception_fp_ieee_underflow 0
		.amdhsa_exception_fp_ieee_inexact 0
		.amdhsa_exception_int_div_zero 0
	.end_amdhsa_kernel
	.section	.text._ZN12_GLOBAL__N_121softmax_warp_backwardIfN3c104HalfEfLi8ELb1ELb0ELi32EEEvPT0_PKT_S7_iiiPKb,"axG",@progbits,_ZN12_GLOBAL__N_121softmax_warp_backwardIfN3c104HalfEfLi8ELb1ELb0ELi32EEEvPT0_PKT_S7_iiiPKb,comdat
.Lfunc_end293:
	.size	_ZN12_GLOBAL__N_121softmax_warp_backwardIfN3c104HalfEfLi8ELb1ELb0ELi32EEEvPT0_PKT_S7_iiiPKb, .Lfunc_end293-_ZN12_GLOBAL__N_121softmax_warp_backwardIfN3c104HalfEfLi8ELb1ELb0ELi32EEEvPT0_PKT_S7_iiiPKb
                                        ; -- End function
	.section	.AMDGPU.csdata,"",@progbits
; Kernel info:
; codeLenInByte = 2260
; NumSgprs: 22
; NumVgprs: 23
; ScratchSize: 0
; MemoryBound: 0
; FloatMode: 240
; IeeeMode: 1
; LDSByteSize: 0 bytes/workgroup (compile time only)
; SGPRBlocks: 2
; VGPRBlocks: 2
; NumSGPRsForWavesPerEU: 22
; NumVGPRsForWavesPerEU: 23
; Occupancy: 16
; WaveLimiterHint : 0
; COMPUTE_PGM_RSRC2:SCRATCH_EN: 0
; COMPUTE_PGM_RSRC2:USER_SGPR: 15
; COMPUTE_PGM_RSRC2:TRAP_HANDLER: 0
; COMPUTE_PGM_RSRC2:TGID_X_EN: 1
; COMPUTE_PGM_RSRC2:TGID_Y_EN: 0
; COMPUTE_PGM_RSRC2:TGID_Z_EN: 0
; COMPUTE_PGM_RSRC2:TIDIG_COMP_CNT: 1
	.section	.text._ZN12_GLOBAL__N_121softmax_warp_backwardIfN3c104HalfEfLi9ELb1ELb0ELi64EEEvPT0_PKT_S7_iiiPKb,"axG",@progbits,_ZN12_GLOBAL__N_121softmax_warp_backwardIfN3c104HalfEfLi9ELb1ELb0ELi64EEEvPT0_PKT_S7_iiiPKb,comdat
	.globl	_ZN12_GLOBAL__N_121softmax_warp_backwardIfN3c104HalfEfLi9ELb1ELb0ELi64EEEvPT0_PKT_S7_iiiPKb ; -- Begin function _ZN12_GLOBAL__N_121softmax_warp_backwardIfN3c104HalfEfLi9ELb1ELb0ELi64EEEvPT0_PKT_S7_iiiPKb
	.p2align	8
	.type	_ZN12_GLOBAL__N_121softmax_warp_backwardIfN3c104HalfEfLi9ELb1ELb0ELi64EEEvPT0_PKT_S7_iiiPKb,@function
_ZN12_GLOBAL__N_121softmax_warp_backwardIfN3c104HalfEfLi9ELb1ELb0ELi64EEEvPT0_PKT_S7_iiiPKb: ; @_ZN12_GLOBAL__N_121softmax_warp_backwardIfN3c104HalfEfLi9ELb1ELb0ELi64EEEvPT0_PKT_S7_iiiPKb
; %bb.0:
	s_clause 0x1
	s_load_b32 s2, s[0:1], 0x3c
	s_load_b128 s[16:19], s[0:1], 0x18
	v_bfe_u32 v1, v0, 10, 10
	s_clause 0x1
	s_load_b128 s[8:11], s[0:1], 0x0
	s_load_b64 s[0:1], s[0:1], 0x10
	v_mov_b32_e32 v10, 0
	v_dual_mov_b32 v18, 0 :: v_dual_mov_b32 v21, 0
	s_waitcnt lgkmcnt(0)
	s_lshr_b32 s2, s2, 16
	s_delay_alu instid0(SALU_CYCLE_1) | instskip(SKIP_1) | instid1(VALU_DEP_1)
	v_mad_u64_u32 v[3:4], null, s15, s2, v[1:2]
	v_and_b32_e32 v2, 63, v0
	v_cmp_gt_i32_e64 s6, s18, v2
	s_delay_alu instid0(VALU_DEP_3) | instskip(SKIP_1) | instid1(VALU_DEP_1)
	v_mad_u64_u32 v[0:1], null, v3, s17, v[2:3]
	v_sub_nc_u32_e32 v22, s16, v3
	v_cmp_lt_i32_e64 s7, 0, v22
	s_delay_alu instid0(VALU_DEP_3) | instskip(NEXT) | instid1(VALU_DEP_1)
	v_ashrrev_i32_e32 v1, 31, v0
	v_lshlrev_b64 v[5:6], 2, v[0:1]
	s_delay_alu instid0(VALU_DEP_1) | instskip(NEXT) | instid1(VALU_DEP_2)
	v_add_co_u32 v3, vcc_lo, s10, v5
	v_add_co_ci_u32_e32 v4, vcc_lo, s11, v6, vcc_lo
	v_add_co_u32 v5, vcc_lo, s0, v5
	v_add_co_ci_u32_e32 v6, vcc_lo, s1, v6, vcc_lo
	s_and_b32 s1, s7, s6
	s_delay_alu instid0(SALU_CYCLE_1)
	s_and_saveexec_b32 s0, s1
	s_cbranch_execz .LBB294_2
; %bb.1:
	global_load_b32 v18, v[3:4], off
	global_load_b32 v21, v[5:6], off
.LBB294_2:
	s_or_b32 exec_lo, exec_lo, s0
	v_or_b32_e32 v7, 64, v2
	v_mov_b32_e32 v20, 0
	s_delay_alu instid0(VALU_DEP_2) | instskip(NEXT) | instid1(VALU_DEP_1)
	v_cmp_gt_i32_e64 s5, s18, v7
	s_and_b32 s1, s7, s5
	s_delay_alu instid0(SALU_CYCLE_1)
	s_and_saveexec_b32 s0, s1
	s_cbranch_execz .LBB294_4
; %bb.3:
	global_load_b32 v10, v[3:4], off offset:256
	global_load_b32 v20, v[5:6], off offset:256
.LBB294_4:
	s_or_b32 exec_lo, exec_lo, s0
	v_or_b32_e32 v7, 0x80, v2
	v_dual_mov_b32 v9, 0 :: v_dual_mov_b32 v16, 0
	v_mov_b32_e32 v19, 0
	s_delay_alu instid0(VALU_DEP_3) | instskip(NEXT) | instid1(VALU_DEP_1)
	v_cmp_gt_i32_e64 s4, s18, v7
	s_and_b32 s1, s7, s4
	s_delay_alu instid0(SALU_CYCLE_1)
	s_and_saveexec_b32 s0, s1
	s_cbranch_execz .LBB294_6
; %bb.5:
	global_load_b32 v16, v[3:4], off offset:512
	global_load_b32 v19, v[5:6], off offset:512
.LBB294_6:
	s_or_b32 exec_lo, exec_lo, s0
	v_or_b32_e32 v7, 0xc0, v2
	v_mov_b32_e32 v17, 0
	s_delay_alu instid0(VALU_DEP_2) | instskip(NEXT) | instid1(VALU_DEP_1)
	v_cmp_gt_i32_e64 s3, s18, v7
	s_and_b32 s1, s7, s3
	s_delay_alu instid0(SALU_CYCLE_1)
	s_and_saveexec_b32 s0, s1
	s_cbranch_execz .LBB294_8
; %bb.7:
	global_load_b32 v9, v[3:4], off offset:768
	global_load_b32 v17, v[5:6], off offset:768
.LBB294_8:
	s_or_b32 exec_lo, exec_lo, s0
	v_or_b32_e32 v7, 0x100, v2
	v_dual_mov_b32 v8, 0 :: v_dual_mov_b32 v13, 0
	v_mov_b32_e32 v15, 0
	s_delay_alu instid0(VALU_DEP_3) | instskip(NEXT) | instid1(VALU_DEP_1)
	v_cmp_gt_i32_e64 s2, s18, v7
	s_and_b32 s1, s7, s2
	s_delay_alu instid0(SALU_CYCLE_1)
	s_and_saveexec_b32 s0, s1
	s_cbranch_execz .LBB294_10
; %bb.9:
	global_load_b32 v13, v[3:4], off offset:1024
	global_load_b32 v15, v[5:6], off offset:1024
.LBB294_10:
	s_or_b32 exec_lo, exec_lo, s0
	v_or_b32_e32 v7, 0x140, v2
	v_mov_b32_e32 v14, 0
	s_delay_alu instid0(VALU_DEP_2) | instskip(NEXT) | instid1(VALU_DEP_1)
	v_cmp_gt_i32_e64 s1, s18, v7
	s_and_b32 s10, s7, s1
	s_delay_alu instid0(SALU_CYCLE_1)
	s_and_saveexec_b32 s0, s10
	s_cbranch_execz .LBB294_12
; %bb.11:
	global_load_b32 v8, v[3:4], off offset:1280
	global_load_b32 v14, v[5:6], off offset:1280
.LBB294_12:
	s_or_b32 exec_lo, exec_lo, s0
	v_or_b32_e32 v7, 0x180, v2
	v_dual_mov_b32 v11, 0 :: v_dual_mov_b32 v12, 0
	s_delay_alu instid0(VALU_DEP_2) | instskip(SKIP_1) | instid1(VALU_DEP_2)
	v_cmp_gt_i32_e64 s0, s18, v7
	v_mov_b32_e32 v7, 0
	s_and_b32 s11, s7, s0
	s_delay_alu instid0(SALU_CYCLE_1)
	s_and_saveexec_b32 s10, s11
	s_cbranch_execz .LBB294_14
; %bb.13:
	global_load_b32 v11, v[3:4], off offset:1536
	global_load_b32 v12, v[5:6], off offset:1536
.LBB294_14:
	s_or_b32 exec_lo, exec_lo, s10
	v_or_b32_e32 v2, 0x1c0, v2
	s_delay_alu instid0(VALU_DEP_1) | instskip(SKIP_2) | instid1(SALU_CYCLE_1)
	v_cmp_gt_i32_e32 vcc_lo, s18, v2
	v_mov_b32_e32 v2, 0
	s_and_b32 s10, s7, vcc_lo
	s_and_saveexec_b32 s7, s10
	s_cbranch_execz .LBB294_16
; %bb.15:
	global_load_b32 v7, v[3:4], off offset:1792
	global_load_b32 v2, v[5:6], off offset:1792
.LBB294_16:
	s_or_b32 exec_lo, exec_lo, s7
	v_mbcnt_lo_u32_b32 v4, -1, 0
	s_waitcnt vmcnt(1)
	v_add_f32_e32 v3, 0, v18
	s_mov_b32 s10, exec_lo
	s_delay_alu instid0(VALU_DEP_2) | instskip(SKIP_1) | instid1(VALU_DEP_3)
	v_or_b32_e32 v5, 32, v4
	v_xor_b32_e32 v6, 16, v4
	v_add_f32_e32 v3, v3, v10
	s_delay_alu instid0(VALU_DEP_3) | instskip(NEXT) | instid1(VALU_DEP_1)
	v_cmp_gt_i32_e64 s7, 64, v5
	v_cndmask_b32_e64 v5, v4, v5, s7
	s_delay_alu instid0(VALU_DEP_4) | instskip(NEXT) | instid1(VALU_DEP_2)
	v_cmp_gt_i32_e64 s7, 64, v6
	v_lshlrev_b32_e32 v5, 2, v5
	s_delay_alu instid0(VALU_DEP_2) | instskip(NEXT) | instid1(VALU_DEP_1)
	v_cndmask_b32_e64 v6, v4, v6, s7
	v_dual_add_f32 v3, v3, v16 :: v_dual_lshlrev_b32 v6, 2, v6
	s_delay_alu instid0(VALU_DEP_1) | instskip(NEXT) | instid1(VALU_DEP_1)
	v_add_f32_e32 v3, v3, v9
	v_add_f32_e32 v3, v3, v13
	s_delay_alu instid0(VALU_DEP_1) | instskip(NEXT) | instid1(VALU_DEP_1)
	v_add_f32_e32 v3, v3, v8
	v_add_f32_e32 v3, v3, v11
	s_delay_alu instid0(VALU_DEP_1)
	v_add_f32_e32 v3, v3, v7
	ds_bpermute_b32 v5, v5, v3
	s_waitcnt lgkmcnt(0)
	v_add_f32_e32 v3, v3, v5
	ds_bpermute_b32 v5, v6, v3
	v_xor_b32_e32 v6, 8, v4
	s_delay_alu instid0(VALU_DEP_1) | instskip(NEXT) | instid1(VALU_DEP_1)
	v_cmp_gt_i32_e64 s7, 64, v6
	v_cndmask_b32_e64 v6, v4, v6, s7
	s_waitcnt lgkmcnt(0)
	s_delay_alu instid0(VALU_DEP_1) | instskip(SKIP_2) | instid1(VALU_DEP_1)
	v_dual_add_f32 v3, v3, v5 :: v_dual_lshlrev_b32 v6, 2, v6
	ds_bpermute_b32 v5, v6, v3
	v_xor_b32_e32 v6, 4, v4
	v_cmp_gt_i32_e64 s7, 64, v6
	s_delay_alu instid0(VALU_DEP_1) | instskip(SKIP_1) | instid1(VALU_DEP_1)
	v_cndmask_b32_e64 v6, v4, v6, s7
	s_waitcnt lgkmcnt(0)
	v_dual_add_f32 v3, v3, v5 :: v_dual_lshlrev_b32 v6, 2, v6
	ds_bpermute_b32 v5, v6, v3
	v_xor_b32_e32 v6, 2, v4
	s_delay_alu instid0(VALU_DEP_1) | instskip(NEXT) | instid1(VALU_DEP_1)
	v_cmp_gt_i32_e64 s7, 64, v6
	v_cndmask_b32_e64 v6, v4, v6, s7
	s_waitcnt lgkmcnt(0)
	s_delay_alu instid0(VALU_DEP_1) | instskip(SKIP_2) | instid1(VALU_DEP_1)
	v_dual_add_f32 v3, v3, v5 :: v_dual_lshlrev_b32 v6, 2, v6
	ds_bpermute_b32 v5, v6, v3
	v_xor_b32_e32 v6, 1, v4
	v_cmp_gt_i32_e64 s7, 64, v6
	s_delay_alu instid0(VALU_DEP_1) | instskip(SKIP_1) | instid1(VALU_DEP_1)
	v_cndmask_b32_e64 v4, v4, v6, s7
	s_waitcnt lgkmcnt(0)
	v_dual_add_f32 v3, v3, v5 :: v_dual_lshlrev_b32 v4, 2, v4
	ds_bpermute_b32 v4, v4, v3
	v_cmpx_lt_i32_e32 0, v22
	s_cbranch_execz .LBB294_26
; %bb.17:
	v_lshlrev_b64 v[0:1], 1, v[0:1]
	s_waitcnt lgkmcnt(0)
	v_add_f32_e32 v3, v3, v4
	s_delay_alu instid0(VALU_DEP_2) | instskip(NEXT) | instid1(VALU_DEP_1)
	v_add_co_u32 v0, s7, s8, v0
	v_add_co_ci_u32_e64 v1, s7, s9, v1, s7
	s_and_saveexec_b32 s7, s6
	s_cbranch_execnz .LBB294_27
; %bb.18:
	s_or_b32 exec_lo, exec_lo, s7
	s_and_saveexec_b32 s6, s5
	s_cbranch_execnz .LBB294_28
.LBB294_19:
	s_or_b32 exec_lo, exec_lo, s6
	s_and_saveexec_b32 s5, s4
	s_cbranch_execnz .LBB294_29
.LBB294_20:
	s_or_b32 exec_lo, exec_lo, s5
	s_and_saveexec_b32 s4, s3
	s_cbranch_execnz .LBB294_30
.LBB294_21:
	s_or_b32 exec_lo, exec_lo, s4
	s_and_saveexec_b32 s3, s2
	s_cbranch_execnz .LBB294_31
.LBB294_22:
	s_or_b32 exec_lo, exec_lo, s3
	s_and_saveexec_b32 s2, s1
	s_cbranch_execnz .LBB294_32
.LBB294_23:
	s_or_b32 exec_lo, exec_lo, s2
	s_and_saveexec_b32 s1, s0
	s_cbranch_execnz .LBB294_33
.LBB294_24:
	s_or_b32 exec_lo, exec_lo, s1
	s_delay_alu instid0(SALU_CYCLE_1)
	s_and_b32 exec_lo, exec_lo, vcc_lo
	s_cbranch_execz .LBB294_26
.LBB294_25:
	s_waitcnt vmcnt(0)
	v_mul_f32_e32 v4, 0x3fb8aa3b, v2
	v_cmp_ngt_f32_e32 vcc_lo, 0xc2ce8ed0, v2
	s_delay_alu instid0(VALU_DEP_2) | instskip(SKIP_1) | instid1(VALU_DEP_2)
	v_rndne_f32_e32 v5, v4
	v_fma_f32 v6, 0x3fb8aa3b, v2, -v4
	v_sub_f32_e32 v4, v4, v5
	s_delay_alu instid0(VALU_DEP_2) | instskip(SKIP_1) | instid1(VALU_DEP_2)
	v_fmamk_f32 v6, v2, 0x32a5705f, v6
	v_cvt_i32_f32_e32 v5, v5
	v_add_f32_e32 v4, v4, v6
	s_delay_alu instid0(VALU_DEP_1) | instskip(SKIP_2) | instid1(VALU_DEP_1)
	v_exp_f32_e32 v4, v4
	s_waitcnt_depctr 0xfff
	v_ldexp_f32 v4, v4, v5
	v_cndmask_b32_e32 v4, 0, v4, vcc_lo
	v_cmp_nlt_f32_e32 vcc_lo, 0x42b17218, v2
	s_delay_alu instid0(VALU_DEP_2) | instskip(NEXT) | instid1(VALU_DEP_1)
	v_cndmask_b32_e32 v2, 0x7f800000, v4, vcc_lo
	v_fma_mixlo_f16 v2, -v3, v2, v7
	global_store_b16 v[0:1], v2, off offset:896
.LBB294_26:
	s_nop 0
	s_sendmsg sendmsg(MSG_DEALLOC_VGPRS)
	s_endpgm
.LBB294_27:
	s_waitcnt vmcnt(0)
	v_mul_f32_e32 v4, 0x3fb8aa3b, v21
	v_cmp_ngt_f32_e64 s6, 0xc2ce8ed0, v21
	s_delay_alu instid0(VALU_DEP_2) | instskip(SKIP_1) | instid1(VALU_DEP_2)
	v_rndne_f32_e32 v5, v4
	v_fma_f32 v6, 0x3fb8aa3b, v21, -v4
	v_sub_f32_e32 v4, v4, v5
	s_delay_alu instid0(VALU_DEP_2) | instskip(SKIP_1) | instid1(VALU_DEP_2)
	v_fmamk_f32 v6, v21, 0x32a5705f, v6
	v_cvt_i32_f32_e32 v5, v5
	v_add_f32_e32 v4, v4, v6
	s_delay_alu instid0(VALU_DEP_1) | instskip(SKIP_2) | instid1(VALU_DEP_1)
	v_exp_f32_e32 v4, v4
	s_waitcnt_depctr 0xfff
	v_ldexp_f32 v4, v4, v5
	v_cndmask_b32_e64 v4, 0, v4, s6
	v_cmp_nlt_f32_e64 s6, 0x42b17218, v21
	s_delay_alu instid0(VALU_DEP_1) | instskip(NEXT) | instid1(VALU_DEP_1)
	v_cndmask_b32_e64 v4, 0x7f800000, v4, s6
	v_fma_mixlo_f16 v4, -v3, v4, v18
	global_store_b16 v[0:1], v4, off
	s_or_b32 exec_lo, exec_lo, s7
	s_and_saveexec_b32 s6, s5
	s_cbranch_execz .LBB294_19
.LBB294_28:
	s_waitcnt vmcnt(0)
	v_mul_f32_e32 v4, 0x3fb8aa3b, v20
	v_cmp_ngt_f32_e64 s5, 0xc2ce8ed0, v20
	s_delay_alu instid0(VALU_DEP_2) | instskip(SKIP_1) | instid1(VALU_DEP_2)
	v_rndne_f32_e32 v5, v4
	v_fma_f32 v6, 0x3fb8aa3b, v20, -v4
	v_sub_f32_e32 v4, v4, v5
	s_delay_alu instid0(VALU_DEP_2) | instskip(SKIP_1) | instid1(VALU_DEP_2)
	v_fmamk_f32 v6, v20, 0x32a5705f, v6
	v_cvt_i32_f32_e32 v5, v5
	v_add_f32_e32 v4, v4, v6
	s_delay_alu instid0(VALU_DEP_1) | instskip(SKIP_2) | instid1(VALU_DEP_1)
	v_exp_f32_e32 v4, v4
	s_waitcnt_depctr 0xfff
	v_ldexp_f32 v4, v4, v5
	v_cndmask_b32_e64 v4, 0, v4, s5
	v_cmp_nlt_f32_e64 s5, 0x42b17218, v20
	s_delay_alu instid0(VALU_DEP_1) | instskip(NEXT) | instid1(VALU_DEP_1)
	v_cndmask_b32_e64 v4, 0x7f800000, v4, s5
	v_fma_mixlo_f16 v4, -v3, v4, v10
	global_store_b16 v[0:1], v4, off offset:128
	s_or_b32 exec_lo, exec_lo, s6
	s_and_saveexec_b32 s5, s4
	s_cbranch_execz .LBB294_20
.LBB294_29:
	s_waitcnt vmcnt(0)
	v_mul_f32_e32 v4, 0x3fb8aa3b, v19
	v_cmp_ngt_f32_e64 s4, 0xc2ce8ed0, v19
	s_delay_alu instid0(VALU_DEP_2) | instskip(SKIP_1) | instid1(VALU_DEP_2)
	v_rndne_f32_e32 v5, v4
	v_fma_f32 v6, 0x3fb8aa3b, v19, -v4
	v_sub_f32_e32 v4, v4, v5
	s_delay_alu instid0(VALU_DEP_2) | instskip(SKIP_1) | instid1(VALU_DEP_2)
	v_fmamk_f32 v6, v19, 0x32a5705f, v6
	v_cvt_i32_f32_e32 v5, v5
	v_add_f32_e32 v4, v4, v6
	s_delay_alu instid0(VALU_DEP_1) | instskip(SKIP_2) | instid1(VALU_DEP_1)
	v_exp_f32_e32 v4, v4
	s_waitcnt_depctr 0xfff
	v_ldexp_f32 v4, v4, v5
	v_cndmask_b32_e64 v4, 0, v4, s4
	v_cmp_nlt_f32_e64 s4, 0x42b17218, v19
	s_delay_alu instid0(VALU_DEP_1) | instskip(NEXT) | instid1(VALU_DEP_1)
	v_cndmask_b32_e64 v4, 0x7f800000, v4, s4
	v_fma_mixlo_f16 v4, -v3, v4, v16
	global_store_b16 v[0:1], v4, off offset:256
	s_or_b32 exec_lo, exec_lo, s5
	s_and_saveexec_b32 s4, s3
	s_cbranch_execz .LBB294_21
.LBB294_30:
	s_waitcnt vmcnt(0)
	v_mul_f32_e32 v4, 0x3fb8aa3b, v17
	v_cmp_ngt_f32_e64 s3, 0xc2ce8ed0, v17
	s_delay_alu instid0(VALU_DEP_2) | instskip(SKIP_1) | instid1(VALU_DEP_2)
	v_rndne_f32_e32 v5, v4
	v_fma_f32 v6, 0x3fb8aa3b, v17, -v4
	v_sub_f32_e32 v4, v4, v5
	s_delay_alu instid0(VALU_DEP_2) | instskip(SKIP_1) | instid1(VALU_DEP_2)
	v_fmamk_f32 v6, v17, 0x32a5705f, v6
	v_cvt_i32_f32_e32 v5, v5
	v_add_f32_e32 v4, v4, v6
	s_delay_alu instid0(VALU_DEP_1) | instskip(SKIP_2) | instid1(VALU_DEP_1)
	v_exp_f32_e32 v4, v4
	s_waitcnt_depctr 0xfff
	v_ldexp_f32 v4, v4, v5
	v_cndmask_b32_e64 v4, 0, v4, s3
	v_cmp_nlt_f32_e64 s3, 0x42b17218, v17
	s_delay_alu instid0(VALU_DEP_1) | instskip(NEXT) | instid1(VALU_DEP_1)
	v_cndmask_b32_e64 v4, 0x7f800000, v4, s3
	v_fma_mixlo_f16 v4, -v3, v4, v9
	global_store_b16 v[0:1], v4, off offset:384
	s_or_b32 exec_lo, exec_lo, s4
	s_and_saveexec_b32 s3, s2
	s_cbranch_execz .LBB294_22
.LBB294_31:
	s_waitcnt vmcnt(0)
	v_mul_f32_e32 v4, 0x3fb8aa3b, v15
	v_cmp_ngt_f32_e64 s2, 0xc2ce8ed0, v15
	s_delay_alu instid0(VALU_DEP_2) | instskip(SKIP_1) | instid1(VALU_DEP_2)
	v_rndne_f32_e32 v5, v4
	v_fma_f32 v6, 0x3fb8aa3b, v15, -v4
	v_sub_f32_e32 v4, v4, v5
	s_delay_alu instid0(VALU_DEP_2) | instskip(SKIP_1) | instid1(VALU_DEP_2)
	v_fmamk_f32 v6, v15, 0x32a5705f, v6
	v_cvt_i32_f32_e32 v5, v5
	v_add_f32_e32 v4, v4, v6
	s_delay_alu instid0(VALU_DEP_1) | instskip(SKIP_2) | instid1(VALU_DEP_1)
	v_exp_f32_e32 v4, v4
	s_waitcnt_depctr 0xfff
	v_ldexp_f32 v4, v4, v5
	v_cndmask_b32_e64 v4, 0, v4, s2
	v_cmp_nlt_f32_e64 s2, 0x42b17218, v15
	s_delay_alu instid0(VALU_DEP_1) | instskip(NEXT) | instid1(VALU_DEP_1)
	v_cndmask_b32_e64 v4, 0x7f800000, v4, s2
	v_fma_mixlo_f16 v4, -v3, v4, v13
	global_store_b16 v[0:1], v4, off offset:512
	s_or_b32 exec_lo, exec_lo, s3
	s_and_saveexec_b32 s2, s1
	s_cbranch_execz .LBB294_23
.LBB294_32:
	s_waitcnt vmcnt(0)
	v_mul_f32_e32 v4, 0x3fb8aa3b, v14
	v_cmp_ngt_f32_e64 s1, 0xc2ce8ed0, v14
	s_delay_alu instid0(VALU_DEP_2) | instskip(SKIP_1) | instid1(VALU_DEP_2)
	v_rndne_f32_e32 v5, v4
	v_fma_f32 v6, 0x3fb8aa3b, v14, -v4
	v_sub_f32_e32 v4, v4, v5
	s_delay_alu instid0(VALU_DEP_2) | instskip(SKIP_1) | instid1(VALU_DEP_2)
	v_fmamk_f32 v6, v14, 0x32a5705f, v6
	v_cvt_i32_f32_e32 v5, v5
	v_add_f32_e32 v4, v4, v6
	s_delay_alu instid0(VALU_DEP_1) | instskip(SKIP_2) | instid1(VALU_DEP_1)
	v_exp_f32_e32 v4, v4
	s_waitcnt_depctr 0xfff
	v_ldexp_f32 v4, v4, v5
	v_cndmask_b32_e64 v4, 0, v4, s1
	v_cmp_nlt_f32_e64 s1, 0x42b17218, v14
	s_delay_alu instid0(VALU_DEP_1) | instskip(NEXT) | instid1(VALU_DEP_1)
	v_cndmask_b32_e64 v4, 0x7f800000, v4, s1
	v_fma_mixlo_f16 v4, -v3, v4, v8
	global_store_b16 v[0:1], v4, off offset:640
	s_or_b32 exec_lo, exec_lo, s2
	s_and_saveexec_b32 s1, s0
	s_cbranch_execz .LBB294_24
.LBB294_33:
	s_waitcnt vmcnt(0)
	v_mul_f32_e32 v4, 0x3fb8aa3b, v12
	v_cmp_ngt_f32_e64 s0, 0xc2ce8ed0, v12
	s_delay_alu instid0(VALU_DEP_2) | instskip(SKIP_1) | instid1(VALU_DEP_2)
	v_rndne_f32_e32 v5, v4
	v_fma_f32 v6, 0x3fb8aa3b, v12, -v4
	v_sub_f32_e32 v4, v4, v5
	s_delay_alu instid0(VALU_DEP_2) | instskip(SKIP_1) | instid1(VALU_DEP_2)
	v_fmamk_f32 v6, v12, 0x32a5705f, v6
	v_cvt_i32_f32_e32 v5, v5
	v_add_f32_e32 v4, v4, v6
	s_delay_alu instid0(VALU_DEP_1) | instskip(SKIP_2) | instid1(VALU_DEP_1)
	v_exp_f32_e32 v4, v4
	s_waitcnt_depctr 0xfff
	v_ldexp_f32 v4, v4, v5
	v_cndmask_b32_e64 v4, 0, v4, s0
	v_cmp_nlt_f32_e64 s0, 0x42b17218, v12
	s_delay_alu instid0(VALU_DEP_1) | instskip(NEXT) | instid1(VALU_DEP_1)
	v_cndmask_b32_e64 v4, 0x7f800000, v4, s0
	v_fma_mixlo_f16 v4, -v3, v4, v11
	global_store_b16 v[0:1], v4, off offset:768
	s_or_b32 exec_lo, exec_lo, s1
	s_delay_alu instid0(SALU_CYCLE_1)
	s_and_b32 exec_lo, exec_lo, vcc_lo
	s_cbranch_execnz .LBB294_25
	s_branch .LBB294_26
	.section	.rodata,"a",@progbits
	.p2align	6, 0x0
	.amdhsa_kernel _ZN12_GLOBAL__N_121softmax_warp_backwardIfN3c104HalfEfLi9ELb1ELb0ELi64EEEvPT0_PKT_S7_iiiPKb
		.amdhsa_group_segment_fixed_size 0
		.amdhsa_private_segment_fixed_size 0
		.amdhsa_kernarg_size 304
		.amdhsa_user_sgpr_count 15
		.amdhsa_user_sgpr_dispatch_ptr 0
		.amdhsa_user_sgpr_queue_ptr 0
		.amdhsa_user_sgpr_kernarg_segment_ptr 1
		.amdhsa_user_sgpr_dispatch_id 0
		.amdhsa_user_sgpr_private_segment_size 0
		.amdhsa_wavefront_size32 1
		.amdhsa_uses_dynamic_stack 0
		.amdhsa_enable_private_segment 0
		.amdhsa_system_sgpr_workgroup_id_x 1
		.amdhsa_system_sgpr_workgroup_id_y 0
		.amdhsa_system_sgpr_workgroup_id_z 0
		.amdhsa_system_sgpr_workgroup_info 0
		.amdhsa_system_vgpr_workitem_id 1
		.amdhsa_next_free_vgpr 23
		.amdhsa_next_free_sgpr 20
		.amdhsa_reserve_vcc 1
		.amdhsa_float_round_mode_32 0
		.amdhsa_float_round_mode_16_64 0
		.amdhsa_float_denorm_mode_32 3
		.amdhsa_float_denorm_mode_16_64 3
		.amdhsa_dx10_clamp 1
		.amdhsa_ieee_mode 1
		.amdhsa_fp16_overflow 0
		.amdhsa_workgroup_processor_mode 1
		.amdhsa_memory_ordered 1
		.amdhsa_forward_progress 0
		.amdhsa_shared_vgpr_count 0
		.amdhsa_exception_fp_ieee_invalid_op 0
		.amdhsa_exception_fp_denorm_src 0
		.amdhsa_exception_fp_ieee_div_zero 0
		.amdhsa_exception_fp_ieee_overflow 0
		.amdhsa_exception_fp_ieee_underflow 0
		.amdhsa_exception_fp_ieee_inexact 0
		.amdhsa_exception_int_div_zero 0
	.end_amdhsa_kernel
	.section	.text._ZN12_GLOBAL__N_121softmax_warp_backwardIfN3c104HalfEfLi9ELb1ELb0ELi64EEEvPT0_PKT_S7_iiiPKb,"axG",@progbits,_ZN12_GLOBAL__N_121softmax_warp_backwardIfN3c104HalfEfLi9ELb1ELb0ELi64EEEvPT0_PKT_S7_iiiPKb,comdat
.Lfunc_end294:
	.size	_ZN12_GLOBAL__N_121softmax_warp_backwardIfN3c104HalfEfLi9ELb1ELb0ELi64EEEvPT0_PKT_S7_iiiPKb, .Lfunc_end294-_ZN12_GLOBAL__N_121softmax_warp_backwardIfN3c104HalfEfLi9ELb1ELb0ELi64EEEvPT0_PKT_S7_iiiPKb
                                        ; -- End function
	.section	.AMDGPU.csdata,"",@progbits
; Kernel info:
; codeLenInByte = 2308
; NumSgprs: 22
; NumVgprs: 23
; ScratchSize: 0
; MemoryBound: 0
; FloatMode: 240
; IeeeMode: 1
; LDSByteSize: 0 bytes/workgroup (compile time only)
; SGPRBlocks: 2
; VGPRBlocks: 2
; NumSGPRsForWavesPerEU: 22
; NumVGPRsForWavesPerEU: 23
; Occupancy: 16
; WaveLimiterHint : 0
; COMPUTE_PGM_RSRC2:SCRATCH_EN: 0
; COMPUTE_PGM_RSRC2:USER_SGPR: 15
; COMPUTE_PGM_RSRC2:TRAP_HANDLER: 0
; COMPUTE_PGM_RSRC2:TGID_X_EN: 1
; COMPUTE_PGM_RSRC2:TGID_Y_EN: 0
; COMPUTE_PGM_RSRC2:TGID_Z_EN: 0
; COMPUTE_PGM_RSRC2:TIDIG_COMP_CNT: 1
	.section	.text._ZN12_GLOBAL__N_121softmax_warp_backwardIfN3c104HalfEfLi9ELb1ELb0ELi32EEEvPT0_PKT_S7_iiiPKb,"axG",@progbits,_ZN12_GLOBAL__N_121softmax_warp_backwardIfN3c104HalfEfLi9ELb1ELb0ELi32EEEvPT0_PKT_S7_iiiPKb,comdat
	.globl	_ZN12_GLOBAL__N_121softmax_warp_backwardIfN3c104HalfEfLi9ELb1ELb0ELi32EEEvPT0_PKT_S7_iiiPKb ; -- Begin function _ZN12_GLOBAL__N_121softmax_warp_backwardIfN3c104HalfEfLi9ELb1ELb0ELi32EEEvPT0_PKT_S7_iiiPKb
	.p2align	8
	.type	_ZN12_GLOBAL__N_121softmax_warp_backwardIfN3c104HalfEfLi9ELb1ELb0ELi32EEEvPT0_PKT_S7_iiiPKb,@function
_ZN12_GLOBAL__N_121softmax_warp_backwardIfN3c104HalfEfLi9ELb1ELb0ELi32EEEvPT0_PKT_S7_iiiPKb: ; @_ZN12_GLOBAL__N_121softmax_warp_backwardIfN3c104HalfEfLi9ELb1ELb0ELi32EEEvPT0_PKT_S7_iiiPKb
; %bb.0:
	s_clause 0x1
	s_load_b32 s2, s[0:1], 0x3c
	s_load_b128 s[20:23], s[0:1], 0x18
	v_bfe_u32 v1, v0, 10, 10
	s_clause 0x1
	s_load_b128 s[16:19], s[0:1], 0x0
	s_load_b64 s[0:1], s[0:1], 0x10
	v_dual_mov_b32 v34, 0 :: v_dual_mov_b32 v37, 0
	v_mov_b32_e32 v21, 0
	s_waitcnt lgkmcnt(0)
	s_lshr_b32 s2, s2, 16
	s_delay_alu instid0(SALU_CYCLE_1) | instskip(SKIP_1) | instid1(VALU_DEP_1)
	v_mad_u64_u32 v[3:4], null, s15, s2, v[1:2]
	v_and_b32_e32 v2, 31, v0
	v_cmp_gt_i32_e64 s14, s22, v2
	s_delay_alu instid0(VALU_DEP_3) | instskip(SKIP_1) | instid1(VALU_DEP_1)
	v_mad_u64_u32 v[0:1], null, v3, s21, v[2:3]
	v_sub_nc_u32_e32 v38, s20, v3
	v_cmp_lt_i32_e64 s15, 0, v38
	s_delay_alu instid0(VALU_DEP_3) | instskip(NEXT) | instid1(VALU_DEP_1)
	v_ashrrev_i32_e32 v1, 31, v0
	v_lshlrev_b64 v[5:6], 2, v[0:1]
	s_delay_alu instid0(VALU_DEP_1) | instskip(NEXT) | instid1(VALU_DEP_2)
	v_add_co_u32 v3, vcc_lo, s18, v5
	v_add_co_ci_u32_e32 v4, vcc_lo, s19, v6, vcc_lo
	v_add_co_u32 v5, vcc_lo, s0, v5
	v_add_co_ci_u32_e32 v6, vcc_lo, s1, v6, vcc_lo
	s_and_b32 s1, s15, s14
	s_delay_alu instid0(SALU_CYCLE_1)
	s_and_saveexec_b32 s0, s1
	s_cbranch_execz .LBB295_2
; %bb.1:
	global_load_b32 v34, v[3:4], off
	global_load_b32 v37, v[5:6], off
.LBB295_2:
	s_or_b32 exec_lo, exec_lo, s0
	v_or_b32_e32 v7, 32, v2
	v_mov_b32_e32 v36, 0
	s_delay_alu instid0(VALU_DEP_2) | instskip(NEXT) | instid1(VALU_DEP_1)
	v_cmp_gt_i32_e64 s13, s22, v7
	s_and_b32 s1, s15, s13
	s_delay_alu instid0(SALU_CYCLE_1)
	s_and_saveexec_b32 s0, s1
	s_cbranch_execz .LBB295_4
; %bb.3:
	global_load_b32 v21, v[3:4], off offset:128
	global_load_b32 v36, v[5:6], off offset:128
.LBB295_4:
	s_or_b32 exec_lo, exec_lo, s0
	v_or_b32_e32 v7, 64, v2
	v_dual_mov_b32 v20, 0 :: v_dual_mov_b32 v35, 0
	v_mov_b32_e32 v32, 0
	s_delay_alu instid0(VALU_DEP_3) | instskip(NEXT) | instid1(VALU_DEP_1)
	v_cmp_gt_i32_e64 s12, s22, v7
	s_and_b32 s1, s15, s12
	s_delay_alu instid0(SALU_CYCLE_1)
	s_and_saveexec_b32 s0, s1
	s_cbranch_execz .LBB295_6
; %bb.5:
	global_load_b32 v32, v[3:4], off offset:256
	global_load_b32 v35, v[5:6], off offset:256
.LBB295_6:
	s_or_b32 exec_lo, exec_lo, s0
	v_or_b32_e32 v7, 0x60, v2
	v_mov_b32_e32 v33, 0
	s_delay_alu instid0(VALU_DEP_2) | instskip(NEXT) | instid1(VALU_DEP_1)
	v_cmp_gt_i32_e64 s11, s22, v7
	s_and_b32 s1, s15, s11
	s_delay_alu instid0(SALU_CYCLE_1)
	s_and_saveexec_b32 s0, s1
	s_cbranch_execz .LBB295_8
; %bb.7:
	global_load_b32 v20, v[3:4], off offset:384
	global_load_b32 v33, v[5:6], off offset:384
.LBB295_8:
	s_or_b32 exec_lo, exec_lo, s0
	v_or_b32_e32 v7, 0x80, v2
	v_dual_mov_b32 v16, 0 :: v_dual_mov_b32 v29, 0
	v_mov_b32_e32 v31, 0
	s_delay_alu instid0(VALU_DEP_3) | instskip(NEXT) | instid1(VALU_DEP_1)
	v_cmp_gt_i32_e64 s10, s22, v7
	s_and_b32 s1, s15, s10
	s_delay_alu instid0(SALU_CYCLE_1)
	s_and_saveexec_b32 s0, s1
	s_cbranch_execz .LBB295_10
; %bb.9:
	global_load_b32 v29, v[3:4], off offset:512
	global_load_b32 v31, v[5:6], off offset:512
.LBB295_10:
	s_or_b32 exec_lo, exec_lo, s0
	v_or_b32_e32 v7, 0xa0, v2
	v_mov_b32_e32 v30, 0
	s_delay_alu instid0(VALU_DEP_2) | instskip(NEXT) | instid1(VALU_DEP_1)
	v_cmp_gt_i32_e64 s9, s22, v7
	s_and_b32 s1, s15, s9
	s_delay_alu instid0(SALU_CYCLE_1)
	s_and_saveexec_b32 s0, s1
	s_cbranch_execz .LBB295_12
; %bb.11:
	global_load_b32 v16, v[3:4], off offset:640
	global_load_b32 v30, v[5:6], off offset:640
.LBB295_12:
	s_or_b32 exec_lo, exec_lo, s0
	v_or_b32_e32 v7, 0xc0, v2
	v_mov_b32_e32 v12, 0
	v_mov_b32_e32 v26, 0
	;; [unrolled: 1-line block ×3, first 2 shown]
	s_delay_alu instid0(VALU_DEP_4) | instskip(NEXT) | instid1(VALU_DEP_1)
	v_cmp_gt_i32_e64 s8, s22, v7
	s_and_b32 s1, s15, s8
	s_delay_alu instid0(SALU_CYCLE_1)
	s_and_saveexec_b32 s0, s1
	s_cbranch_execz .LBB295_14
; %bb.13:
	global_load_b32 v26, v[3:4], off offset:768
	global_load_b32 v28, v[5:6], off offset:768
.LBB295_14:
	s_or_b32 exec_lo, exec_lo, s0
	v_or_b32_e32 v7, 0xe0, v2
	v_mov_b32_e32 v27, 0
	s_delay_alu instid0(VALU_DEP_2) | instskip(NEXT) | instid1(VALU_DEP_1)
	v_cmp_gt_i32_e64 s7, s22, v7
	s_and_b32 s1, s15, s7
	s_delay_alu instid0(SALU_CYCLE_1)
	s_and_saveexec_b32 s0, s1
	s_cbranch_execz .LBB295_16
; %bb.15:
	global_load_b32 v12, v[3:4], off offset:896
	global_load_b32 v27, v[5:6], off offset:896
.LBB295_16:
	s_or_b32 exec_lo, exec_lo, s0
	v_or_b32_e32 v7, 0x100, v2
	v_dual_mov_b32 v10, 0 :: v_dual_mov_b32 v23, 0
	v_mov_b32_e32 v25, 0
	s_delay_alu instid0(VALU_DEP_3) | instskip(NEXT) | instid1(VALU_DEP_1)
	v_cmp_gt_i32_e64 s6, s22, v7
	s_and_b32 s1, s15, s6
	s_delay_alu instid0(SALU_CYCLE_1)
	s_and_saveexec_b32 s0, s1
	s_cbranch_execz .LBB295_18
; %bb.17:
	global_load_b32 v23, v[3:4], off offset:1024
	global_load_b32 v25, v[5:6], off offset:1024
.LBB295_18:
	s_or_b32 exec_lo, exec_lo, s0
	v_or_b32_e32 v7, 0x120, v2
	v_mov_b32_e32 v24, 0
	s_delay_alu instid0(VALU_DEP_2) | instskip(NEXT) | instid1(VALU_DEP_1)
	v_cmp_gt_i32_e64 s5, s22, v7
	s_and_b32 s1, s15, s5
	s_delay_alu instid0(SALU_CYCLE_1)
	s_and_saveexec_b32 s0, s1
	s_cbranch_execz .LBB295_20
; %bb.19:
	global_load_b32 v10, v[3:4], off offset:1152
	global_load_b32 v24, v[5:6], off offset:1152
.LBB295_20:
	s_or_b32 exec_lo, exec_lo, s0
	v_or_b32_e32 v7, 0x140, v2
	v_dual_mov_b32 v9, 0 :: v_dual_mov_b32 v18, 0
	v_mov_b32_e32 v22, 0
	s_delay_alu instid0(VALU_DEP_3) | instskip(NEXT) | instid1(VALU_DEP_1)
	;; [unrolled: 27-line block ×3, first 2 shown]
	v_cmp_gt_i32_e64 s2, s22, v7
	s_and_b32 s1, s15, s2
	s_delay_alu instid0(SALU_CYCLE_1)
	s_and_saveexec_b32 s0, s1
	s_cbranch_execz .LBB295_26
; %bb.25:
	global_load_b32 v14, v[3:4], off offset:1536
	global_load_b32 v17, v[5:6], off offset:1536
.LBB295_26:
	s_or_b32 exec_lo, exec_lo, s0
	v_or_b32_e32 v7, 0x1a0, v2
	v_mov_b32_e32 v15, 0
	s_delay_alu instid0(VALU_DEP_2) | instskip(NEXT) | instid1(VALU_DEP_1)
	v_cmp_gt_i32_e64 s1, s22, v7
	s_and_b32 s18, s15, s1
	s_delay_alu instid0(SALU_CYCLE_1)
	s_and_saveexec_b32 s0, s18
	s_cbranch_execz .LBB295_28
; %bb.27:
	global_load_b32 v8, v[3:4], off offset:1664
	global_load_b32 v15, v[5:6], off offset:1664
.LBB295_28:
	s_or_b32 exec_lo, exec_lo, s0
	v_or_b32_e32 v7, 0x1c0, v2
	v_mov_b32_e32 v11, 0
	v_mov_b32_e32 v13, 0
	s_delay_alu instid0(VALU_DEP_3) | instskip(SKIP_1) | instid1(VALU_DEP_2)
	v_cmp_gt_i32_e64 s0, s22, v7
	v_mov_b32_e32 v7, 0
	s_and_b32 s19, s15, s0
	s_delay_alu instid0(SALU_CYCLE_1)
	s_and_saveexec_b32 s18, s19
	s_cbranch_execz .LBB295_30
; %bb.29:
	global_load_b32 v11, v[3:4], off offset:1792
	global_load_b32 v13, v[5:6], off offset:1792
.LBB295_30:
	s_or_b32 exec_lo, exec_lo, s18
	v_or_b32_e32 v2, 0x1e0, v2
	s_delay_alu instid0(VALU_DEP_1) | instskip(SKIP_2) | instid1(SALU_CYCLE_1)
	v_cmp_gt_i32_e32 vcc_lo, s22, v2
	v_mov_b32_e32 v2, 0
	s_and_b32 s18, s15, vcc_lo
	s_and_saveexec_b32 s15, s18
	s_cbranch_execz .LBB295_32
; %bb.31:
	global_load_b32 v7, v[3:4], off offset:1920
	global_load_b32 v2, v[5:6], off offset:1920
.LBB295_32:
	s_or_b32 exec_lo, exec_lo, s15
	v_mbcnt_lo_u32_b32 v4, -1, 0
	s_waitcnt vmcnt(1)
	v_add_f32_e32 v3, 0, v34
	s_mov_b32 s18, exec_lo
	s_delay_alu instid0(VALU_DEP_2) | instskip(SKIP_1) | instid1(VALU_DEP_2)
	v_xor_b32_e32 v5, 16, v4
	v_xor_b32_e32 v6, 8, v4
	v_cmp_gt_i32_e64 s15, 32, v5
	s_delay_alu instid0(VALU_DEP_1) | instskip(NEXT) | instid1(VALU_DEP_3)
	v_cndmask_b32_e64 v5, v4, v5, s15
	v_cmp_gt_i32_e64 s15, 32, v6
	s_delay_alu instid0(VALU_DEP_2) | instskip(NEXT) | instid1(VALU_DEP_2)
	v_lshlrev_b32_e32 v5, 2, v5
	v_cndmask_b32_e64 v6, v4, v6, s15
	s_delay_alu instid0(VALU_DEP_1) | instskip(NEXT) | instid1(VALU_DEP_1)
	v_dual_add_f32 v3, v3, v21 :: v_dual_lshlrev_b32 v6, 2, v6
	v_add_f32_e32 v3, v3, v32
	s_delay_alu instid0(VALU_DEP_1) | instskip(NEXT) | instid1(VALU_DEP_1)
	v_add_f32_e32 v3, v3, v20
	v_add_f32_e32 v3, v3, v29
	s_delay_alu instid0(VALU_DEP_1) | instskip(NEXT) | instid1(VALU_DEP_1)
	v_add_f32_e32 v3, v3, v16
	;; [unrolled: 3-line block ×6, first 2 shown]
	v_add_f32_e32 v3, v3, v11
	s_delay_alu instid0(VALU_DEP_1)
	v_add_f32_e32 v3, v3, v7
	ds_bpermute_b32 v5, v5, v3
	s_waitcnt lgkmcnt(0)
	v_add_f32_e32 v3, v3, v5
	ds_bpermute_b32 v5, v6, v3
	v_xor_b32_e32 v6, 4, v4
	s_delay_alu instid0(VALU_DEP_1) | instskip(NEXT) | instid1(VALU_DEP_1)
	v_cmp_gt_i32_e64 s15, 32, v6
	v_cndmask_b32_e64 v6, v4, v6, s15
	s_waitcnt lgkmcnt(0)
	s_delay_alu instid0(VALU_DEP_1) | instskip(SKIP_2) | instid1(VALU_DEP_1)
	v_dual_add_f32 v3, v3, v5 :: v_dual_lshlrev_b32 v6, 2, v6
	ds_bpermute_b32 v5, v6, v3
	v_xor_b32_e32 v6, 2, v4
	v_cmp_gt_i32_e64 s15, 32, v6
	s_delay_alu instid0(VALU_DEP_1) | instskip(SKIP_1) | instid1(VALU_DEP_1)
	v_cndmask_b32_e64 v6, v4, v6, s15
	s_waitcnt lgkmcnt(0)
	v_dual_add_f32 v3, v3, v5 :: v_dual_lshlrev_b32 v6, 2, v6
	ds_bpermute_b32 v5, v6, v3
	v_xor_b32_e32 v6, 1, v4
	s_delay_alu instid0(VALU_DEP_1) | instskip(NEXT) | instid1(VALU_DEP_1)
	v_cmp_gt_i32_e64 s15, 32, v6
	v_cndmask_b32_e64 v4, v4, v6, s15
	s_waitcnt lgkmcnt(0)
	s_delay_alu instid0(VALU_DEP_1)
	v_dual_add_f32 v3, v3, v5 :: v_dual_lshlrev_b32 v4, 2, v4
	ds_bpermute_b32 v4, v4, v3
	v_cmpx_lt_i32_e32 0, v38
	s_cbranch_execz .LBB295_50
; %bb.33:
	v_lshlrev_b64 v[0:1], 1, v[0:1]
	s_waitcnt lgkmcnt(0)
	v_add_f32_e32 v3, v3, v4
	s_delay_alu instid0(VALU_DEP_2) | instskip(NEXT) | instid1(VALU_DEP_1)
	v_add_co_u32 v0, s15, s16, v0
	v_add_co_ci_u32_e64 v1, s15, s17, v1, s15
	s_and_saveexec_b32 s15, s14
	s_cbranch_execnz .LBB295_51
; %bb.34:
	s_or_b32 exec_lo, exec_lo, s15
	s_and_saveexec_b32 s14, s13
	s_cbranch_execnz .LBB295_52
.LBB295_35:
	s_or_b32 exec_lo, exec_lo, s14
	s_and_saveexec_b32 s13, s12
	s_cbranch_execnz .LBB295_53
.LBB295_36:
	s_or_b32 exec_lo, exec_lo, s13
	s_and_saveexec_b32 s12, s11
	s_cbranch_execnz .LBB295_54
.LBB295_37:
	s_or_b32 exec_lo, exec_lo, s12
	s_and_saveexec_b32 s11, s10
	s_cbranch_execnz .LBB295_55
.LBB295_38:
	s_or_b32 exec_lo, exec_lo, s11
	s_and_saveexec_b32 s10, s9
	s_cbranch_execnz .LBB295_56
.LBB295_39:
	s_or_b32 exec_lo, exec_lo, s10
	s_and_saveexec_b32 s9, s8
	s_cbranch_execnz .LBB295_57
.LBB295_40:
	s_or_b32 exec_lo, exec_lo, s9
	s_and_saveexec_b32 s8, s7
	s_cbranch_execnz .LBB295_58
.LBB295_41:
	s_or_b32 exec_lo, exec_lo, s8
	s_and_saveexec_b32 s7, s6
	s_cbranch_execnz .LBB295_59
.LBB295_42:
	s_or_b32 exec_lo, exec_lo, s7
	s_and_saveexec_b32 s6, s5
	s_cbranch_execnz .LBB295_60
.LBB295_43:
	s_or_b32 exec_lo, exec_lo, s6
	s_and_saveexec_b32 s5, s4
	s_cbranch_execnz .LBB295_61
.LBB295_44:
	s_or_b32 exec_lo, exec_lo, s5
	s_and_saveexec_b32 s4, s3
	s_cbranch_execnz .LBB295_62
.LBB295_45:
	s_or_b32 exec_lo, exec_lo, s4
	s_and_saveexec_b32 s3, s2
	s_cbranch_execnz .LBB295_63
.LBB295_46:
	s_or_b32 exec_lo, exec_lo, s3
	s_and_saveexec_b32 s2, s1
	s_cbranch_execnz .LBB295_64
.LBB295_47:
	s_or_b32 exec_lo, exec_lo, s2
	s_and_saveexec_b32 s1, s0
	s_cbranch_execnz .LBB295_65
.LBB295_48:
	s_or_b32 exec_lo, exec_lo, s1
	s_delay_alu instid0(SALU_CYCLE_1)
	s_and_b32 exec_lo, exec_lo, vcc_lo
	s_cbranch_execz .LBB295_50
.LBB295_49:
	s_waitcnt vmcnt(0)
	v_mul_f32_e32 v4, 0x3fb8aa3b, v2
	v_cmp_ngt_f32_e32 vcc_lo, 0xc2ce8ed0, v2
	s_delay_alu instid0(VALU_DEP_2) | instskip(SKIP_1) | instid1(VALU_DEP_2)
	v_rndne_f32_e32 v5, v4
	v_fma_f32 v6, 0x3fb8aa3b, v2, -v4
	v_sub_f32_e32 v4, v4, v5
	s_delay_alu instid0(VALU_DEP_2) | instskip(SKIP_1) | instid1(VALU_DEP_2)
	v_fmamk_f32 v6, v2, 0x32a5705f, v6
	v_cvt_i32_f32_e32 v5, v5
	v_add_f32_e32 v4, v4, v6
	s_delay_alu instid0(VALU_DEP_1) | instskip(SKIP_2) | instid1(VALU_DEP_1)
	v_exp_f32_e32 v4, v4
	s_waitcnt_depctr 0xfff
	v_ldexp_f32 v4, v4, v5
	v_cndmask_b32_e32 v4, 0, v4, vcc_lo
	v_cmp_nlt_f32_e32 vcc_lo, 0x42b17218, v2
	s_delay_alu instid0(VALU_DEP_2) | instskip(NEXT) | instid1(VALU_DEP_1)
	v_cndmask_b32_e32 v2, 0x7f800000, v4, vcc_lo
	v_fma_mixlo_f16 v2, -v3, v2, v7
	global_store_b16 v[0:1], v2, off offset:960
.LBB295_50:
	s_nop 0
	s_sendmsg sendmsg(MSG_DEALLOC_VGPRS)
	s_endpgm
.LBB295_51:
	s_waitcnt vmcnt(0)
	v_mul_f32_e32 v4, 0x3fb8aa3b, v37
	v_cmp_ngt_f32_e64 s14, 0xc2ce8ed0, v37
	s_delay_alu instid0(VALU_DEP_2) | instskip(SKIP_1) | instid1(VALU_DEP_2)
	v_rndne_f32_e32 v5, v4
	v_fma_f32 v6, 0x3fb8aa3b, v37, -v4
	v_sub_f32_e32 v4, v4, v5
	s_delay_alu instid0(VALU_DEP_2) | instskip(SKIP_1) | instid1(VALU_DEP_2)
	v_fmamk_f32 v6, v37, 0x32a5705f, v6
	v_cvt_i32_f32_e32 v5, v5
	v_add_f32_e32 v4, v4, v6
	s_delay_alu instid0(VALU_DEP_1) | instskip(SKIP_2) | instid1(VALU_DEP_1)
	v_exp_f32_e32 v4, v4
	s_waitcnt_depctr 0xfff
	v_ldexp_f32 v4, v4, v5
	v_cndmask_b32_e64 v4, 0, v4, s14
	v_cmp_nlt_f32_e64 s14, 0x42b17218, v37
	s_delay_alu instid0(VALU_DEP_1) | instskip(NEXT) | instid1(VALU_DEP_1)
	v_cndmask_b32_e64 v4, 0x7f800000, v4, s14
	v_fma_mixlo_f16 v4, -v3, v4, v34
	global_store_b16 v[0:1], v4, off
	s_or_b32 exec_lo, exec_lo, s15
	s_and_saveexec_b32 s14, s13
	s_cbranch_execz .LBB295_35
.LBB295_52:
	s_waitcnt vmcnt(0)
	v_mul_f32_e32 v4, 0x3fb8aa3b, v36
	v_cmp_ngt_f32_e64 s13, 0xc2ce8ed0, v36
	s_delay_alu instid0(VALU_DEP_2) | instskip(SKIP_1) | instid1(VALU_DEP_2)
	v_rndne_f32_e32 v5, v4
	v_fma_f32 v6, 0x3fb8aa3b, v36, -v4
	v_sub_f32_e32 v4, v4, v5
	s_delay_alu instid0(VALU_DEP_2) | instskip(SKIP_1) | instid1(VALU_DEP_2)
	v_fmamk_f32 v6, v36, 0x32a5705f, v6
	v_cvt_i32_f32_e32 v5, v5
	v_add_f32_e32 v4, v4, v6
	s_delay_alu instid0(VALU_DEP_1) | instskip(SKIP_2) | instid1(VALU_DEP_1)
	v_exp_f32_e32 v4, v4
	s_waitcnt_depctr 0xfff
	v_ldexp_f32 v4, v4, v5
	v_cndmask_b32_e64 v4, 0, v4, s13
	v_cmp_nlt_f32_e64 s13, 0x42b17218, v36
	s_delay_alu instid0(VALU_DEP_1) | instskip(NEXT) | instid1(VALU_DEP_1)
	v_cndmask_b32_e64 v4, 0x7f800000, v4, s13
	v_fma_mixlo_f16 v4, -v3, v4, v21
	global_store_b16 v[0:1], v4, off offset:64
	s_or_b32 exec_lo, exec_lo, s14
	s_and_saveexec_b32 s13, s12
	s_cbranch_execz .LBB295_36
.LBB295_53:
	s_waitcnt vmcnt(0)
	v_mul_f32_e32 v4, 0x3fb8aa3b, v35
	v_cmp_ngt_f32_e64 s12, 0xc2ce8ed0, v35
	s_delay_alu instid0(VALU_DEP_2) | instskip(SKIP_1) | instid1(VALU_DEP_2)
	v_rndne_f32_e32 v5, v4
	v_fma_f32 v6, 0x3fb8aa3b, v35, -v4
	v_sub_f32_e32 v4, v4, v5
	s_delay_alu instid0(VALU_DEP_2) | instskip(SKIP_1) | instid1(VALU_DEP_2)
	v_fmamk_f32 v6, v35, 0x32a5705f, v6
	v_cvt_i32_f32_e32 v5, v5
	v_add_f32_e32 v4, v4, v6
	s_delay_alu instid0(VALU_DEP_1) | instskip(SKIP_2) | instid1(VALU_DEP_1)
	v_exp_f32_e32 v4, v4
	s_waitcnt_depctr 0xfff
	v_ldexp_f32 v4, v4, v5
	v_cndmask_b32_e64 v4, 0, v4, s12
	v_cmp_nlt_f32_e64 s12, 0x42b17218, v35
	s_delay_alu instid0(VALU_DEP_1) | instskip(NEXT) | instid1(VALU_DEP_1)
	v_cndmask_b32_e64 v4, 0x7f800000, v4, s12
	v_fma_mixlo_f16 v4, -v3, v4, v32
	global_store_b16 v[0:1], v4, off offset:128
	s_or_b32 exec_lo, exec_lo, s13
	s_and_saveexec_b32 s12, s11
	s_cbranch_execz .LBB295_37
.LBB295_54:
	s_waitcnt vmcnt(0)
	v_mul_f32_e32 v4, 0x3fb8aa3b, v33
	v_cmp_ngt_f32_e64 s11, 0xc2ce8ed0, v33
	s_delay_alu instid0(VALU_DEP_2) | instskip(SKIP_1) | instid1(VALU_DEP_2)
	v_rndne_f32_e32 v5, v4
	v_fma_f32 v6, 0x3fb8aa3b, v33, -v4
	v_sub_f32_e32 v4, v4, v5
	s_delay_alu instid0(VALU_DEP_2) | instskip(SKIP_1) | instid1(VALU_DEP_2)
	v_fmamk_f32 v6, v33, 0x32a5705f, v6
	v_cvt_i32_f32_e32 v5, v5
	v_add_f32_e32 v4, v4, v6
	s_delay_alu instid0(VALU_DEP_1) | instskip(SKIP_2) | instid1(VALU_DEP_1)
	v_exp_f32_e32 v4, v4
	s_waitcnt_depctr 0xfff
	v_ldexp_f32 v4, v4, v5
	v_cndmask_b32_e64 v4, 0, v4, s11
	v_cmp_nlt_f32_e64 s11, 0x42b17218, v33
	s_delay_alu instid0(VALU_DEP_1) | instskip(NEXT) | instid1(VALU_DEP_1)
	v_cndmask_b32_e64 v4, 0x7f800000, v4, s11
	v_fma_mixlo_f16 v4, -v3, v4, v20
	global_store_b16 v[0:1], v4, off offset:192
	s_or_b32 exec_lo, exec_lo, s12
	s_and_saveexec_b32 s11, s10
	s_cbranch_execz .LBB295_38
.LBB295_55:
	s_waitcnt vmcnt(0)
	v_mul_f32_e32 v4, 0x3fb8aa3b, v31
	v_cmp_ngt_f32_e64 s10, 0xc2ce8ed0, v31
	s_delay_alu instid0(VALU_DEP_2) | instskip(SKIP_1) | instid1(VALU_DEP_2)
	v_rndne_f32_e32 v5, v4
	v_fma_f32 v6, 0x3fb8aa3b, v31, -v4
	v_sub_f32_e32 v4, v4, v5
	s_delay_alu instid0(VALU_DEP_2) | instskip(SKIP_1) | instid1(VALU_DEP_2)
	v_fmamk_f32 v6, v31, 0x32a5705f, v6
	v_cvt_i32_f32_e32 v5, v5
	v_add_f32_e32 v4, v4, v6
	s_delay_alu instid0(VALU_DEP_1) | instskip(SKIP_2) | instid1(VALU_DEP_1)
	v_exp_f32_e32 v4, v4
	s_waitcnt_depctr 0xfff
	v_ldexp_f32 v4, v4, v5
	v_cndmask_b32_e64 v4, 0, v4, s10
	v_cmp_nlt_f32_e64 s10, 0x42b17218, v31
	s_delay_alu instid0(VALU_DEP_1) | instskip(NEXT) | instid1(VALU_DEP_1)
	v_cndmask_b32_e64 v4, 0x7f800000, v4, s10
	v_fma_mixlo_f16 v4, -v3, v4, v29
	global_store_b16 v[0:1], v4, off offset:256
	s_or_b32 exec_lo, exec_lo, s11
	s_and_saveexec_b32 s10, s9
	s_cbranch_execz .LBB295_39
.LBB295_56:
	s_waitcnt vmcnt(0)
	v_mul_f32_e32 v4, 0x3fb8aa3b, v30
	v_cmp_ngt_f32_e64 s9, 0xc2ce8ed0, v30
	s_delay_alu instid0(VALU_DEP_2) | instskip(SKIP_1) | instid1(VALU_DEP_2)
	v_rndne_f32_e32 v5, v4
	v_fma_f32 v6, 0x3fb8aa3b, v30, -v4
	v_sub_f32_e32 v4, v4, v5
	s_delay_alu instid0(VALU_DEP_2) | instskip(SKIP_1) | instid1(VALU_DEP_2)
	v_fmamk_f32 v6, v30, 0x32a5705f, v6
	v_cvt_i32_f32_e32 v5, v5
	v_add_f32_e32 v4, v4, v6
	s_delay_alu instid0(VALU_DEP_1) | instskip(SKIP_2) | instid1(VALU_DEP_1)
	v_exp_f32_e32 v4, v4
	s_waitcnt_depctr 0xfff
	v_ldexp_f32 v4, v4, v5
	v_cndmask_b32_e64 v4, 0, v4, s9
	v_cmp_nlt_f32_e64 s9, 0x42b17218, v30
	s_delay_alu instid0(VALU_DEP_1) | instskip(NEXT) | instid1(VALU_DEP_1)
	v_cndmask_b32_e64 v4, 0x7f800000, v4, s9
	v_fma_mixlo_f16 v4, -v3, v4, v16
	global_store_b16 v[0:1], v4, off offset:320
	s_or_b32 exec_lo, exec_lo, s10
	s_and_saveexec_b32 s9, s8
	s_cbranch_execz .LBB295_40
.LBB295_57:
	s_waitcnt vmcnt(0)
	v_mul_f32_e32 v4, 0x3fb8aa3b, v28
	v_cmp_ngt_f32_e64 s8, 0xc2ce8ed0, v28
	s_delay_alu instid0(VALU_DEP_2) | instskip(SKIP_1) | instid1(VALU_DEP_2)
	v_rndne_f32_e32 v5, v4
	v_fma_f32 v6, 0x3fb8aa3b, v28, -v4
	v_sub_f32_e32 v4, v4, v5
	s_delay_alu instid0(VALU_DEP_2) | instskip(SKIP_1) | instid1(VALU_DEP_2)
	v_fmamk_f32 v6, v28, 0x32a5705f, v6
	v_cvt_i32_f32_e32 v5, v5
	v_add_f32_e32 v4, v4, v6
	s_delay_alu instid0(VALU_DEP_1) | instskip(SKIP_2) | instid1(VALU_DEP_1)
	v_exp_f32_e32 v4, v4
	s_waitcnt_depctr 0xfff
	v_ldexp_f32 v4, v4, v5
	v_cndmask_b32_e64 v4, 0, v4, s8
	v_cmp_nlt_f32_e64 s8, 0x42b17218, v28
	s_delay_alu instid0(VALU_DEP_1) | instskip(NEXT) | instid1(VALU_DEP_1)
	v_cndmask_b32_e64 v4, 0x7f800000, v4, s8
	v_fma_mixlo_f16 v4, -v3, v4, v26
	global_store_b16 v[0:1], v4, off offset:384
	s_or_b32 exec_lo, exec_lo, s9
	s_and_saveexec_b32 s8, s7
	s_cbranch_execz .LBB295_41
.LBB295_58:
	s_waitcnt vmcnt(0)
	v_mul_f32_e32 v4, 0x3fb8aa3b, v27
	v_cmp_ngt_f32_e64 s7, 0xc2ce8ed0, v27
	s_delay_alu instid0(VALU_DEP_2) | instskip(SKIP_1) | instid1(VALU_DEP_2)
	v_rndne_f32_e32 v5, v4
	v_fma_f32 v6, 0x3fb8aa3b, v27, -v4
	v_sub_f32_e32 v4, v4, v5
	s_delay_alu instid0(VALU_DEP_2) | instskip(SKIP_1) | instid1(VALU_DEP_2)
	v_fmamk_f32 v6, v27, 0x32a5705f, v6
	v_cvt_i32_f32_e32 v5, v5
	v_add_f32_e32 v4, v4, v6
	s_delay_alu instid0(VALU_DEP_1) | instskip(SKIP_2) | instid1(VALU_DEP_1)
	v_exp_f32_e32 v4, v4
	s_waitcnt_depctr 0xfff
	v_ldexp_f32 v4, v4, v5
	v_cndmask_b32_e64 v4, 0, v4, s7
	v_cmp_nlt_f32_e64 s7, 0x42b17218, v27
	s_delay_alu instid0(VALU_DEP_1) | instskip(NEXT) | instid1(VALU_DEP_1)
	v_cndmask_b32_e64 v4, 0x7f800000, v4, s7
	v_fma_mixlo_f16 v4, -v3, v4, v12
	global_store_b16 v[0:1], v4, off offset:448
	s_or_b32 exec_lo, exec_lo, s8
	s_and_saveexec_b32 s7, s6
	s_cbranch_execz .LBB295_42
.LBB295_59:
	s_waitcnt vmcnt(0)
	v_mul_f32_e32 v4, 0x3fb8aa3b, v25
	v_cmp_ngt_f32_e64 s6, 0xc2ce8ed0, v25
	s_delay_alu instid0(VALU_DEP_2) | instskip(SKIP_1) | instid1(VALU_DEP_2)
	v_rndne_f32_e32 v5, v4
	v_fma_f32 v6, 0x3fb8aa3b, v25, -v4
	v_sub_f32_e32 v4, v4, v5
	s_delay_alu instid0(VALU_DEP_2) | instskip(SKIP_1) | instid1(VALU_DEP_2)
	v_fmamk_f32 v6, v25, 0x32a5705f, v6
	v_cvt_i32_f32_e32 v5, v5
	v_add_f32_e32 v4, v4, v6
	s_delay_alu instid0(VALU_DEP_1) | instskip(SKIP_2) | instid1(VALU_DEP_1)
	v_exp_f32_e32 v4, v4
	s_waitcnt_depctr 0xfff
	v_ldexp_f32 v4, v4, v5
	v_cndmask_b32_e64 v4, 0, v4, s6
	v_cmp_nlt_f32_e64 s6, 0x42b17218, v25
	s_delay_alu instid0(VALU_DEP_1) | instskip(NEXT) | instid1(VALU_DEP_1)
	v_cndmask_b32_e64 v4, 0x7f800000, v4, s6
	v_fma_mixlo_f16 v4, -v3, v4, v23
	global_store_b16 v[0:1], v4, off offset:512
	s_or_b32 exec_lo, exec_lo, s7
	s_and_saveexec_b32 s6, s5
	s_cbranch_execz .LBB295_43
.LBB295_60:
	s_waitcnt vmcnt(0)
	v_mul_f32_e32 v4, 0x3fb8aa3b, v24
	v_cmp_ngt_f32_e64 s5, 0xc2ce8ed0, v24
	s_delay_alu instid0(VALU_DEP_2) | instskip(SKIP_1) | instid1(VALU_DEP_2)
	v_rndne_f32_e32 v5, v4
	v_fma_f32 v6, 0x3fb8aa3b, v24, -v4
	v_sub_f32_e32 v4, v4, v5
	s_delay_alu instid0(VALU_DEP_2) | instskip(SKIP_1) | instid1(VALU_DEP_2)
	v_fmamk_f32 v6, v24, 0x32a5705f, v6
	v_cvt_i32_f32_e32 v5, v5
	v_add_f32_e32 v4, v4, v6
	s_delay_alu instid0(VALU_DEP_1) | instskip(SKIP_2) | instid1(VALU_DEP_1)
	v_exp_f32_e32 v4, v4
	s_waitcnt_depctr 0xfff
	v_ldexp_f32 v4, v4, v5
	v_cndmask_b32_e64 v4, 0, v4, s5
	v_cmp_nlt_f32_e64 s5, 0x42b17218, v24
	s_delay_alu instid0(VALU_DEP_1) | instskip(NEXT) | instid1(VALU_DEP_1)
	v_cndmask_b32_e64 v4, 0x7f800000, v4, s5
	v_fma_mixlo_f16 v4, -v3, v4, v10
	global_store_b16 v[0:1], v4, off offset:576
	s_or_b32 exec_lo, exec_lo, s6
	s_and_saveexec_b32 s5, s4
	s_cbranch_execz .LBB295_44
.LBB295_61:
	s_waitcnt vmcnt(0)
	v_mul_f32_e32 v4, 0x3fb8aa3b, v22
	v_cmp_ngt_f32_e64 s4, 0xc2ce8ed0, v22
	s_delay_alu instid0(VALU_DEP_2) | instskip(SKIP_1) | instid1(VALU_DEP_2)
	v_rndne_f32_e32 v5, v4
	v_fma_f32 v6, 0x3fb8aa3b, v22, -v4
	v_sub_f32_e32 v4, v4, v5
	s_delay_alu instid0(VALU_DEP_2) | instskip(SKIP_1) | instid1(VALU_DEP_2)
	v_fmamk_f32 v6, v22, 0x32a5705f, v6
	v_cvt_i32_f32_e32 v5, v5
	v_add_f32_e32 v4, v4, v6
	s_delay_alu instid0(VALU_DEP_1) | instskip(SKIP_2) | instid1(VALU_DEP_1)
	v_exp_f32_e32 v4, v4
	s_waitcnt_depctr 0xfff
	v_ldexp_f32 v4, v4, v5
	v_cndmask_b32_e64 v4, 0, v4, s4
	v_cmp_nlt_f32_e64 s4, 0x42b17218, v22
	s_delay_alu instid0(VALU_DEP_1) | instskip(NEXT) | instid1(VALU_DEP_1)
	v_cndmask_b32_e64 v4, 0x7f800000, v4, s4
	v_fma_mixlo_f16 v4, -v3, v4, v18
	global_store_b16 v[0:1], v4, off offset:640
	s_or_b32 exec_lo, exec_lo, s5
	s_and_saveexec_b32 s4, s3
	s_cbranch_execz .LBB295_45
.LBB295_62:
	s_waitcnt vmcnt(0)
	v_mul_f32_e32 v4, 0x3fb8aa3b, v19
	v_cmp_ngt_f32_e64 s3, 0xc2ce8ed0, v19
	s_delay_alu instid0(VALU_DEP_2) | instskip(SKIP_1) | instid1(VALU_DEP_2)
	v_rndne_f32_e32 v5, v4
	v_fma_f32 v6, 0x3fb8aa3b, v19, -v4
	v_sub_f32_e32 v4, v4, v5
	s_delay_alu instid0(VALU_DEP_2) | instskip(SKIP_1) | instid1(VALU_DEP_2)
	v_fmamk_f32 v6, v19, 0x32a5705f, v6
	v_cvt_i32_f32_e32 v5, v5
	v_add_f32_e32 v4, v4, v6
	s_delay_alu instid0(VALU_DEP_1) | instskip(SKIP_2) | instid1(VALU_DEP_1)
	v_exp_f32_e32 v4, v4
	s_waitcnt_depctr 0xfff
	v_ldexp_f32 v4, v4, v5
	v_cndmask_b32_e64 v4, 0, v4, s3
	v_cmp_nlt_f32_e64 s3, 0x42b17218, v19
	s_delay_alu instid0(VALU_DEP_1) | instskip(NEXT) | instid1(VALU_DEP_1)
	v_cndmask_b32_e64 v4, 0x7f800000, v4, s3
	v_fma_mixlo_f16 v4, -v3, v4, v9
	global_store_b16 v[0:1], v4, off offset:704
	s_or_b32 exec_lo, exec_lo, s4
	s_and_saveexec_b32 s3, s2
	s_cbranch_execz .LBB295_46
.LBB295_63:
	s_waitcnt vmcnt(0)
	v_mul_f32_e32 v4, 0x3fb8aa3b, v17
	v_cmp_ngt_f32_e64 s2, 0xc2ce8ed0, v17
	s_delay_alu instid0(VALU_DEP_2) | instskip(SKIP_1) | instid1(VALU_DEP_2)
	v_rndne_f32_e32 v5, v4
	v_fma_f32 v6, 0x3fb8aa3b, v17, -v4
	v_sub_f32_e32 v4, v4, v5
	s_delay_alu instid0(VALU_DEP_2) | instskip(SKIP_1) | instid1(VALU_DEP_2)
	v_fmamk_f32 v6, v17, 0x32a5705f, v6
	v_cvt_i32_f32_e32 v5, v5
	v_add_f32_e32 v4, v4, v6
	s_delay_alu instid0(VALU_DEP_1) | instskip(SKIP_2) | instid1(VALU_DEP_1)
	v_exp_f32_e32 v4, v4
	s_waitcnt_depctr 0xfff
	v_ldexp_f32 v4, v4, v5
	v_cndmask_b32_e64 v4, 0, v4, s2
	v_cmp_nlt_f32_e64 s2, 0x42b17218, v17
	s_delay_alu instid0(VALU_DEP_1) | instskip(NEXT) | instid1(VALU_DEP_1)
	v_cndmask_b32_e64 v4, 0x7f800000, v4, s2
	v_fma_mixlo_f16 v4, -v3, v4, v14
	global_store_b16 v[0:1], v4, off offset:768
	s_or_b32 exec_lo, exec_lo, s3
	s_and_saveexec_b32 s2, s1
	s_cbranch_execz .LBB295_47
.LBB295_64:
	s_waitcnt vmcnt(0)
	v_mul_f32_e32 v4, 0x3fb8aa3b, v15
	v_cmp_ngt_f32_e64 s1, 0xc2ce8ed0, v15
	s_delay_alu instid0(VALU_DEP_2) | instskip(SKIP_1) | instid1(VALU_DEP_2)
	v_rndne_f32_e32 v5, v4
	v_fma_f32 v6, 0x3fb8aa3b, v15, -v4
	v_sub_f32_e32 v4, v4, v5
	s_delay_alu instid0(VALU_DEP_2) | instskip(SKIP_1) | instid1(VALU_DEP_2)
	v_fmamk_f32 v6, v15, 0x32a5705f, v6
	v_cvt_i32_f32_e32 v5, v5
	v_add_f32_e32 v4, v4, v6
	s_delay_alu instid0(VALU_DEP_1) | instskip(SKIP_2) | instid1(VALU_DEP_1)
	v_exp_f32_e32 v4, v4
	s_waitcnt_depctr 0xfff
	v_ldexp_f32 v4, v4, v5
	v_cndmask_b32_e64 v4, 0, v4, s1
	v_cmp_nlt_f32_e64 s1, 0x42b17218, v15
	s_delay_alu instid0(VALU_DEP_1) | instskip(NEXT) | instid1(VALU_DEP_1)
	v_cndmask_b32_e64 v4, 0x7f800000, v4, s1
	v_fma_mixlo_f16 v4, -v3, v4, v8
	global_store_b16 v[0:1], v4, off offset:832
	s_or_b32 exec_lo, exec_lo, s2
	s_and_saveexec_b32 s1, s0
	s_cbranch_execz .LBB295_48
.LBB295_65:
	s_waitcnt vmcnt(0)
	v_mul_f32_e32 v4, 0x3fb8aa3b, v13
	v_cmp_ngt_f32_e64 s0, 0xc2ce8ed0, v13
	s_delay_alu instid0(VALU_DEP_2) | instskip(SKIP_1) | instid1(VALU_DEP_2)
	v_rndne_f32_e32 v5, v4
	v_fma_f32 v6, 0x3fb8aa3b, v13, -v4
	v_sub_f32_e32 v4, v4, v5
	s_delay_alu instid0(VALU_DEP_2) | instskip(SKIP_1) | instid1(VALU_DEP_2)
	v_fmamk_f32 v6, v13, 0x32a5705f, v6
	v_cvt_i32_f32_e32 v5, v5
	v_add_f32_e32 v4, v4, v6
	s_delay_alu instid0(VALU_DEP_1) | instskip(SKIP_2) | instid1(VALU_DEP_1)
	v_exp_f32_e32 v4, v4
	s_waitcnt_depctr 0xfff
	v_ldexp_f32 v4, v4, v5
	v_cndmask_b32_e64 v4, 0, v4, s0
	v_cmp_nlt_f32_e64 s0, 0x42b17218, v13
	s_delay_alu instid0(VALU_DEP_1) | instskip(NEXT) | instid1(VALU_DEP_1)
	v_cndmask_b32_e64 v4, 0x7f800000, v4, s0
	v_fma_mixlo_f16 v4, -v3, v4, v11
	global_store_b16 v[0:1], v4, off offset:896
	s_or_b32 exec_lo, exec_lo, s1
	s_delay_alu instid0(SALU_CYCLE_1)
	s_and_b32 exec_lo, exec_lo, vcc_lo
	s_cbranch_execnz .LBB295_49
	s_branch .LBB295_50
	.section	.rodata,"a",@progbits
	.p2align	6, 0x0
	.amdhsa_kernel _ZN12_GLOBAL__N_121softmax_warp_backwardIfN3c104HalfEfLi9ELb1ELb0ELi32EEEvPT0_PKT_S7_iiiPKb
		.amdhsa_group_segment_fixed_size 0
		.amdhsa_private_segment_fixed_size 0
		.amdhsa_kernarg_size 304
		.amdhsa_user_sgpr_count 15
		.amdhsa_user_sgpr_dispatch_ptr 0
		.amdhsa_user_sgpr_queue_ptr 0
		.amdhsa_user_sgpr_kernarg_segment_ptr 1
		.amdhsa_user_sgpr_dispatch_id 0
		.amdhsa_user_sgpr_private_segment_size 0
		.amdhsa_wavefront_size32 1
		.amdhsa_uses_dynamic_stack 0
		.amdhsa_enable_private_segment 0
		.amdhsa_system_sgpr_workgroup_id_x 1
		.amdhsa_system_sgpr_workgroup_id_y 0
		.amdhsa_system_sgpr_workgroup_id_z 0
		.amdhsa_system_sgpr_workgroup_info 0
		.amdhsa_system_vgpr_workitem_id 1
		.amdhsa_next_free_vgpr 39
		.amdhsa_next_free_sgpr 24
		.amdhsa_reserve_vcc 1
		.amdhsa_float_round_mode_32 0
		.amdhsa_float_round_mode_16_64 0
		.amdhsa_float_denorm_mode_32 3
		.amdhsa_float_denorm_mode_16_64 3
		.amdhsa_dx10_clamp 1
		.amdhsa_ieee_mode 1
		.amdhsa_fp16_overflow 0
		.amdhsa_workgroup_processor_mode 1
		.amdhsa_memory_ordered 1
		.amdhsa_forward_progress 0
		.amdhsa_shared_vgpr_count 0
		.amdhsa_exception_fp_ieee_invalid_op 0
		.amdhsa_exception_fp_denorm_src 0
		.amdhsa_exception_fp_ieee_div_zero 0
		.amdhsa_exception_fp_ieee_overflow 0
		.amdhsa_exception_fp_ieee_underflow 0
		.amdhsa_exception_fp_ieee_inexact 0
		.amdhsa_exception_int_div_zero 0
	.end_amdhsa_kernel
	.section	.text._ZN12_GLOBAL__N_121softmax_warp_backwardIfN3c104HalfEfLi9ELb1ELb0ELi32EEEvPT0_PKT_S7_iiiPKb,"axG",@progbits,_ZN12_GLOBAL__N_121softmax_warp_backwardIfN3c104HalfEfLi9ELb1ELb0ELi32EEEvPT0_PKT_S7_iiiPKb,comdat
.Lfunc_end295:
	.size	_ZN12_GLOBAL__N_121softmax_warp_backwardIfN3c104HalfEfLi9ELb1ELb0ELi32EEEvPT0_PKT_S7_iiiPKb, .Lfunc_end295-_ZN12_GLOBAL__N_121softmax_warp_backwardIfN3c104HalfEfLi9ELb1ELb0ELi32EEEvPT0_PKT_S7_iiiPKb
                                        ; -- End function
	.section	.AMDGPU.csdata,"",@progbits
; Kernel info:
; codeLenInByte = 4132
; NumSgprs: 26
; NumVgprs: 39
; ScratchSize: 0
; MemoryBound: 0
; FloatMode: 240
; IeeeMode: 1
; LDSByteSize: 0 bytes/workgroup (compile time only)
; SGPRBlocks: 3
; VGPRBlocks: 4
; NumSGPRsForWavesPerEU: 26
; NumVGPRsForWavesPerEU: 39
; Occupancy: 16
; WaveLimiterHint : 0
; COMPUTE_PGM_RSRC2:SCRATCH_EN: 0
; COMPUTE_PGM_RSRC2:USER_SGPR: 15
; COMPUTE_PGM_RSRC2:TRAP_HANDLER: 0
; COMPUTE_PGM_RSRC2:TGID_X_EN: 1
; COMPUTE_PGM_RSRC2:TGID_Y_EN: 0
; COMPUTE_PGM_RSRC2:TGID_Z_EN: 0
; COMPUTE_PGM_RSRC2:TIDIG_COMP_CNT: 1
	.section	.text._ZN12_GLOBAL__N_121softmax_warp_backwardIfN3c104HalfEfLi10ELb1ELb0ELi64EEEvPT0_PKT_S7_iiiPKb,"axG",@progbits,_ZN12_GLOBAL__N_121softmax_warp_backwardIfN3c104HalfEfLi10ELb1ELb0ELi64EEEvPT0_PKT_S7_iiiPKb,comdat
	.globl	_ZN12_GLOBAL__N_121softmax_warp_backwardIfN3c104HalfEfLi10ELb1ELb0ELi64EEEvPT0_PKT_S7_iiiPKb ; -- Begin function _ZN12_GLOBAL__N_121softmax_warp_backwardIfN3c104HalfEfLi10ELb1ELb0ELi64EEEvPT0_PKT_S7_iiiPKb
	.p2align	8
	.type	_ZN12_GLOBAL__N_121softmax_warp_backwardIfN3c104HalfEfLi10ELb1ELb0ELi64EEEvPT0_PKT_S7_iiiPKb,@function
_ZN12_GLOBAL__N_121softmax_warp_backwardIfN3c104HalfEfLi10ELb1ELb0ELi64EEEvPT0_PKT_S7_iiiPKb: ; @_ZN12_GLOBAL__N_121softmax_warp_backwardIfN3c104HalfEfLi10ELb1ELb0ELi64EEEvPT0_PKT_S7_iiiPKb
; %bb.0:
	s_clause 0x1
	s_load_b32 s2, s[0:1], 0x3c
	s_load_b128 s[20:23], s[0:1], 0x18
	v_bfe_u32 v1, v0, 10, 10
	v_dual_mov_b32 v34, 0 :: v_dual_and_b32 v11, 0x3ff, v0
	s_load_b128 s[16:19], s[0:1], 0x0
	v_mov_b32_e32 v21, 0
	s_load_b64 s[0:1], s[0:1], 0x10
	s_delay_alu instid0(VALU_DEP_2) | instskip(SKIP_2) | instid1(VALU_DEP_1)
	v_dual_mov_b32 v37, 0 :: v_dual_and_b32 v6, 63, v11
	s_waitcnt lgkmcnt(0)
	s_lshr_b32 s2, s2, 16
	v_cmp_gt_i32_e64 s14, s22, v6
	v_mad_u64_u32 v[2:3], null, s15, s2, v[1:2]
	s_delay_alu instid0(VALU_DEP_1) | instskip(SKIP_1) | instid1(VALU_DEP_1)
	v_mad_u64_u32 v[0:1], null, v2, s21, v[6:7]
	v_sub_nc_u32_e32 v38, s20, v2
	v_cmp_lt_i32_e64 s15, 0, v38
	s_delay_alu instid0(VALU_DEP_3) | instskip(NEXT) | instid1(VALU_DEP_1)
	v_ashrrev_i32_e32 v1, 31, v0
	v_lshlrev_b64 v[4:5], 2, v[0:1]
	s_delay_alu instid0(VALU_DEP_1) | instskip(NEXT) | instid1(VALU_DEP_2)
	v_add_co_u32 v2, vcc_lo, s18, v4
	v_add_co_ci_u32_e32 v3, vcc_lo, s19, v5, vcc_lo
	v_add_co_u32 v4, vcc_lo, s0, v4
	v_add_co_ci_u32_e32 v5, vcc_lo, s1, v5, vcc_lo
	s_and_b32 s1, s15, s14
	s_delay_alu instid0(SALU_CYCLE_1)
	s_and_saveexec_b32 s0, s1
	s_cbranch_execz .LBB296_2
; %bb.1:
	global_load_b32 v34, v[2:3], off
	global_load_b32 v37, v[4:5], off
.LBB296_2:
	s_or_b32 exec_lo, exec_lo, s0
	v_or_b32_e32 v7, 64, v6
	v_mov_b32_e32 v36, 0
	s_delay_alu instid0(VALU_DEP_2) | instskip(NEXT) | instid1(VALU_DEP_1)
	v_cmp_gt_i32_e64 s13, s22, v7
	s_and_b32 s1, s15, s13
	s_delay_alu instid0(SALU_CYCLE_1)
	s_and_saveexec_b32 s0, s1
	s_cbranch_execz .LBB296_4
; %bb.3:
	global_load_b32 v21, v[2:3], off offset:256
	global_load_b32 v36, v[4:5], off offset:256
.LBB296_4:
	s_or_b32 exec_lo, exec_lo, s0
	v_or_b32_e32 v7, 0x80, v6
	v_dual_mov_b32 v20, 0 :: v_dual_mov_b32 v35, 0
	v_mov_b32_e32 v32, 0
	s_delay_alu instid0(VALU_DEP_3) | instskip(NEXT) | instid1(VALU_DEP_1)
	v_cmp_gt_i32_e64 s12, s22, v7
	s_and_b32 s1, s15, s12
	s_delay_alu instid0(SALU_CYCLE_1)
	s_and_saveexec_b32 s0, s1
	s_cbranch_execz .LBB296_6
; %bb.5:
	global_load_b32 v32, v[2:3], off offset:512
	global_load_b32 v35, v[4:5], off offset:512
.LBB296_6:
	s_or_b32 exec_lo, exec_lo, s0
	v_or_b32_e32 v7, 0xc0, v6
	v_mov_b32_e32 v33, 0
	s_delay_alu instid0(VALU_DEP_2) | instskip(NEXT) | instid1(VALU_DEP_1)
	v_cmp_gt_i32_e64 s11, s22, v7
	s_and_b32 s1, s15, s11
	s_delay_alu instid0(SALU_CYCLE_1)
	s_and_saveexec_b32 s0, s1
	s_cbranch_execz .LBB296_8
; %bb.7:
	global_load_b32 v20, v[2:3], off offset:768
	global_load_b32 v33, v[4:5], off offset:768
.LBB296_8:
	s_or_b32 exec_lo, exec_lo, s0
	v_or_b32_e32 v7, 0x100, v6
	v_dual_mov_b32 v16, 0 :: v_dual_mov_b32 v29, 0
	v_mov_b32_e32 v31, 0
	s_delay_alu instid0(VALU_DEP_3) | instskip(NEXT) | instid1(VALU_DEP_1)
	v_cmp_gt_i32_e64 s10, s22, v7
	s_and_b32 s1, s15, s10
	s_delay_alu instid0(SALU_CYCLE_1)
	s_and_saveexec_b32 s0, s1
	s_cbranch_execz .LBB296_10
; %bb.9:
	global_load_b32 v29, v[2:3], off offset:1024
	global_load_b32 v31, v[4:5], off offset:1024
.LBB296_10:
	s_or_b32 exec_lo, exec_lo, s0
	v_or_b32_e32 v7, 0x140, v6
	v_mov_b32_e32 v30, 0
	s_delay_alu instid0(VALU_DEP_2) | instskip(NEXT) | instid1(VALU_DEP_1)
	v_cmp_gt_i32_e64 s9, s22, v7
	s_and_b32 s1, s15, s9
	s_delay_alu instid0(SALU_CYCLE_1)
	s_and_saveexec_b32 s0, s1
	s_cbranch_execz .LBB296_12
; %bb.11:
	global_load_b32 v16, v[2:3], off offset:1280
	global_load_b32 v30, v[4:5], off offset:1280
.LBB296_12:
	s_or_b32 exec_lo, exec_lo, s0
	v_or_b32_e32 v7, 0x180, v6
	v_mov_b32_e32 v12, 0
	v_mov_b32_e32 v26, 0
	v_mov_b32_e32 v28, 0
	s_delay_alu instid0(VALU_DEP_4) | instskip(NEXT) | instid1(VALU_DEP_1)
	v_cmp_gt_i32_e64 s8, s22, v7
	s_and_b32 s1, s15, s8
	s_delay_alu instid0(SALU_CYCLE_1)
	s_and_saveexec_b32 s0, s1
	s_cbranch_execz .LBB296_14
; %bb.13:
	global_load_b32 v26, v[2:3], off offset:1536
	global_load_b32 v28, v[4:5], off offset:1536
.LBB296_14:
	s_or_b32 exec_lo, exec_lo, s0
	v_or_b32_e32 v7, 0x1c0, v6
	v_mov_b32_e32 v27, 0
	s_delay_alu instid0(VALU_DEP_2) | instskip(NEXT) | instid1(VALU_DEP_1)
	v_cmp_gt_i32_e64 s7, s22, v7
	s_and_b32 s1, s15, s7
	s_delay_alu instid0(SALU_CYCLE_1)
	s_and_saveexec_b32 s0, s1
	s_cbranch_execz .LBB296_16
; %bb.15:
	global_load_b32 v12, v[2:3], off offset:1792
	global_load_b32 v27, v[4:5], off offset:1792
.LBB296_16:
	s_or_b32 exec_lo, exec_lo, s0
	v_or_b32_e32 v7, 0x200, v6
	v_mov_b32_e32 v9, 0
	v_mov_b32_e32 v23, 0
	v_mov_b32_e32 v25, 0
	s_delay_alu instid0(VALU_DEP_4) | instskip(NEXT) | instid1(VALU_DEP_1)
	;; [unrolled: 28-line block ×3, first 2 shown]
	v_cmp_gt_i32_e64 s4, s22, v7
	s_and_b32 s1, s15, s4
	s_delay_alu instid0(SALU_CYCLE_1)
	s_and_saveexec_b32 s0, s1
	s_cbranch_execz .LBB296_22
; %bb.21:
	global_load_b32 v18, v[2:3], off offset:2560
	global_load_b32 v22, v[4:5], off offset:2560
.LBB296_22:
	s_or_b32 exec_lo, exec_lo, s0
	v_or_b32_e32 v7, 0x2c0, v6
	v_mov_b32_e32 v19, 0
	s_delay_alu instid0(VALU_DEP_2) | instskip(NEXT) | instid1(VALU_DEP_1)
	v_cmp_gt_i32_e64 s3, s22, v7
	s_and_b32 s1, s15, s3
	s_delay_alu instid0(SALU_CYCLE_1)
	s_and_saveexec_b32 s0, s1
	s_cbranch_execz .LBB296_24
; %bb.23:
	global_load_b32 v8, v[2:3], off offset:2816
	global_load_b32 v19, v[4:5], off offset:2816
.LBB296_24:
	s_or_b32 exec_lo, exec_lo, s0
	v_or_b32_e32 v7, 0x300, v6
	v_dual_mov_b32 v17, 0 :: v_dual_mov_b32 v14, 0
	s_delay_alu instid0(VALU_DEP_2) | instskip(SKIP_1) | instid1(VALU_DEP_2)
	v_cmp_gt_i32_e64 s2, s22, v7
	v_mov_b32_e32 v7, 0
	s_and_b32 s1, s15, s2
	s_delay_alu instid0(SALU_CYCLE_1)
	s_and_saveexec_b32 s0, s1
	s_cbranch_execz .LBB296_26
; %bb.25:
	global_load_b32 v14, v[2:3], off offset:3072
	global_load_b32 v17, v[4:5], off offset:3072
.LBB296_26:
	s_or_b32 exec_lo, exec_lo, s0
	v_or_b32_e32 v10, 0x340, v6
	v_mov_b32_e32 v15, 0
	s_delay_alu instid0(VALU_DEP_2) | instskip(NEXT) | instid1(VALU_DEP_1)
	v_cmp_gt_i32_e64 s1, s22, v10
	s_and_b32 s18, s15, s1
	s_delay_alu instid0(SALU_CYCLE_1)
	s_and_saveexec_b32 s0, s18
	s_cbranch_execz .LBB296_28
; %bb.27:
	global_load_b32 v7, v[2:3], off offset:3328
	global_load_b32 v15, v[4:5], off offset:3328
.LBB296_28:
	s_or_b32 exec_lo, exec_lo, s0
	v_or_b32_e32 v6, 0x380, v6
	v_dual_mov_b32 v10, 0 :: v_dual_mov_b32 v13, 0
	s_delay_alu instid0(VALU_DEP_2) | instskip(SKIP_1) | instid1(VALU_DEP_2)
	v_cmp_gt_i32_e64 s0, s22, v6
	v_mov_b32_e32 v6, 0
	s_and_b32 s19, s15, s0
	s_delay_alu instid0(SALU_CYCLE_1)
	s_and_saveexec_b32 s18, s19
	s_cbranch_execz .LBB296_30
; %bb.29:
	global_load_b32 v10, v[2:3], off offset:3584
	global_load_b32 v13, v[4:5], off offset:3584
.LBB296_30:
	s_or_b32 exec_lo, exec_lo, s18
	v_or_b32_e32 v11, 0x3c0, v11
	s_delay_alu instid0(VALU_DEP_1) | instskip(SKIP_2) | instid1(SALU_CYCLE_1)
	v_cmp_gt_i32_e32 vcc_lo, s22, v11
	v_mov_b32_e32 v11, 0
	s_and_b32 s18, s15, vcc_lo
	s_and_saveexec_b32 s15, s18
	s_cbranch_execz .LBB296_32
; %bb.31:
	global_load_b32 v6, v[2:3], off offset:3840
	global_load_b32 v11, v[4:5], off offset:3840
.LBB296_32:
	s_or_b32 exec_lo, exec_lo, s15
	v_mbcnt_lo_u32_b32 v3, -1, 0
	s_mov_b32 s18, exec_lo
	s_delay_alu instid0(VALU_DEP_1) | instskip(SKIP_1) | instid1(VALU_DEP_2)
	v_or_b32_e32 v4, 32, v3
	v_xor_b32_e32 v5, 16, v3
	v_cmp_gt_i32_e64 s15, 64, v4
	s_delay_alu instid0(VALU_DEP_1) | instskip(NEXT) | instid1(VALU_DEP_3)
	v_cndmask_b32_e64 v4, v3, v4, s15
	v_cmp_gt_i32_e64 s15, 64, v5
	s_delay_alu instid0(VALU_DEP_2) | instskip(NEXT) | instid1(VALU_DEP_2)
	v_lshlrev_b32_e32 v4, 2, v4
	v_cndmask_b32_e64 v5, v3, v5, s15
	s_waitcnt vmcnt(1)
	s_delay_alu instid0(VALU_DEP_1) | instskip(NEXT) | instid1(VALU_DEP_1)
	v_dual_add_f32 v2, 0, v34 :: v_dual_lshlrev_b32 v5, 2, v5
	v_add_f32_e32 v2, v2, v21
	s_delay_alu instid0(VALU_DEP_1) | instskip(NEXT) | instid1(VALU_DEP_1)
	v_add_f32_e32 v2, v2, v32
	v_add_f32_e32 v2, v2, v20
	s_delay_alu instid0(VALU_DEP_1) | instskip(NEXT) | instid1(VALU_DEP_1)
	v_add_f32_e32 v2, v2, v29
	;; [unrolled: 3-line block ×7, first 2 shown]
	v_add_f32_e32 v2, v2, v6
	ds_bpermute_b32 v4, v4, v2
	s_waitcnt lgkmcnt(0)
	v_add_f32_e32 v2, v2, v4
	ds_bpermute_b32 v4, v5, v2
	v_xor_b32_e32 v5, 8, v3
	s_delay_alu instid0(VALU_DEP_1) | instskip(NEXT) | instid1(VALU_DEP_1)
	v_cmp_gt_i32_e64 s15, 64, v5
	v_cndmask_b32_e64 v5, v3, v5, s15
	s_waitcnt lgkmcnt(0)
	s_delay_alu instid0(VALU_DEP_1) | instskip(SKIP_2) | instid1(VALU_DEP_1)
	v_dual_add_f32 v2, v2, v4 :: v_dual_lshlrev_b32 v5, 2, v5
	ds_bpermute_b32 v4, v5, v2
	v_xor_b32_e32 v5, 4, v3
	v_cmp_gt_i32_e64 s15, 64, v5
	s_delay_alu instid0(VALU_DEP_1) | instskip(SKIP_1) | instid1(VALU_DEP_1)
	v_cndmask_b32_e64 v5, v3, v5, s15
	s_waitcnt lgkmcnt(0)
	v_dual_add_f32 v2, v2, v4 :: v_dual_lshlrev_b32 v5, 2, v5
	ds_bpermute_b32 v4, v5, v2
	v_xor_b32_e32 v5, 2, v3
	s_delay_alu instid0(VALU_DEP_1) | instskip(NEXT) | instid1(VALU_DEP_1)
	v_cmp_gt_i32_e64 s15, 64, v5
	v_cndmask_b32_e64 v5, v3, v5, s15
	s_waitcnt lgkmcnt(0)
	s_delay_alu instid0(VALU_DEP_1) | instskip(SKIP_2) | instid1(VALU_DEP_1)
	v_dual_add_f32 v2, v2, v4 :: v_dual_lshlrev_b32 v5, 2, v5
	ds_bpermute_b32 v4, v5, v2
	v_xor_b32_e32 v5, 1, v3
	v_cmp_gt_i32_e64 s15, 64, v5
	s_delay_alu instid0(VALU_DEP_1) | instskip(SKIP_1) | instid1(VALU_DEP_1)
	v_cndmask_b32_e64 v3, v3, v5, s15
	s_waitcnt lgkmcnt(0)
	v_dual_add_f32 v2, v2, v4 :: v_dual_lshlrev_b32 v3, 2, v3
	ds_bpermute_b32 v3, v3, v2
	v_cmpx_lt_i32_e32 0, v38
	s_cbranch_execz .LBB296_50
; %bb.33:
	v_lshlrev_b64 v[0:1], 1, v[0:1]
	s_waitcnt lgkmcnt(0)
	v_add_f32_e32 v2, v2, v3
	s_delay_alu instid0(VALU_DEP_2) | instskip(NEXT) | instid1(VALU_DEP_1)
	v_add_co_u32 v0, s15, s16, v0
	v_add_co_ci_u32_e64 v1, s15, s17, v1, s15
	s_and_saveexec_b32 s15, s14
	s_cbranch_execnz .LBB296_51
; %bb.34:
	s_or_b32 exec_lo, exec_lo, s15
	s_and_saveexec_b32 s14, s13
	s_cbranch_execnz .LBB296_52
.LBB296_35:
	s_or_b32 exec_lo, exec_lo, s14
	s_and_saveexec_b32 s13, s12
	s_cbranch_execnz .LBB296_53
.LBB296_36:
	s_or_b32 exec_lo, exec_lo, s13
	s_and_saveexec_b32 s12, s11
	s_cbranch_execnz .LBB296_54
.LBB296_37:
	s_or_b32 exec_lo, exec_lo, s12
	s_and_saveexec_b32 s11, s10
	s_cbranch_execnz .LBB296_55
.LBB296_38:
	s_or_b32 exec_lo, exec_lo, s11
	s_and_saveexec_b32 s10, s9
	s_cbranch_execnz .LBB296_56
.LBB296_39:
	s_or_b32 exec_lo, exec_lo, s10
	s_and_saveexec_b32 s9, s8
	s_cbranch_execnz .LBB296_57
.LBB296_40:
	s_or_b32 exec_lo, exec_lo, s9
	s_and_saveexec_b32 s8, s7
	s_cbranch_execnz .LBB296_58
.LBB296_41:
	s_or_b32 exec_lo, exec_lo, s8
	s_and_saveexec_b32 s7, s6
	s_cbranch_execnz .LBB296_59
.LBB296_42:
	s_or_b32 exec_lo, exec_lo, s7
	s_and_saveexec_b32 s6, s5
	s_cbranch_execnz .LBB296_60
.LBB296_43:
	s_or_b32 exec_lo, exec_lo, s6
	s_and_saveexec_b32 s5, s4
	s_cbranch_execnz .LBB296_61
.LBB296_44:
	s_or_b32 exec_lo, exec_lo, s5
	s_and_saveexec_b32 s4, s3
	s_cbranch_execnz .LBB296_62
.LBB296_45:
	s_or_b32 exec_lo, exec_lo, s4
	s_and_saveexec_b32 s3, s2
	s_cbranch_execnz .LBB296_63
.LBB296_46:
	s_or_b32 exec_lo, exec_lo, s3
	s_and_saveexec_b32 s2, s1
	s_cbranch_execnz .LBB296_64
.LBB296_47:
	s_or_b32 exec_lo, exec_lo, s2
	s_and_saveexec_b32 s1, s0
	s_cbranch_execnz .LBB296_65
.LBB296_48:
	s_or_b32 exec_lo, exec_lo, s1
	s_delay_alu instid0(SALU_CYCLE_1)
	s_and_b32 exec_lo, exec_lo, vcc_lo
	s_cbranch_execz .LBB296_50
.LBB296_49:
	s_waitcnt vmcnt(0)
	v_mul_f32_e32 v3, 0x3fb8aa3b, v11
	v_cmp_ngt_f32_e32 vcc_lo, 0xc2ce8ed0, v11
	s_delay_alu instid0(VALU_DEP_2) | instskip(SKIP_1) | instid1(VALU_DEP_2)
	v_rndne_f32_e32 v4, v3
	v_fma_f32 v5, 0x3fb8aa3b, v11, -v3
	v_sub_f32_e32 v3, v3, v4
	s_delay_alu instid0(VALU_DEP_2) | instskip(SKIP_1) | instid1(VALU_DEP_2)
	v_fmamk_f32 v5, v11, 0x32a5705f, v5
	v_cvt_i32_f32_e32 v4, v4
	v_add_f32_e32 v3, v3, v5
	s_delay_alu instid0(VALU_DEP_1) | instskip(SKIP_2) | instid1(VALU_DEP_1)
	v_exp_f32_e32 v3, v3
	s_waitcnt_depctr 0xfff
	v_ldexp_f32 v3, v3, v4
	v_cndmask_b32_e32 v3, 0, v3, vcc_lo
	v_cmp_nlt_f32_e32 vcc_lo, 0x42b17218, v11
	s_delay_alu instid0(VALU_DEP_2) | instskip(NEXT) | instid1(VALU_DEP_1)
	v_cndmask_b32_e32 v3, 0x7f800000, v3, vcc_lo
	v_fma_mixlo_f16 v2, -v2, v3, v6
	global_store_b16 v[0:1], v2, off offset:1920
.LBB296_50:
	s_nop 0
	s_sendmsg sendmsg(MSG_DEALLOC_VGPRS)
	s_endpgm
.LBB296_51:
	s_waitcnt vmcnt(0)
	v_mul_f32_e32 v3, 0x3fb8aa3b, v37
	v_cmp_ngt_f32_e64 s14, 0xc2ce8ed0, v37
	s_delay_alu instid0(VALU_DEP_2) | instskip(SKIP_1) | instid1(VALU_DEP_2)
	v_rndne_f32_e32 v4, v3
	v_fma_f32 v5, 0x3fb8aa3b, v37, -v3
	v_sub_f32_e32 v3, v3, v4
	s_delay_alu instid0(VALU_DEP_2) | instskip(SKIP_1) | instid1(VALU_DEP_2)
	v_fmamk_f32 v5, v37, 0x32a5705f, v5
	v_cvt_i32_f32_e32 v4, v4
	v_add_f32_e32 v3, v3, v5
	s_delay_alu instid0(VALU_DEP_1) | instskip(SKIP_2) | instid1(VALU_DEP_1)
	v_exp_f32_e32 v3, v3
	s_waitcnt_depctr 0xfff
	v_ldexp_f32 v3, v3, v4
	v_cndmask_b32_e64 v3, 0, v3, s14
	v_cmp_nlt_f32_e64 s14, 0x42b17218, v37
	s_delay_alu instid0(VALU_DEP_1) | instskip(NEXT) | instid1(VALU_DEP_1)
	v_cndmask_b32_e64 v3, 0x7f800000, v3, s14
	v_fma_mixlo_f16 v3, -v2, v3, v34
	global_store_b16 v[0:1], v3, off
	s_or_b32 exec_lo, exec_lo, s15
	s_and_saveexec_b32 s14, s13
	s_cbranch_execz .LBB296_35
.LBB296_52:
	s_waitcnt vmcnt(0)
	v_mul_f32_e32 v3, 0x3fb8aa3b, v36
	v_cmp_ngt_f32_e64 s13, 0xc2ce8ed0, v36
	s_delay_alu instid0(VALU_DEP_2) | instskip(SKIP_1) | instid1(VALU_DEP_2)
	v_rndne_f32_e32 v4, v3
	v_fma_f32 v5, 0x3fb8aa3b, v36, -v3
	v_sub_f32_e32 v3, v3, v4
	s_delay_alu instid0(VALU_DEP_2) | instskip(SKIP_1) | instid1(VALU_DEP_2)
	v_fmamk_f32 v5, v36, 0x32a5705f, v5
	v_cvt_i32_f32_e32 v4, v4
	v_add_f32_e32 v3, v3, v5
	s_delay_alu instid0(VALU_DEP_1) | instskip(SKIP_2) | instid1(VALU_DEP_1)
	v_exp_f32_e32 v3, v3
	s_waitcnt_depctr 0xfff
	v_ldexp_f32 v3, v3, v4
	v_cndmask_b32_e64 v3, 0, v3, s13
	v_cmp_nlt_f32_e64 s13, 0x42b17218, v36
	s_delay_alu instid0(VALU_DEP_1) | instskip(NEXT) | instid1(VALU_DEP_1)
	v_cndmask_b32_e64 v3, 0x7f800000, v3, s13
	v_fma_mixlo_f16 v3, -v2, v3, v21
	global_store_b16 v[0:1], v3, off offset:128
	s_or_b32 exec_lo, exec_lo, s14
	s_and_saveexec_b32 s13, s12
	s_cbranch_execz .LBB296_36
.LBB296_53:
	s_waitcnt vmcnt(0)
	v_mul_f32_e32 v3, 0x3fb8aa3b, v35
	v_cmp_ngt_f32_e64 s12, 0xc2ce8ed0, v35
	s_delay_alu instid0(VALU_DEP_2) | instskip(SKIP_1) | instid1(VALU_DEP_2)
	v_rndne_f32_e32 v4, v3
	v_fma_f32 v5, 0x3fb8aa3b, v35, -v3
	v_sub_f32_e32 v3, v3, v4
	s_delay_alu instid0(VALU_DEP_2) | instskip(SKIP_1) | instid1(VALU_DEP_2)
	v_fmamk_f32 v5, v35, 0x32a5705f, v5
	v_cvt_i32_f32_e32 v4, v4
	v_add_f32_e32 v3, v3, v5
	s_delay_alu instid0(VALU_DEP_1) | instskip(SKIP_2) | instid1(VALU_DEP_1)
	v_exp_f32_e32 v3, v3
	s_waitcnt_depctr 0xfff
	v_ldexp_f32 v3, v3, v4
	v_cndmask_b32_e64 v3, 0, v3, s12
	v_cmp_nlt_f32_e64 s12, 0x42b17218, v35
	s_delay_alu instid0(VALU_DEP_1) | instskip(NEXT) | instid1(VALU_DEP_1)
	v_cndmask_b32_e64 v3, 0x7f800000, v3, s12
	v_fma_mixlo_f16 v3, -v2, v3, v32
	global_store_b16 v[0:1], v3, off offset:256
	s_or_b32 exec_lo, exec_lo, s13
	s_and_saveexec_b32 s12, s11
	s_cbranch_execz .LBB296_37
.LBB296_54:
	s_waitcnt vmcnt(0)
	v_mul_f32_e32 v3, 0x3fb8aa3b, v33
	v_cmp_ngt_f32_e64 s11, 0xc2ce8ed0, v33
	s_delay_alu instid0(VALU_DEP_2) | instskip(SKIP_1) | instid1(VALU_DEP_2)
	v_rndne_f32_e32 v4, v3
	v_fma_f32 v5, 0x3fb8aa3b, v33, -v3
	v_sub_f32_e32 v3, v3, v4
	s_delay_alu instid0(VALU_DEP_2) | instskip(SKIP_1) | instid1(VALU_DEP_2)
	v_fmamk_f32 v5, v33, 0x32a5705f, v5
	v_cvt_i32_f32_e32 v4, v4
	v_add_f32_e32 v3, v3, v5
	s_delay_alu instid0(VALU_DEP_1) | instskip(SKIP_2) | instid1(VALU_DEP_1)
	v_exp_f32_e32 v3, v3
	s_waitcnt_depctr 0xfff
	v_ldexp_f32 v3, v3, v4
	v_cndmask_b32_e64 v3, 0, v3, s11
	v_cmp_nlt_f32_e64 s11, 0x42b17218, v33
	s_delay_alu instid0(VALU_DEP_1) | instskip(NEXT) | instid1(VALU_DEP_1)
	v_cndmask_b32_e64 v3, 0x7f800000, v3, s11
	v_fma_mixlo_f16 v3, -v2, v3, v20
	global_store_b16 v[0:1], v3, off offset:384
	s_or_b32 exec_lo, exec_lo, s12
	s_and_saveexec_b32 s11, s10
	s_cbranch_execz .LBB296_38
.LBB296_55:
	s_waitcnt vmcnt(0)
	v_mul_f32_e32 v3, 0x3fb8aa3b, v31
	v_cmp_ngt_f32_e64 s10, 0xc2ce8ed0, v31
	s_delay_alu instid0(VALU_DEP_2) | instskip(SKIP_1) | instid1(VALU_DEP_2)
	v_rndne_f32_e32 v4, v3
	v_fma_f32 v5, 0x3fb8aa3b, v31, -v3
	v_sub_f32_e32 v3, v3, v4
	s_delay_alu instid0(VALU_DEP_2) | instskip(SKIP_1) | instid1(VALU_DEP_2)
	v_fmamk_f32 v5, v31, 0x32a5705f, v5
	v_cvt_i32_f32_e32 v4, v4
	v_add_f32_e32 v3, v3, v5
	s_delay_alu instid0(VALU_DEP_1) | instskip(SKIP_2) | instid1(VALU_DEP_1)
	v_exp_f32_e32 v3, v3
	s_waitcnt_depctr 0xfff
	v_ldexp_f32 v3, v3, v4
	v_cndmask_b32_e64 v3, 0, v3, s10
	v_cmp_nlt_f32_e64 s10, 0x42b17218, v31
	s_delay_alu instid0(VALU_DEP_1) | instskip(NEXT) | instid1(VALU_DEP_1)
	v_cndmask_b32_e64 v3, 0x7f800000, v3, s10
	v_fma_mixlo_f16 v3, -v2, v3, v29
	global_store_b16 v[0:1], v3, off offset:512
	s_or_b32 exec_lo, exec_lo, s11
	s_and_saveexec_b32 s10, s9
	s_cbranch_execz .LBB296_39
.LBB296_56:
	s_waitcnt vmcnt(0)
	v_mul_f32_e32 v3, 0x3fb8aa3b, v30
	v_cmp_ngt_f32_e64 s9, 0xc2ce8ed0, v30
	s_delay_alu instid0(VALU_DEP_2) | instskip(SKIP_1) | instid1(VALU_DEP_2)
	v_rndne_f32_e32 v4, v3
	v_fma_f32 v5, 0x3fb8aa3b, v30, -v3
	v_sub_f32_e32 v3, v3, v4
	s_delay_alu instid0(VALU_DEP_2) | instskip(SKIP_1) | instid1(VALU_DEP_2)
	v_fmamk_f32 v5, v30, 0x32a5705f, v5
	v_cvt_i32_f32_e32 v4, v4
	v_add_f32_e32 v3, v3, v5
	s_delay_alu instid0(VALU_DEP_1) | instskip(SKIP_2) | instid1(VALU_DEP_1)
	v_exp_f32_e32 v3, v3
	s_waitcnt_depctr 0xfff
	v_ldexp_f32 v3, v3, v4
	v_cndmask_b32_e64 v3, 0, v3, s9
	v_cmp_nlt_f32_e64 s9, 0x42b17218, v30
	s_delay_alu instid0(VALU_DEP_1) | instskip(NEXT) | instid1(VALU_DEP_1)
	v_cndmask_b32_e64 v3, 0x7f800000, v3, s9
	v_fma_mixlo_f16 v3, -v2, v3, v16
	global_store_b16 v[0:1], v3, off offset:640
	s_or_b32 exec_lo, exec_lo, s10
	s_and_saveexec_b32 s9, s8
	s_cbranch_execz .LBB296_40
.LBB296_57:
	s_waitcnt vmcnt(0)
	v_mul_f32_e32 v3, 0x3fb8aa3b, v28
	v_cmp_ngt_f32_e64 s8, 0xc2ce8ed0, v28
	s_delay_alu instid0(VALU_DEP_2) | instskip(SKIP_1) | instid1(VALU_DEP_2)
	v_rndne_f32_e32 v4, v3
	v_fma_f32 v5, 0x3fb8aa3b, v28, -v3
	v_sub_f32_e32 v3, v3, v4
	s_delay_alu instid0(VALU_DEP_2) | instskip(SKIP_1) | instid1(VALU_DEP_2)
	v_fmamk_f32 v5, v28, 0x32a5705f, v5
	v_cvt_i32_f32_e32 v4, v4
	v_add_f32_e32 v3, v3, v5
	s_delay_alu instid0(VALU_DEP_1) | instskip(SKIP_2) | instid1(VALU_DEP_1)
	v_exp_f32_e32 v3, v3
	s_waitcnt_depctr 0xfff
	v_ldexp_f32 v3, v3, v4
	v_cndmask_b32_e64 v3, 0, v3, s8
	v_cmp_nlt_f32_e64 s8, 0x42b17218, v28
	s_delay_alu instid0(VALU_DEP_1) | instskip(NEXT) | instid1(VALU_DEP_1)
	v_cndmask_b32_e64 v3, 0x7f800000, v3, s8
	v_fma_mixlo_f16 v3, -v2, v3, v26
	global_store_b16 v[0:1], v3, off offset:768
	s_or_b32 exec_lo, exec_lo, s9
	s_and_saveexec_b32 s8, s7
	s_cbranch_execz .LBB296_41
.LBB296_58:
	s_waitcnt vmcnt(0)
	v_mul_f32_e32 v3, 0x3fb8aa3b, v27
	v_cmp_ngt_f32_e64 s7, 0xc2ce8ed0, v27
	s_delay_alu instid0(VALU_DEP_2) | instskip(SKIP_1) | instid1(VALU_DEP_2)
	v_rndne_f32_e32 v4, v3
	v_fma_f32 v5, 0x3fb8aa3b, v27, -v3
	v_sub_f32_e32 v3, v3, v4
	s_delay_alu instid0(VALU_DEP_2) | instskip(SKIP_1) | instid1(VALU_DEP_2)
	v_fmamk_f32 v5, v27, 0x32a5705f, v5
	v_cvt_i32_f32_e32 v4, v4
	v_add_f32_e32 v3, v3, v5
	s_delay_alu instid0(VALU_DEP_1) | instskip(SKIP_2) | instid1(VALU_DEP_1)
	v_exp_f32_e32 v3, v3
	s_waitcnt_depctr 0xfff
	v_ldexp_f32 v3, v3, v4
	v_cndmask_b32_e64 v3, 0, v3, s7
	v_cmp_nlt_f32_e64 s7, 0x42b17218, v27
	s_delay_alu instid0(VALU_DEP_1) | instskip(NEXT) | instid1(VALU_DEP_1)
	v_cndmask_b32_e64 v3, 0x7f800000, v3, s7
	v_fma_mixlo_f16 v3, -v2, v3, v12
	global_store_b16 v[0:1], v3, off offset:896
	s_or_b32 exec_lo, exec_lo, s8
	s_and_saveexec_b32 s7, s6
	s_cbranch_execz .LBB296_42
.LBB296_59:
	s_waitcnt vmcnt(0)
	v_mul_f32_e32 v3, 0x3fb8aa3b, v25
	v_cmp_ngt_f32_e64 s6, 0xc2ce8ed0, v25
	s_delay_alu instid0(VALU_DEP_2) | instskip(SKIP_1) | instid1(VALU_DEP_2)
	v_rndne_f32_e32 v4, v3
	v_fma_f32 v5, 0x3fb8aa3b, v25, -v3
	v_sub_f32_e32 v3, v3, v4
	s_delay_alu instid0(VALU_DEP_2) | instskip(SKIP_1) | instid1(VALU_DEP_2)
	v_fmamk_f32 v5, v25, 0x32a5705f, v5
	v_cvt_i32_f32_e32 v4, v4
	v_add_f32_e32 v3, v3, v5
	s_delay_alu instid0(VALU_DEP_1) | instskip(SKIP_2) | instid1(VALU_DEP_1)
	v_exp_f32_e32 v3, v3
	s_waitcnt_depctr 0xfff
	v_ldexp_f32 v3, v3, v4
	v_cndmask_b32_e64 v3, 0, v3, s6
	v_cmp_nlt_f32_e64 s6, 0x42b17218, v25
	s_delay_alu instid0(VALU_DEP_1) | instskip(NEXT) | instid1(VALU_DEP_1)
	v_cndmask_b32_e64 v3, 0x7f800000, v3, s6
	v_fma_mixlo_f16 v3, -v2, v3, v23
	global_store_b16 v[0:1], v3, off offset:1024
	s_or_b32 exec_lo, exec_lo, s7
	s_and_saveexec_b32 s6, s5
	s_cbranch_execz .LBB296_43
.LBB296_60:
	s_waitcnt vmcnt(0)
	v_mul_f32_e32 v3, 0x3fb8aa3b, v24
	v_cmp_ngt_f32_e64 s5, 0xc2ce8ed0, v24
	s_delay_alu instid0(VALU_DEP_2) | instskip(SKIP_1) | instid1(VALU_DEP_2)
	v_rndne_f32_e32 v4, v3
	v_fma_f32 v5, 0x3fb8aa3b, v24, -v3
	v_sub_f32_e32 v3, v3, v4
	s_delay_alu instid0(VALU_DEP_2) | instskip(SKIP_1) | instid1(VALU_DEP_2)
	v_fmamk_f32 v5, v24, 0x32a5705f, v5
	v_cvt_i32_f32_e32 v4, v4
	v_add_f32_e32 v3, v3, v5
	s_delay_alu instid0(VALU_DEP_1) | instskip(SKIP_2) | instid1(VALU_DEP_1)
	v_exp_f32_e32 v3, v3
	s_waitcnt_depctr 0xfff
	v_ldexp_f32 v3, v3, v4
	v_cndmask_b32_e64 v3, 0, v3, s5
	v_cmp_nlt_f32_e64 s5, 0x42b17218, v24
	s_delay_alu instid0(VALU_DEP_1) | instskip(NEXT) | instid1(VALU_DEP_1)
	v_cndmask_b32_e64 v3, 0x7f800000, v3, s5
	v_fma_mixlo_f16 v3, -v2, v3, v9
	global_store_b16 v[0:1], v3, off offset:1152
	s_or_b32 exec_lo, exec_lo, s6
	s_and_saveexec_b32 s5, s4
	s_cbranch_execz .LBB296_44
.LBB296_61:
	s_waitcnt vmcnt(0)
	v_mul_f32_e32 v3, 0x3fb8aa3b, v22
	v_cmp_ngt_f32_e64 s4, 0xc2ce8ed0, v22
	s_delay_alu instid0(VALU_DEP_2) | instskip(SKIP_1) | instid1(VALU_DEP_2)
	v_rndne_f32_e32 v4, v3
	v_fma_f32 v5, 0x3fb8aa3b, v22, -v3
	v_sub_f32_e32 v3, v3, v4
	s_delay_alu instid0(VALU_DEP_2) | instskip(SKIP_1) | instid1(VALU_DEP_2)
	v_fmamk_f32 v5, v22, 0x32a5705f, v5
	v_cvt_i32_f32_e32 v4, v4
	v_add_f32_e32 v3, v3, v5
	s_delay_alu instid0(VALU_DEP_1) | instskip(SKIP_2) | instid1(VALU_DEP_1)
	v_exp_f32_e32 v3, v3
	s_waitcnt_depctr 0xfff
	v_ldexp_f32 v3, v3, v4
	v_cndmask_b32_e64 v3, 0, v3, s4
	v_cmp_nlt_f32_e64 s4, 0x42b17218, v22
	s_delay_alu instid0(VALU_DEP_1) | instskip(NEXT) | instid1(VALU_DEP_1)
	v_cndmask_b32_e64 v3, 0x7f800000, v3, s4
	v_fma_mixlo_f16 v3, -v2, v3, v18
	global_store_b16 v[0:1], v3, off offset:1280
	s_or_b32 exec_lo, exec_lo, s5
	s_and_saveexec_b32 s4, s3
	s_cbranch_execz .LBB296_45
.LBB296_62:
	s_waitcnt vmcnt(0)
	v_mul_f32_e32 v3, 0x3fb8aa3b, v19
	v_cmp_ngt_f32_e64 s3, 0xc2ce8ed0, v19
	s_delay_alu instid0(VALU_DEP_2) | instskip(SKIP_1) | instid1(VALU_DEP_2)
	v_rndne_f32_e32 v4, v3
	v_fma_f32 v5, 0x3fb8aa3b, v19, -v3
	v_sub_f32_e32 v3, v3, v4
	s_delay_alu instid0(VALU_DEP_2) | instskip(SKIP_1) | instid1(VALU_DEP_2)
	v_fmamk_f32 v5, v19, 0x32a5705f, v5
	v_cvt_i32_f32_e32 v4, v4
	v_add_f32_e32 v3, v3, v5
	s_delay_alu instid0(VALU_DEP_1) | instskip(SKIP_2) | instid1(VALU_DEP_1)
	v_exp_f32_e32 v3, v3
	s_waitcnt_depctr 0xfff
	v_ldexp_f32 v3, v3, v4
	v_cndmask_b32_e64 v3, 0, v3, s3
	v_cmp_nlt_f32_e64 s3, 0x42b17218, v19
	s_delay_alu instid0(VALU_DEP_1) | instskip(NEXT) | instid1(VALU_DEP_1)
	v_cndmask_b32_e64 v3, 0x7f800000, v3, s3
	v_fma_mixlo_f16 v3, -v2, v3, v8
	global_store_b16 v[0:1], v3, off offset:1408
	s_or_b32 exec_lo, exec_lo, s4
	s_and_saveexec_b32 s3, s2
	s_cbranch_execz .LBB296_46
.LBB296_63:
	s_waitcnt vmcnt(0)
	v_mul_f32_e32 v3, 0x3fb8aa3b, v17
	v_cmp_ngt_f32_e64 s2, 0xc2ce8ed0, v17
	s_delay_alu instid0(VALU_DEP_2) | instskip(SKIP_1) | instid1(VALU_DEP_2)
	v_rndne_f32_e32 v4, v3
	v_fma_f32 v5, 0x3fb8aa3b, v17, -v3
	v_sub_f32_e32 v3, v3, v4
	s_delay_alu instid0(VALU_DEP_2) | instskip(SKIP_1) | instid1(VALU_DEP_2)
	v_fmamk_f32 v5, v17, 0x32a5705f, v5
	v_cvt_i32_f32_e32 v4, v4
	v_add_f32_e32 v3, v3, v5
	s_delay_alu instid0(VALU_DEP_1) | instskip(SKIP_2) | instid1(VALU_DEP_1)
	v_exp_f32_e32 v3, v3
	s_waitcnt_depctr 0xfff
	v_ldexp_f32 v3, v3, v4
	v_cndmask_b32_e64 v3, 0, v3, s2
	v_cmp_nlt_f32_e64 s2, 0x42b17218, v17
	s_delay_alu instid0(VALU_DEP_1) | instskip(NEXT) | instid1(VALU_DEP_1)
	v_cndmask_b32_e64 v3, 0x7f800000, v3, s2
	v_fma_mixlo_f16 v3, -v2, v3, v14
	global_store_b16 v[0:1], v3, off offset:1536
	s_or_b32 exec_lo, exec_lo, s3
	s_and_saveexec_b32 s2, s1
	s_cbranch_execz .LBB296_47
.LBB296_64:
	s_waitcnt vmcnt(0)
	v_mul_f32_e32 v3, 0x3fb8aa3b, v15
	v_cmp_ngt_f32_e64 s1, 0xc2ce8ed0, v15
	s_delay_alu instid0(VALU_DEP_2) | instskip(SKIP_1) | instid1(VALU_DEP_2)
	v_rndne_f32_e32 v4, v3
	v_fma_f32 v5, 0x3fb8aa3b, v15, -v3
	v_sub_f32_e32 v3, v3, v4
	s_delay_alu instid0(VALU_DEP_2) | instskip(SKIP_1) | instid1(VALU_DEP_2)
	v_fmamk_f32 v5, v15, 0x32a5705f, v5
	v_cvt_i32_f32_e32 v4, v4
	v_add_f32_e32 v3, v3, v5
	s_delay_alu instid0(VALU_DEP_1) | instskip(SKIP_2) | instid1(VALU_DEP_1)
	v_exp_f32_e32 v3, v3
	s_waitcnt_depctr 0xfff
	v_ldexp_f32 v3, v3, v4
	v_cndmask_b32_e64 v3, 0, v3, s1
	v_cmp_nlt_f32_e64 s1, 0x42b17218, v15
	s_delay_alu instid0(VALU_DEP_1) | instskip(NEXT) | instid1(VALU_DEP_1)
	v_cndmask_b32_e64 v3, 0x7f800000, v3, s1
	v_fma_mixlo_f16 v3, -v2, v3, v7
	global_store_b16 v[0:1], v3, off offset:1664
	s_or_b32 exec_lo, exec_lo, s2
	s_and_saveexec_b32 s1, s0
	s_cbranch_execz .LBB296_48
.LBB296_65:
	s_waitcnt vmcnt(0)
	v_mul_f32_e32 v3, 0x3fb8aa3b, v13
	v_cmp_ngt_f32_e64 s0, 0xc2ce8ed0, v13
	s_delay_alu instid0(VALU_DEP_2) | instskip(SKIP_1) | instid1(VALU_DEP_2)
	v_rndne_f32_e32 v4, v3
	v_fma_f32 v5, 0x3fb8aa3b, v13, -v3
	v_sub_f32_e32 v3, v3, v4
	s_delay_alu instid0(VALU_DEP_2) | instskip(SKIP_1) | instid1(VALU_DEP_2)
	v_fmamk_f32 v5, v13, 0x32a5705f, v5
	v_cvt_i32_f32_e32 v4, v4
	v_add_f32_e32 v3, v3, v5
	s_delay_alu instid0(VALU_DEP_1) | instskip(SKIP_2) | instid1(VALU_DEP_1)
	v_exp_f32_e32 v3, v3
	s_waitcnt_depctr 0xfff
	v_ldexp_f32 v3, v3, v4
	v_cndmask_b32_e64 v3, 0, v3, s0
	v_cmp_nlt_f32_e64 s0, 0x42b17218, v13
	s_delay_alu instid0(VALU_DEP_1) | instskip(NEXT) | instid1(VALU_DEP_1)
	v_cndmask_b32_e64 v3, 0x7f800000, v3, s0
	v_fma_mixlo_f16 v3, -v2, v3, v10
	global_store_b16 v[0:1], v3, off offset:1792
	s_or_b32 exec_lo, exec_lo, s1
	s_delay_alu instid0(SALU_CYCLE_1)
	s_and_b32 exec_lo, exec_lo, vcc_lo
	s_cbranch_execnz .LBB296_49
	s_branch .LBB296_50
	.section	.rodata,"a",@progbits
	.p2align	6, 0x0
	.amdhsa_kernel _ZN12_GLOBAL__N_121softmax_warp_backwardIfN3c104HalfEfLi10ELb1ELb0ELi64EEEvPT0_PKT_S7_iiiPKb
		.amdhsa_group_segment_fixed_size 0
		.amdhsa_private_segment_fixed_size 0
		.amdhsa_kernarg_size 304
		.amdhsa_user_sgpr_count 15
		.amdhsa_user_sgpr_dispatch_ptr 0
		.amdhsa_user_sgpr_queue_ptr 0
		.amdhsa_user_sgpr_kernarg_segment_ptr 1
		.amdhsa_user_sgpr_dispatch_id 0
		.amdhsa_user_sgpr_private_segment_size 0
		.amdhsa_wavefront_size32 1
		.amdhsa_uses_dynamic_stack 0
		.amdhsa_enable_private_segment 0
		.amdhsa_system_sgpr_workgroup_id_x 1
		.amdhsa_system_sgpr_workgroup_id_y 0
		.amdhsa_system_sgpr_workgroup_id_z 0
		.amdhsa_system_sgpr_workgroup_info 0
		.amdhsa_system_vgpr_workitem_id 1
		.amdhsa_next_free_vgpr 39
		.amdhsa_next_free_sgpr 24
		.amdhsa_reserve_vcc 1
		.amdhsa_float_round_mode_32 0
		.amdhsa_float_round_mode_16_64 0
		.amdhsa_float_denorm_mode_32 3
		.amdhsa_float_denorm_mode_16_64 3
		.amdhsa_dx10_clamp 1
		.amdhsa_ieee_mode 1
		.amdhsa_fp16_overflow 0
		.amdhsa_workgroup_processor_mode 1
		.amdhsa_memory_ordered 1
		.amdhsa_forward_progress 0
		.amdhsa_shared_vgpr_count 0
		.amdhsa_exception_fp_ieee_invalid_op 0
		.amdhsa_exception_fp_denorm_src 0
		.amdhsa_exception_fp_ieee_div_zero 0
		.amdhsa_exception_fp_ieee_overflow 0
		.amdhsa_exception_fp_ieee_underflow 0
		.amdhsa_exception_fp_ieee_inexact 0
		.amdhsa_exception_int_div_zero 0
	.end_amdhsa_kernel
	.section	.text._ZN12_GLOBAL__N_121softmax_warp_backwardIfN3c104HalfEfLi10ELb1ELb0ELi64EEEvPT0_PKT_S7_iiiPKb,"axG",@progbits,_ZN12_GLOBAL__N_121softmax_warp_backwardIfN3c104HalfEfLi10ELb1ELb0ELi64EEEvPT0_PKT_S7_iiiPKb,comdat
.Lfunc_end296:
	.size	_ZN12_GLOBAL__N_121softmax_warp_backwardIfN3c104HalfEfLi10ELb1ELb0ELi64EEEvPT0_PKT_S7_iiiPKb, .Lfunc_end296-_ZN12_GLOBAL__N_121softmax_warp_backwardIfN3c104HalfEfLi10ELb1ELb0ELi64EEEvPT0_PKT_S7_iiiPKb
                                        ; -- End function
	.section	.AMDGPU.csdata,"",@progbits
; Kernel info:
; codeLenInByte = 4184
; NumSgprs: 26
; NumVgprs: 39
; ScratchSize: 0
; MemoryBound: 0
; FloatMode: 240
; IeeeMode: 1
; LDSByteSize: 0 bytes/workgroup (compile time only)
; SGPRBlocks: 3
; VGPRBlocks: 4
; NumSGPRsForWavesPerEU: 26
; NumVGPRsForWavesPerEU: 39
; Occupancy: 16
; WaveLimiterHint : 0
; COMPUTE_PGM_RSRC2:SCRATCH_EN: 0
; COMPUTE_PGM_RSRC2:USER_SGPR: 15
; COMPUTE_PGM_RSRC2:TRAP_HANDLER: 0
; COMPUTE_PGM_RSRC2:TGID_X_EN: 1
; COMPUTE_PGM_RSRC2:TGID_Y_EN: 0
; COMPUTE_PGM_RSRC2:TGID_Z_EN: 0
; COMPUTE_PGM_RSRC2:TIDIG_COMP_CNT: 1
	.section	.text._ZN12_GLOBAL__N_121softmax_warp_backwardIfN3c104HalfEfLi10ELb1ELb0ELi32EEEvPT0_PKT_S7_iiiPKb,"axG",@progbits,_ZN12_GLOBAL__N_121softmax_warp_backwardIfN3c104HalfEfLi10ELb1ELb0ELi32EEEvPT0_PKT_S7_iiiPKb,comdat
	.globl	_ZN12_GLOBAL__N_121softmax_warp_backwardIfN3c104HalfEfLi10ELb1ELb0ELi32EEEvPT0_PKT_S7_iiiPKb ; -- Begin function _ZN12_GLOBAL__N_121softmax_warp_backwardIfN3c104HalfEfLi10ELb1ELb0ELi32EEEvPT0_PKT_S7_iiiPKb
	.p2align	8
	.type	_ZN12_GLOBAL__N_121softmax_warp_backwardIfN3c104HalfEfLi10ELb1ELb0ELi32EEEvPT0_PKT_S7_iiiPKb,@function
_ZN12_GLOBAL__N_121softmax_warp_backwardIfN3c104HalfEfLi10ELb1ELb0ELi32EEEvPT0_PKT_S7_iiiPKb: ; @_ZN12_GLOBAL__N_121softmax_warp_backwardIfN3c104HalfEfLi10ELb1ELb0ELi32EEEvPT0_PKT_S7_iiiPKb
; %bb.0:
	s_clause 0x1
	s_load_b32 s2, s[0:1], 0x3c
	s_load_b128 s[40:43], s[0:1], 0x18
	v_bfe_u32 v1, v0, 10, 10
	v_dual_mov_b32 v66, 0 :: v_dual_and_b32 v11, 0x3ff, v0
	s_load_b128 s[36:39], s[0:1], 0x0
	v_mov_b32_e32 v53, 0
	s_load_b64 s[0:1], s[0:1], 0x10
	s_delay_alu instid0(VALU_DEP_2) | instskip(SKIP_2) | instid1(VALU_DEP_1)
	v_dual_mov_b32 v69, 0 :: v_dual_and_b32 v6, 31, v11
	s_waitcnt lgkmcnt(0)
	s_lshr_b32 s2, s2, 16
	v_cmp_gt_i32_e64 s30, s42, v6
	v_mad_u64_u32 v[2:3], null, s15, s2, v[1:2]
	s_delay_alu instid0(VALU_DEP_1) | instskip(SKIP_1) | instid1(VALU_DEP_1)
	v_mad_u64_u32 v[0:1], null, v2, s41, v[6:7]
	v_sub_nc_u32_e32 v70, s40, v2
	v_cmp_lt_i32_e64 s31, 0, v70
	s_delay_alu instid0(VALU_DEP_3) | instskip(NEXT) | instid1(VALU_DEP_1)
	v_ashrrev_i32_e32 v1, 31, v0
	v_lshlrev_b64 v[4:5], 2, v[0:1]
	s_delay_alu instid0(VALU_DEP_1) | instskip(NEXT) | instid1(VALU_DEP_2)
	v_add_co_u32 v2, vcc_lo, s38, v4
	v_add_co_ci_u32_e32 v3, vcc_lo, s39, v5, vcc_lo
	v_add_co_u32 v4, vcc_lo, s0, v4
	v_add_co_ci_u32_e32 v5, vcc_lo, s1, v5, vcc_lo
	s_and_b32 s1, s31, s30
	s_delay_alu instid0(SALU_CYCLE_1)
	s_and_saveexec_b32 s0, s1
	s_cbranch_execz .LBB297_2
; %bb.1:
	global_load_b32 v66, v[2:3], off
	global_load_b32 v69, v[4:5], off
.LBB297_2:
	s_or_b32 exec_lo, exec_lo, s0
	v_or_b32_e32 v7, 32, v6
	v_mov_b32_e32 v68, 0
	s_delay_alu instid0(VALU_DEP_2) | instskip(NEXT) | instid1(VALU_DEP_1)
	v_cmp_gt_i32_e64 s29, s42, v7
	s_and_b32 s1, s31, s29
	s_delay_alu instid0(SALU_CYCLE_1)
	s_and_saveexec_b32 s0, s1
	s_cbranch_execz .LBB297_4
; %bb.3:
	global_load_b32 v53, v[2:3], off offset:128
	global_load_b32 v68, v[4:5], off offset:128
.LBB297_4:
	s_or_b32 exec_lo, exec_lo, s0
	v_or_b32_e32 v7, 64, v6
	v_dual_mov_b32 v52, 0 :: v_dual_mov_b32 v67, 0
	v_mov_b32_e32 v64, 0
	s_delay_alu instid0(VALU_DEP_3) | instskip(NEXT) | instid1(VALU_DEP_1)
	v_cmp_gt_i32_e64 s28, s42, v7
	s_and_b32 s1, s31, s28
	s_delay_alu instid0(SALU_CYCLE_1)
	s_and_saveexec_b32 s0, s1
	s_cbranch_execz .LBB297_6
; %bb.5:
	global_load_b32 v64, v[2:3], off offset:256
	global_load_b32 v67, v[4:5], off offset:256
.LBB297_6:
	s_or_b32 exec_lo, exec_lo, s0
	v_or_b32_e32 v7, 0x60, v6
	v_mov_b32_e32 v65, 0
	s_delay_alu instid0(VALU_DEP_2) | instskip(NEXT) | instid1(VALU_DEP_1)
	v_cmp_gt_i32_e64 s27, s42, v7
	s_and_b32 s1, s31, s27
	s_delay_alu instid0(SALU_CYCLE_1)
	s_and_saveexec_b32 s0, s1
	s_cbranch_execz .LBB297_8
; %bb.7:
	global_load_b32 v52, v[2:3], off offset:384
	global_load_b32 v65, v[4:5], off offset:384
.LBB297_8:
	s_or_b32 exec_lo, exec_lo, s0
	v_or_b32_e32 v7, 0x80, v6
	v_dual_mov_b32 v48, 0 :: v_dual_mov_b32 v61, 0
	v_mov_b32_e32 v63, 0
	s_delay_alu instid0(VALU_DEP_3) | instskip(NEXT) | instid1(VALU_DEP_1)
	v_cmp_gt_i32_e64 s26, s42, v7
	s_and_b32 s1, s31, s26
	s_delay_alu instid0(SALU_CYCLE_1)
	s_and_saveexec_b32 s0, s1
	s_cbranch_execz .LBB297_10
; %bb.9:
	global_load_b32 v61, v[2:3], off offset:512
	global_load_b32 v63, v[4:5], off offset:512
.LBB297_10:
	s_or_b32 exec_lo, exec_lo, s0
	v_or_b32_e32 v7, 0xa0, v6
	v_mov_b32_e32 v62, 0
	s_delay_alu instid0(VALU_DEP_2) | instskip(NEXT) | instid1(VALU_DEP_1)
	v_cmp_gt_i32_e64 s25, s42, v7
	s_and_b32 s1, s31, s25
	s_delay_alu instid0(SALU_CYCLE_1)
	s_and_saveexec_b32 s0, s1
	s_cbranch_execz .LBB297_12
; %bb.11:
	global_load_b32 v48, v[2:3], off offset:640
	global_load_b32 v62, v[4:5], off offset:640
.LBB297_12:
	s_or_b32 exec_lo, exec_lo, s0
	v_or_b32_e32 v7, 0xc0, v6
	v_mov_b32_e32 v44, 0
	v_mov_b32_e32 v58, 0
	;; [unrolled: 1-line block ×3, first 2 shown]
	s_delay_alu instid0(VALU_DEP_4) | instskip(NEXT) | instid1(VALU_DEP_1)
	v_cmp_gt_i32_e64 s24, s42, v7
	s_and_b32 s1, s31, s24
	s_delay_alu instid0(SALU_CYCLE_1)
	s_and_saveexec_b32 s0, s1
	s_cbranch_execz .LBB297_14
; %bb.13:
	global_load_b32 v58, v[2:3], off offset:768
	global_load_b32 v60, v[4:5], off offset:768
.LBB297_14:
	s_or_b32 exec_lo, exec_lo, s0
	v_or_b32_e32 v7, 0xe0, v6
	v_mov_b32_e32 v59, 0
	s_delay_alu instid0(VALU_DEP_2) | instskip(NEXT) | instid1(VALU_DEP_1)
	v_cmp_gt_i32_e64 s23, s42, v7
	s_and_b32 s1, s31, s23
	s_delay_alu instid0(SALU_CYCLE_1)
	s_and_saveexec_b32 s0, s1
	s_cbranch_execz .LBB297_16
; %bb.15:
	global_load_b32 v44, v[2:3], off offset:896
	global_load_b32 v59, v[4:5], off offset:896
.LBB297_16:
	s_or_b32 exec_lo, exec_lo, s0
	v_or_b32_e32 v7, 0x100, v6
	v_dual_mov_b32 v40, 0 :: v_dual_mov_b32 v55, 0
	v_mov_b32_e32 v57, 0
	s_delay_alu instid0(VALU_DEP_3) | instskip(NEXT) | instid1(VALU_DEP_1)
	v_cmp_gt_i32_e64 s22, s42, v7
	s_and_b32 s1, s31, s22
	s_delay_alu instid0(SALU_CYCLE_1)
	s_and_saveexec_b32 s0, s1
	s_cbranch_execz .LBB297_18
; %bb.17:
	global_load_b32 v55, v[2:3], off offset:1024
	global_load_b32 v57, v[4:5], off offset:1024
.LBB297_18:
	s_or_b32 exec_lo, exec_lo, s0
	v_or_b32_e32 v7, 0x120, v6
	v_mov_b32_e32 v56, 0
	s_delay_alu instid0(VALU_DEP_2) | instskip(NEXT) | instid1(VALU_DEP_1)
	v_cmp_gt_i32_e64 s21, s42, v7
	s_and_b32 s1, s31, s21
	s_delay_alu instid0(SALU_CYCLE_1)
	s_and_saveexec_b32 s0, s1
	s_cbranch_execz .LBB297_20
; %bb.19:
	global_load_b32 v40, v[2:3], off offset:1152
	global_load_b32 v56, v[4:5], off offset:1152
.LBB297_20:
	s_or_b32 exec_lo, exec_lo, s0
	v_or_b32_e32 v7, 0x140, v6
	v_mov_b32_e32 v36, 0
	v_mov_b32_e32 v50, 0
	;; [unrolled: 1-line block ×3, first 2 shown]
	s_delay_alu instid0(VALU_DEP_4) | instskip(NEXT) | instid1(VALU_DEP_1)
	v_cmp_gt_i32_e64 s20, s42, v7
	s_and_b32 s1, s31, s20
	s_delay_alu instid0(SALU_CYCLE_1)
	s_and_saveexec_b32 s0, s1
	s_cbranch_execz .LBB297_22
; %bb.21:
	global_load_b32 v50, v[2:3], off offset:1280
	global_load_b32 v54, v[4:5], off offset:1280
.LBB297_22:
	s_or_b32 exec_lo, exec_lo, s0
	v_or_b32_e32 v7, 0x160, v6
	v_mov_b32_e32 v51, 0
	s_delay_alu instid0(VALU_DEP_2) | instskip(NEXT) | instid1(VALU_DEP_1)
	v_cmp_gt_i32_e64 s19, s42, v7
	s_and_b32 s1, s31, s19
	s_delay_alu instid0(SALU_CYCLE_1)
	s_and_saveexec_b32 s0, s1
	s_cbranch_execz .LBB297_24
; %bb.23:
	global_load_b32 v36, v[2:3], off offset:1408
	global_load_b32 v51, v[4:5], off offset:1408
.LBB297_24:
	s_or_b32 exec_lo, exec_lo, s0
	v_or_b32_e32 v7, 0x180, v6
	v_dual_mov_b32 v32, 0 :: v_dual_mov_b32 v49, 0
	v_mov_b32_e32 v46, 0
	s_delay_alu instid0(VALU_DEP_3) | instskip(NEXT) | instid1(VALU_DEP_1)
	v_cmp_gt_i32_e64 s18, s42, v7
	s_and_b32 s1, s31, s18
	s_delay_alu instid0(SALU_CYCLE_1)
	s_and_saveexec_b32 s0, s1
	s_cbranch_execz .LBB297_26
; %bb.25:
	global_load_b32 v46, v[2:3], off offset:1536
	global_load_b32 v49, v[4:5], off offset:1536
.LBB297_26:
	s_or_b32 exec_lo, exec_lo, s0
	v_or_b32_e32 v7, 0x1a0, v6
	v_mov_b32_e32 v47, 0
	s_delay_alu instid0(VALU_DEP_2) | instskip(NEXT) | instid1(VALU_DEP_1)
	v_cmp_gt_i32_e64 s17, s42, v7
	s_and_b32 s1, s31, s17
	s_delay_alu instid0(SALU_CYCLE_1)
	s_and_saveexec_b32 s0, s1
	s_cbranch_execz .LBB297_28
; %bb.27:
	global_load_b32 v32, v[2:3], off offset:1664
	global_load_b32 v47, v[4:5], off offset:1664
.LBB297_28:
	s_or_b32 exec_lo, exec_lo, s0
	v_or_b32_e32 v7, 0x1c0, v6
	v_dual_mov_b32 v28, 0 :: v_dual_mov_b32 v45, 0
	v_mov_b32_e32 v42, 0
	s_delay_alu instid0(VALU_DEP_3) | instskip(NEXT) | instid1(VALU_DEP_1)
	;; [unrolled: 27-line block ×8, first 2 shown]
	v_cmp_gt_i32_e64 s4, s42, v7
	s_and_b32 s1, s31, s4
	s_delay_alu instid0(SALU_CYCLE_1)
	s_and_saveexec_b32 s0, s1
	s_cbranch_execz .LBB297_54
; %bb.53:
	global_load_b32 v18, v[2:3], off offset:3328
	global_load_b32 v21, v[4:5], off offset:3328
.LBB297_54:
	s_or_b32 exec_lo, exec_lo, s0
	v_or_b32_e32 v7, 0x360, v6
	v_mov_b32_e32 v19, 0
	s_delay_alu instid0(VALU_DEP_2) | instskip(NEXT) | instid1(VALU_DEP_1)
	v_cmp_gt_i32_e64 s3, s42, v7
	s_and_b32 s1, s31, s3
	s_delay_alu instid0(SALU_CYCLE_1)
	s_and_saveexec_b32 s0, s1
	s_cbranch_execz .LBB297_56
; %bb.55:
	global_load_b32 v8, v[2:3], off offset:3456
	global_load_b32 v19, v[4:5], off offset:3456
.LBB297_56:
	s_or_b32 exec_lo, exec_lo, s0
	v_or_b32_e32 v7, 0x380, v6
	v_dual_mov_b32 v17, 0 :: v_dual_mov_b32 v14, 0
	s_delay_alu instid0(VALU_DEP_2) | instskip(SKIP_1) | instid1(VALU_DEP_2)
	v_cmp_gt_i32_e64 s2, s42, v7
	v_mov_b32_e32 v7, 0
	s_and_b32 s1, s31, s2
	s_delay_alu instid0(SALU_CYCLE_1)
	s_and_saveexec_b32 s0, s1
	s_cbranch_execz .LBB297_58
; %bb.57:
	global_load_b32 v14, v[2:3], off offset:3584
	global_load_b32 v17, v[4:5], off offset:3584
.LBB297_58:
	s_or_b32 exec_lo, exec_lo, s0
	v_or_b32_e32 v10, 0x3a0, v6
	v_mov_b32_e32 v15, 0
	s_delay_alu instid0(VALU_DEP_2) | instskip(NEXT) | instid1(VALU_DEP_1)
	v_cmp_gt_i32_e64 s1, s42, v10
	s_and_b32 s33, s31, s1
	s_delay_alu instid0(SALU_CYCLE_1)
	s_and_saveexec_b32 s0, s33
	s_cbranch_execz .LBB297_60
; %bb.59:
	global_load_b32 v7, v[2:3], off offset:3712
	global_load_b32 v15, v[4:5], off offset:3712
.LBB297_60:
	s_or_b32 exec_lo, exec_lo, s0
	v_or_b32_e32 v6, 0x3c0, v6
	v_dual_mov_b32 v10, 0 :: v_dual_mov_b32 v13, 0
	s_delay_alu instid0(VALU_DEP_2) | instskip(SKIP_1) | instid1(VALU_DEP_2)
	v_cmp_gt_i32_e64 s0, s42, v6
	v_mov_b32_e32 v6, 0
	s_and_b32 s34, s31, s0
	s_delay_alu instid0(SALU_CYCLE_1)
	s_and_saveexec_b32 s33, s34
	s_cbranch_execz .LBB297_62
; %bb.61:
	global_load_b32 v10, v[2:3], off offset:3840
	global_load_b32 v13, v[4:5], off offset:3840
.LBB297_62:
	s_or_b32 exec_lo, exec_lo, s33
	v_or_b32_e32 v11, 0x3e0, v11
	s_delay_alu instid0(VALU_DEP_1) | instskip(SKIP_2) | instid1(SALU_CYCLE_1)
	v_cmp_gt_i32_e32 vcc_lo, s42, v11
	v_mov_b32_e32 v11, 0
	s_and_b32 s33, s31, vcc_lo
	s_and_saveexec_b32 s31, s33
	s_cbranch_execz .LBB297_64
; %bb.63:
	global_load_b32 v6, v[2:3], off offset:3968
	global_load_b32 v11, v[4:5], off offset:3968
.LBB297_64:
	s_or_b32 exec_lo, exec_lo, s31
	v_mbcnt_lo_u32_b32 v3, -1, 0
	s_mov_b32 s33, exec_lo
	s_delay_alu instid0(VALU_DEP_1) | instskip(SKIP_1) | instid1(VALU_DEP_2)
	v_xor_b32_e32 v4, 16, v3
	v_xor_b32_e32 v5, 8, v3
	v_cmp_gt_i32_e64 s31, 32, v4
	s_delay_alu instid0(VALU_DEP_1) | instskip(NEXT) | instid1(VALU_DEP_3)
	v_cndmask_b32_e64 v4, v3, v4, s31
	v_cmp_gt_i32_e64 s31, 32, v5
	s_delay_alu instid0(VALU_DEP_2) | instskip(NEXT) | instid1(VALU_DEP_2)
	v_lshlrev_b32_e32 v4, 2, v4
	v_cndmask_b32_e64 v5, v3, v5, s31
	s_waitcnt vmcnt(1)
	s_delay_alu instid0(VALU_DEP_1) | instskip(NEXT) | instid1(VALU_DEP_1)
	v_dual_add_f32 v2, 0, v66 :: v_dual_lshlrev_b32 v5, 2, v5
	v_add_f32_e32 v2, v2, v53
	s_delay_alu instid0(VALU_DEP_1) | instskip(NEXT) | instid1(VALU_DEP_1)
	v_add_f32_e32 v2, v2, v64
	v_add_f32_e32 v2, v2, v52
	s_delay_alu instid0(VALU_DEP_1) | instskip(NEXT) | instid1(VALU_DEP_1)
	v_add_f32_e32 v2, v2, v61
	;; [unrolled: 3-line block ×15, first 2 shown]
	v_add_f32_e32 v2, v2, v6
	ds_bpermute_b32 v4, v4, v2
	s_waitcnt lgkmcnt(0)
	v_add_f32_e32 v2, v2, v4
	ds_bpermute_b32 v4, v5, v2
	v_xor_b32_e32 v5, 4, v3
	s_delay_alu instid0(VALU_DEP_1) | instskip(NEXT) | instid1(VALU_DEP_1)
	v_cmp_gt_i32_e64 s31, 32, v5
	v_cndmask_b32_e64 v5, v3, v5, s31
	s_waitcnt lgkmcnt(0)
	s_delay_alu instid0(VALU_DEP_1) | instskip(SKIP_2) | instid1(VALU_DEP_1)
	v_dual_add_f32 v2, v2, v4 :: v_dual_lshlrev_b32 v5, 2, v5
	ds_bpermute_b32 v4, v5, v2
	v_xor_b32_e32 v5, 2, v3
	v_cmp_gt_i32_e64 s31, 32, v5
	s_delay_alu instid0(VALU_DEP_1) | instskip(SKIP_1) | instid1(VALU_DEP_1)
	v_cndmask_b32_e64 v5, v3, v5, s31
	s_waitcnt lgkmcnt(0)
	v_dual_add_f32 v2, v2, v4 :: v_dual_lshlrev_b32 v5, 2, v5
	ds_bpermute_b32 v4, v5, v2
	v_xor_b32_e32 v5, 1, v3
	s_delay_alu instid0(VALU_DEP_1) | instskip(NEXT) | instid1(VALU_DEP_1)
	v_cmp_gt_i32_e64 s31, 32, v5
	v_cndmask_b32_e64 v3, v3, v5, s31
	s_waitcnt lgkmcnt(0)
	s_delay_alu instid0(VALU_DEP_1)
	v_dual_add_f32 v2, v2, v4 :: v_dual_lshlrev_b32 v3, 2, v3
	ds_bpermute_b32 v3, v3, v2
	v_cmpx_lt_i32_e32 0, v70
	s_cbranch_execz .LBB297_98
; %bb.65:
	v_lshlrev_b64 v[0:1], 1, v[0:1]
	s_waitcnt lgkmcnt(0)
	v_add_f32_e32 v2, v2, v3
	s_delay_alu instid0(VALU_DEP_2) | instskip(NEXT) | instid1(VALU_DEP_1)
	v_add_co_u32 v0, s31, s36, v0
	v_add_co_ci_u32_e64 v1, s31, s37, v1, s31
	s_and_saveexec_b32 s31, s30
	s_cbranch_execnz .LBB297_99
; %bb.66:
	s_or_b32 exec_lo, exec_lo, s31
	s_and_saveexec_b32 s30, s29
	s_cbranch_execnz .LBB297_100
.LBB297_67:
	s_or_b32 exec_lo, exec_lo, s30
	s_and_saveexec_b32 s29, s28
	s_cbranch_execnz .LBB297_101
.LBB297_68:
	s_or_b32 exec_lo, exec_lo, s29
	s_and_saveexec_b32 s28, s27
	s_cbranch_execnz .LBB297_102
.LBB297_69:
	s_or_b32 exec_lo, exec_lo, s28
	s_and_saveexec_b32 s27, s26
	s_cbranch_execnz .LBB297_103
.LBB297_70:
	s_or_b32 exec_lo, exec_lo, s27
	s_and_saveexec_b32 s26, s25
	s_cbranch_execnz .LBB297_104
.LBB297_71:
	s_or_b32 exec_lo, exec_lo, s26
	s_and_saveexec_b32 s25, s24
	s_cbranch_execnz .LBB297_105
.LBB297_72:
	s_or_b32 exec_lo, exec_lo, s25
	s_and_saveexec_b32 s24, s23
	s_cbranch_execnz .LBB297_106
.LBB297_73:
	s_or_b32 exec_lo, exec_lo, s24
	s_and_saveexec_b32 s23, s22
	s_cbranch_execnz .LBB297_107
.LBB297_74:
	s_or_b32 exec_lo, exec_lo, s23
	s_and_saveexec_b32 s22, s21
	s_cbranch_execnz .LBB297_108
.LBB297_75:
	s_or_b32 exec_lo, exec_lo, s22
	s_and_saveexec_b32 s21, s20
	s_cbranch_execnz .LBB297_109
.LBB297_76:
	s_or_b32 exec_lo, exec_lo, s21
	s_and_saveexec_b32 s20, s19
	s_cbranch_execnz .LBB297_110
.LBB297_77:
	s_or_b32 exec_lo, exec_lo, s20
	s_and_saveexec_b32 s19, s18
	s_cbranch_execnz .LBB297_111
.LBB297_78:
	s_or_b32 exec_lo, exec_lo, s19
	s_and_saveexec_b32 s18, s17
	s_cbranch_execnz .LBB297_112
.LBB297_79:
	s_or_b32 exec_lo, exec_lo, s18
	s_and_saveexec_b32 s17, s16
	s_cbranch_execnz .LBB297_113
.LBB297_80:
	s_or_b32 exec_lo, exec_lo, s17
	s_and_saveexec_b32 s16, s15
	s_cbranch_execnz .LBB297_114
.LBB297_81:
	s_or_b32 exec_lo, exec_lo, s16
	s_and_saveexec_b32 s15, s14
	s_cbranch_execnz .LBB297_115
.LBB297_82:
	s_or_b32 exec_lo, exec_lo, s15
	s_and_saveexec_b32 s14, s13
	s_cbranch_execnz .LBB297_116
.LBB297_83:
	s_or_b32 exec_lo, exec_lo, s14
	s_and_saveexec_b32 s13, s12
	s_cbranch_execnz .LBB297_117
.LBB297_84:
	s_or_b32 exec_lo, exec_lo, s13
	s_and_saveexec_b32 s12, s11
	s_cbranch_execnz .LBB297_118
.LBB297_85:
	s_or_b32 exec_lo, exec_lo, s12
	s_and_saveexec_b32 s11, s10
	s_cbranch_execnz .LBB297_119
.LBB297_86:
	s_or_b32 exec_lo, exec_lo, s11
	s_and_saveexec_b32 s10, s9
	s_cbranch_execnz .LBB297_120
.LBB297_87:
	s_or_b32 exec_lo, exec_lo, s10
	s_and_saveexec_b32 s9, s8
	s_cbranch_execnz .LBB297_121
.LBB297_88:
	s_or_b32 exec_lo, exec_lo, s9
	s_and_saveexec_b32 s8, s7
	s_cbranch_execnz .LBB297_122
.LBB297_89:
	s_or_b32 exec_lo, exec_lo, s8
	s_and_saveexec_b32 s7, s6
	s_cbranch_execnz .LBB297_123
.LBB297_90:
	s_or_b32 exec_lo, exec_lo, s7
	s_and_saveexec_b32 s6, s5
	s_cbranch_execnz .LBB297_124
.LBB297_91:
	s_or_b32 exec_lo, exec_lo, s6
	s_and_saveexec_b32 s5, s4
	s_cbranch_execnz .LBB297_125
.LBB297_92:
	s_or_b32 exec_lo, exec_lo, s5
	s_and_saveexec_b32 s4, s3
	s_cbranch_execnz .LBB297_126
.LBB297_93:
	s_or_b32 exec_lo, exec_lo, s4
	s_and_saveexec_b32 s3, s2
	s_cbranch_execnz .LBB297_127
.LBB297_94:
	s_or_b32 exec_lo, exec_lo, s3
	s_and_saveexec_b32 s2, s1
	s_cbranch_execnz .LBB297_128
.LBB297_95:
	s_or_b32 exec_lo, exec_lo, s2
	s_and_saveexec_b32 s1, s0
	s_cbranch_execnz .LBB297_129
.LBB297_96:
	s_or_b32 exec_lo, exec_lo, s1
	s_delay_alu instid0(SALU_CYCLE_1)
	s_and_b32 exec_lo, exec_lo, vcc_lo
	s_cbranch_execz .LBB297_98
.LBB297_97:
	s_waitcnt vmcnt(0)
	v_mul_f32_e32 v3, 0x3fb8aa3b, v11
	v_cmp_ngt_f32_e32 vcc_lo, 0xc2ce8ed0, v11
	s_delay_alu instid0(VALU_DEP_2) | instskip(SKIP_1) | instid1(VALU_DEP_2)
	v_rndne_f32_e32 v4, v3
	v_fma_f32 v5, 0x3fb8aa3b, v11, -v3
	v_sub_f32_e32 v3, v3, v4
	s_delay_alu instid0(VALU_DEP_2) | instskip(SKIP_1) | instid1(VALU_DEP_2)
	v_fmamk_f32 v5, v11, 0x32a5705f, v5
	v_cvt_i32_f32_e32 v4, v4
	v_add_f32_e32 v3, v3, v5
	s_delay_alu instid0(VALU_DEP_1) | instskip(SKIP_2) | instid1(VALU_DEP_1)
	v_exp_f32_e32 v3, v3
	s_waitcnt_depctr 0xfff
	v_ldexp_f32 v3, v3, v4
	v_cndmask_b32_e32 v3, 0, v3, vcc_lo
	v_cmp_nlt_f32_e32 vcc_lo, 0x42b17218, v11
	s_delay_alu instid0(VALU_DEP_2) | instskip(NEXT) | instid1(VALU_DEP_1)
	v_cndmask_b32_e32 v3, 0x7f800000, v3, vcc_lo
	v_fma_mixlo_f16 v2, -v2, v3, v6
	global_store_b16 v[0:1], v2, off offset:1984
.LBB297_98:
	s_nop 0
	s_sendmsg sendmsg(MSG_DEALLOC_VGPRS)
	s_endpgm
.LBB297_99:
	s_waitcnt vmcnt(0)
	v_mul_f32_e32 v3, 0x3fb8aa3b, v69
	v_cmp_ngt_f32_e64 s30, 0xc2ce8ed0, v69
	s_delay_alu instid0(VALU_DEP_2) | instskip(SKIP_1) | instid1(VALU_DEP_2)
	v_rndne_f32_e32 v4, v3
	v_fma_f32 v5, 0x3fb8aa3b, v69, -v3
	v_sub_f32_e32 v3, v3, v4
	s_delay_alu instid0(VALU_DEP_2) | instskip(SKIP_1) | instid1(VALU_DEP_2)
	v_fmamk_f32 v5, v69, 0x32a5705f, v5
	v_cvt_i32_f32_e32 v4, v4
	v_add_f32_e32 v3, v3, v5
	s_delay_alu instid0(VALU_DEP_1) | instskip(SKIP_2) | instid1(VALU_DEP_1)
	v_exp_f32_e32 v3, v3
	s_waitcnt_depctr 0xfff
	v_ldexp_f32 v3, v3, v4
	v_cndmask_b32_e64 v3, 0, v3, s30
	v_cmp_nlt_f32_e64 s30, 0x42b17218, v69
	s_delay_alu instid0(VALU_DEP_1) | instskip(NEXT) | instid1(VALU_DEP_1)
	v_cndmask_b32_e64 v3, 0x7f800000, v3, s30
	v_fma_mixlo_f16 v3, -v2, v3, v66
	global_store_b16 v[0:1], v3, off
	s_or_b32 exec_lo, exec_lo, s31
	s_and_saveexec_b32 s30, s29
	s_cbranch_execz .LBB297_67
.LBB297_100:
	s_waitcnt vmcnt(0)
	v_mul_f32_e32 v3, 0x3fb8aa3b, v68
	v_cmp_ngt_f32_e64 s29, 0xc2ce8ed0, v68
	s_delay_alu instid0(VALU_DEP_2) | instskip(SKIP_1) | instid1(VALU_DEP_2)
	v_rndne_f32_e32 v4, v3
	v_fma_f32 v5, 0x3fb8aa3b, v68, -v3
	v_sub_f32_e32 v3, v3, v4
	s_delay_alu instid0(VALU_DEP_2) | instskip(SKIP_1) | instid1(VALU_DEP_2)
	v_fmamk_f32 v5, v68, 0x32a5705f, v5
	v_cvt_i32_f32_e32 v4, v4
	v_add_f32_e32 v3, v3, v5
	s_delay_alu instid0(VALU_DEP_1) | instskip(SKIP_2) | instid1(VALU_DEP_1)
	v_exp_f32_e32 v3, v3
	s_waitcnt_depctr 0xfff
	v_ldexp_f32 v3, v3, v4
	v_cndmask_b32_e64 v3, 0, v3, s29
	v_cmp_nlt_f32_e64 s29, 0x42b17218, v68
	s_delay_alu instid0(VALU_DEP_1) | instskip(NEXT) | instid1(VALU_DEP_1)
	v_cndmask_b32_e64 v3, 0x7f800000, v3, s29
	v_fma_mixlo_f16 v3, -v2, v3, v53
	global_store_b16 v[0:1], v3, off offset:64
	s_or_b32 exec_lo, exec_lo, s30
	s_and_saveexec_b32 s29, s28
	s_cbranch_execz .LBB297_68
.LBB297_101:
	s_waitcnt vmcnt(0)
	v_mul_f32_e32 v3, 0x3fb8aa3b, v67
	v_cmp_ngt_f32_e64 s28, 0xc2ce8ed0, v67
	s_delay_alu instid0(VALU_DEP_2) | instskip(SKIP_1) | instid1(VALU_DEP_2)
	v_rndne_f32_e32 v4, v3
	v_fma_f32 v5, 0x3fb8aa3b, v67, -v3
	v_sub_f32_e32 v3, v3, v4
	s_delay_alu instid0(VALU_DEP_2) | instskip(SKIP_1) | instid1(VALU_DEP_2)
	v_fmamk_f32 v5, v67, 0x32a5705f, v5
	v_cvt_i32_f32_e32 v4, v4
	v_add_f32_e32 v3, v3, v5
	s_delay_alu instid0(VALU_DEP_1) | instskip(SKIP_2) | instid1(VALU_DEP_1)
	v_exp_f32_e32 v3, v3
	s_waitcnt_depctr 0xfff
	v_ldexp_f32 v3, v3, v4
	v_cndmask_b32_e64 v3, 0, v3, s28
	v_cmp_nlt_f32_e64 s28, 0x42b17218, v67
	s_delay_alu instid0(VALU_DEP_1) | instskip(NEXT) | instid1(VALU_DEP_1)
	v_cndmask_b32_e64 v3, 0x7f800000, v3, s28
	v_fma_mixlo_f16 v3, -v2, v3, v64
	global_store_b16 v[0:1], v3, off offset:128
	s_or_b32 exec_lo, exec_lo, s29
	s_and_saveexec_b32 s28, s27
	s_cbranch_execz .LBB297_69
.LBB297_102:
	s_waitcnt vmcnt(0)
	v_mul_f32_e32 v3, 0x3fb8aa3b, v65
	v_cmp_ngt_f32_e64 s27, 0xc2ce8ed0, v65
	s_delay_alu instid0(VALU_DEP_2) | instskip(SKIP_1) | instid1(VALU_DEP_2)
	v_rndne_f32_e32 v4, v3
	v_fma_f32 v5, 0x3fb8aa3b, v65, -v3
	v_sub_f32_e32 v3, v3, v4
	s_delay_alu instid0(VALU_DEP_2) | instskip(SKIP_1) | instid1(VALU_DEP_2)
	v_fmamk_f32 v5, v65, 0x32a5705f, v5
	v_cvt_i32_f32_e32 v4, v4
	v_add_f32_e32 v3, v3, v5
	s_delay_alu instid0(VALU_DEP_1) | instskip(SKIP_2) | instid1(VALU_DEP_1)
	v_exp_f32_e32 v3, v3
	s_waitcnt_depctr 0xfff
	v_ldexp_f32 v3, v3, v4
	v_cndmask_b32_e64 v3, 0, v3, s27
	v_cmp_nlt_f32_e64 s27, 0x42b17218, v65
	s_delay_alu instid0(VALU_DEP_1) | instskip(NEXT) | instid1(VALU_DEP_1)
	v_cndmask_b32_e64 v3, 0x7f800000, v3, s27
	v_fma_mixlo_f16 v3, -v2, v3, v52
	global_store_b16 v[0:1], v3, off offset:192
	s_or_b32 exec_lo, exec_lo, s28
	s_and_saveexec_b32 s27, s26
	s_cbranch_execz .LBB297_70
.LBB297_103:
	s_waitcnt vmcnt(0)
	v_mul_f32_e32 v3, 0x3fb8aa3b, v63
	v_cmp_ngt_f32_e64 s26, 0xc2ce8ed0, v63
	s_delay_alu instid0(VALU_DEP_2) | instskip(SKIP_1) | instid1(VALU_DEP_2)
	v_rndne_f32_e32 v4, v3
	v_fma_f32 v5, 0x3fb8aa3b, v63, -v3
	v_sub_f32_e32 v3, v3, v4
	s_delay_alu instid0(VALU_DEP_2) | instskip(SKIP_1) | instid1(VALU_DEP_2)
	v_fmamk_f32 v5, v63, 0x32a5705f, v5
	v_cvt_i32_f32_e32 v4, v4
	v_add_f32_e32 v3, v3, v5
	s_delay_alu instid0(VALU_DEP_1) | instskip(SKIP_2) | instid1(VALU_DEP_1)
	v_exp_f32_e32 v3, v3
	s_waitcnt_depctr 0xfff
	v_ldexp_f32 v3, v3, v4
	v_cndmask_b32_e64 v3, 0, v3, s26
	v_cmp_nlt_f32_e64 s26, 0x42b17218, v63
	s_delay_alu instid0(VALU_DEP_1) | instskip(NEXT) | instid1(VALU_DEP_1)
	v_cndmask_b32_e64 v3, 0x7f800000, v3, s26
	v_fma_mixlo_f16 v3, -v2, v3, v61
	global_store_b16 v[0:1], v3, off offset:256
	s_or_b32 exec_lo, exec_lo, s27
	s_and_saveexec_b32 s26, s25
	s_cbranch_execz .LBB297_71
.LBB297_104:
	s_waitcnt vmcnt(0)
	v_mul_f32_e32 v3, 0x3fb8aa3b, v62
	v_cmp_ngt_f32_e64 s25, 0xc2ce8ed0, v62
	s_delay_alu instid0(VALU_DEP_2) | instskip(SKIP_1) | instid1(VALU_DEP_2)
	v_rndne_f32_e32 v4, v3
	v_fma_f32 v5, 0x3fb8aa3b, v62, -v3
	v_sub_f32_e32 v3, v3, v4
	s_delay_alu instid0(VALU_DEP_2) | instskip(SKIP_1) | instid1(VALU_DEP_2)
	v_fmamk_f32 v5, v62, 0x32a5705f, v5
	v_cvt_i32_f32_e32 v4, v4
	v_add_f32_e32 v3, v3, v5
	s_delay_alu instid0(VALU_DEP_1) | instskip(SKIP_2) | instid1(VALU_DEP_1)
	v_exp_f32_e32 v3, v3
	s_waitcnt_depctr 0xfff
	v_ldexp_f32 v3, v3, v4
	v_cndmask_b32_e64 v3, 0, v3, s25
	v_cmp_nlt_f32_e64 s25, 0x42b17218, v62
	s_delay_alu instid0(VALU_DEP_1) | instskip(NEXT) | instid1(VALU_DEP_1)
	v_cndmask_b32_e64 v3, 0x7f800000, v3, s25
	v_fma_mixlo_f16 v3, -v2, v3, v48
	global_store_b16 v[0:1], v3, off offset:320
	s_or_b32 exec_lo, exec_lo, s26
	s_and_saveexec_b32 s25, s24
	s_cbranch_execz .LBB297_72
.LBB297_105:
	s_waitcnt vmcnt(0)
	v_mul_f32_e32 v3, 0x3fb8aa3b, v60
	v_cmp_ngt_f32_e64 s24, 0xc2ce8ed0, v60
	s_delay_alu instid0(VALU_DEP_2) | instskip(SKIP_1) | instid1(VALU_DEP_2)
	v_rndne_f32_e32 v4, v3
	v_fma_f32 v5, 0x3fb8aa3b, v60, -v3
	v_sub_f32_e32 v3, v3, v4
	s_delay_alu instid0(VALU_DEP_2) | instskip(SKIP_1) | instid1(VALU_DEP_2)
	v_fmamk_f32 v5, v60, 0x32a5705f, v5
	v_cvt_i32_f32_e32 v4, v4
	v_add_f32_e32 v3, v3, v5
	s_delay_alu instid0(VALU_DEP_1) | instskip(SKIP_2) | instid1(VALU_DEP_1)
	v_exp_f32_e32 v3, v3
	s_waitcnt_depctr 0xfff
	v_ldexp_f32 v3, v3, v4
	v_cndmask_b32_e64 v3, 0, v3, s24
	v_cmp_nlt_f32_e64 s24, 0x42b17218, v60
	s_delay_alu instid0(VALU_DEP_1) | instskip(NEXT) | instid1(VALU_DEP_1)
	v_cndmask_b32_e64 v3, 0x7f800000, v3, s24
	v_fma_mixlo_f16 v3, -v2, v3, v58
	global_store_b16 v[0:1], v3, off offset:384
	s_or_b32 exec_lo, exec_lo, s25
	s_and_saveexec_b32 s24, s23
	s_cbranch_execz .LBB297_73
.LBB297_106:
	s_waitcnt vmcnt(0)
	v_mul_f32_e32 v3, 0x3fb8aa3b, v59
	v_cmp_ngt_f32_e64 s23, 0xc2ce8ed0, v59
	s_delay_alu instid0(VALU_DEP_2) | instskip(SKIP_1) | instid1(VALU_DEP_2)
	v_rndne_f32_e32 v4, v3
	v_fma_f32 v5, 0x3fb8aa3b, v59, -v3
	v_sub_f32_e32 v3, v3, v4
	s_delay_alu instid0(VALU_DEP_2) | instskip(SKIP_1) | instid1(VALU_DEP_2)
	v_fmamk_f32 v5, v59, 0x32a5705f, v5
	v_cvt_i32_f32_e32 v4, v4
	v_add_f32_e32 v3, v3, v5
	s_delay_alu instid0(VALU_DEP_1) | instskip(SKIP_2) | instid1(VALU_DEP_1)
	v_exp_f32_e32 v3, v3
	s_waitcnt_depctr 0xfff
	v_ldexp_f32 v3, v3, v4
	v_cndmask_b32_e64 v3, 0, v3, s23
	v_cmp_nlt_f32_e64 s23, 0x42b17218, v59
	s_delay_alu instid0(VALU_DEP_1) | instskip(NEXT) | instid1(VALU_DEP_1)
	v_cndmask_b32_e64 v3, 0x7f800000, v3, s23
	v_fma_mixlo_f16 v3, -v2, v3, v44
	global_store_b16 v[0:1], v3, off offset:448
	s_or_b32 exec_lo, exec_lo, s24
	s_and_saveexec_b32 s23, s22
	s_cbranch_execz .LBB297_74
.LBB297_107:
	s_waitcnt vmcnt(0)
	v_mul_f32_e32 v3, 0x3fb8aa3b, v57
	v_cmp_ngt_f32_e64 s22, 0xc2ce8ed0, v57
	s_delay_alu instid0(VALU_DEP_2) | instskip(SKIP_1) | instid1(VALU_DEP_2)
	v_rndne_f32_e32 v4, v3
	v_fma_f32 v5, 0x3fb8aa3b, v57, -v3
	v_sub_f32_e32 v3, v3, v4
	s_delay_alu instid0(VALU_DEP_2) | instskip(SKIP_1) | instid1(VALU_DEP_2)
	v_fmamk_f32 v5, v57, 0x32a5705f, v5
	v_cvt_i32_f32_e32 v4, v4
	v_add_f32_e32 v3, v3, v5
	s_delay_alu instid0(VALU_DEP_1) | instskip(SKIP_2) | instid1(VALU_DEP_1)
	v_exp_f32_e32 v3, v3
	s_waitcnt_depctr 0xfff
	v_ldexp_f32 v3, v3, v4
	v_cndmask_b32_e64 v3, 0, v3, s22
	v_cmp_nlt_f32_e64 s22, 0x42b17218, v57
	s_delay_alu instid0(VALU_DEP_1) | instskip(NEXT) | instid1(VALU_DEP_1)
	v_cndmask_b32_e64 v3, 0x7f800000, v3, s22
	v_fma_mixlo_f16 v3, -v2, v3, v55
	global_store_b16 v[0:1], v3, off offset:512
	s_or_b32 exec_lo, exec_lo, s23
	s_and_saveexec_b32 s22, s21
	s_cbranch_execz .LBB297_75
.LBB297_108:
	s_waitcnt vmcnt(0)
	v_mul_f32_e32 v3, 0x3fb8aa3b, v56
	v_cmp_ngt_f32_e64 s21, 0xc2ce8ed0, v56
	s_delay_alu instid0(VALU_DEP_2) | instskip(SKIP_1) | instid1(VALU_DEP_2)
	v_rndne_f32_e32 v4, v3
	v_fma_f32 v5, 0x3fb8aa3b, v56, -v3
	v_sub_f32_e32 v3, v3, v4
	s_delay_alu instid0(VALU_DEP_2) | instskip(SKIP_1) | instid1(VALU_DEP_2)
	v_fmamk_f32 v5, v56, 0x32a5705f, v5
	v_cvt_i32_f32_e32 v4, v4
	v_add_f32_e32 v3, v3, v5
	s_delay_alu instid0(VALU_DEP_1) | instskip(SKIP_2) | instid1(VALU_DEP_1)
	v_exp_f32_e32 v3, v3
	s_waitcnt_depctr 0xfff
	v_ldexp_f32 v3, v3, v4
	v_cndmask_b32_e64 v3, 0, v3, s21
	v_cmp_nlt_f32_e64 s21, 0x42b17218, v56
	s_delay_alu instid0(VALU_DEP_1) | instskip(NEXT) | instid1(VALU_DEP_1)
	v_cndmask_b32_e64 v3, 0x7f800000, v3, s21
	v_fma_mixlo_f16 v3, -v2, v3, v40
	global_store_b16 v[0:1], v3, off offset:576
	s_or_b32 exec_lo, exec_lo, s22
	s_and_saveexec_b32 s21, s20
	s_cbranch_execz .LBB297_76
.LBB297_109:
	s_waitcnt vmcnt(0)
	v_mul_f32_e32 v3, 0x3fb8aa3b, v54
	v_cmp_ngt_f32_e64 s20, 0xc2ce8ed0, v54
	s_delay_alu instid0(VALU_DEP_2) | instskip(SKIP_1) | instid1(VALU_DEP_2)
	v_rndne_f32_e32 v4, v3
	v_fma_f32 v5, 0x3fb8aa3b, v54, -v3
	v_sub_f32_e32 v3, v3, v4
	s_delay_alu instid0(VALU_DEP_2) | instskip(SKIP_1) | instid1(VALU_DEP_2)
	v_fmamk_f32 v5, v54, 0x32a5705f, v5
	v_cvt_i32_f32_e32 v4, v4
	v_add_f32_e32 v3, v3, v5
	s_delay_alu instid0(VALU_DEP_1) | instskip(SKIP_2) | instid1(VALU_DEP_1)
	v_exp_f32_e32 v3, v3
	s_waitcnt_depctr 0xfff
	v_ldexp_f32 v3, v3, v4
	v_cndmask_b32_e64 v3, 0, v3, s20
	v_cmp_nlt_f32_e64 s20, 0x42b17218, v54
	s_delay_alu instid0(VALU_DEP_1) | instskip(NEXT) | instid1(VALU_DEP_1)
	v_cndmask_b32_e64 v3, 0x7f800000, v3, s20
	v_fma_mixlo_f16 v3, -v2, v3, v50
	global_store_b16 v[0:1], v3, off offset:640
	s_or_b32 exec_lo, exec_lo, s21
	s_and_saveexec_b32 s20, s19
	s_cbranch_execz .LBB297_77
.LBB297_110:
	s_waitcnt vmcnt(0)
	v_mul_f32_e32 v3, 0x3fb8aa3b, v51
	v_cmp_ngt_f32_e64 s19, 0xc2ce8ed0, v51
	s_delay_alu instid0(VALU_DEP_2) | instskip(SKIP_1) | instid1(VALU_DEP_2)
	v_rndne_f32_e32 v4, v3
	v_fma_f32 v5, 0x3fb8aa3b, v51, -v3
	v_sub_f32_e32 v3, v3, v4
	s_delay_alu instid0(VALU_DEP_2) | instskip(SKIP_1) | instid1(VALU_DEP_2)
	v_fmamk_f32 v5, v51, 0x32a5705f, v5
	v_cvt_i32_f32_e32 v4, v4
	v_add_f32_e32 v3, v3, v5
	s_delay_alu instid0(VALU_DEP_1) | instskip(SKIP_2) | instid1(VALU_DEP_1)
	v_exp_f32_e32 v3, v3
	s_waitcnt_depctr 0xfff
	v_ldexp_f32 v3, v3, v4
	v_cndmask_b32_e64 v3, 0, v3, s19
	v_cmp_nlt_f32_e64 s19, 0x42b17218, v51
	s_delay_alu instid0(VALU_DEP_1) | instskip(NEXT) | instid1(VALU_DEP_1)
	v_cndmask_b32_e64 v3, 0x7f800000, v3, s19
	v_fma_mixlo_f16 v3, -v2, v3, v36
	global_store_b16 v[0:1], v3, off offset:704
	s_or_b32 exec_lo, exec_lo, s20
	s_and_saveexec_b32 s19, s18
	s_cbranch_execz .LBB297_78
.LBB297_111:
	s_waitcnt vmcnt(0)
	v_mul_f32_e32 v3, 0x3fb8aa3b, v49
	v_cmp_ngt_f32_e64 s18, 0xc2ce8ed0, v49
	s_delay_alu instid0(VALU_DEP_2) | instskip(SKIP_1) | instid1(VALU_DEP_2)
	v_rndne_f32_e32 v4, v3
	v_fma_f32 v5, 0x3fb8aa3b, v49, -v3
	v_sub_f32_e32 v3, v3, v4
	s_delay_alu instid0(VALU_DEP_2) | instskip(SKIP_1) | instid1(VALU_DEP_2)
	v_fmamk_f32 v5, v49, 0x32a5705f, v5
	v_cvt_i32_f32_e32 v4, v4
	v_add_f32_e32 v3, v3, v5
	s_delay_alu instid0(VALU_DEP_1) | instskip(SKIP_2) | instid1(VALU_DEP_1)
	v_exp_f32_e32 v3, v3
	s_waitcnt_depctr 0xfff
	v_ldexp_f32 v3, v3, v4
	v_cndmask_b32_e64 v3, 0, v3, s18
	v_cmp_nlt_f32_e64 s18, 0x42b17218, v49
	s_delay_alu instid0(VALU_DEP_1) | instskip(NEXT) | instid1(VALU_DEP_1)
	v_cndmask_b32_e64 v3, 0x7f800000, v3, s18
	v_fma_mixlo_f16 v3, -v2, v3, v46
	global_store_b16 v[0:1], v3, off offset:768
	s_or_b32 exec_lo, exec_lo, s19
	s_and_saveexec_b32 s18, s17
	s_cbranch_execz .LBB297_79
.LBB297_112:
	s_waitcnt vmcnt(0)
	v_mul_f32_e32 v3, 0x3fb8aa3b, v47
	v_cmp_ngt_f32_e64 s17, 0xc2ce8ed0, v47
	s_delay_alu instid0(VALU_DEP_2) | instskip(SKIP_1) | instid1(VALU_DEP_2)
	v_rndne_f32_e32 v4, v3
	v_fma_f32 v5, 0x3fb8aa3b, v47, -v3
	v_sub_f32_e32 v3, v3, v4
	s_delay_alu instid0(VALU_DEP_2) | instskip(SKIP_1) | instid1(VALU_DEP_2)
	v_fmamk_f32 v5, v47, 0x32a5705f, v5
	v_cvt_i32_f32_e32 v4, v4
	v_add_f32_e32 v3, v3, v5
	s_delay_alu instid0(VALU_DEP_1) | instskip(SKIP_2) | instid1(VALU_DEP_1)
	v_exp_f32_e32 v3, v3
	s_waitcnt_depctr 0xfff
	v_ldexp_f32 v3, v3, v4
	v_cndmask_b32_e64 v3, 0, v3, s17
	v_cmp_nlt_f32_e64 s17, 0x42b17218, v47
	s_delay_alu instid0(VALU_DEP_1) | instskip(NEXT) | instid1(VALU_DEP_1)
	v_cndmask_b32_e64 v3, 0x7f800000, v3, s17
	v_fma_mixlo_f16 v3, -v2, v3, v32
	global_store_b16 v[0:1], v3, off offset:832
	s_or_b32 exec_lo, exec_lo, s18
	s_and_saveexec_b32 s17, s16
	s_cbranch_execz .LBB297_80
.LBB297_113:
	s_waitcnt vmcnt(0)
	v_mul_f32_e32 v3, 0x3fb8aa3b, v45
	v_cmp_ngt_f32_e64 s16, 0xc2ce8ed0, v45
	s_delay_alu instid0(VALU_DEP_2) | instskip(SKIP_1) | instid1(VALU_DEP_2)
	v_rndne_f32_e32 v4, v3
	v_fma_f32 v5, 0x3fb8aa3b, v45, -v3
	v_sub_f32_e32 v3, v3, v4
	s_delay_alu instid0(VALU_DEP_2) | instskip(SKIP_1) | instid1(VALU_DEP_2)
	v_fmamk_f32 v5, v45, 0x32a5705f, v5
	v_cvt_i32_f32_e32 v4, v4
	v_add_f32_e32 v3, v3, v5
	s_delay_alu instid0(VALU_DEP_1) | instskip(SKIP_2) | instid1(VALU_DEP_1)
	v_exp_f32_e32 v3, v3
	s_waitcnt_depctr 0xfff
	v_ldexp_f32 v3, v3, v4
	v_cndmask_b32_e64 v3, 0, v3, s16
	v_cmp_nlt_f32_e64 s16, 0x42b17218, v45
	s_delay_alu instid0(VALU_DEP_1) | instskip(NEXT) | instid1(VALU_DEP_1)
	v_cndmask_b32_e64 v3, 0x7f800000, v3, s16
	v_fma_mixlo_f16 v3, -v2, v3, v42
	global_store_b16 v[0:1], v3, off offset:896
	s_or_b32 exec_lo, exec_lo, s17
	s_and_saveexec_b32 s16, s15
	s_cbranch_execz .LBB297_81
.LBB297_114:
	s_waitcnt vmcnt(0)
	v_mul_f32_e32 v3, 0x3fb8aa3b, v43
	v_cmp_ngt_f32_e64 s15, 0xc2ce8ed0, v43
	s_delay_alu instid0(VALU_DEP_2) | instskip(SKIP_1) | instid1(VALU_DEP_2)
	v_rndne_f32_e32 v4, v3
	v_fma_f32 v5, 0x3fb8aa3b, v43, -v3
	v_sub_f32_e32 v3, v3, v4
	s_delay_alu instid0(VALU_DEP_2) | instskip(SKIP_1) | instid1(VALU_DEP_2)
	v_fmamk_f32 v5, v43, 0x32a5705f, v5
	v_cvt_i32_f32_e32 v4, v4
	v_add_f32_e32 v3, v3, v5
	s_delay_alu instid0(VALU_DEP_1) | instskip(SKIP_2) | instid1(VALU_DEP_1)
	v_exp_f32_e32 v3, v3
	s_waitcnt_depctr 0xfff
	v_ldexp_f32 v3, v3, v4
	v_cndmask_b32_e64 v3, 0, v3, s15
	v_cmp_nlt_f32_e64 s15, 0x42b17218, v43
	s_delay_alu instid0(VALU_DEP_1) | instskip(NEXT) | instid1(VALU_DEP_1)
	v_cndmask_b32_e64 v3, 0x7f800000, v3, s15
	v_fma_mixlo_f16 v3, -v2, v3, v28
	global_store_b16 v[0:1], v3, off offset:960
	s_or_b32 exec_lo, exec_lo, s16
	s_and_saveexec_b32 s15, s14
	s_cbranch_execz .LBB297_82
.LBB297_115:
	s_waitcnt vmcnt(0)
	v_mul_f32_e32 v3, 0x3fb8aa3b, v41
	v_cmp_ngt_f32_e64 s14, 0xc2ce8ed0, v41
	s_delay_alu instid0(VALU_DEP_2) | instskip(SKIP_1) | instid1(VALU_DEP_2)
	v_rndne_f32_e32 v4, v3
	v_fma_f32 v5, 0x3fb8aa3b, v41, -v3
	v_sub_f32_e32 v3, v3, v4
	s_delay_alu instid0(VALU_DEP_2) | instskip(SKIP_1) | instid1(VALU_DEP_2)
	v_fmamk_f32 v5, v41, 0x32a5705f, v5
	v_cvt_i32_f32_e32 v4, v4
	v_add_f32_e32 v3, v3, v5
	s_delay_alu instid0(VALU_DEP_1) | instskip(SKIP_2) | instid1(VALU_DEP_1)
	v_exp_f32_e32 v3, v3
	s_waitcnt_depctr 0xfff
	v_ldexp_f32 v3, v3, v4
	v_cndmask_b32_e64 v3, 0, v3, s14
	v_cmp_nlt_f32_e64 s14, 0x42b17218, v41
	s_delay_alu instid0(VALU_DEP_1) | instskip(NEXT) | instid1(VALU_DEP_1)
	v_cndmask_b32_e64 v3, 0x7f800000, v3, s14
	v_fma_mixlo_f16 v3, -v2, v3, v38
	global_store_b16 v[0:1], v3, off offset:1024
	s_or_b32 exec_lo, exec_lo, s15
	s_and_saveexec_b32 s14, s13
	s_cbranch_execz .LBB297_83
.LBB297_116:
	s_waitcnt vmcnt(0)
	v_mul_f32_e32 v3, 0x3fb8aa3b, v39
	v_cmp_ngt_f32_e64 s13, 0xc2ce8ed0, v39
	s_delay_alu instid0(VALU_DEP_2) | instskip(SKIP_1) | instid1(VALU_DEP_2)
	v_rndne_f32_e32 v4, v3
	v_fma_f32 v5, 0x3fb8aa3b, v39, -v3
	v_sub_f32_e32 v3, v3, v4
	s_delay_alu instid0(VALU_DEP_2) | instskip(SKIP_1) | instid1(VALU_DEP_2)
	v_fmamk_f32 v5, v39, 0x32a5705f, v5
	v_cvt_i32_f32_e32 v4, v4
	v_add_f32_e32 v3, v3, v5
	s_delay_alu instid0(VALU_DEP_1) | instskip(SKIP_2) | instid1(VALU_DEP_1)
	v_exp_f32_e32 v3, v3
	s_waitcnt_depctr 0xfff
	v_ldexp_f32 v3, v3, v4
	v_cndmask_b32_e64 v3, 0, v3, s13
	v_cmp_nlt_f32_e64 s13, 0x42b17218, v39
	s_delay_alu instid0(VALU_DEP_1) | instskip(NEXT) | instid1(VALU_DEP_1)
	v_cndmask_b32_e64 v3, 0x7f800000, v3, s13
	v_fma_mixlo_f16 v3, -v2, v3, v24
	global_store_b16 v[0:1], v3, off offset:1088
	s_or_b32 exec_lo, exec_lo, s14
	s_and_saveexec_b32 s13, s12
	s_cbranch_execz .LBB297_84
.LBB297_117:
	s_waitcnt vmcnt(0)
	v_mul_f32_e32 v3, 0x3fb8aa3b, v37
	v_cmp_ngt_f32_e64 s12, 0xc2ce8ed0, v37
	s_delay_alu instid0(VALU_DEP_2) | instskip(SKIP_1) | instid1(VALU_DEP_2)
	v_rndne_f32_e32 v4, v3
	v_fma_f32 v5, 0x3fb8aa3b, v37, -v3
	v_sub_f32_e32 v3, v3, v4
	s_delay_alu instid0(VALU_DEP_2) | instskip(SKIP_1) | instid1(VALU_DEP_2)
	v_fmamk_f32 v5, v37, 0x32a5705f, v5
	v_cvt_i32_f32_e32 v4, v4
	v_add_f32_e32 v3, v3, v5
	s_delay_alu instid0(VALU_DEP_1) | instskip(SKIP_2) | instid1(VALU_DEP_1)
	v_exp_f32_e32 v3, v3
	s_waitcnt_depctr 0xfff
	v_ldexp_f32 v3, v3, v4
	v_cndmask_b32_e64 v3, 0, v3, s12
	v_cmp_nlt_f32_e64 s12, 0x42b17218, v37
	s_delay_alu instid0(VALU_DEP_1) | instskip(NEXT) | instid1(VALU_DEP_1)
	v_cndmask_b32_e64 v3, 0x7f800000, v3, s12
	v_fma_mixlo_f16 v3, -v2, v3, v34
	global_store_b16 v[0:1], v3, off offset:1152
	s_or_b32 exec_lo, exec_lo, s13
	s_and_saveexec_b32 s12, s11
	s_cbranch_execz .LBB297_85
.LBB297_118:
	s_waitcnt vmcnt(0)
	v_mul_f32_e32 v3, 0x3fb8aa3b, v35
	v_cmp_ngt_f32_e64 s11, 0xc2ce8ed0, v35
	s_delay_alu instid0(VALU_DEP_2) | instskip(SKIP_1) | instid1(VALU_DEP_2)
	v_rndne_f32_e32 v4, v3
	v_fma_f32 v5, 0x3fb8aa3b, v35, -v3
	v_sub_f32_e32 v3, v3, v4
	s_delay_alu instid0(VALU_DEP_2) | instskip(SKIP_1) | instid1(VALU_DEP_2)
	v_fmamk_f32 v5, v35, 0x32a5705f, v5
	v_cvt_i32_f32_e32 v4, v4
	v_add_f32_e32 v3, v3, v5
	s_delay_alu instid0(VALU_DEP_1) | instskip(SKIP_2) | instid1(VALU_DEP_1)
	v_exp_f32_e32 v3, v3
	s_waitcnt_depctr 0xfff
	v_ldexp_f32 v3, v3, v4
	v_cndmask_b32_e64 v3, 0, v3, s11
	v_cmp_nlt_f32_e64 s11, 0x42b17218, v35
	s_delay_alu instid0(VALU_DEP_1) | instskip(NEXT) | instid1(VALU_DEP_1)
	v_cndmask_b32_e64 v3, 0x7f800000, v3, s11
	v_fma_mixlo_f16 v3, -v2, v3, v20
	global_store_b16 v[0:1], v3, off offset:1216
	s_or_b32 exec_lo, exec_lo, s12
	s_and_saveexec_b32 s11, s10
	s_cbranch_execz .LBB297_86
.LBB297_119:
	s_waitcnt vmcnt(0)
	v_mul_f32_e32 v3, 0x3fb8aa3b, v33
	v_cmp_ngt_f32_e64 s10, 0xc2ce8ed0, v33
	s_delay_alu instid0(VALU_DEP_2) | instskip(SKIP_1) | instid1(VALU_DEP_2)
	v_rndne_f32_e32 v4, v3
	v_fma_f32 v5, 0x3fb8aa3b, v33, -v3
	v_sub_f32_e32 v3, v3, v4
	s_delay_alu instid0(VALU_DEP_2) | instskip(SKIP_1) | instid1(VALU_DEP_2)
	v_fmamk_f32 v5, v33, 0x32a5705f, v5
	v_cvt_i32_f32_e32 v4, v4
	v_add_f32_e32 v3, v3, v5
	s_delay_alu instid0(VALU_DEP_1) | instskip(SKIP_2) | instid1(VALU_DEP_1)
	v_exp_f32_e32 v3, v3
	s_waitcnt_depctr 0xfff
	v_ldexp_f32 v3, v3, v4
	v_cndmask_b32_e64 v3, 0, v3, s10
	v_cmp_nlt_f32_e64 s10, 0x42b17218, v33
	s_delay_alu instid0(VALU_DEP_1) | instskip(NEXT) | instid1(VALU_DEP_1)
	v_cndmask_b32_e64 v3, 0x7f800000, v3, s10
	v_fma_mixlo_f16 v3, -v2, v3, v30
	global_store_b16 v[0:1], v3, off offset:1280
	s_or_b32 exec_lo, exec_lo, s11
	s_and_saveexec_b32 s10, s9
	s_cbranch_execz .LBB297_87
.LBB297_120:
	s_waitcnt vmcnt(0)
	v_mul_f32_e32 v3, 0x3fb8aa3b, v31
	v_cmp_ngt_f32_e64 s9, 0xc2ce8ed0, v31
	s_delay_alu instid0(VALU_DEP_2) | instskip(SKIP_1) | instid1(VALU_DEP_2)
	v_rndne_f32_e32 v4, v3
	v_fma_f32 v5, 0x3fb8aa3b, v31, -v3
	v_sub_f32_e32 v3, v3, v4
	s_delay_alu instid0(VALU_DEP_2) | instskip(SKIP_1) | instid1(VALU_DEP_2)
	v_fmamk_f32 v5, v31, 0x32a5705f, v5
	v_cvt_i32_f32_e32 v4, v4
	v_add_f32_e32 v3, v3, v5
	s_delay_alu instid0(VALU_DEP_1) | instskip(SKIP_2) | instid1(VALU_DEP_1)
	v_exp_f32_e32 v3, v3
	s_waitcnt_depctr 0xfff
	v_ldexp_f32 v3, v3, v4
	v_cndmask_b32_e64 v3, 0, v3, s9
	v_cmp_nlt_f32_e64 s9, 0x42b17218, v31
	s_delay_alu instid0(VALU_DEP_1) | instskip(NEXT) | instid1(VALU_DEP_1)
	v_cndmask_b32_e64 v3, 0x7f800000, v3, s9
	v_fma_mixlo_f16 v3, -v2, v3, v16
	global_store_b16 v[0:1], v3, off offset:1344
	s_or_b32 exec_lo, exec_lo, s10
	s_and_saveexec_b32 s9, s8
	s_cbranch_execz .LBB297_88
.LBB297_121:
	s_waitcnt vmcnt(0)
	v_mul_f32_e32 v3, 0x3fb8aa3b, v29
	v_cmp_ngt_f32_e64 s8, 0xc2ce8ed0, v29
	s_delay_alu instid0(VALU_DEP_2) | instskip(SKIP_1) | instid1(VALU_DEP_2)
	v_rndne_f32_e32 v4, v3
	v_fma_f32 v5, 0x3fb8aa3b, v29, -v3
	v_sub_f32_e32 v3, v3, v4
	s_delay_alu instid0(VALU_DEP_2) | instskip(SKIP_1) | instid1(VALU_DEP_2)
	v_fmamk_f32 v5, v29, 0x32a5705f, v5
	v_cvt_i32_f32_e32 v4, v4
	v_add_f32_e32 v3, v3, v5
	s_delay_alu instid0(VALU_DEP_1) | instskip(SKIP_2) | instid1(VALU_DEP_1)
	v_exp_f32_e32 v3, v3
	s_waitcnt_depctr 0xfff
	v_ldexp_f32 v3, v3, v4
	v_cndmask_b32_e64 v3, 0, v3, s8
	v_cmp_nlt_f32_e64 s8, 0x42b17218, v29
	s_delay_alu instid0(VALU_DEP_1) | instskip(NEXT) | instid1(VALU_DEP_1)
	v_cndmask_b32_e64 v3, 0x7f800000, v3, s8
	v_fma_mixlo_f16 v3, -v2, v3, v26
	global_store_b16 v[0:1], v3, off offset:1408
	s_or_b32 exec_lo, exec_lo, s9
	s_and_saveexec_b32 s8, s7
	s_cbranch_execz .LBB297_89
.LBB297_122:
	s_waitcnt vmcnt(0)
	v_mul_f32_e32 v3, 0x3fb8aa3b, v27
	v_cmp_ngt_f32_e64 s7, 0xc2ce8ed0, v27
	s_delay_alu instid0(VALU_DEP_2) | instskip(SKIP_1) | instid1(VALU_DEP_2)
	v_rndne_f32_e32 v4, v3
	v_fma_f32 v5, 0x3fb8aa3b, v27, -v3
	v_sub_f32_e32 v3, v3, v4
	s_delay_alu instid0(VALU_DEP_2) | instskip(SKIP_1) | instid1(VALU_DEP_2)
	v_fmamk_f32 v5, v27, 0x32a5705f, v5
	v_cvt_i32_f32_e32 v4, v4
	v_add_f32_e32 v3, v3, v5
	s_delay_alu instid0(VALU_DEP_1) | instskip(SKIP_2) | instid1(VALU_DEP_1)
	v_exp_f32_e32 v3, v3
	s_waitcnt_depctr 0xfff
	v_ldexp_f32 v3, v3, v4
	v_cndmask_b32_e64 v3, 0, v3, s7
	v_cmp_nlt_f32_e64 s7, 0x42b17218, v27
	s_delay_alu instid0(VALU_DEP_1) | instskip(NEXT) | instid1(VALU_DEP_1)
	v_cndmask_b32_e64 v3, 0x7f800000, v3, s7
	v_fma_mixlo_f16 v3, -v2, v3, v12
	global_store_b16 v[0:1], v3, off offset:1472
	s_or_b32 exec_lo, exec_lo, s8
	s_and_saveexec_b32 s7, s6
	s_cbranch_execz .LBB297_90
.LBB297_123:
	s_waitcnt vmcnt(0)
	v_mul_f32_e32 v3, 0x3fb8aa3b, v25
	v_cmp_ngt_f32_e64 s6, 0xc2ce8ed0, v25
	s_delay_alu instid0(VALU_DEP_2) | instskip(SKIP_1) | instid1(VALU_DEP_2)
	v_rndne_f32_e32 v4, v3
	v_fma_f32 v5, 0x3fb8aa3b, v25, -v3
	v_sub_f32_e32 v3, v3, v4
	s_delay_alu instid0(VALU_DEP_2) | instskip(SKIP_1) | instid1(VALU_DEP_2)
	v_fmamk_f32 v5, v25, 0x32a5705f, v5
	v_cvt_i32_f32_e32 v4, v4
	v_add_f32_e32 v3, v3, v5
	s_delay_alu instid0(VALU_DEP_1) | instskip(SKIP_2) | instid1(VALU_DEP_1)
	v_exp_f32_e32 v3, v3
	s_waitcnt_depctr 0xfff
	v_ldexp_f32 v3, v3, v4
	v_cndmask_b32_e64 v3, 0, v3, s6
	v_cmp_nlt_f32_e64 s6, 0x42b17218, v25
	s_delay_alu instid0(VALU_DEP_1) | instskip(NEXT) | instid1(VALU_DEP_1)
	v_cndmask_b32_e64 v3, 0x7f800000, v3, s6
	v_fma_mixlo_f16 v3, -v2, v3, v22
	global_store_b16 v[0:1], v3, off offset:1536
	s_or_b32 exec_lo, exec_lo, s7
	s_and_saveexec_b32 s6, s5
	s_cbranch_execz .LBB297_91
.LBB297_124:
	s_waitcnt vmcnt(0)
	v_mul_f32_e32 v3, 0x3fb8aa3b, v23
	v_cmp_ngt_f32_e64 s5, 0xc2ce8ed0, v23
	s_delay_alu instid0(VALU_DEP_2) | instskip(SKIP_1) | instid1(VALU_DEP_2)
	v_rndne_f32_e32 v4, v3
	v_fma_f32 v5, 0x3fb8aa3b, v23, -v3
	v_sub_f32_e32 v3, v3, v4
	s_delay_alu instid0(VALU_DEP_2) | instskip(SKIP_1) | instid1(VALU_DEP_2)
	v_fmamk_f32 v5, v23, 0x32a5705f, v5
	v_cvt_i32_f32_e32 v4, v4
	v_add_f32_e32 v3, v3, v5
	s_delay_alu instid0(VALU_DEP_1) | instskip(SKIP_2) | instid1(VALU_DEP_1)
	v_exp_f32_e32 v3, v3
	s_waitcnt_depctr 0xfff
	v_ldexp_f32 v3, v3, v4
	v_cndmask_b32_e64 v3, 0, v3, s5
	v_cmp_nlt_f32_e64 s5, 0x42b17218, v23
	s_delay_alu instid0(VALU_DEP_1) | instskip(NEXT) | instid1(VALU_DEP_1)
	v_cndmask_b32_e64 v3, 0x7f800000, v3, s5
	v_fma_mixlo_f16 v3, -v2, v3, v9
	global_store_b16 v[0:1], v3, off offset:1600
	s_or_b32 exec_lo, exec_lo, s6
	s_and_saveexec_b32 s5, s4
	s_cbranch_execz .LBB297_92
.LBB297_125:
	s_waitcnt vmcnt(0)
	v_mul_f32_e32 v3, 0x3fb8aa3b, v21
	v_cmp_ngt_f32_e64 s4, 0xc2ce8ed0, v21
	s_delay_alu instid0(VALU_DEP_2) | instskip(SKIP_1) | instid1(VALU_DEP_2)
	v_rndne_f32_e32 v4, v3
	v_fma_f32 v5, 0x3fb8aa3b, v21, -v3
	v_sub_f32_e32 v3, v3, v4
	s_delay_alu instid0(VALU_DEP_2) | instskip(SKIP_1) | instid1(VALU_DEP_2)
	v_fmamk_f32 v5, v21, 0x32a5705f, v5
	v_cvt_i32_f32_e32 v4, v4
	v_add_f32_e32 v3, v3, v5
	s_delay_alu instid0(VALU_DEP_1) | instskip(SKIP_2) | instid1(VALU_DEP_1)
	v_exp_f32_e32 v3, v3
	s_waitcnt_depctr 0xfff
	v_ldexp_f32 v3, v3, v4
	v_cndmask_b32_e64 v3, 0, v3, s4
	v_cmp_nlt_f32_e64 s4, 0x42b17218, v21
	s_delay_alu instid0(VALU_DEP_1) | instskip(NEXT) | instid1(VALU_DEP_1)
	v_cndmask_b32_e64 v3, 0x7f800000, v3, s4
	v_fma_mixlo_f16 v3, -v2, v3, v18
	global_store_b16 v[0:1], v3, off offset:1664
	s_or_b32 exec_lo, exec_lo, s5
	s_and_saveexec_b32 s4, s3
	s_cbranch_execz .LBB297_93
.LBB297_126:
	s_waitcnt vmcnt(0)
	v_mul_f32_e32 v3, 0x3fb8aa3b, v19
	v_cmp_ngt_f32_e64 s3, 0xc2ce8ed0, v19
	s_delay_alu instid0(VALU_DEP_2) | instskip(SKIP_1) | instid1(VALU_DEP_2)
	v_rndne_f32_e32 v4, v3
	v_fma_f32 v5, 0x3fb8aa3b, v19, -v3
	v_sub_f32_e32 v3, v3, v4
	s_delay_alu instid0(VALU_DEP_2) | instskip(SKIP_1) | instid1(VALU_DEP_2)
	v_fmamk_f32 v5, v19, 0x32a5705f, v5
	v_cvt_i32_f32_e32 v4, v4
	v_add_f32_e32 v3, v3, v5
	s_delay_alu instid0(VALU_DEP_1) | instskip(SKIP_2) | instid1(VALU_DEP_1)
	v_exp_f32_e32 v3, v3
	s_waitcnt_depctr 0xfff
	v_ldexp_f32 v3, v3, v4
	v_cndmask_b32_e64 v3, 0, v3, s3
	v_cmp_nlt_f32_e64 s3, 0x42b17218, v19
	s_delay_alu instid0(VALU_DEP_1) | instskip(NEXT) | instid1(VALU_DEP_1)
	v_cndmask_b32_e64 v3, 0x7f800000, v3, s3
	v_fma_mixlo_f16 v3, -v2, v3, v8
	global_store_b16 v[0:1], v3, off offset:1728
	s_or_b32 exec_lo, exec_lo, s4
	s_and_saveexec_b32 s3, s2
	s_cbranch_execz .LBB297_94
.LBB297_127:
	s_waitcnt vmcnt(0)
	v_mul_f32_e32 v3, 0x3fb8aa3b, v17
	v_cmp_ngt_f32_e64 s2, 0xc2ce8ed0, v17
	s_delay_alu instid0(VALU_DEP_2) | instskip(SKIP_1) | instid1(VALU_DEP_2)
	v_rndne_f32_e32 v4, v3
	v_fma_f32 v5, 0x3fb8aa3b, v17, -v3
	v_sub_f32_e32 v3, v3, v4
	s_delay_alu instid0(VALU_DEP_2) | instskip(SKIP_1) | instid1(VALU_DEP_2)
	v_fmamk_f32 v5, v17, 0x32a5705f, v5
	v_cvt_i32_f32_e32 v4, v4
	v_add_f32_e32 v3, v3, v5
	s_delay_alu instid0(VALU_DEP_1) | instskip(SKIP_2) | instid1(VALU_DEP_1)
	v_exp_f32_e32 v3, v3
	s_waitcnt_depctr 0xfff
	v_ldexp_f32 v3, v3, v4
	v_cndmask_b32_e64 v3, 0, v3, s2
	v_cmp_nlt_f32_e64 s2, 0x42b17218, v17
	s_delay_alu instid0(VALU_DEP_1) | instskip(NEXT) | instid1(VALU_DEP_1)
	v_cndmask_b32_e64 v3, 0x7f800000, v3, s2
	v_fma_mixlo_f16 v3, -v2, v3, v14
	global_store_b16 v[0:1], v3, off offset:1792
	s_or_b32 exec_lo, exec_lo, s3
	s_and_saveexec_b32 s2, s1
	s_cbranch_execz .LBB297_95
.LBB297_128:
	s_waitcnt vmcnt(0)
	v_mul_f32_e32 v3, 0x3fb8aa3b, v15
	v_cmp_ngt_f32_e64 s1, 0xc2ce8ed0, v15
	s_delay_alu instid0(VALU_DEP_2) | instskip(SKIP_1) | instid1(VALU_DEP_2)
	v_rndne_f32_e32 v4, v3
	v_fma_f32 v5, 0x3fb8aa3b, v15, -v3
	v_sub_f32_e32 v3, v3, v4
	s_delay_alu instid0(VALU_DEP_2) | instskip(SKIP_1) | instid1(VALU_DEP_2)
	v_fmamk_f32 v5, v15, 0x32a5705f, v5
	v_cvt_i32_f32_e32 v4, v4
	v_add_f32_e32 v3, v3, v5
	s_delay_alu instid0(VALU_DEP_1) | instskip(SKIP_2) | instid1(VALU_DEP_1)
	v_exp_f32_e32 v3, v3
	s_waitcnt_depctr 0xfff
	v_ldexp_f32 v3, v3, v4
	v_cndmask_b32_e64 v3, 0, v3, s1
	v_cmp_nlt_f32_e64 s1, 0x42b17218, v15
	s_delay_alu instid0(VALU_DEP_1) | instskip(NEXT) | instid1(VALU_DEP_1)
	v_cndmask_b32_e64 v3, 0x7f800000, v3, s1
	v_fma_mixlo_f16 v3, -v2, v3, v7
	global_store_b16 v[0:1], v3, off offset:1856
	s_or_b32 exec_lo, exec_lo, s2
	s_and_saveexec_b32 s1, s0
	s_cbranch_execz .LBB297_96
.LBB297_129:
	s_waitcnt vmcnt(0)
	v_mul_f32_e32 v3, 0x3fb8aa3b, v13
	v_cmp_ngt_f32_e64 s0, 0xc2ce8ed0, v13
	s_delay_alu instid0(VALU_DEP_2) | instskip(SKIP_1) | instid1(VALU_DEP_2)
	v_rndne_f32_e32 v4, v3
	v_fma_f32 v5, 0x3fb8aa3b, v13, -v3
	v_sub_f32_e32 v3, v3, v4
	s_delay_alu instid0(VALU_DEP_2) | instskip(SKIP_1) | instid1(VALU_DEP_2)
	v_fmamk_f32 v5, v13, 0x32a5705f, v5
	v_cvt_i32_f32_e32 v4, v4
	v_add_f32_e32 v3, v3, v5
	s_delay_alu instid0(VALU_DEP_1) | instskip(SKIP_2) | instid1(VALU_DEP_1)
	v_exp_f32_e32 v3, v3
	s_waitcnt_depctr 0xfff
	v_ldexp_f32 v3, v3, v4
	v_cndmask_b32_e64 v3, 0, v3, s0
	v_cmp_nlt_f32_e64 s0, 0x42b17218, v13
	s_delay_alu instid0(VALU_DEP_1) | instskip(NEXT) | instid1(VALU_DEP_1)
	v_cndmask_b32_e64 v3, 0x7f800000, v3, s0
	v_fma_mixlo_f16 v3, -v2, v3, v10
	global_store_b16 v[0:1], v3, off offset:1920
	s_or_b32 exec_lo, exec_lo, s1
	s_delay_alu instid0(SALU_CYCLE_1)
	s_and_b32 exec_lo, exec_lo, vcc_lo
	s_cbranch_execnz .LBB297_97
	s_branch .LBB297_98
	.section	.rodata,"a",@progbits
	.p2align	6, 0x0
	.amdhsa_kernel _ZN12_GLOBAL__N_121softmax_warp_backwardIfN3c104HalfEfLi10ELb1ELb0ELi32EEEvPT0_PKT_S7_iiiPKb
		.amdhsa_group_segment_fixed_size 0
		.amdhsa_private_segment_fixed_size 0
		.amdhsa_kernarg_size 304
		.amdhsa_user_sgpr_count 15
		.amdhsa_user_sgpr_dispatch_ptr 0
		.amdhsa_user_sgpr_queue_ptr 0
		.amdhsa_user_sgpr_kernarg_segment_ptr 1
		.amdhsa_user_sgpr_dispatch_id 0
		.amdhsa_user_sgpr_private_segment_size 0
		.amdhsa_wavefront_size32 1
		.amdhsa_uses_dynamic_stack 0
		.amdhsa_enable_private_segment 0
		.amdhsa_system_sgpr_workgroup_id_x 1
		.amdhsa_system_sgpr_workgroup_id_y 0
		.amdhsa_system_sgpr_workgroup_id_z 0
		.amdhsa_system_sgpr_workgroup_info 0
		.amdhsa_system_vgpr_workitem_id 1
		.amdhsa_next_free_vgpr 71
		.amdhsa_next_free_sgpr 44
		.amdhsa_reserve_vcc 1
		.amdhsa_float_round_mode_32 0
		.amdhsa_float_round_mode_16_64 0
		.amdhsa_float_denorm_mode_32 3
		.amdhsa_float_denorm_mode_16_64 3
		.amdhsa_dx10_clamp 1
		.amdhsa_ieee_mode 1
		.amdhsa_fp16_overflow 0
		.amdhsa_workgroup_processor_mode 1
		.amdhsa_memory_ordered 1
		.amdhsa_forward_progress 0
		.amdhsa_shared_vgpr_count 0
		.amdhsa_exception_fp_ieee_invalid_op 0
		.amdhsa_exception_fp_denorm_src 0
		.amdhsa_exception_fp_ieee_div_zero 0
		.amdhsa_exception_fp_ieee_overflow 0
		.amdhsa_exception_fp_ieee_underflow 0
		.amdhsa_exception_fp_ieee_inexact 0
		.amdhsa_exception_int_div_zero 0
	.end_amdhsa_kernel
	.section	.text._ZN12_GLOBAL__N_121softmax_warp_backwardIfN3c104HalfEfLi10ELb1ELb0ELi32EEEvPT0_PKT_S7_iiiPKb,"axG",@progbits,_ZN12_GLOBAL__N_121softmax_warp_backwardIfN3c104HalfEfLi10ELb1ELb0ELi32EEEvPT0_PKT_S7_iiiPKb,comdat
.Lfunc_end297:
	.size	_ZN12_GLOBAL__N_121softmax_warp_backwardIfN3c104HalfEfLi10ELb1ELb0ELi32EEEvPT0_PKT_S7_iiiPKb, .Lfunc_end297-_ZN12_GLOBAL__N_121softmax_warp_backwardIfN3c104HalfEfLi10ELb1ELb0ELi32EEEvPT0_PKT_S7_iiiPKb
                                        ; -- End function
	.section	.AMDGPU.csdata,"",@progbits
; Kernel info:
; codeLenInByte = 7880
; NumSgprs: 46
; NumVgprs: 71
; ScratchSize: 0
; MemoryBound: 0
; FloatMode: 240
; IeeeMode: 1
; LDSByteSize: 0 bytes/workgroup (compile time only)
; SGPRBlocks: 5
; VGPRBlocks: 8
; NumSGPRsForWavesPerEU: 46
; NumVGPRsForWavesPerEU: 71
; Occupancy: 16
; WaveLimiterHint : 0
; COMPUTE_PGM_RSRC2:SCRATCH_EN: 0
; COMPUTE_PGM_RSRC2:USER_SGPR: 15
; COMPUTE_PGM_RSRC2:TRAP_HANDLER: 0
; COMPUTE_PGM_RSRC2:TGID_X_EN: 1
; COMPUTE_PGM_RSRC2:TGID_Y_EN: 0
; COMPUTE_PGM_RSRC2:TGID_Z_EN: 0
; COMPUTE_PGM_RSRC2:TIDIG_COMP_CNT: 1
	.section	.text._ZN2at6native12_GLOBAL__N_124cunn_SoftMaxBackwardSmemILi4EN3c104HalfEffNS1_26LogSoftMaxBackwardEpilogueEEEvPT0_PKT2_SA_l,"axG",@progbits,_ZN2at6native12_GLOBAL__N_124cunn_SoftMaxBackwardSmemILi4EN3c104HalfEffNS1_26LogSoftMaxBackwardEpilogueEEEvPT0_PKT2_SA_l,comdat
	.globl	_ZN2at6native12_GLOBAL__N_124cunn_SoftMaxBackwardSmemILi4EN3c104HalfEffNS1_26LogSoftMaxBackwardEpilogueEEEvPT0_PKT2_SA_l ; -- Begin function _ZN2at6native12_GLOBAL__N_124cunn_SoftMaxBackwardSmemILi4EN3c104HalfEffNS1_26LogSoftMaxBackwardEpilogueEEEvPT0_PKT2_SA_l
	.p2align	8
	.type	_ZN2at6native12_GLOBAL__N_124cunn_SoftMaxBackwardSmemILi4EN3c104HalfEffNS1_26LogSoftMaxBackwardEpilogueEEEvPT0_PKT2_SA_l,@function
_ZN2at6native12_GLOBAL__N_124cunn_SoftMaxBackwardSmemILi4EN3c104HalfEffNS1_26LogSoftMaxBackwardEpilogueEEEvPT0_PKT2_SA_l: ; @_ZN2at6native12_GLOBAL__N_124cunn_SoftMaxBackwardSmemILi4EN3c104HalfEffNS1_26LogSoftMaxBackwardEpilogueEEEvPT0_PKT2_SA_l
; %bb.0:
	s_load_b256 s[4:11], s[0:1], 0x0
	v_dual_mov_b32 v2, 0 :: v_dual_lshlrev_b32 v1, 2, v0
	v_lshl_add_u32 v5, v0, 4, 0
	s_waitcnt lgkmcnt(0)
	s_delay_alu instid0(VALU_DEP_2)
	v_cmp_gt_i64_e32 vcc_lo, s[10:11], v[1:2]
	s_mul_i32 s2, s15, s11
	s_mul_hi_u32 s3, s15, s10
	s_mul_i32 s12, s15, s10
	s_add_i32 s13, s3, s2
	s_and_saveexec_b32 s3, vcc_lo
	s_cbranch_execz .LBB298_4
; %bb.1:
	s_load_b32 s2, s[0:1], 0x2c
	s_lshl_b64 s[14:15], s[12:13], 2
	v_lshl_add_u32 v6, v0, 4, 0
	s_add_u32 s8, s8, s14
	s_addc_u32 s9, s9, s15
	v_dual_mov_b32 v2, 0 :: v_dual_mov_b32 v3, v0
	s_mov_b32 s15, 0
	s_waitcnt lgkmcnt(0)
	s_and_b32 s14, s2, 0xffff
	s_delay_alu instid0(SALU_CYCLE_1)
	v_add_lshl_u32 v1, v0, s14, 2
	s_lshl_b32 s16, s14, 2
	s_lshl_b32 s17, s14, 4
	.p2align	6
.LBB298_2:                              ; =>This Inner Loop Header: Depth=1
	v_ashrrev_i32_e32 v4, 31, v3
	s_delay_alu instid0(VALU_DEP_1) | instskip(SKIP_1) | instid1(VALU_DEP_2)
	v_lshlrev_b64 v[7:8], 4, v[3:4]
	v_add_nc_u32_e32 v3, s14, v3
	v_add_co_u32 v7, s2, s8, v7
	s_delay_alu instid0(VALU_DEP_1)
	v_add_co_ci_u32_e64 v8, s2, s9, v8, s2
	global_load_b128 v[7:10], v[7:8], off
	s_waitcnt vmcnt(0)
	v_add_f32_e32 v2, v2, v7
	ds_store_b128 v6, v[7:10]
	v_add_nc_u32_e32 v6, s17, v6
	v_add_f32_e32 v4, v2, v8
	v_ashrrev_i32_e32 v2, 31, v1
	s_delay_alu instid0(VALU_DEP_2) | instskip(NEXT) | instid1(VALU_DEP_2)
	v_add_f32_e32 v4, v4, v9
	v_cmp_le_i64_e64 s2, s[10:11], v[1:2]
	s_delay_alu instid0(VALU_DEP_2) | instskip(NEXT) | instid1(VALU_DEP_2)
	v_dual_add_f32 v2, v4, v10 :: v_dual_add_nc_u32 v1, s16, v1
	s_or_b32 s15, s2, s15
	s_delay_alu instid0(SALU_CYCLE_1)
	s_and_not1_b32 exec_lo, exec_lo, s15
	s_cbranch_execnz .LBB298_2
; %bb.3:
	s_or_b32 exec_lo, exec_lo, s15
.LBB298_4:
	s_delay_alu instid0(SALU_CYCLE_1)
	s_or_b32 exec_lo, exec_lo, s3
	v_mbcnt_lo_u32_b32 v6, -1, 0
	s_lshl_b32 s3, s10, 2
	s_mov_b32 s8, exec_lo
	s_add_i32 s3, s3, 0
	s_waitcnt lgkmcnt(0)
	v_cmp_gt_u32_e64 s2, 16, v6
	s_barrier
	buffer_gl0_inv
	v_cndmask_b32_e64 v1, 0, 1, s2
	v_cmp_gt_u32_e64 s2, 24, v6
	s_delay_alu instid0(VALU_DEP_2) | instskip(NEXT) | instid1(VALU_DEP_2)
	v_lshlrev_b32_e32 v1, 4, v1
	v_cndmask_b32_e64 v3, 0, 1, s2
	v_cmp_gt_u32_e64 s2, 28, v6
	s_delay_alu instid0(VALU_DEP_3) | instskip(NEXT) | instid1(VALU_DEP_3)
	v_add_lshl_u32 v1, v1, v6, 2
	v_lshlrev_b32_e32 v3, 3, v3
	ds_bpermute_b32 v4, v1, v2
	v_add_lshl_u32 v3, v3, v6, 2
	s_waitcnt lgkmcnt(0)
	v_add_f32_e32 v4, v2, v4
	v_cndmask_b32_e64 v2, 0, 1, s2
	v_cmp_gt_u32_e64 s2, 30, v6
	ds_bpermute_b32 v7, v3, v4
	s_waitcnt lgkmcnt(0)
	v_dual_add_f32 v7, v4, v7 :: v_dual_lshlrev_b32 v2, 2, v2
	s_delay_alu instid0(VALU_DEP_1) | instskip(SKIP_4) | instid1(VALU_DEP_1)
	v_add_lshl_u32 v2, v2, v6, 2
	v_cndmask_b32_e64 v4, 0, 1, s2
	v_cmp_ne_u32_e64 s2, 31, v6
	ds_bpermute_b32 v8, v2, v7
	v_lshlrev_b32_e32 v4, 1, v4
	v_add_lshl_u32 v4, v4, v6, 2
	v_add_co_ci_u32_e64 v6, s2, 0, v6, s2
	s_waitcnt lgkmcnt(0)
	s_delay_alu instid0(VALU_DEP_1)
	v_dual_add_f32 v7, v7, v8 :: v_dual_lshlrev_b32 v6, 2, v6
	ds_bpermute_b32 v8, v4, v7
	s_waitcnt lgkmcnt(0)
	v_add_f32_e32 v8, v7, v8
	v_and_b32_e32 v7, 31, v0
	ds_bpermute_b32 v9, v6, v8
	v_cmpx_eq_u32_e32 0, v7
	s_cbranch_execz .LBB298_6
; %bb.5:
	v_lshrrev_b32_e32 v10, 3, v0
	s_waitcnt lgkmcnt(0)
	v_add_f32_e32 v8, v8, v9
	s_delay_alu instid0(VALU_DEP_2)
	v_add_nc_u32_e32 v10, s3, v10
	ds_store_b32 v10, v8
.LBB298_6:
	s_or_b32 exec_lo, exec_lo, s8
	s_waitcnt lgkmcnt(0)
	s_barrier
	buffer_gl0_inv
	s_load_b32 s1, s[0:1], 0x2c
	v_mov_b32_e32 v8, 0
	s_mov_b32 s2, exec_lo
	s_waitcnt lgkmcnt(0)
	s_bfe_u32 s0, s1, 0xb0005
	s_delay_alu instid0(SALU_CYCLE_1)
	v_cmpx_gt_u32_e64 s0, v0
	s_cbranch_execz .LBB298_8
; %bb.7:
	v_lshl_add_u32 v7, v7, 2, s3
	ds_load_b32 v8, v7
.LBB298_8:
	s_or_b32 exec_lo, exec_lo, s2
	s_delay_alu instid0(SALU_CYCLE_1)
	s_mov_b32 s2, exec_lo
	v_cmpx_gt_u32_e32 32, v0
	s_cbranch_execz .LBB298_10
; %bb.9:
	s_waitcnt lgkmcnt(0)
	ds_bpermute_b32 v1, v1, v8
	s_waitcnt lgkmcnt(0)
	v_add_f32_e32 v1, v8, v1
	ds_bpermute_b32 v3, v3, v1
	s_waitcnt lgkmcnt(0)
	v_add_f32_e32 v1, v1, v3
	ds_bpermute_b32 v2, v2, v1
	s_waitcnt lgkmcnt(0)
	v_add_f32_e32 v1, v1, v2
	ds_bpermute_b32 v2, v4, v1
	s_waitcnt lgkmcnt(0)
	v_add_f32_e32 v1, v1, v2
	ds_bpermute_b32 v2, v6, v1
	s_waitcnt lgkmcnt(0)
	v_add_f32_e32 v8, v1, v2
.LBB298_10:
	s_or_b32 exec_lo, exec_lo, s2
	s_delay_alu instid0(SALU_CYCLE_1)
	s_mov_b32 s2, exec_lo
	v_cmpx_eq_u32_e32 0, v0
	s_cbranch_execz .LBB298_12
; %bb.11:
	v_mov_b32_e32 v1, s3
	s_waitcnt lgkmcnt(0)
	ds_store_b32 v1, v8
.LBB298_12:
	s_or_b32 exec_lo, exec_lo, s2
	s_waitcnt lgkmcnt(0)
	s_barrier
	buffer_gl0_inv
	s_and_saveexec_b32 s0, vcc_lo
	s_cbranch_execz .LBB298_15
; %bb.13:
	v_mov_b32_e32 v1, s3
	s_lshl_b64 s[2:3], s[12:13], 1
	s_and_b32 s8, s1, 0xffff
	s_add_u32 s4, s4, s2
	s_addc_u32 s5, s5, s3
	ds_load_b32 v4, v1
	s_lshl_b64 s[0:1], s[12:13], 2
	v_add_lshl_u32 v2, v0, s8, 2
	s_add_u32 s6, s6, s0
	s_addc_u32 s7, s7, s1
	s_lshl_b32 s9, s8, 2
	s_mov_b32 s12, 0
	s_lshl_b32 s13, s8, 4
.LBB298_14:                             ; =>This Inner Loop Header: Depth=1
	v_ashrrev_i32_e32 v1, 31, v0
	ds_load_b128 v[10:13], v5
	v_ashrrev_i32_e32 v3, 31, v2
	v_lshlrev_b64 v[6:7], 4, v[0:1]
	v_lshlrev_b64 v[14:15], 3, v[0:1]
	s_delay_alu instid0(VALU_DEP_2) | instskip(NEXT) | instid1(VALU_DEP_3)
	v_add_co_u32 v6, vcc_lo, s6, v6
	v_add_co_ci_u32_e32 v7, vcc_lo, s7, v7, vcc_lo
	v_cmp_le_i64_e32 vcc_lo, s[10:11], v[2:3]
	v_add_nc_u32_e32 v2, s9, v2
	global_load_b128 v[6:9], v[6:7], off
	v_add_nc_u32_e32 v5, s13, v5
	v_add_nc_u32_e32 v0, s8, v0
	s_or_b32 s12, vcc_lo, s12
	s_waitcnt vmcnt(0)
	v_dual_mul_f32 v1, 0x3fb8aa3b, v6 :: v_dual_mul_f32 v16, 0x3fb8aa3b, v8
	v_cmp_ngt_f32_e64 s0, 0xc2ce8ed0, v7
	v_cmp_ngt_f32_e64 s1, 0xc2ce8ed0, v8
	;; [unrolled: 1-line block ×3, first 2 shown]
	s_delay_alu instid0(VALU_DEP_4)
	v_fma_f32 v18, 0x3fb8aa3b, v6, -v1
	v_rndne_f32_e32 v23, v16
	v_mul_f32_e32 v17, 0x3fb8aa3b, v9
	v_fma_f32 v22, 0x3fb8aa3b, v8, -v16
	v_rndne_f32_e32 v19, v1
	v_fmac_f32_e32 v18, 0x32a5705f, v6
	v_sub_f32_e32 v16, v16, v23
	v_rndne_f32_e32 v25, v17
	v_fma_f32 v24, 0x3fb8aa3b, v9, -v17
	v_dual_sub_f32 v1, v1, v19 :: v_dual_fmac_f32 v22, 0x32a5705f, v8
	v_cvt_i32_f32_e32 v19, v19
	s_delay_alu instid0(VALU_DEP_4) | instskip(SKIP_1) | instid1(VALU_DEP_4)
	v_sub_f32_e32 v17, v17, v25
	v_mul_f32_e32 v3, 0x3fb8aa3b, v7
	v_dual_fmac_f32 v24, 0x32a5705f, v9 :: v_dual_add_f32 v1, v1, v18
	v_add_f32_e32 v16, v16, v22
	v_cvt_i32_f32_e32 v23, v23
	s_delay_alu instid0(VALU_DEP_4) | instskip(SKIP_4) | instid1(VALU_DEP_2)
	v_fma_f32 v20, 0x3fb8aa3b, v7, -v3
	v_rndne_f32_e32 v21, v3
	v_add_f32_e32 v17, v17, v24
	v_exp_f32_e32 v1, v1
	v_exp_f32_e32 v16, v16
	v_dual_fmac_f32 v20, 0x32a5705f, v7 :: v_dual_sub_f32 v3, v3, v21
	v_cvt_i32_f32_e32 v21, v21
	v_exp_f32_e32 v17, v17
	v_cvt_i32_f32_e32 v25, v25
	v_cmp_ngt_f32_e64 s2, 0xc2ce8ed0, v9
	v_add_f32_e32 v3, v3, v20
	s_delay_alu instid0(TRANS32_DEP_3) | instskip(NEXT) | instid1(TRANS32_DEP_2)
	v_ldexp_f32 v1, v1, v19
	v_ldexp_f32 v16, v16, v23
	s_delay_alu instid0(VALU_DEP_3) | instskip(NEXT) | instid1(TRANS32_DEP_2)
	v_exp_f32_e32 v3, v3
	v_ldexp_f32 v17, v17, v25
	s_delay_alu instid0(VALU_DEP_3) | instskip(SKIP_1) | instid1(VALU_DEP_1)
	v_cndmask_b32_e64 v1, 0, v1, s3
	v_cmp_nlt_f32_e64 s3, 0x42b17218, v6
	v_cndmask_b32_e64 v1, 0x7f800000, v1, s3
	s_waitcnt_depctr 0xfff
	v_ldexp_f32 v3, v3, v21
	s_waitcnt lgkmcnt(0)
	v_fma_mixlo_f16 v6, -v4, v1, v10
	s_delay_alu instid0(VALU_DEP_2)
	v_cndmask_b32_e64 v3, 0, v3, s0
	v_cmp_nlt_f32_e64 s0, 0x42b17218, v7
	v_cndmask_b32_e64 v7, 0, v16, s1
	v_cmp_nlt_f32_e64 s1, 0x42b17218, v8
	;; [unrolled: 2-line block ×3, first 2 shown]
	v_cndmask_b32_e64 v3, 0x7f800000, v3, s0
	s_delay_alu instid0(VALU_DEP_4) | instskip(NEXT) | instid1(VALU_DEP_3)
	v_cndmask_b32_e64 v7, 0x7f800000, v7, s1
	v_cndmask_b32_e64 v16, 0x7f800000, v8, s2
	v_add_co_u32 v8, s0, s4, v14
	s_delay_alu instid0(VALU_DEP_3) | instskip(SKIP_2) | instid1(VALU_DEP_3)
	v_fma_mixlo_f16 v7, -v4, v7, v12
	v_add_co_ci_u32_e64 v9, s0, s5, v15, s0
	v_fma_mixhi_f16 v6, -v4, v3, v11
	v_fma_mixhi_f16 v7, -v4, v16, v13
	global_store_b64 v[8:9], v[6:7], off
	s_and_not1_b32 exec_lo, exec_lo, s12
	s_cbranch_execnz .LBB298_14
.LBB298_15:
	s_nop 0
	s_sendmsg sendmsg(MSG_DEALLOC_VGPRS)
	s_endpgm
	.section	.rodata,"a",@progbits
	.p2align	6, 0x0
	.amdhsa_kernel _ZN2at6native12_GLOBAL__N_124cunn_SoftMaxBackwardSmemILi4EN3c104HalfEffNS1_26LogSoftMaxBackwardEpilogueEEEvPT0_PKT2_SA_l
		.amdhsa_group_segment_fixed_size 0
		.amdhsa_private_segment_fixed_size 0
		.amdhsa_kernarg_size 288
		.amdhsa_user_sgpr_count 15
		.amdhsa_user_sgpr_dispatch_ptr 0
		.amdhsa_user_sgpr_queue_ptr 0
		.amdhsa_user_sgpr_kernarg_segment_ptr 1
		.amdhsa_user_sgpr_dispatch_id 0
		.amdhsa_user_sgpr_private_segment_size 0
		.amdhsa_wavefront_size32 1
		.amdhsa_uses_dynamic_stack 0
		.amdhsa_enable_private_segment 0
		.amdhsa_system_sgpr_workgroup_id_x 1
		.amdhsa_system_sgpr_workgroup_id_y 0
		.amdhsa_system_sgpr_workgroup_id_z 0
		.amdhsa_system_sgpr_workgroup_info 0
		.amdhsa_system_vgpr_workitem_id 0
		.amdhsa_next_free_vgpr 26
		.amdhsa_next_free_sgpr 18
		.amdhsa_reserve_vcc 1
		.amdhsa_float_round_mode_32 0
		.amdhsa_float_round_mode_16_64 0
		.amdhsa_float_denorm_mode_32 3
		.amdhsa_float_denorm_mode_16_64 3
		.amdhsa_dx10_clamp 1
		.amdhsa_ieee_mode 1
		.amdhsa_fp16_overflow 0
		.amdhsa_workgroup_processor_mode 1
		.amdhsa_memory_ordered 1
		.amdhsa_forward_progress 0
		.amdhsa_shared_vgpr_count 0
		.amdhsa_exception_fp_ieee_invalid_op 0
		.amdhsa_exception_fp_denorm_src 0
		.amdhsa_exception_fp_ieee_div_zero 0
		.amdhsa_exception_fp_ieee_overflow 0
		.amdhsa_exception_fp_ieee_underflow 0
		.amdhsa_exception_fp_ieee_inexact 0
		.amdhsa_exception_int_div_zero 0
	.end_amdhsa_kernel
	.section	.text._ZN2at6native12_GLOBAL__N_124cunn_SoftMaxBackwardSmemILi4EN3c104HalfEffNS1_26LogSoftMaxBackwardEpilogueEEEvPT0_PKT2_SA_l,"axG",@progbits,_ZN2at6native12_GLOBAL__N_124cunn_SoftMaxBackwardSmemILi4EN3c104HalfEffNS1_26LogSoftMaxBackwardEpilogueEEEvPT0_PKT2_SA_l,comdat
.Lfunc_end298:
	.size	_ZN2at6native12_GLOBAL__N_124cunn_SoftMaxBackwardSmemILi4EN3c104HalfEffNS1_26LogSoftMaxBackwardEpilogueEEEvPT0_PKT2_SA_l, .Lfunc_end298-_ZN2at6native12_GLOBAL__N_124cunn_SoftMaxBackwardSmemILi4EN3c104HalfEffNS1_26LogSoftMaxBackwardEpilogueEEEvPT0_PKT2_SA_l
                                        ; -- End function
	.section	.AMDGPU.csdata,"",@progbits
; Kernel info:
; codeLenInByte = 1468
; NumSgprs: 20
; NumVgprs: 26
; ScratchSize: 0
; MemoryBound: 0
; FloatMode: 240
; IeeeMode: 1
; LDSByteSize: 0 bytes/workgroup (compile time only)
; SGPRBlocks: 2
; VGPRBlocks: 3
; NumSGPRsForWavesPerEU: 20
; NumVGPRsForWavesPerEU: 26
; Occupancy: 16
; WaveLimiterHint : 0
; COMPUTE_PGM_RSRC2:SCRATCH_EN: 0
; COMPUTE_PGM_RSRC2:USER_SGPR: 15
; COMPUTE_PGM_RSRC2:TRAP_HANDLER: 0
; COMPUTE_PGM_RSRC2:TGID_X_EN: 1
; COMPUTE_PGM_RSRC2:TGID_Y_EN: 0
; COMPUTE_PGM_RSRC2:TGID_Z_EN: 0
; COMPUTE_PGM_RSRC2:TIDIG_COMP_CNT: 0
	.section	.text._ZN2at6native12_GLOBAL__N_120cunn_SoftMaxBackwardILi4EN3c104HalfEffNS1_26LogSoftMaxBackwardEpilogueEEEvPT0_PKT2_SA_l,"axG",@progbits,_ZN2at6native12_GLOBAL__N_120cunn_SoftMaxBackwardILi4EN3c104HalfEffNS1_26LogSoftMaxBackwardEpilogueEEEvPT0_PKT2_SA_l,comdat
	.globl	_ZN2at6native12_GLOBAL__N_120cunn_SoftMaxBackwardILi4EN3c104HalfEffNS1_26LogSoftMaxBackwardEpilogueEEEvPT0_PKT2_SA_l ; -- Begin function _ZN2at6native12_GLOBAL__N_120cunn_SoftMaxBackwardILi4EN3c104HalfEffNS1_26LogSoftMaxBackwardEpilogueEEEvPT0_PKT2_SA_l
	.p2align	8
	.type	_ZN2at6native12_GLOBAL__N_120cunn_SoftMaxBackwardILi4EN3c104HalfEffNS1_26LogSoftMaxBackwardEpilogueEEEvPT0_PKT2_SA_l,@function
_ZN2at6native12_GLOBAL__N_120cunn_SoftMaxBackwardILi4EN3c104HalfEffNS1_26LogSoftMaxBackwardEpilogueEEEvPT0_PKT2_SA_l: ; @_ZN2at6native12_GLOBAL__N_120cunn_SoftMaxBackwardILi4EN3c104HalfEffNS1_26LogSoftMaxBackwardEpilogueEEEvPT0_PKT2_SA_l
; %bb.0:
	s_load_b256 s[4:11], s[0:1], 0x0
	s_mov_b32 s29, 0
	s_waitcnt lgkmcnt(0)
	s_mul_i32 s2, s15, s11
	s_mul_hi_u32 s3, s15, s10
	s_mul_i32 s18, s15, s10
	s_add_i32 s19, s3, s2
	v_cmp_lt_i64_e64 s14, 0x7ffffffe, s[10:11]
	s_lshl_b64 s[26:27], s[18:19], 2
	s_delay_alu instid0(SALU_CYCLE_1) | instskip(SKIP_2) | instid1(SALU_CYCLE_1)
	s_add_u32 s12, s8, s26
	s_addc_u32 s13, s9, s27
	s_bfe_u32 s28, s12, 0x20002
	s_cmp_lg_u32 s28, 0
	s_cselect_b32 s24, -1, 0
	s_and_b32 vcc_lo, exec_lo, s14
	s_cbranch_vccz .LBB299_16
; %bb.1:
	v_mov_b32_e32 v1, 0
	s_and_b32 vcc_lo, exec_lo, s24
	s_cbranch_vccz .LBB299_39
; %bb.2:
	s_lshl_b32 s2, s28, 2
	s_delay_alu instid0(VALU_DEP_1)
	v_mov_b32_e32 v8, v1
	s_sub_u32 s20, s12, s2
	s_mov_b32 s22, 0
	s_subb_u32 s21, s13, 0
	s_mov_b32 s2, exec_lo
	v_cmpx_le_u64_e64 s[28:29], v[0:1]
	s_cbranch_execz .LBB299_4
; %bb.3:
	v_lshlrev_b32_e32 v2, 2, v0
	global_load_b32 v2, v2, s[20:21]
	s_waitcnt vmcnt(0)
	v_add_f32_e32 v8, 0, v2
.LBB299_4:
	s_or_b32 exec_lo, exec_lo, s2
	s_load_b32 s16, s[0:1], 0x2c
	s_add_u32 s17, s28, s10
	s_addc_u32 s23, 0, s11
	s_add_u32 s2, s0, 32
	s_addc_u32 s3, s1, 0
	s_waitcnt lgkmcnt(0)
	s_and_b32 s25, s16, 0xffff
	s_delay_alu instid0(SALU_CYCLE_1) | instskip(SKIP_2) | instid1(SALU_CYCLE_1)
	s_sub_u32 s16, s17, s25
	s_subb_u32 s17, s23, 0
	s_lshl_b32 s23, s25, 2
	s_add_u32 s20, s20, s23
	s_addc_u32 s21, s21, 0
	s_and_b32 vcc_lo, exec_lo, s22
	s_cbranch_vccz .LBB299_6
.LBB299_5:
	v_mov_b32_e32 v8, 0
	s_add_u32 s2, s0, 32
	s_addc_u32 s3, s1, 0
	s_mov_b64 s[16:17], s[10:11]
	s_mov_b64 s[20:21], s[12:13]
.LBB299_6:
	s_load_b32 s22, s[2:3], 0x0
	v_mov_b32_e32 v2, 0
	s_mov_b32 s23, s17
	s_waitcnt lgkmcnt(0)
	s_cmp_lt_u32 s15, s22
	s_cselect_b32 s22, 12, 18
	s_delay_alu instid0(SALU_CYCLE_1)
	s_add_u32 s2, s2, s22
	s_addc_u32 s3, s3, 0
	s_mov_b32 s22, 0
	global_load_u16 v2, v2, s[2:3]
	s_waitcnt vmcnt(0)
	v_readfirstlane_b32 s2, v2
	v_and_b32_e32 v9, 0xffff, v2
	s_delay_alu instid0(VALU_DEP_2) | instskip(NEXT) | instid1(SALU_CYCLE_1)
	s_and_b32 s2, 0xffff, s2
	s_lshl_b32 s3, s2, 2
	s_cmp_lg_u64 s[22:23], 0
	s_cbranch_scc0 .LBB299_40
; %bb.7:
	v_cvt_f32_u32_e32 v2, s3
	s_sub_u32 s25, 0, s3
	s_subb_u32 s30, 0, 0
	s_delay_alu instid0(VALU_DEP_1) | instskip(NEXT) | instid1(VALU_DEP_1)
	v_fmamk_f32 v2, 0, 0x4f800000, v2
	v_rcp_f32_e32 v2, v2
	s_waitcnt_depctr 0xfff
	v_mul_f32_e32 v2, 0x5f7ffffc, v2
	s_delay_alu instid0(VALU_DEP_1) | instskip(NEXT) | instid1(VALU_DEP_1)
	v_mul_f32_e32 v3, 0x2f800000, v2
	v_trunc_f32_e32 v3, v3
	s_delay_alu instid0(VALU_DEP_1) | instskip(SKIP_1) | instid1(VALU_DEP_2)
	v_fmamk_f32 v2, v3, 0xcf800000, v2
	v_cvt_u32_f32_e32 v3, v3
	v_cvt_u32_f32_e32 v2, v2
	s_delay_alu instid0(VALU_DEP_2) | instskip(NEXT) | instid1(VALU_DEP_2)
	v_readfirstlane_b32 s2, v3
	v_readfirstlane_b32 s23, v2
	s_delay_alu instid0(VALU_DEP_2) | instskip(NEXT) | instid1(VALU_DEP_1)
	s_mul_i32 s31, s25, s2
	s_mul_hi_u32 s34, s25, s23
	s_mul_i32 s33, s30, s23
	s_add_i32 s31, s34, s31
	s_mul_i32 s35, s25, s23
	s_add_i32 s31, s31, s33
	s_mul_hi_u32 s34, s23, s35
	s_mul_hi_u32 s36, s2, s35
	s_mul_i32 s33, s2, s35
	s_mul_hi_u32 s35, s23, s31
	s_mul_i32 s23, s23, s31
	s_mul_hi_u32 s37, s2, s31
	s_add_u32 s23, s34, s23
	s_addc_u32 s34, 0, s35
	s_add_u32 s23, s23, s33
	s_mul_i32 s31, s2, s31
	s_addc_u32 s23, s34, s36
	s_addc_u32 s33, s37, 0
	s_add_u32 s23, s23, s31
	s_addc_u32 s31, 0, s33
	v_add_co_u32 v2, s23, v2, s23
	s_delay_alu instid0(VALU_DEP_1) | instskip(SKIP_1) | instid1(VALU_DEP_1)
	s_cmp_lg_u32 s23, 0
	s_addc_u32 s2, s2, s31
	v_readfirstlane_b32 s23, v2
	s_mul_i32 s31, s25, s2
	s_delay_alu instid0(VALU_DEP_1)
	s_mul_hi_u32 s33, s25, s23
	s_mul_i32 s30, s30, s23
	s_add_i32 s31, s33, s31
	s_mul_i32 s25, s25, s23
	s_add_i32 s31, s31, s30
	s_mul_hi_u32 s33, s2, s25
	s_mul_i32 s34, s2, s25
	s_mul_hi_u32 s25, s23, s25
	s_mul_hi_u32 s35, s23, s31
	s_mul_i32 s23, s23, s31
	s_mul_hi_u32 s30, s2, s31
	s_add_u32 s23, s25, s23
	s_addc_u32 s25, 0, s35
	s_add_u32 s23, s23, s34
	s_mul_i32 s31, s2, s31
	s_addc_u32 s23, s25, s33
	s_addc_u32 s25, s30, 0
	s_add_u32 s23, s23, s31
	s_addc_u32 s25, 0, s25
	v_add_co_u32 v2, s23, v2, s23
	s_delay_alu instid0(VALU_DEP_1) | instskip(SKIP_1) | instid1(VALU_DEP_1)
	s_cmp_lg_u32 s23, 0
	s_addc_u32 s2, s2, s25
	v_readfirstlane_b32 s23, v2
	s_mul_i32 s30, s16, s2
	s_mul_hi_u32 s25, s16, s2
	s_mul_hi_u32 s31, s17, s2
	s_mul_i32 s2, s17, s2
	s_mul_hi_u32 s33, s16, s23
	s_mul_hi_u32 s34, s17, s23
	s_mul_i32 s23, s17, s23
	s_add_u32 s30, s33, s30
	s_addc_u32 s25, 0, s25
	s_add_u32 s23, s30, s23
	s_addc_u32 s23, s25, s34
	s_addc_u32 s25, s31, 0
	s_add_u32 s2, s23, s2
	s_addc_u32 s23, 0, s25
	s_mul_hi_u32 s25, s3, s2
	s_mul_i32 s2, s3, s2
	s_mul_i32 s23, s3, s23
	v_sub_co_u32 v2, s2, s16, s2
	s_add_i32 s25, s25, s23
	s_cmp_lg_u32 s2, 0
	s_delay_alu instid0(VALU_DEP_1) | instskip(SKIP_2) | instid1(VALU_DEP_1)
	v_sub_co_u32 v3, s2, v2, s3
	s_subb_u32 s23, s17, s25
	s_cmp_lg_u32 s2, 0
	v_cmp_le_u32_e32 vcc_lo, s3, v3
	v_sub_co_u32 v4, s2, v3, s3
	s_subb_u32 s25, s23, 0
	s_cmp_lg_u32 s2, 0
	v_cndmask_b32_e64 v5, 0, -1, vcc_lo
	s_subb_u32 s2, s25, 0
	s_cmp_eq_u32 s25, 0
	v_mov_b32_e32 v7, s2
	s_cselect_b32 vcc_lo, -1, 0
	s_cmp_eq_u32 s23, 0
	v_cndmask_b32_e32 v5, -1, v5, vcc_lo
	v_cmp_le_u32_e32 vcc_lo, s3, v2
	s_cselect_b32 s2, -1, 0
	v_cndmask_b32_e64 v6, 0, -1, vcc_lo
	s_delay_alu instid0(VALU_DEP_3) | instskip(NEXT) | instid1(VALU_DEP_2)
	v_cmp_ne_u32_e32 vcc_lo, 0, v5
	v_cndmask_b32_e64 v5, -1, v6, s2
	v_cndmask_b32_e32 v6, s25, v7, vcc_lo
	v_cndmask_b32_e32 v4, v3, v4, vcc_lo
	s_delay_alu instid0(VALU_DEP_3) | instskip(NEXT) | instid1(VALU_DEP_2)
	v_cmp_ne_u32_e32 vcc_lo, 0, v5
	v_cndmask_b32_e32 v2, v2, v4, vcc_lo
	s_delay_alu instid0(VALU_DEP_4)
	v_cndmask_b32_e32 v3, s23, v6, vcc_lo
	s_and_not1_b32 vcc_lo, exec_lo, s22
	s_cbranch_vccnz .LBB299_9
.LBB299_8:
	v_cvt_f32_u32_e32 v2, s3
	s_sub_i32 s2, 0, s3
	s_delay_alu instid0(VALU_DEP_1) | instskip(SKIP_2) | instid1(VALU_DEP_1)
	v_rcp_iflag_f32_e32 v2, v2
	s_waitcnt_depctr 0xfff
	v_mul_f32_e32 v2, 0x4f7ffffe, v2
	v_cvt_u32_f32_e32 v2, v2
	s_delay_alu instid0(VALU_DEP_1) | instskip(NEXT) | instid1(VALU_DEP_1)
	v_mul_lo_u32 v3, s2, v2
	v_mul_hi_u32 v3, v2, v3
	s_delay_alu instid0(VALU_DEP_1) | instskip(NEXT) | instid1(VALU_DEP_1)
	v_add_nc_u32_e32 v2, v2, v3
	v_mul_hi_u32 v2, s16, v2
	s_delay_alu instid0(VALU_DEP_1) | instskip(NEXT) | instid1(VALU_DEP_1)
	v_mul_lo_u32 v2, v2, s3
	v_sub_nc_u32_e32 v2, s16, v2
	s_delay_alu instid0(VALU_DEP_1) | instskip(SKIP_1) | instid1(VALU_DEP_2)
	v_subrev_nc_u32_e32 v3, s3, v2
	v_cmp_le_u32_e32 vcc_lo, s3, v2
	v_cndmask_b32_e32 v2, v2, v3, vcc_lo
	s_delay_alu instid0(VALU_DEP_1) | instskip(SKIP_1) | instid1(VALU_DEP_2)
	v_subrev_nc_u32_e32 v3, s3, v2
	v_cmp_le_u32_e32 vcc_lo, s3, v2
	v_dual_cndmask_b32 v2, v2, v3 :: v_dual_mov_b32 v3, 0
.LBB299_9:
	v_dual_mov_b32 v7, v1 :: v_dual_lshlrev_b32 v4, 4, v0
	s_delay_alu instid0(VALU_DEP_2) | instskip(NEXT) | instid1(VALU_DEP_3)
	v_sub_co_u32 v2, vcc_lo, s16, v2
	v_sub_co_ci_u32_e32 v3, vcc_lo, s17, v3, vcc_lo
	s_delay_alu instid0(VALU_DEP_3) | instskip(NEXT) | instid1(VALU_DEP_1)
	v_add_co_u32 v4, s2, v4, s20
	v_add_co_ci_u32_e64 v5, null, 0, s21, s2
	v_lshlrev_b32_e32 v10, 4, v9
	s_delay_alu instid0(VALU_DEP_3) | instskip(NEXT) | instid1(VALU_DEP_3)
	v_add_co_u32 v4, vcc_lo, v4, 8
	v_add_co_ci_u32_e32 v5, vcc_lo, 0, v5, vcc_lo
	v_mov_b32_e32 v6, v0
	s_mov_b32 s3, 0
	.p2align	6
.LBB299_10:                             ; =>This Inner Loop Header: Depth=1
	global_load_b128 v[11:14], v[4:5], off offset:-8
	v_add_co_u32 v6, vcc_lo, v6, v9
	v_add_co_ci_u32_e32 v7, vcc_lo, 0, v7, vcc_lo
	v_add_co_u32 v4, s2, v4, v10
	s_delay_alu instid0(VALU_DEP_1) | instskip(NEXT) | instid1(VALU_DEP_3)
	v_add_co_ci_u32_e64 v5, s2, 0, v5, s2
	v_lshlrev_b64 v[15:16], 2, v[6:7]
	s_delay_alu instid0(VALU_DEP_1) | instskip(SKIP_3) | instid1(VALU_DEP_1)
	v_cmp_ge_i64_e32 vcc_lo, v[15:16], v[2:3]
	s_or_b32 s3, vcc_lo, s3
	s_waitcnt vmcnt(0)
	v_add_f32_e32 v1, v8, v11
	v_add_f32_e32 v1, v1, v12
	s_delay_alu instid0(VALU_DEP_1) | instskip(NEXT) | instid1(VALU_DEP_1)
	v_add_f32_e32 v1, v1, v13
	v_add_f32_e32 v8, v1, v14
	s_and_not1_b32 exec_lo, exec_lo, s3
	s_cbranch_execnz .LBB299_10
; %bb.11:
	s_or_b32 exec_lo, exec_lo, s3
	v_add_co_u32 v1, vcc_lo, v2, v0
	v_add_co_ci_u32_e32 v2, vcc_lo, 0, v3, vcc_lo
	s_mov_b32 s2, exec_lo
	s_delay_alu instid0(VALU_DEP_1)
	v_cmpx_gt_i64_e64 s[16:17], v[1:2]
	s_cbranch_execz .LBB299_15
; %bb.12:
	s_mov_b32 s3, 0
.LBB299_13:                             ; =>This Inner Loop Header: Depth=1
	v_lshlrev_b64 v[3:4], 2, v[1:2]
	s_delay_alu instid0(VALU_DEP_1) | instskip(NEXT) | instid1(VALU_DEP_2)
	v_add_co_u32 v3, vcc_lo, s20, v3
	v_add_co_ci_u32_e32 v4, vcc_lo, s21, v4, vcc_lo
	v_add_co_u32 v1, vcc_lo, v1, v9
	v_add_co_ci_u32_e32 v2, vcc_lo, 0, v2, vcc_lo
	global_load_b32 v3, v[3:4], off
	v_cmp_le_i64_e32 vcc_lo, s[16:17], v[1:2]
	s_or_b32 s3, vcc_lo, s3
	s_waitcnt vmcnt(0)
	v_add_f32_e32 v8, v8, v3
	s_and_not1_b32 exec_lo, exec_lo, s3
	s_cbranch_execnz .LBB299_13
; %bb.14:
	s_or_b32 exec_lo, exec_lo, s3
.LBB299_15:
	s_delay_alu instid0(SALU_CYCLE_1)
	s_or_b32 exec_lo, exec_lo, s2
	s_branch .LBB299_31
.LBB299_16:
                                        ; implicit-def: $vgpr8
	s_cbranch_execz .LBB299_31
; %bb.17:
	s_and_b32 vcc_lo, exec_lo, s24
	s_cbranch_vccz .LBB299_41
; %bb.18:
	s_lshl_b64 s[2:3], s[28:29], 2
	v_cmp_le_u32_e32 vcc_lo, s28, v0
	s_sub_u32 s20, s12, s2
	s_subb_u32 s21, s13, s3
	s_add_i32 s3, s28, s10
	v_mov_b32_e32 v8, 0
	v_cmp_gt_i32_e64 s2, s3, v0
	s_delay_alu instid0(VALU_DEP_1) | instskip(NEXT) | instid1(SALU_CYCLE_1)
	s_and_b32 s16, vcc_lo, s2
	s_and_saveexec_b32 s2, s16
	s_cbranch_execz .LBB299_20
; %bb.19:
	v_lshlrev_b32_e32 v1, 2, v0
	global_load_b32 v1, v1, s[20:21]
	s_waitcnt vmcnt(0)
	v_add_f32_e32 v8, 0, v1
.LBB299_20:
	s_or_b32 exec_lo, exec_lo, s2
	s_load_b32 s2, s[0:1], 0x2c
	s_add_u32 s16, s0, 32
	s_addc_u32 s17, s1, 0
	s_waitcnt lgkmcnt(0)
	s_and_b32 s2, s2, 0xffff
	s_delay_alu instid0(SALU_CYCLE_1) | instskip(SKIP_1) | instid1(SALU_CYCLE_1)
	v_sub_nc_u32_e64 v1, s3, s2 clamp
	s_lshl_b32 s2, s2, 2
	s_add_u32 s2, s20, s2
	s_addc_u32 s3, s21, 0
	s_delay_alu instid0(VALU_DEP_1)
	v_readfirstlane_b32 s22, v1
	s_branch .LBB299_22
.LBB299_21:
	v_mov_b32_e32 v8, 0
	s_add_u32 s16, s0, 32
	s_addc_u32 s17, s1, 0
	s_mov_b32 s22, s10
	s_mov_b64 s[2:3], s[12:13]
.LBB299_22:
	s_load_b32 s20, s[16:17], 0x0
	v_mov_b32_e32 v1, 0
	s_waitcnt lgkmcnt(0)
	s_cmp_lt_u32 s15, s20
	s_cselect_b32 s20, 12, 18
	s_delay_alu instid0(SALU_CYCLE_1) | instskip(SKIP_4) | instid1(VALU_DEP_1)
	s_add_u32 s16, s16, s20
	s_addc_u32 s17, s17, 0
	global_load_u16 v3, v1, s[16:17]
	s_waitcnt vmcnt(0)
	v_readfirstlane_b32 s16, v3
	s_lshl_b32 s16, s16, 2
	s_delay_alu instid0(SALU_CYCLE_1) | instskip(SKIP_1) | instid1(VALU_DEP_1)
	v_cvt_f32_u32_e32 v1, s16
	s_sub_i32 s20, 0, s16
	v_rcp_iflag_f32_e32 v1, v1
	s_waitcnt_depctr 0xfff
	v_mul_f32_e32 v1, 0x4f7ffffe, v1
	s_delay_alu instid0(VALU_DEP_1) | instskip(NEXT) | instid1(VALU_DEP_1)
	v_cvt_u32_f32_e32 v1, v1
	v_readfirstlane_b32 s17, v1
	v_lshlrev_b32_e32 v1, 2, v0
	s_delay_alu instid0(VALU_DEP_2) | instskip(NEXT) | instid1(SALU_CYCLE_1)
	s_mul_i32 s20, s20, s17
	s_mul_hi_u32 s20, s17, s20
	s_delay_alu instid0(SALU_CYCLE_1) | instskip(NEXT) | instid1(SALU_CYCLE_1)
	s_add_i32 s17, s17, s20
	s_mul_hi_u32 s17, s22, s17
	s_delay_alu instid0(SALU_CYCLE_1) | instskip(NEXT) | instid1(SALU_CYCLE_1)
	s_mul_i32 s17, s17, s16
	s_sub_i32 s17, s22, s17
	s_delay_alu instid0(SALU_CYCLE_1) | instskip(SKIP_2) | instid1(SALU_CYCLE_1)
	s_sub_i32 s20, s17, s16
	s_cmp_ge_u32 s17, s16
	s_cselect_b32 s17, s20, s17
	s_sub_i32 s20, s17, s16
	s_cmp_ge_u32 s17, s16
	s_cselect_b32 s16, s20, s17
	s_mov_b32 s20, 0
	s_sub_i32 s16, s22, s16
	s_mov_b32 s17, exec_lo
	v_cmpx_gt_i32_e64 s16, v1
	s_cbranch_execz .LBB299_26
; %bb.23:
	v_mov_b32_e32 v1, v0
	.p2align	6
.LBB299_24:                             ; =>This Inner Loop Header: Depth=1
	s_delay_alu instid0(VALU_DEP_1) | instskip(NEXT) | instid1(VALU_DEP_1)
	v_ashrrev_i32_e32 v2, 31, v1
	v_lshlrev_b64 v[4:5], 4, v[1:2]
	v_add_nc_u32_e32 v1, v1, v3
	s_delay_alu instid0(VALU_DEP_2) | instskip(NEXT) | instid1(VALU_DEP_3)
	v_add_co_u32 v4, vcc_lo, s2, v4
	v_add_co_ci_u32_e32 v5, vcc_lo, s3, v5, vcc_lo
	global_load_b128 v[4:7], v[4:5], off
	s_waitcnt vmcnt(0)
	v_add_f32_e32 v2, v8, v4
	v_lshlrev_b32_e32 v4, 2, v1
	s_delay_alu instid0(VALU_DEP_2) | instskip(NEXT) | instid1(VALU_DEP_2)
	v_add_f32_e32 v2, v2, v5
	v_cmp_le_i32_e32 vcc_lo, s16, v4
	s_delay_alu instid0(VALU_DEP_2) | instskip(SKIP_1) | instid1(VALU_DEP_1)
	v_add_f32_e32 v2, v2, v6
	s_or_b32 s20, vcc_lo, s20
	v_add_f32_e32 v8, v2, v7
	s_and_not1_b32 exec_lo, exec_lo, s20
	s_cbranch_execnz .LBB299_24
; %bb.25:
	s_or_b32 exec_lo, exec_lo, s20
.LBB299_26:
	s_delay_alu instid0(SALU_CYCLE_1) | instskip(SKIP_2) | instid1(VALU_DEP_1)
	s_or_b32 exec_lo, exec_lo, s17
	v_add_nc_u32_e32 v1, s16, v0
	s_mov_b32 s16, exec_lo
	v_cmpx_gt_i32_e64 s22, v1
	s_cbranch_execz .LBB299_30
; %bb.27:
	s_mov_b32 s17, 0
.LBB299_28:                             ; =>This Inner Loop Header: Depth=1
	v_ashrrev_i32_e32 v2, 31, v1
	s_delay_alu instid0(VALU_DEP_1) | instskip(NEXT) | instid1(VALU_DEP_1)
	v_lshlrev_b64 v[4:5], 2, v[1:2]
	v_add_co_u32 v4, vcc_lo, s2, v4
	s_delay_alu instid0(VALU_DEP_2) | instskip(SKIP_3) | instid1(VALU_DEP_1)
	v_add_co_ci_u32_e32 v5, vcc_lo, s3, v5, vcc_lo
	global_load_b32 v2, v[4:5], off
	s_waitcnt vmcnt(0)
	v_dual_add_f32 v8, v8, v2 :: v_dual_add_nc_u32 v1, v1, v3
	v_cmp_le_i32_e32 vcc_lo, s22, v1
	s_or_b32 s17, vcc_lo, s17
	s_delay_alu instid0(SALU_CYCLE_1)
	s_and_not1_b32 exec_lo, exec_lo, s17
	s_cbranch_execnz .LBB299_28
; %bb.29:
	s_or_b32 exec_lo, exec_lo, s17
.LBB299_30:
	s_delay_alu instid0(SALU_CYCLE_1)
	s_or_b32 exec_lo, exec_lo, s16
.LBB299_31:
	v_lshl_add_u32 v1, v0, 2, 0
	s_barrier
	buffer_gl0_inv
	s_add_u32 s16, s0, 32
	ds_store_b32 v1, v8
	s_waitcnt lgkmcnt(0)
	s_barrier
	buffer_gl0_inv
	s_load_b32 s2, s[0:1], 0x2c
	s_addc_u32 s17, s1, 0
	s_waitcnt lgkmcnt(0)
	s_bfe_u32 s0, s2, 0xb0005
	s_delay_alu instid0(SALU_CYCLE_1) | instskip(NEXT) | instid1(SALU_CYCLE_1)
	s_min_u32 s1, s0, 32
	v_cmp_gt_u32_e32 vcc_lo, s1, v0
	s_and_saveexec_b32 s1, vcc_lo
	s_cbranch_execz .LBB299_33
; %bb.32:
	v_mad_u32_u24 v10, 0x7c, v0, v1
	ds_load_2addr_b32 v[2:3], v10 offset1:1
	ds_load_2addr_b32 v[4:5], v10 offset0:2 offset1:3
	ds_load_2addr_b32 v[6:7], v10 offset0:4 offset1:5
	;; [unrolled: 1-line block ×3, first 2 shown]
	s_waitcnt lgkmcnt(3)
	v_add_f32_e32 v2, 0, v2
	s_delay_alu instid0(VALU_DEP_1) | instskip(SKIP_1) | instid1(VALU_DEP_1)
	v_add_f32_e32 v2, v2, v3
	s_waitcnt lgkmcnt(2)
	v_add_f32_e32 v2, v2, v4
	s_delay_alu instid0(VALU_DEP_1) | instskip(SKIP_1) | instid1(VALU_DEP_1)
	v_add_f32_e32 v2, v2, v5
	s_waitcnt lgkmcnt(1)
	v_add_f32_e32 v4, v2, v6
	ds_load_2addr_b32 v[2:3], v10 offset0:8 offset1:9
	v_add_f32_e32 v4, v4, v7
	s_waitcnt lgkmcnt(1)
	s_delay_alu instid0(VALU_DEP_1)
	v_add_f32_e32 v6, v4, v8
	ds_load_2addr_b32 v[4:5], v10 offset0:10 offset1:11
	v_add_f32_e32 v11, v6, v9
	ds_load_2addr_b32 v[6:7], v10 offset0:12 offset1:13
	ds_load_2addr_b32 v[8:9], v10 offset0:14 offset1:15
	s_waitcnt lgkmcnt(3)
	v_add_f32_e32 v2, v11, v2
	s_delay_alu instid0(VALU_DEP_1) | instskip(SKIP_1) | instid1(VALU_DEP_1)
	v_add_f32_e32 v2, v2, v3
	s_waitcnt lgkmcnt(2)
	v_add_f32_e32 v2, v2, v4
	s_delay_alu instid0(VALU_DEP_1) | instskip(SKIP_1) | instid1(VALU_DEP_1)
	v_add_f32_e32 v2, v2, v5
	s_waitcnt lgkmcnt(1)
	v_add_f32_e32 v4, v2, v6
	ds_load_2addr_b32 v[2:3], v10 offset0:16 offset1:17
	v_add_f32_e32 v4, v4, v7
	s_waitcnt lgkmcnt(1)
	s_delay_alu instid0(VALU_DEP_1)
	v_add_f32_e32 v6, v4, v8
	ds_load_2addr_b32 v[4:5], v10 offset0:18 offset1:19
	v_add_f32_e32 v11, v6, v9
	ds_load_2addr_b32 v[6:7], v10 offset0:20 offset1:21
	ds_load_2addr_b32 v[8:9], v10 offset0:22 offset1:23
	;; [unrolled: 19-line block ×3, first 2 shown]
	s_waitcnt lgkmcnt(3)
	v_add_f32_e32 v2, v11, v2
	s_delay_alu instid0(VALU_DEP_1) | instskip(SKIP_1) | instid1(VALU_DEP_1)
	v_add_f32_e32 v2, v2, v3
	s_waitcnt lgkmcnt(2)
	v_add_f32_e32 v2, v2, v4
	s_delay_alu instid0(VALU_DEP_1) | instskip(SKIP_1) | instid1(VALU_DEP_1)
	v_add_f32_e32 v2, v2, v5
	s_waitcnt lgkmcnt(1)
	v_add_f32_e32 v2, v2, v6
	s_delay_alu instid0(VALU_DEP_1) | instskip(SKIP_1) | instid1(VALU_DEP_1)
	v_add_f32_e32 v2, v2, v7
	s_waitcnt lgkmcnt(0)
	v_add_f32_e32 v2, v2, v8
	s_delay_alu instid0(VALU_DEP_1)
	v_add_f32_e32 v2, v2, v9
	ds_store_b32 v1, v2
.LBB299_33:
	s_or_b32 exec_lo, exec_lo, s1
	s_and_b32 s22, s2, 0xffff
	s_mov_b32 s1, exec_lo
	s_waitcnt lgkmcnt(0)
	s_barrier
	buffer_gl0_inv
	v_cmpx_eq_u32_e32 0, v0
	s_cbranch_execz .LBB299_46
; %bb.34:
	v_mov_b32_e32 v1, 0
	s_cmp_lt_u32 s22, 32
	s_cbranch_scc1 .LBB299_45
; %bb.35:
	v_mov_b32_e32 v1, 0
	s_add_i32 s2, s0, -1
	s_delay_alu instid0(SALU_CYCLE_1)
	s_cmp_lt_u32 s2, 7
	s_cbranch_scc1 .LBB299_42
; %bb.36:
	s_and_b32 s2, s0, 0x7f8
	s_mov_b32 s3, 0
	s_mov_b32 s20, 0
	.p2align	6
.LBB299_37:                             ; =>This Inner Loop Header: Depth=1
	s_delay_alu instid0(SALU_CYCLE_1)
	v_mov_b32_e32 v8, s20
	s_add_i32 s3, s3, 8
	s_add_i32 s20, s20, 32
	s_cmp_eq_u32 s2, s3
	ds_load_2addr_b32 v[2:3], v8 offset1:1
	ds_load_2addr_b32 v[4:5], v8 offset0:2 offset1:3
	ds_load_2addr_b32 v[6:7], v8 offset0:4 offset1:5
	;; [unrolled: 1-line block ×3, first 2 shown]
	s_waitcnt lgkmcnt(3)
	v_add_f32_e32 v1, v1, v2
	s_delay_alu instid0(VALU_DEP_1) | instskip(SKIP_1) | instid1(VALU_DEP_1)
	v_add_f32_e32 v1, v1, v3
	s_waitcnt lgkmcnt(2)
	v_add_f32_e32 v1, v1, v4
	s_delay_alu instid0(VALU_DEP_1) | instskip(SKIP_1) | instid1(VALU_DEP_1)
	v_add_f32_e32 v1, v1, v5
	;; [unrolled: 4-line block ×3, first 2 shown]
	s_waitcnt lgkmcnt(0)
	v_add_f32_e32 v1, v1, v8
	s_delay_alu instid0(VALU_DEP_1)
	v_add_f32_e32 v1, v1, v9
	s_cbranch_scc0 .LBB299_37
; %bb.38:
	s_and_b32 s0, s0, 7
	s_delay_alu instid0(SALU_CYCLE_1)
	s_cmp_eq_u32 s0, 0
	s_cbranch_scc0 .LBB299_43
	s_branch .LBB299_45
.LBB299_39:
                                        ; implicit-def: $sgpr20_sgpr21
                                        ; implicit-def: $sgpr16_sgpr17
                                        ; implicit-def: $vgpr8
                                        ; implicit-def: $sgpr2_sgpr3
	s_cbranch_execnz .LBB299_5
	s_branch .LBB299_6
.LBB299_40:
                                        ; implicit-def: $vgpr2_vgpr3
	s_branch .LBB299_8
.LBB299_41:
                                        ; implicit-def: $sgpr2_sgpr3
                                        ; implicit-def: $sgpr22
                                        ; implicit-def: $vgpr8
                                        ; implicit-def: $sgpr16_sgpr17
	s_cbranch_execnz .LBB299_21
	s_branch .LBB299_22
.LBB299_42:
	s_mov_b32 s2, 0
	s_and_b32 s0, s0, 7
	s_delay_alu instid0(SALU_CYCLE_1)
	s_cmp_eq_u32 s0, 0
	s_cbranch_scc1 .LBB299_45
.LBB299_43:
	s_lshl_b32 s2, s2, 2
	s_delay_alu instid0(SALU_CYCLE_1)
	s_add_i32 s2, s2, 0
.LBB299_44:                             ; =>This Inner Loop Header: Depth=1
	s_delay_alu instid0(SALU_CYCLE_1)
	v_mov_b32_e32 v2, s2
	s_add_i32 s0, s0, -1
	s_add_i32 s2, s2, 4
	s_cmp_lg_u32 s0, 0
	ds_load_b32 v2, v2
	s_waitcnt lgkmcnt(0)
	v_add_f32_e32 v1, v1, v2
	s_cbranch_scc1 .LBB299_44
.LBB299_45:
	v_mov_b32_e32 v2, 0
	ds_store_b32 v2, v1
.LBB299_46:
	s_or_b32 exec_lo, exec_lo, s1
	v_mov_b32_e32 v1, 0
	s_waitcnt lgkmcnt(0)
	s_barrier
	buffer_gl0_inv
	s_lshl_b64 s[30:31], s[18:19], 1
	ds_load_b32 v10, v1
	s_add_u32 s18, s4, s30
	s_addc_u32 s19, s5, s31
	s_add_u32 s20, s6, s26
	s_mov_b32 s25, 0
	s_addc_u32 s21, s7, s27
	s_bfe_u32 s24, s18, 0x30001
	s_bfe_u32 s0, s20, 0x20002
	s_mov_b32 s1, s25
	s_delay_alu instid0(SALU_CYCLE_1) | instskip(SKIP_3) | instid1(SALU_CYCLE_1)
	s_cmp_eq_u64 s[24:25], s[0:1]
	s_cselect_b32 s0, -1, 0
	s_cmp_eq_u64 s[24:25], s[28:29]
	s_cselect_b32 s1, -1, 0
	s_and_b32 s0, s0, s1
	s_delay_alu instid0(SALU_CYCLE_1)
	s_and_not1_b32 vcc_lo, exec_lo, s0
	s_mov_b32 s0, -1
	s_cbranch_vccz .LBB299_65
; %bb.47:
	s_and_b32 vcc_lo, exec_lo, s14
	s_cbranch_vccz .LBB299_56
; %bb.48:
	s_lshl_b32 s23, s22, 2
	s_mov_b32 s40, 0
	v_cvt_f32_u32_e32 v1, s23
	s_sub_i32 s1, 0, s23
	s_mov_b32 s33, exec_lo
	s_delay_alu instid0(VALU_DEP_1) | instskip(SKIP_2) | instid1(VALU_DEP_1)
	v_rcp_iflag_f32_e32 v1, v1
	s_waitcnt_depctr 0xfff
	v_mul_f32_e32 v1, 0x4f7ffffe, v1
	v_cvt_u32_f32_e32 v1, v1
	s_delay_alu instid0(VALU_DEP_1) | instskip(SKIP_1) | instid1(VALU_DEP_2)
	v_readfirstlane_b32 s0, v1
	v_mov_b32_e32 v1, 0
	s_mul_i32 s1, s1, s0
	s_delay_alu instid0(VALU_DEP_1) | instskip(SKIP_1) | instid1(SALU_CYCLE_1)
	v_dual_mov_b32 v3, v1 :: v_dual_mov_b32 v2, v0
	s_mul_hi_u32 s1, s0, s1
	s_add_i32 s0, s0, s1
	s_delay_alu instid0(SALU_CYCLE_1) | instskip(NEXT) | instid1(SALU_CYCLE_1)
	s_mul_hi_u32 s0, s10, s0
	s_mul_i32 s0, s0, s23
	s_delay_alu instid0(SALU_CYCLE_1) | instskip(NEXT) | instid1(SALU_CYCLE_1)
	s_sub_i32 s0, s10, s0
	s_sub_i32 s1, s0, s23
	s_cmp_ge_u32 s0, s23
	s_cselect_b32 s0, s1, s0
	s_delay_alu instid0(SALU_CYCLE_1) | instskip(SKIP_3) | instid1(SALU_CYCLE_1)
	s_sub_i32 s1, s0, s23
	s_cmp_ge_u32 s0, s23
	s_cselect_b32 s0, s1, s0
	s_bfe_i64 s[28:29], s[10:11], 0x200000
	s_sub_u32 s34, s28, s0
	s_subb_u32 s35, s29, 0
	s_delay_alu instid0(SALU_CYCLE_1)
	v_cmpx_gt_i64_e64 s[34:35], v[0:1]
	s_cbranch_execz .LBB299_52
; %bb.49:
	s_lshl_b32 s41, s22, 1
	s_lshl_b32 s42, s22, 4
	s_add_u32 s0, s26, s23
	s_addc_u32 s1, s27, 0
	s_add_u32 s43, s6, s0
	s_addc_u32 s44, s7, s1
	s_lshl_b32 s45, s22, 3
	s_mul_i32 s36, s22, 12
	s_add_u32 s2, s26, s45
	s_addc_u32 s3, s27, 0
	s_add_u32 s46, s6, s2
	s_addc_u32 s47, s7, s3
	;; [unrolled: 2-line block ×5, first 2 shown]
	s_add_u32 s52, s8, s2
	v_lshlrev_b64 v[2:3], 1, v[0:1]
	s_addc_u32 s53, s9, s3
	s_add_u32 s54, s8, s36
	s_addc_u32 s55, s9, s37
	s_add_u32 s0, s4, s30
	s_addc_u32 s1, s5, s31
	v_add_co_u32 v6, vcc_lo, s0, v2
	v_lshlrev_b64 v[4:5], 2, v[0:1]
	v_add_co_ci_u32_e32 v7, vcc_lo, s1, v3, vcc_lo
	v_dual_mov_b32 v3, v1 :: v_dual_mov_b32 v2, v0
	s_mul_i32 s56, s22, 6
	s_mov_b64 s[36:37], s[12:13]
	s_mov_b64 s[38:39], s[20:21]
.LBB299_50:                             ; =>This Inner Loop Header: Depth=1
	s_delay_alu instid0(SALU_CYCLE_1)
	v_add_co_u32 v8, vcc_lo, s38, v4
	v_add_co_ci_u32_e32 v9, vcc_lo, s39, v5, vcc_lo
	v_add_co_u32 v11, vcc_lo, s43, v4
	v_add_co_ci_u32_e32 v12, vcc_lo, s44, v5, vcc_lo
	;; [unrolled: 2-line block ×4, first 2 shown]
	global_load_b32 v1, v[8:9], off
	global_load_b32 v17, v[11:12], off
	;; [unrolled: 1-line block ×4, first 2 shown]
	v_add_co_u32 v8, vcc_lo, s36, v4
	v_add_co_ci_u32_e32 v9, vcc_lo, s37, v5, vcc_lo
	v_add_co_u32 v11, vcc_lo, s50, v4
	v_add_co_ci_u32_e32 v12, vcc_lo, s51, v5, vcc_lo
	;; [unrolled: 2-line block ×4, first 2 shown]
	global_load_b32 v20, v[8:9], off
	global_load_b32 v21, v[11:12], off
	;; [unrolled: 1-line block ×4, first 2 shown]
	v_add_co_u32 v8, vcc_lo, v6, s41
	v_add_co_ci_u32_e32 v9, vcc_lo, 0, v7, vcc_lo
	v_add_co_u32 v11, vcc_lo, v6, s23
	v_add_co_ci_u32_e32 v12, vcc_lo, 0, v7, vcc_lo
	v_add_co_u32 v13, vcc_lo, v6, s56
	s_add_u32 s38, s38, s42
	s_addc_u32 s39, s39, 0
	v_add_co_ci_u32_e32 v14, vcc_lo, 0, v7, vcc_lo
	s_add_u32 s43, s43, s42
	v_add_co_u32 v2, vcc_lo, v2, s23
	s_addc_u32 s44, s44, 0
	s_add_u32 s46, s46, s42
	v_add_co_ci_u32_e32 v3, vcc_lo, 0, v3, vcc_lo
	s_addc_u32 s47, s47, 0
	s_add_u32 s48, s48, s42
	s_addc_u32 s49, s49, 0
	s_add_u32 s36, s36, s42
	s_addc_u32 s37, s37, 0
	v_cmp_le_i64_e32 vcc_lo, s[34:35], v[2:3]
	s_add_u32 s50, s50, s42
	s_addc_u32 s51, s51, 0
	s_add_u32 s52, s52, s42
	s_addc_u32 s53, s53, 0
	;; [unrolled: 2-line block ×3, first 2 shown]
	s_or_b32 s40, vcc_lo, s40
	s_waitcnt vmcnt(7)
	v_mul_f32_e32 v16, 0x3fb8aa3b, v1
	s_waitcnt vmcnt(5)
	v_dual_mul_f32 v23, 0x3fb8aa3b, v17 :: v_dual_mul_f32 v24, 0x3fb8aa3b, v18
	s_waitcnt vmcnt(4)
	v_mul_f32_e32 v25, 0x3fb8aa3b, v19
	v_cmp_ngt_f32_e64 s3, 0xc2ce8ed0, v1
	v_fma_f32 v26, 0x3fb8aa3b, v1, -v16
	v_rndne_f32_e32 v27, v16
	v_fma_f32 v30, 0x3fb8aa3b, v18, -v24
	v_fma_f32 v32, 0x3fb8aa3b, v19, -v25
	v_rndne_f32_e32 v33, v25
	v_fma_f32 v28, 0x3fb8aa3b, v17, -v23
	v_rndne_f32_e32 v29, v23
	v_fmac_f32_e32 v30, 0x32a5705f, v18
	s_delay_alu instid0(VALU_DEP_4) | instskip(NEXT) | instid1(VALU_DEP_3)
	v_dual_fmac_f32 v32, 0x32a5705f, v19 :: v_dual_sub_f32 v25, v25, v33
	v_dual_sub_f32 v16, v16, v27 :: v_dual_sub_f32 v23, v23, v29
	v_fmac_f32_e32 v28, 0x32a5705f, v17
	v_rndne_f32_e32 v31, v24
	s_delay_alu instid0(VALU_DEP_4) | instskip(SKIP_1) | instid1(VALU_DEP_3)
	v_dual_add_f32 v25, v25, v32 :: v_dual_fmac_f32 v26, 0x32a5705f, v1
	v_cvt_i32_f32_e32 v27, v27
	v_dual_add_f32 v23, v23, v28 :: v_dual_sub_f32 v24, v24, v31
	s_delay_alu instid0(VALU_DEP_3) | instskip(NEXT) | instid1(VALU_DEP_3)
	v_exp_f32_e32 v25, v25
	v_add_f32_e32 v16, v16, v26
	v_cvt_i32_f32_e32 v29, v29
	s_delay_alu instid0(VALU_DEP_3)
	v_exp_f32_e32 v23, v23
	v_add_f32_e32 v24, v24, v30
	v_cvt_i32_f32_e32 v31, v31
	v_exp_f32_e32 v16, v16
	v_cvt_i32_f32_e32 v33, v33
	v_cmp_ngt_f32_e64 s0, 0xc2ce8ed0, v17
	v_exp_f32_e32 v24, v24
	v_cmp_ngt_f32_e64 s1, 0xc2ce8ed0, v18
	v_cmp_ngt_f32_e64 s2, 0xc2ce8ed0, v19
	v_ldexp_f32 v25, v25, v33
	v_ldexp_f32 v23, v23, v29
	s_delay_alu instid0(TRANS32_DEP_2) | instskip(NEXT) | instid1(VALU_DEP_2)
	v_ldexp_f32 v16, v16, v27
	v_cndmask_b32_e64 v23, 0, v23, s0
	s_delay_alu instid0(TRANS32_DEP_1) | instskip(SKIP_1) | instid1(VALU_DEP_4)
	v_ldexp_f32 v24, v24, v31
	v_cmp_nlt_f32_e64 s0, 0x42b17218, v17
	v_cndmask_b32_e64 v16, 0, v16, s3
	v_cmp_nlt_f32_e64 s3, 0x42b17218, v1
	s_delay_alu instid0(VALU_DEP_4) | instskip(SKIP_2) | instid1(VALU_DEP_4)
	v_cndmask_b32_e64 v17, 0, v24, s1
	v_cmp_nlt_f32_e64 s1, 0x42b17218, v18
	v_cndmask_b32_e64 v18, 0, v25, s2
	v_cndmask_b32_e64 v1, 0x7f800000, v16, s3
	v_cmp_nlt_f32_e64 s2, 0x42b17218, v19
	v_cndmask_b32_e64 v16, 0x7f800000, v23, s0
	v_cndmask_b32_e64 v17, 0x7f800000, v17, s1
	s_waitcnt vmcnt(3) lgkmcnt(0)
	v_fma_mixlo_f16 v1, -v10, v1, v20
	v_cndmask_b32_e64 v18, 0x7f800000, v18, s2
	s_waitcnt vmcnt(2)
	v_fma_mixlo_f16 v16, -v10, v16, v21
	s_waitcnt vmcnt(1)
	v_fma_mixlo_f16 v17, -v10, v17, v22
	global_store_b16 v[6:7], v1, off
	v_add_co_u32 v6, s0, v6, s45
	s_delay_alu instid0(VALU_DEP_1)
	v_add_co_ci_u32_e64 v7, s0, 0, v7, s0
	s_waitcnt vmcnt(0)
	v_fma_mixlo_f16 v15, -v10, v18, v15
	s_clause 0x2
	global_store_b16 v[8:9], v16, off
	global_store_b16 v[11:12], v17, off
	;; [unrolled: 1-line block ×3, first 2 shown]
	s_and_not1_b32 exec_lo, exec_lo, s40
	s_cbranch_execnz .LBB299_50
; %bb.51:
	s_or_b32 exec_lo, exec_lo, s40
.LBB299_52:
	s_delay_alu instid0(SALU_CYCLE_1) | instskip(NEXT) | instid1(SALU_CYCLE_1)
	s_or_b32 exec_lo, exec_lo, s33
	s_mov_b32 s1, exec_lo
	v_cmpx_gt_i64_e64 s[28:29], v[2:3]
	s_cbranch_execz .LBB299_55
; %bb.53:
	v_lshlrev_b64 v[4:5], 2, v[2:3]
	v_lshlrev_b64 v[7:8], 1, v[2:3]
	s_add_u32 s0, s4, s30
	s_addc_u32 s2, s5, s31
	s_lshl_b32 s3, s22, 1
	s_delay_alu instid0(VALU_DEP_2)
	v_add_co_u32 v1, vcc_lo, s26, v4
	v_add_co_ci_u32_e32 v6, vcc_lo, s27, v5, vcc_lo
	v_add_co_u32 v4, vcc_lo, s0, v7
	v_add_co_ci_u32_e32 v5, vcc_lo, s2, v8, vcc_lo
	s_mov_b32 s2, 0
.LBB299_54:                             ; =>This Inner Loop Header: Depth=1
	v_add_co_u32 v7, vcc_lo, s6, v1
	v_add_co_ci_u32_e32 v8, vcc_lo, s7, v6, vcc_lo
	global_load_b32 v9, v[7:8], off
	v_add_co_u32 v7, vcc_lo, s8, v1
	v_add_co_ci_u32_e32 v8, vcc_lo, s9, v6, vcc_lo
	v_add_co_u32 v2, vcc_lo, v2, s22
	v_add_co_ci_u32_e32 v3, vcc_lo, 0, v3, vcc_lo
	global_load_b32 v7, v[7:8], off
	v_add_co_u32 v1, vcc_lo, v1, s23
	v_add_co_ci_u32_e32 v6, vcc_lo, 0, v6, vcc_lo
	v_cmp_le_i64_e32 vcc_lo, s[28:29], v[2:3]
	s_or_b32 s2, vcc_lo, s2
	s_waitcnt vmcnt(1)
	v_mul_f32_e32 v8, 0x3fb8aa3b, v9
	v_cmp_ngt_f32_e64 s0, 0xc2ce8ed0, v9
	s_delay_alu instid0(VALU_DEP_2) | instskip(SKIP_1) | instid1(VALU_DEP_1)
	v_fma_f32 v11, 0x3fb8aa3b, v9, -v8
	v_rndne_f32_e32 v12, v8
	v_dual_fmac_f32 v11, 0x32a5705f, v9 :: v_dual_sub_f32 v8, v8, v12
	s_delay_alu instid0(VALU_DEP_1) | instskip(SKIP_1) | instid1(VALU_DEP_2)
	v_add_f32_e32 v8, v8, v11
	v_cvt_i32_f32_e32 v11, v12
	v_exp_f32_e32 v8, v8
	s_waitcnt_depctr 0xfff
	v_ldexp_f32 v8, v8, v11
	s_delay_alu instid0(VALU_DEP_1) | instskip(SKIP_1) | instid1(VALU_DEP_1)
	v_cndmask_b32_e64 v8, 0, v8, s0
	v_cmp_nlt_f32_e64 s0, 0x42b17218, v9
	v_cndmask_b32_e64 v8, 0x7f800000, v8, s0
	s_waitcnt vmcnt(0) lgkmcnt(0)
	s_delay_alu instid0(VALU_DEP_1) | instskip(SKIP_2) | instid1(VALU_DEP_1)
	v_fma_mixlo_f16 v7, -v10, v8, v7
	global_store_b16 v[4:5], v7, off
	v_add_co_u32 v4, s0, v4, s3
	v_add_co_ci_u32_e64 v5, s0, 0, v5, s0
	s_and_not1_b32 exec_lo, exec_lo, s2
	s_cbranch_execnz .LBB299_54
.LBB299_55:
	s_or_b32 exec_lo, exec_lo, s1
	s_mov_b32 s0, 0
.LBB299_56:
	s_delay_alu instid0(SALU_CYCLE_1)
	s_and_b32 vcc_lo, exec_lo, s0
	s_cbranch_vccz .LBB299_92
; %bb.57:
	s_lshl_b32 s0, s22, 2
	s_mov_b32 s7, 0
	v_cvt_f32_u32_e32 v1, s0
	s_sub_i32 s2, 0, s0
	s_mov_b32 s5, exec_lo
	s_delay_alu instid0(VALU_DEP_1) | instskip(SKIP_2) | instid1(VALU_DEP_1)
	v_rcp_iflag_f32_e32 v1, v1
	s_waitcnt_depctr 0xfff
	v_mul_f32_e32 v1, 0x4f7ffffe, v1
	v_cvt_u32_f32_e32 v1, v1
	s_delay_alu instid0(VALU_DEP_1) | instskip(SKIP_1) | instid1(VALU_DEP_2)
	v_readfirstlane_b32 s1, v1
	v_mov_b32_e32 v1, v0
	s_mul_i32 s2, s2, s1
	s_delay_alu instid0(SALU_CYCLE_1) | instskip(NEXT) | instid1(SALU_CYCLE_1)
	s_mul_hi_u32 s2, s1, s2
	s_add_i32 s1, s1, s2
	s_delay_alu instid0(SALU_CYCLE_1) | instskip(NEXT) | instid1(SALU_CYCLE_1)
	s_mul_hi_u32 s1, s10, s1
	s_mul_i32 s1, s1, s0
	s_delay_alu instid0(SALU_CYCLE_1) | instskip(NEXT) | instid1(SALU_CYCLE_1)
	s_sub_i32 s1, s10, s1
	s_sub_i32 s2, s1, s0
	s_cmp_ge_u32 s1, s0
	s_cselect_b32 s1, s2, s1
	s_delay_alu instid0(SALU_CYCLE_1) | instskip(SKIP_2) | instid1(SALU_CYCLE_1)
	s_sub_i32 s2, s1, s0
	s_cmp_ge_u32 s1, s0
	s_cselect_b32 s0, s2, s1
	s_sub_i32 s6, s10, s0
	s_delay_alu instid0(SALU_CYCLE_1)
	v_cmpx_gt_i32_e64 s6, v0
	s_cbranch_execz .LBB299_61
; %bb.58:
	v_dual_mov_b32 v2, 0 :: v_dual_mov_b32 v1, v0
	s_lshl_b32 s8, s22, 1
	s_mul_i32 s9, s22, 3
	s_add_i32 s23, s22, s22
.LBB299_59:                             ; =>This Inner Loop Header: Depth=1
	s_delay_alu instid0(VALU_DEP_1) | instskip(SKIP_3) | instid1(VALU_DEP_4)
	v_lshlrev_b64 v[11:12], 2, v[1:2]
	v_dual_mov_b32 v4, v2 :: v_dual_add_nc_u32 v3, s22, v1
	v_dual_mov_b32 v6, v2 :: v_dual_add_nc_u32 v5, s8, v1
	;; [unrolled: 1-line block ×3, first 2 shown]
	v_add_co_u32 v19, vcc_lo, s20, v11
	s_delay_alu instid0(VALU_DEP_4)
	v_lshlrev_b64 v[13:14], 2, v[3:4]
	v_add_co_ci_u32_e32 v20, vcc_lo, s21, v12, vcc_lo
	v_lshlrev_b64 v[15:16], 2, v[5:6]
	v_lshlrev_b64 v[17:18], 2, v[7:8]
	global_load_b32 v25, v[19:20], off
	v_add_co_u32 v19, vcc_lo, s20, v13
	v_add_co_ci_u32_e32 v20, vcc_lo, s21, v14, vcc_lo
	v_add_co_u32 v21, vcc_lo, s20, v15
	v_add_co_ci_u32_e32 v22, vcc_lo, s21, v16, vcc_lo
	;; [unrolled: 2-line block ×3, first 2 shown]
	s_clause 0x2
	global_load_b32 v19, v[19:20], off
	global_load_b32 v20, v[21:22], off
	global_load_b32 v21, v[23:24], off
	v_add_co_u32 v11, vcc_lo, s12, v11
	v_add_co_ci_u32_e32 v12, vcc_lo, s13, v12, vcc_lo
	v_add_co_u32 v13, vcc_lo, s12, v13
	v_add_co_ci_u32_e32 v14, vcc_lo, s13, v14, vcc_lo
	;; [unrolled: 2-line block ×4, first 2 shown]
	s_clause 0x3
	global_load_b32 v22, v[11:12], off
	global_load_b32 v23, v[13:14], off
	;; [unrolled: 1-line block ×4, first 2 shown]
	v_lshlrev_b64 v[11:12], 1, v[1:2]
	v_lshlrev_b64 v[13:14], 1, v[3:4]
	;; [unrolled: 1-line block ×4, first 2 shown]
	v_add3_u32 v1, s23, s22, v3
	v_add_co_u32 v8, vcc_lo, s18, v11
	v_add_co_u32 v11, s0, s18, v13
	v_add_co_ci_u32_e32 v9, vcc_lo, s19, v12, vcc_lo
	v_add_co_ci_u32_e64 v12, s0, s19, v14, s0
	v_add_co_u32 v3, s0, s18, v4
	s_delay_alu instid0(VALU_DEP_1)
	v_add_co_ci_u32_e64 v4, s0, s19, v5, s0
	v_add_co_u32 v5, s0, s18, v6
	v_cmp_le_i32_e32 vcc_lo, s6, v1
	s_or_b32 s7, vcc_lo, s7
	s_waitcnt vmcnt(7)
	v_mul_f32_e32 v6, 0x3fb8aa3b, v25
	v_cmp_ngt_f32_e64 s1, 0xc2ce8ed0, v25
	v_cmp_nlt_f32_e64 s4, 0x42b17218, v25
	s_waitcnt vmcnt(6)
	v_mul_f32_e32 v17, 0x3fb8aa3b, v19
	v_fma_f32 v13, 0x3fb8aa3b, v25, -v6
	v_rndne_f32_e32 v14, v6
	s_waitcnt vmcnt(5)
	v_cmp_ngt_f32_e64 s2, 0xc2ce8ed0, v20
	s_waitcnt vmcnt(4)
	v_cmp_ngt_f32_e64 s3, 0xc2ce8ed0, v21
	v_fma_f32 v26, 0x3fb8aa3b, v19, -v17
	v_dual_fmac_f32 v13, 0x32a5705f, v25 :: v_dual_sub_f32 v6, v6, v14
	v_rndne_f32_e32 v27, v17
	v_mul_f32_e32 v18, 0x3fb8aa3b, v20
	s_delay_alu instid0(VALU_DEP_4) | instskip(SKIP_1) | instid1(VALU_DEP_4)
	v_fmac_f32_e32 v26, 0x32a5705f, v19
	v_cvt_i32_f32_e32 v14, v14
	v_dual_add_f32 v6, v6, v13 :: v_dual_sub_f32 v13, v17, v27
	v_mul_f32_e32 v24, 0x3fb8aa3b, v21
	v_fma_f32 v28, 0x3fb8aa3b, v20, -v18
	v_rndne_f32_e32 v29, v18
	s_delay_alu instid0(VALU_DEP_4)
	v_exp_f32_e32 v6, v6
	v_add_f32_e32 v13, v13, v26
	v_fma_f32 v30, 0x3fb8aa3b, v21, -v24
	v_rndne_f32_e32 v31, v24
	v_fmac_f32_e32 v28, 0x32a5705f, v20
	v_sub_f32_e32 v18, v18, v29
	v_exp_f32_e32 v13, v13
	v_fmac_f32_e32 v30, 0x32a5705f, v21
	v_sub_f32_e32 v24, v24, v31
	v_cvt_i32_f32_e32 v17, v27
	v_add_f32_e32 v18, v18, v28
	v_cvt_i32_f32_e32 v27, v29
	v_cvt_i32_f32_e32 v29, v31
	v_add_f32_e32 v24, v24, v30
	v_ldexp_f32 v6, v6, v14
	v_exp_f32_e32 v18, v18
	v_ldexp_f32 v13, v13, v17
	s_delay_alu instid0(VALU_DEP_3) | instskip(NEXT) | instid1(VALU_DEP_2)
	v_exp_f32_e32 v24, v24
	v_cndmask_b32_e64 v6, 0, v6, s1
	v_cmp_ngt_f32_e64 s1, 0xc2ce8ed0, v19
	s_waitcnt_depctr 0xfff
	v_ldexp_f32 v14, v18, v27
	v_cndmask_b32_e64 v18, 0x7f800000, v6, s4
	v_cndmask_b32_e64 v6, 0, v13, s1
	v_ldexp_f32 v17, v24, v29
	v_cmp_nlt_f32_e64 s1, 0x42b17218, v20
	v_cndmask_b32_e64 v13, 0, v14, s2
	v_cmp_nlt_f32_e64 s2, 0x42b17218, v21
	s_delay_alu instid0(VALU_DEP_4) | instskip(SKIP_1) | instid1(VALU_DEP_4)
	v_cndmask_b32_e64 v14, 0, v17, s3
	v_cmp_nlt_f32_e64 s3, 0x42b17218, v19
	v_cndmask_b32_e64 v13, 0x7f800000, v13, s1
	s_delay_alu instid0(VALU_DEP_3) | instskip(NEXT) | instid1(VALU_DEP_3)
	v_cndmask_b32_e64 v14, 0x7f800000, v14, s2
	v_cndmask_b32_e64 v17, 0x7f800000, v6, s3
	v_add_co_ci_u32_e64 v6, s0, s19, v7, s0
	s_waitcnt vmcnt(3) lgkmcnt(0)
	v_fma_mixlo_f16 v7, -v10, v18, v22
	s_waitcnt vmcnt(1)
	v_fma_mixlo_f16 v13, -v10, v13, v15
	v_fma_mixlo_f16 v17, -v10, v17, v23
	s_waitcnt vmcnt(0)
	v_fma_mixlo_f16 v14, -v10, v14, v16
	s_clause 0x3
	global_store_b16 v[8:9], v7, off
	global_store_b16 v[11:12], v17, off
	global_store_b16 v[3:4], v13, off
	global_store_b16 v[5:6], v14, off
	s_and_not1_b32 exec_lo, exec_lo, s7
	s_cbranch_execnz .LBB299_59
; %bb.60:
	s_or_b32 exec_lo, exec_lo, s7
.LBB299_61:
	s_delay_alu instid0(SALU_CYCLE_1) | instskip(NEXT) | instid1(SALU_CYCLE_1)
	s_or_b32 exec_lo, exec_lo, s5
	s_mov_b32 s1, exec_lo
	v_cmpx_gt_i32_e64 s10, v1
	s_cbranch_execz .LBB299_64
; %bb.62:
	s_mov_b32 s2, 0
.LBB299_63:                             ; =>This Inner Loop Header: Depth=1
	v_ashrrev_i32_e32 v2, 31, v1
	s_delay_alu instid0(VALU_DEP_1) | instskip(NEXT) | instid1(VALU_DEP_1)
	v_lshlrev_b64 v[3:4], 2, v[1:2]
	v_add_co_u32 v5, vcc_lo, s20, v3
	s_delay_alu instid0(VALU_DEP_2)
	v_add_co_ci_u32_e32 v6, vcc_lo, s21, v4, vcc_lo
	v_add_co_u32 v3, vcc_lo, s12, v3
	v_add_co_ci_u32_e32 v4, vcc_lo, s13, v4, vcc_lo
	global_load_b32 v5, v[5:6], off
	global_load_b32 v4, v[3:4], off
	s_waitcnt vmcnt(1)
	v_mul_f32_e32 v3, 0x3fb8aa3b, v5
	v_cmp_ngt_f32_e32 vcc_lo, 0xc2ce8ed0, v5
	s_delay_alu instid0(VALU_DEP_2) | instskip(SKIP_1) | instid1(VALU_DEP_1)
	v_fma_f32 v6, 0x3fb8aa3b, v5, -v3
	v_rndne_f32_e32 v7, v3
	v_dual_fmac_f32 v6, 0x32a5705f, v5 :: v_dual_sub_f32 v3, v3, v7
	s_delay_alu instid0(VALU_DEP_1) | instskip(SKIP_1) | instid1(VALU_DEP_2)
	v_add_f32_e32 v3, v3, v6
	v_cvt_i32_f32_e32 v6, v7
	v_exp_f32_e32 v3, v3
	s_waitcnt_depctr 0xfff
	v_ldexp_f32 v3, v3, v6
	s_delay_alu instid0(VALU_DEP_1) | instskip(SKIP_3) | instid1(VALU_DEP_4)
	v_cndmask_b32_e32 v6, 0, v3, vcc_lo
	v_cmp_nlt_f32_e32 vcc_lo, 0x42b17218, v5
	v_lshlrev_b64 v[2:3], 1, v[1:2]
	v_add_nc_u32_e32 v1, s22, v1
	v_cndmask_b32_e32 v5, 0x7f800000, v6, vcc_lo
	s_delay_alu instid0(VALU_DEP_2) | instskip(NEXT) | instid1(VALU_DEP_4)
	v_cmp_le_i32_e32 vcc_lo, s10, v1
	v_add_co_u32 v2, s0, s18, v2
	s_waitcnt vmcnt(0) lgkmcnt(0)
	s_delay_alu instid0(VALU_DEP_3)
	v_fma_mixlo_f16 v4, -v10, v5, v4
	v_add_co_ci_u32_e64 v3, s0, s19, v3, s0
	s_or_b32 s2, vcc_lo, s2
	global_store_b16 v[2:3], v4, off
	s_and_not1_b32 exec_lo, exec_lo, s2
	s_cbranch_execnz .LBB299_63
.LBB299_64:
	s_or_b32 exec_lo, exec_lo, s1
	s_mov_b32 s0, 0
.LBB299_65:
	s_delay_alu instid0(SALU_CYCLE_1)
	s_and_not1_b32 vcc_lo, exec_lo, s0
	s_cbranch_vccnz .LBB299_93
.LBB299_66:
	s_cmp_lg_u64 s[24:25], 0
	s_mov_b32 s1, -1
	s_cselect_b32 s33, -1, 0
	s_and_b32 vcc_lo, exec_lo, s14
	v_cndmask_b32_e64 v1, 0, 1, s33
	s_delay_alu instid0(VALU_DEP_1)
	v_cmp_ne_u32_e64 s0, 1, v1
	s_cbranch_vccz .LBB299_81
; %bb.67:
	v_mov_b32_e32 v1, 0
	s_delay_alu instid0(VALU_DEP_2)
	s_and_b32 vcc_lo, exec_lo, s0
	s_mov_b64 s[4:5], s[10:11]
	s_mov_b64 s[26:27], s[18:19]
	;; [unrolled: 1-line block ×4, first 2 shown]
	s_cbranch_vccnz .LBB299_71
; %bb.68:
	s_lshl_b32 s0, s24, 1
	s_mov_b32 s23, 0
	s_sub_u32 s0, s18, s0
	s_subb_u32 s1, s19, 0
	s_lshl_b32 s2, s24, 2
	s_mov_b32 s4, exec_lo
	s_sub_u32 s6, s20, s2
	s_subb_u32 s7, s21, 0
	s_sub_u32 s2, s12, s2
	s_subb_u32 s3, s13, 0
	v_cmpx_le_u64_e64 s[24:25], v[0:1]
	s_cbranch_execz .LBB299_70
; %bb.69:
	v_lshlrev_b64 v[2:3], 2, v[0:1]
	s_delay_alu instid0(VALU_DEP_1) | instskip(NEXT) | instid1(VALU_DEP_2)
	v_add_co_u32 v4, vcc_lo, s6, v2
	v_add_co_ci_u32_e32 v5, vcc_lo, s7, v3, vcc_lo
	v_add_co_u32 v2, vcc_lo, s2, v2
	v_add_co_ci_u32_e32 v3, vcc_lo, s3, v3, vcc_lo
	global_load_b32 v4, v[4:5], off
	global_load_b32 v5, v[2:3], off
	s_waitcnt vmcnt(1)
	v_mul_f32_e32 v2, 0x3fb8aa3b, v4
	v_cmp_ngt_f32_e32 vcc_lo, 0xc2ce8ed0, v4
	s_delay_alu instid0(VALU_DEP_2) | instskip(SKIP_1) | instid1(VALU_DEP_1)
	v_fma_f32 v3, 0x3fb8aa3b, v4, -v2
	v_rndne_f32_e32 v6, v2
	v_dual_fmamk_f32 v3, v4, 0x32a5705f, v3 :: v_dual_sub_f32 v2, v2, v6
	s_delay_alu instid0(VALU_DEP_1) | instskip(SKIP_1) | instid1(VALU_DEP_2)
	v_add_f32_e32 v2, v2, v3
	v_cvt_i32_f32_e32 v3, v6
	v_exp_f32_e32 v2, v2
	s_waitcnt_depctr 0xfff
	v_ldexp_f32 v2, v2, v3
	s_delay_alu instid0(VALU_DEP_1) | instskip(SKIP_1) | instid1(VALU_DEP_2)
	v_cndmask_b32_e32 v2, 0, v2, vcc_lo
	v_cmp_nlt_f32_e32 vcc_lo, 0x42b17218, v4
	v_cndmask_b32_e32 v4, 0x7f800000, v2, vcc_lo
	v_lshlrev_b64 v[2:3], 1, v[0:1]
	s_waitcnt vmcnt(0) lgkmcnt(0)
	s_delay_alu instid0(VALU_DEP_2) | instskip(NEXT) | instid1(VALU_DEP_2)
	v_fma_mixlo_f16 v4, -v10, v4, v5
	v_add_co_u32 v2, vcc_lo, s0, v2
	s_delay_alu instid0(VALU_DEP_3)
	v_add_co_ci_u32_e32 v3, vcc_lo, s1, v3, vcc_lo
	global_store_b16 v[2:3], v4, off
.LBB299_70:
	s_or_b32 exec_lo, exec_lo, s4
	s_add_u32 s4, s24, s10
	s_addc_u32 s5, 0, s11
	s_delay_alu instid0(SALU_CYCLE_1) | instskip(NEXT) | instid1(VALU_DEP_1)
	v_cmp_lt_i64_e64 s8, s[4:5], s[22:23]
	s_and_b32 s8, s8, exec_lo
	s_cselect_b32 s8, s4, s22
	s_cselect_b32 s9, s5, 0
	s_sub_u32 s4, s4, s8
	s_subb_u32 s5, s5, s9
	s_lshl_b32 s8, s22, 1
	s_delay_alu instid0(SALU_CYCLE_1) | instskip(SKIP_2) | instid1(SALU_CYCLE_1)
	s_add_u32 s26, s0, s8
	s_addc_u32 s27, s1, 0
	s_lshl_b32 s0, s22, 2
	s_add_u32 s6, s6, s0
	s_addc_u32 s7, s7, 0
	s_add_u32 s8, s2, s0
	s_addc_u32 s9, s3, 0
.LBB299_71:
	s_load_b32 s0, s[16:17], 0x0
	v_mov_b32_e32 v2, 0
	s_mov_b32 s2, 0
	s_mov_b32 s3, s5
	s_waitcnt lgkmcnt(0)
	s_cmp_lt_u32 s15, s0
	s_cselect_b32 s0, 12, 18
	s_delay_alu instid0(SALU_CYCLE_1) | instskip(SKIP_4) | instid1(VALU_DEP_1)
	s_add_u32 s0, s16, s0
	s_addc_u32 s1, s17, 0
	global_load_u16 v2, v2, s[0:1]
	s_waitcnt vmcnt(0)
	v_readfirstlane_b32 s0, v2
	s_and_b32 s11, s0, 0xffff
	s_delay_alu instid0(SALU_CYCLE_1)
	s_lshl_b32 s14, s11, 2
	s_cmp_lg_u64 s[2:3], 0
	s_cbranch_scc0 .LBB299_94
; %bb.72:
	v_cvt_f32_ubyte0_e32 v2, 0
	v_cvt_f32_u32_e32 v3, s14
	s_sub_u32 s3, 0, s14
	s_subb_u32 s23, 0, 0
	s_delay_alu instid0(VALU_DEP_1) | instskip(NEXT) | instid1(VALU_DEP_1)
	v_fmamk_f32 v2, v2, 0x4f800000, v3
	v_rcp_f32_e32 v2, v2
	s_waitcnt_depctr 0xfff
	v_mul_f32_e32 v2, 0x5f7ffffc, v2
	s_delay_alu instid0(VALU_DEP_1) | instskip(NEXT) | instid1(VALU_DEP_1)
	v_mul_f32_e32 v3, 0x2f800000, v2
	v_trunc_f32_e32 v3, v3
	s_delay_alu instid0(VALU_DEP_1) | instskip(SKIP_1) | instid1(VALU_DEP_2)
	v_fmamk_f32 v2, v3, 0xcf800000, v2
	v_cvt_u32_f32_e32 v3, v3
	v_cvt_u32_f32_e32 v2, v2
	s_delay_alu instid0(VALU_DEP_2) | instskip(NEXT) | instid1(VALU_DEP_2)
	v_readfirstlane_b32 s0, v3
	v_readfirstlane_b32 s1, v2
	s_delay_alu instid0(VALU_DEP_2) | instskip(NEXT) | instid1(VALU_DEP_1)
	s_mul_i32 s25, s3, s0
	s_mul_hi_u32 s29, s3, s1
	s_mul_i32 s28, s23, s1
	s_add_i32 s25, s29, s25
	s_mul_i32 s30, s3, s1
	s_add_i32 s25, s25, s28
	s_mul_hi_u32 s29, s1, s30
	s_mul_hi_u32 s31, s0, s30
	s_mul_i32 s28, s0, s30
	s_mul_hi_u32 s30, s1, s25
	s_mul_i32 s1, s1, s25
	s_mul_hi_u32 s34, s0, s25
	s_add_u32 s1, s29, s1
	s_addc_u32 s29, 0, s30
	s_add_u32 s1, s1, s28
	s_mul_i32 s25, s0, s25
	s_addc_u32 s1, s29, s31
	s_addc_u32 s28, s34, 0
	s_add_u32 s1, s1, s25
	s_addc_u32 s25, 0, s28
	v_add_co_u32 v2, s1, v2, s1
	s_delay_alu instid0(VALU_DEP_1) | instskip(SKIP_1) | instid1(VALU_DEP_1)
	s_cmp_lg_u32 s1, 0
	s_addc_u32 s0, s0, s25
	v_readfirstlane_b32 s1, v2
	s_mul_i32 s25, s3, s0
	s_delay_alu instid0(VALU_DEP_1)
	s_mul_hi_u32 s28, s3, s1
	s_mul_i32 s23, s23, s1
	s_add_i32 s25, s28, s25
	s_mul_i32 s3, s3, s1
	s_add_i32 s25, s25, s23
	s_mul_hi_u32 s28, s0, s3
	s_mul_i32 s29, s0, s3
	s_mul_hi_u32 s3, s1, s3
	s_mul_hi_u32 s30, s1, s25
	s_mul_i32 s1, s1, s25
	s_mul_hi_u32 s23, s0, s25
	s_add_u32 s1, s3, s1
	s_addc_u32 s3, 0, s30
	s_add_u32 s1, s1, s29
	s_mul_i32 s25, s0, s25
	s_addc_u32 s1, s3, s28
	s_addc_u32 s3, s23, 0
	s_add_u32 s1, s1, s25
	s_addc_u32 s3, 0, s3
	v_add_co_u32 v2, s1, v2, s1
	s_delay_alu instid0(VALU_DEP_1) | instskip(SKIP_2) | instid1(VALU_DEP_1)
	s_cmp_lg_u32 s1, 0
	s_addc_u32 s3, s0, s3
	s_ashr_i32 s28, s5, 31
	v_readfirstlane_b32 s23, v2
	s_add_u32 s0, s4, s28
	s_mov_b32 s29, s28
	s_addc_u32 s1, s5, s28
	s_delay_alu instid0(SALU_CYCLE_1) | instskip(NEXT) | instid1(SALU_CYCLE_1)
	s_xor_b64 s[0:1], s[0:1], s[28:29]
	s_mul_i32 s29, s0, s3
	s_mul_hi_u32 s30, s0, s23
	s_mul_hi_u32 s25, s0, s3
	;; [unrolled: 1-line block ×3, first 2 shown]
	s_mul_i32 s23, s1, s23
	s_add_u32 s29, s30, s29
	s_addc_u32 s25, 0, s25
	s_mul_hi_u32 s31, s1, s3
	s_add_u32 s23, s29, s23
	s_mul_i32 s3, s1, s3
	s_addc_u32 s23, s25, s34
	s_addc_u32 s25, s31, 0
	s_add_u32 s3, s23, s3
	s_addc_u32 s23, 0, s25
	s_mul_hi_u32 s25, s14, s3
	s_mul_i32 s3, s14, s3
	s_mul_i32 s23, s14, s23
	v_sub_co_u32 v2, s0, s0, s3
	s_add_i32 s25, s25, s23
	s_cmp_lg_u32 s0, 0
	s_delay_alu instid0(VALU_DEP_1) | instskip(SKIP_2) | instid1(VALU_DEP_1)
	v_sub_co_u32 v3, s0, v2, s14
	s_subb_u32 s1, s1, s25
	s_cmp_lg_u32 s0, 0
	v_cmp_le_u32_e32 vcc_lo, s14, v3
	v_sub_co_u32 v4, s0, v3, s14
	s_subb_u32 s3, s1, 0
	s_cmp_lg_u32 s0, 0
	v_cndmask_b32_e64 v5, 0, -1, vcc_lo
	s_subb_u32 s0, s3, 0
	s_cmp_eq_u32 s3, 0
	v_mov_b32_e32 v7, s0
	s_cselect_b32 vcc_lo, -1, 0
	s_cmp_eq_u32 s1, 0
	v_cndmask_b32_e32 v5, -1, v5, vcc_lo
	v_cmp_le_u32_e32 vcc_lo, s14, v2
	s_cselect_b32 s0, -1, 0
	v_cndmask_b32_e64 v6, 0, -1, vcc_lo
	s_delay_alu instid0(VALU_DEP_3) | instskip(NEXT) | instid1(VALU_DEP_2)
	v_cmp_ne_u32_e32 vcc_lo, 0, v5
	v_cndmask_b32_e64 v5, -1, v6, s0
	v_cndmask_b32_e32 v6, s3, v7, vcc_lo
	v_cndmask_b32_e32 v3, v3, v4, vcc_lo
	s_delay_alu instid0(VALU_DEP_3) | instskip(NEXT) | instid1(VALU_DEP_2)
	v_cmp_ne_u32_e32 vcc_lo, 0, v5
	v_cndmask_b32_e32 v2, v2, v3, vcc_lo
	s_delay_alu instid0(VALU_DEP_4) | instskip(NEXT) | instid1(VALU_DEP_2)
	v_cndmask_b32_e32 v4, s1, v6, vcc_lo
	v_xor_b32_e32 v2, s28, v2
	s_delay_alu instid0(VALU_DEP_2) | instskip(NEXT) | instid1(VALU_DEP_2)
	v_xor_b32_e32 v3, s28, v4
	v_sub_co_u32 v2, vcc_lo, v2, s28
	s_delay_alu instid0(VALU_DEP_2)
	v_subrev_co_ci_u32_e32 v3, vcc_lo, s28, v3, vcc_lo
	s_and_not1_b32 vcc_lo, exec_lo, s2
	s_cbranch_vccnz .LBB299_74
.LBB299_73:
	v_cvt_f32_u32_e32 v2, s14
	s_sub_i32 s0, 0, s14
	s_delay_alu instid0(VALU_DEP_1) | instskip(SKIP_2) | instid1(VALU_DEP_1)
	v_rcp_iflag_f32_e32 v2, v2
	s_waitcnt_depctr 0xfff
	v_mul_f32_e32 v2, 0x4f7ffffe, v2
	v_cvt_u32_f32_e32 v2, v2
	s_delay_alu instid0(VALU_DEP_1) | instskip(NEXT) | instid1(VALU_DEP_1)
	v_mul_lo_u32 v3, s0, v2
	v_mul_hi_u32 v3, v2, v3
	s_delay_alu instid0(VALU_DEP_1) | instskip(NEXT) | instid1(VALU_DEP_1)
	v_add_nc_u32_e32 v2, v2, v3
	v_mul_hi_u32 v2, s4, v2
	s_delay_alu instid0(VALU_DEP_1) | instskip(NEXT) | instid1(VALU_DEP_1)
	v_mul_lo_u32 v2, v2, s14
	v_sub_nc_u32_e32 v2, s4, v2
	s_delay_alu instid0(VALU_DEP_1) | instskip(SKIP_1) | instid1(VALU_DEP_2)
	v_subrev_nc_u32_e32 v3, s14, v2
	v_cmp_le_u32_e32 vcc_lo, s14, v2
	v_cndmask_b32_e32 v2, v2, v3, vcc_lo
	s_delay_alu instid0(VALU_DEP_1) | instskip(SKIP_1) | instid1(VALU_DEP_2)
	v_subrev_nc_u32_e32 v3, s14, v2
	v_cmp_le_u32_e32 vcc_lo, s14, v2
	v_dual_cndmask_b32 v2, v2, v3 :: v_dual_mov_b32 v3, 0
.LBB299_74:
	s_delay_alu instid0(VALU_DEP_1) | instskip(SKIP_1) | instid1(VALU_DEP_3)
	v_sub_co_u32 v2, vcc_lo, s4, v2
	v_lshlrev_b64 v[4:5], 2, v[0:1]
	v_sub_co_ci_u32_e32 v3, vcc_lo, s5, v3, vcc_lo
	s_mov_b32 s23, exec_lo
	s_delay_alu instid0(VALU_DEP_1)
	v_cmpx_lt_i64_e64 v[4:5], v[2:3]
	s_cbranch_execz .LBB299_77
; %bb.75:
	v_lshlrev_b64 v[4:5], 3, v[0:1]
	v_dual_mov_b32 v9, v1 :: v_dual_mov_b32 v8, v0
	s_lshl_b32 s25, s11, 3
	s_mov_b32 s34, 0
	s_lshl_b32 s35, s11, 4
	s_delay_alu instid0(VALU_DEP_2) | instskip(SKIP_2) | instid1(VALU_DEP_3)
	v_add_co_u32 v6, vcc_lo, v4, s26
	v_add_co_ci_u32_e32 v7, vcc_lo, s27, v5, vcc_lo
	v_lshlrev_b64 v[4:5], 4, v[0:1]
	v_add_co_u32 v6, vcc_lo, v6, 4
	s_delay_alu instid0(VALU_DEP_3)
	v_add_co_ci_u32_e32 v7, vcc_lo, 0, v7, vcc_lo
	s_mov_b64 s[28:29], s[8:9]
	s_mov_b64 s[30:31], s[6:7]
.LBB299_76:                             ; =>This Inner Loop Header: Depth=1
	s_delay_alu instid0(VALU_DEP_3) | instid1(SALU_CYCLE_1)
	v_add_co_u32 v11, vcc_lo, s30, v4
	v_add_co_ci_u32_e32 v12, vcc_lo, s31, v5, vcc_lo
	v_add_co_u32 v15, vcc_lo, s28, v4
	v_add_co_ci_u32_e32 v16, vcc_lo, s29, v5, vcc_lo
	global_load_b128 v[11:14], v[11:12], off
	v_add_co_u32 v8, vcc_lo, v8, s11
	global_load_b128 v[15:18], v[15:16], off
	v_add_co_ci_u32_e32 v9, vcc_lo, 0, v9, vcc_lo
	s_add_u32 s30, s30, s35
	s_addc_u32 s31, s31, 0
	s_add_u32 s28, s28, s35
	s_delay_alu instid0(VALU_DEP_1) | instskip(SKIP_1) | instid1(VALU_DEP_1)
	v_lshlrev_b64 v[19:20], 2, v[8:9]
	s_addc_u32 s29, s29, 0
	v_cmp_ge_i64_e32 vcc_lo, v[19:20], v[2:3]
	s_or_b32 s34, vcc_lo, s34
	s_waitcnt vmcnt(1)
	v_dual_mul_f32 v1, 0x3fb8aa3b, v11 :: v_dual_mul_f32 v20, 0x3fb8aa3b, v13
	v_mul_f32_e32 v21, 0x3fb8aa3b, v14
	v_cmp_ngt_f32_e64 s0, 0xc2ce8ed0, v12
	v_cmp_ngt_f32_e64 s1, 0xc2ce8ed0, v13
	s_delay_alu instid0(VALU_DEP_4)
	v_fma_f32 v22, 0x3fb8aa3b, v11, -v1
	v_rndne_f32_e32 v27, v20
	v_mul_f32_e32 v19, 0x3fb8aa3b, v12
	v_rndne_f32_e32 v23, v1
	v_fma_f32 v26, 0x3fb8aa3b, v13, -v20
	v_fma_f32 v28, 0x3fb8aa3b, v14, -v21
	v_sub_f32_e32 v20, v20, v27
	v_fma_f32 v24, 0x3fb8aa3b, v12, -v19
	v_rndne_f32_e32 v25, v19
	v_rndne_f32_e32 v29, v21
	v_fmac_f32_e32 v22, 0x32a5705f, v11
	s_delay_alu instid0(VALU_DEP_4) | instskip(NEXT) | instid1(VALU_DEP_4)
	v_dual_sub_f32 v1, v1, v23 :: v_dual_fmac_f32 v24, 0x32a5705f, v12
	v_sub_f32_e32 v19, v19, v25
	v_fmac_f32_e32 v26, 0x32a5705f, v13
	v_dual_fmac_f32 v28, 0x32a5705f, v14 :: v_dual_sub_f32 v21, v21, v29
	s_delay_alu instid0(VALU_DEP_4) | instskip(NEXT) | instid1(VALU_DEP_3)
	v_add_f32_e32 v1, v1, v22
	v_dual_add_f32 v19, v19, v24 :: v_dual_add_f32 v20, v20, v26
	v_cvt_i32_f32_e32 v23, v23
	s_delay_alu instid0(VALU_DEP_4) | instskip(NEXT) | instid1(VALU_DEP_4)
	v_add_f32_e32 v21, v21, v28
	v_exp_f32_e32 v1, v1
	s_delay_alu instid0(VALU_DEP_3)
	v_exp_f32_e32 v19, v19
	v_exp_f32_e32 v20, v20
	v_cvt_i32_f32_e32 v25, v25
	v_exp_f32_e32 v21, v21
	v_cvt_i32_f32_e32 v27, v27
	v_cvt_i32_f32_e32 v29, v29
	v_cmp_ngt_f32_e64 s2, 0xc2ce8ed0, v14
	v_cmp_ngt_f32_e64 s3, 0xc2ce8ed0, v11
	v_ldexp_f32 v1, v1, v23
	s_delay_alu instid0(TRANS32_DEP_3) | instskip(NEXT) | instid1(TRANS32_DEP_2)
	v_ldexp_f32 v19, v19, v25
	v_ldexp_f32 v20, v20, v27
	s_delay_alu instid0(TRANS32_DEP_1) | instskip(NEXT) | instid1(VALU_DEP_4)
	v_ldexp_f32 v21, v21, v29
	v_cndmask_b32_e64 v1, 0, v1, s3
	v_cmp_nlt_f32_e64 s3, 0x42b17218, v11
	v_cndmask_b32_e64 v11, 0, v19, s0
	v_cndmask_b32_e64 v19, 0, v20, s1
	v_cmp_nlt_f32_e64 s0, 0x42b17218, v12
	v_cndmask_b32_e64 v12, 0, v21, s2
	v_cmp_nlt_f32_e64 s2, 0x42b17218, v13
	v_cmp_nlt_f32_e64 s1, 0x42b17218, v14
	v_cndmask_b32_e64 v1, 0x7f800000, v1, s3
	v_cndmask_b32_e64 v14, 0x7f800000, v11, s0
	s_delay_alu instid0(VALU_DEP_4) | instskip(NEXT) | instid1(VALU_DEP_4)
	v_cndmask_b32_e64 v13, 0x7f800000, v19, s2
	v_cndmask_b32_e64 v19, 0x7f800000, v12, s1
	s_waitcnt vmcnt(0)
	v_fma_mixlo_f16 v11, -v10, v1, v15
	s_delay_alu instid0(VALU_DEP_3) | instskip(NEXT) | instid1(VALU_DEP_2)
	v_fma_mixlo_f16 v12, -v10, v13, v17
	v_fma_mixhi_f16 v11, -v10, v14, v16
	s_delay_alu instid0(VALU_DEP_2) | instskip(SKIP_2) | instid1(VALU_DEP_1)
	v_fma_mixhi_f16 v12, -v10, v19, v18
	global_store_b64 v[6:7], v[11:12], off offset:-4
	v_add_co_u32 v6, s0, v6, s25
	v_add_co_ci_u32_e64 v7, s0, 0, v7, s0
	s_and_not1_b32 exec_lo, exec_lo, s34
	s_cbranch_execnz .LBB299_76
.LBB299_77:
	s_or_b32 exec_lo, exec_lo, s23
	v_add_co_u32 v1, vcc_lo, v2, v0
	v_add_co_ci_u32_e32 v2, vcc_lo, 0, v3, vcc_lo
	s_mov_b32 s1, exec_lo
	s_delay_alu instid0(VALU_DEP_1)
	v_cmpx_gt_i64_e64 s[4:5], v[1:2]
	s_cbranch_execz .LBB299_80
; %bb.78:
	v_lshlrev_b64 v[5:6], 1, v[1:2]
	v_lshlrev_b64 v[3:4], 2, v[1:2]
	s_lshl_b32 s2, s11, 1
	s_mov_b32 s3, 0
	s_delay_alu instid0(VALU_DEP_2) | instskip(NEXT) | instid1(VALU_DEP_3)
	v_add_co_u32 v5, vcc_lo, s26, v5
	v_add_co_ci_u32_e32 v6, vcc_lo, s27, v6, vcc_lo
.LBB299_79:                             ; =>This Inner Loop Header: Depth=1
	s_delay_alu instid0(VALU_DEP_3)
	v_add_co_u32 v7, vcc_lo, s6, v3
	v_add_co_ci_u32_e32 v8, vcc_lo, s7, v4, vcc_lo
	global_load_b32 v9, v[7:8], off
	v_add_co_u32 v7, vcc_lo, s8, v3
	v_add_co_ci_u32_e32 v8, vcc_lo, s9, v4, vcc_lo
	v_add_co_u32 v1, vcc_lo, v1, s11
	v_add_co_ci_u32_e32 v2, vcc_lo, 0, v2, vcc_lo
	global_load_b32 v7, v[7:8], off
	v_add_co_u32 v3, vcc_lo, v3, s14
	v_add_co_ci_u32_e32 v4, vcc_lo, 0, v4, vcc_lo
	v_cmp_le_i64_e32 vcc_lo, s[4:5], v[1:2]
	s_or_b32 s3, vcc_lo, s3
	s_waitcnt vmcnt(1)
	v_mul_f32_e32 v8, 0x3fb8aa3b, v9
	v_cmp_ngt_f32_e64 s0, 0xc2ce8ed0, v9
	s_delay_alu instid0(VALU_DEP_2) | instskip(SKIP_1) | instid1(VALU_DEP_1)
	v_fma_f32 v11, 0x3fb8aa3b, v9, -v8
	v_rndne_f32_e32 v12, v8
	v_dual_fmac_f32 v11, 0x32a5705f, v9 :: v_dual_sub_f32 v8, v8, v12
	s_delay_alu instid0(VALU_DEP_1) | instskip(SKIP_1) | instid1(VALU_DEP_2)
	v_add_f32_e32 v8, v8, v11
	v_cvt_i32_f32_e32 v11, v12
	v_exp_f32_e32 v8, v8
	s_waitcnt_depctr 0xfff
	v_ldexp_f32 v8, v8, v11
	s_delay_alu instid0(VALU_DEP_1) | instskip(SKIP_1) | instid1(VALU_DEP_1)
	v_cndmask_b32_e64 v8, 0, v8, s0
	v_cmp_nlt_f32_e64 s0, 0x42b17218, v9
	v_cndmask_b32_e64 v8, 0x7f800000, v8, s0
	s_waitcnt vmcnt(0)
	s_delay_alu instid0(VALU_DEP_1) | instskip(SKIP_2) | instid1(VALU_DEP_1)
	v_fma_mixlo_f16 v7, -v10, v8, v7
	global_store_b16 v[5:6], v7, off
	v_add_co_u32 v5, s0, v5, s2
	v_add_co_ci_u32_e64 v6, s0, 0, v6, s0
	s_and_not1_b32 exec_lo, exec_lo, s3
	s_cbranch_execnz .LBB299_79
.LBB299_80:
	s_or_b32 exec_lo, exec_lo, s1
	s_mov_b32 s1, 0
.LBB299_81:
	s_delay_alu instid0(SALU_CYCLE_1)
	s_and_b32 vcc_lo, exec_lo, s1
	s_cbranch_vccz .LBB299_93
; %bb.82:
	s_and_not1_b32 vcc_lo, exec_lo, s33
	s_cbranch_vccnz .LBB299_86
; %bb.83:
	s_lshl_b32 s0, s24, 1
	s_mov_b32 s6, exec_lo
	s_sub_u32 s3, s18, s0
	s_subb_u32 s4, s19, 0
	s_lshl_b32 s1, s24, 2
	s_delay_alu instid0(SALU_CYCLE_1)
	s_sub_u32 s0, s20, s1
	s_subb_u32 s5, s21, 0
	s_sub_u32 s1, s12, s1
	s_subb_u32 s2, s13, 0
	v_cmpx_le_u32_e64 s24, v0
	s_cbranch_execz .LBB299_85
; %bb.84:
	v_mov_b32_e32 v1, 0
	s_delay_alu instid0(VALU_DEP_1) | instskip(NEXT) | instid1(VALU_DEP_1)
	v_lshlrev_b64 v[2:3], 2, v[0:1]
	v_add_co_u32 v4, vcc_lo, s0, v2
	s_delay_alu instid0(VALU_DEP_2)
	v_add_co_ci_u32_e32 v5, vcc_lo, s5, v3, vcc_lo
	v_add_co_u32 v2, vcc_lo, s1, v2
	v_add_co_ci_u32_e32 v3, vcc_lo, s2, v3, vcc_lo
	global_load_b32 v4, v[4:5], off
	global_load_b32 v3, v[2:3], off
	s_waitcnt vmcnt(1)
	v_mul_f32_e32 v2, 0x3fb8aa3b, v4
	v_cmp_ngt_f32_e32 vcc_lo, 0xc2ce8ed0, v4
	s_delay_alu instid0(VALU_DEP_2) | instskip(SKIP_1) | instid1(VALU_DEP_1)
	v_fma_f32 v5, 0x3fb8aa3b, v4, -v2
	v_rndne_f32_e32 v6, v2
	v_dual_fmamk_f32 v5, v4, 0x32a5705f, v5 :: v_dual_sub_f32 v2, v2, v6
	s_delay_alu instid0(VALU_DEP_1) | instskip(SKIP_1) | instid1(VALU_DEP_2)
	v_add_f32_e32 v2, v2, v5
	v_cvt_i32_f32_e32 v5, v6
	v_exp_f32_e32 v2, v2
	s_waitcnt_depctr 0xfff
	v_ldexp_f32 v2, v2, v5
	s_delay_alu instid0(VALU_DEP_1) | instskip(SKIP_1) | instid1(VALU_DEP_2)
	v_cndmask_b32_e32 v2, 0, v2, vcc_lo
	v_cmp_nlt_f32_e32 vcc_lo, 0x42b17218, v4
	v_cndmask_b32_e32 v4, 0x7f800000, v2, vcc_lo
	v_lshlrev_b64 v[1:2], 1, v[0:1]
	s_waitcnt vmcnt(0) lgkmcnt(0)
	s_delay_alu instid0(VALU_DEP_2) | instskip(NEXT) | instid1(VALU_DEP_2)
	v_fma_mixlo_f16 v3, -v10, v4, v3
	v_add_co_u32 v1, vcc_lo, s3, v1
	s_delay_alu instid0(VALU_DEP_3)
	v_add_co_ci_u32_e32 v2, vcc_lo, s4, v2, vcc_lo
	global_store_b16 v[1:2], v3, off
.LBB299_85:
	s_or_b32 exec_lo, exec_lo, s6
	s_add_i32 s6, s24, s10
	s_lshl_b32 s7, s22, 1
	v_sub_nc_u32_e64 v1, s6, s22 clamp
	s_add_u32 s18, s3, s7
	s_addc_u32 s19, s4, 0
	s_lshl_b32 s3, s22, 2
	s_delay_alu instid0(SALU_CYCLE_1)
	s_add_u32 s20, s0, s3
	v_readfirstlane_b32 s10, v1
	s_addc_u32 s21, s5, 0
	s_add_u32 s12, s1, s3
	s_addc_u32 s13, s2, 0
.LBB299_86:
	s_load_b32 s0, s[16:17], 0x0
	v_mov_b32_e32 v1, 0
	s_waitcnt lgkmcnt(0)
	s_cmp_lt_u32 s15, s0
	s_cselect_b32 s0, 12, 18
	s_delay_alu instid0(SALU_CYCLE_1) | instskip(SKIP_4) | instid1(VALU_DEP_1)
	s_add_u32 s0, s16, s0
	s_addc_u32 s1, s17, 0
	global_load_u16 v3, v1, s[0:1]
	s_waitcnt vmcnt(0)
	v_readfirstlane_b32 s0, v3
	s_lshl_b32 s0, s0, 2
	s_delay_alu instid0(SALU_CYCLE_1) | instskip(SKIP_1) | instid1(VALU_DEP_1)
	v_cvt_f32_u32_e32 v1, s0
	s_sub_i32 s2, 0, s0
	v_rcp_iflag_f32_e32 v1, v1
	s_waitcnt_depctr 0xfff
	v_mul_f32_e32 v1, 0x4f7ffffe, v1
	s_delay_alu instid0(VALU_DEP_1) | instskip(NEXT) | instid1(VALU_DEP_1)
	v_cvt_u32_f32_e32 v1, v1
	v_readfirstlane_b32 s1, v1
	v_lshlrev_b32_e32 v1, 2, v0
	s_delay_alu instid0(VALU_DEP_2) | instskip(NEXT) | instid1(SALU_CYCLE_1)
	s_mul_i32 s2, s2, s1
	s_mul_hi_u32 s2, s1, s2
	s_delay_alu instid0(SALU_CYCLE_1) | instskip(NEXT) | instid1(SALU_CYCLE_1)
	s_add_i32 s1, s1, s2
	s_mul_hi_u32 s1, s10, s1
	s_delay_alu instid0(SALU_CYCLE_1) | instskip(NEXT) | instid1(SALU_CYCLE_1)
	s_mul_i32 s1, s1, s0
	s_sub_i32 s1, s10, s1
	s_delay_alu instid0(SALU_CYCLE_1) | instskip(SKIP_2) | instid1(SALU_CYCLE_1)
	s_sub_i32 s2, s1, s0
	s_cmp_ge_u32 s1, s0
	s_cselect_b32 s1, s2, s1
	s_sub_i32 s2, s1, s0
	s_cmp_ge_u32 s1, s0
	s_cselect_b32 s0, s2, s1
	s_mov_b32 s2, 0
	s_sub_i32 s0, s10, s0
	s_mov_b32 s1, exec_lo
	v_cmpx_gt_i32_e64 s0, v1
	s_cbranch_execz .LBB299_89
; %bb.87:
	v_mov_b32_e32 v1, v0
.LBB299_88:                             ; =>This Inner Loop Header: Depth=1
	s_delay_alu instid0(VALU_DEP_1) | instskip(NEXT) | instid1(VALU_DEP_1)
	v_ashrrev_i32_e32 v2, 31, v1
	v_lshlrev_b64 v[8:9], 4, v[1:2]
	s_delay_alu instid0(VALU_DEP_1) | instskip(NEXT) | instid1(VALU_DEP_2)
	v_add_co_u32 v4, vcc_lo, s20, v8
	v_add_co_ci_u32_e32 v5, vcc_lo, s21, v9, vcc_lo
	v_add_co_u32 v8, vcc_lo, s12, v8
	v_add_co_ci_u32_e32 v9, vcc_lo, s13, v9, vcc_lo
	global_load_b128 v[4:7], v[4:5], off
	global_load_b128 v[11:14], v[8:9], off
	s_waitcnt vmcnt(1)
	v_dual_mul_f32 v8, 0x3fb8aa3b, v4 :: v_dual_mul_f32 v9, 0x3fb8aa3b, v5
	v_dual_mul_f32 v15, 0x3fb8aa3b, v6 :: v_dual_mul_f32 v16, 0x3fb8aa3b, v7
	v_cmp_ngt_f32_e32 vcc_lo, 0xc2ce8ed0, v4
	s_delay_alu instid0(VALU_DEP_3)
	v_fma_f32 v17, 0x3fb8aa3b, v4, -v8
	v_rndne_f32_e32 v18, v8
	v_fma_f32 v19, 0x3fb8aa3b, v5, -v9
	v_rndne_f32_e32 v20, v9
	;; [unrolled: 2-line block ×3, first 2 shown]
	v_dual_fmac_f32 v17, 0x32a5705f, v4 :: v_dual_sub_f32 v8, v8, v18
	v_fma_f32 v21, 0x3fb8aa3b, v6, -v15
	v_rndne_f32_e32 v22, v15
	s_delay_alu instid0(VALU_DEP_4)
	v_dual_fmac_f32 v19, 0x32a5705f, v5 :: v_dual_sub_f32 v16, v16, v24
	v_fmac_f32_e32 v23, 0x32a5705f, v7
	v_sub_f32_e32 v9, v9, v20
	v_add_f32_e32 v17, v8, v17
	v_sub_f32_e32 v15, v15, v22
	v_cvt_i32_f32_e32 v18, v18
	v_add_f32_e32 v16, v16, v23
	v_add_f32_e32 v19, v9, v19
	v_lshlrev_b64 v[8:9], 3, v[1:2]
	v_exp_f32_e32 v2, v17
	v_add_nc_u32_e32 v1, v1, v3
	v_fmac_f32_e32 v21, 0x32a5705f, v6
	v_exp_f32_e32 v17, v19
	v_cvt_i32_f32_e32 v19, v20
	v_cvt_i32_f32_e32 v20, v22
	v_lshlrev_b32_e32 v22, 2, v1
	v_add_f32_e32 v15, v15, v21
	v_exp_f32_e32 v16, v16
	v_cvt_i32_f32_e32 v21, v24
	v_ldexp_f32 v2, v2, v18
	s_delay_alu instid0(VALU_DEP_3) | instskip(NEXT) | instid1(TRANS32_DEP_3)
	v_exp_f32_e32 v15, v15
	v_ldexp_f32 v17, v17, v19
	s_delay_alu instid0(VALU_DEP_2) | instskip(SKIP_1) | instid1(TRANS32_DEP_2)
	v_cndmask_b32_e32 v2, 0, v2, vcc_lo
	v_cmp_ngt_f32_e32 vcc_lo, 0xc2ce8ed0, v5
	v_ldexp_f32 v16, v16, v21
	s_delay_alu instid0(VALU_DEP_4) | instskip(SKIP_3) | instid1(VALU_DEP_2)
	v_cndmask_b32_e32 v17, 0, v17, vcc_lo
	s_waitcnt_depctr 0xfff
	v_ldexp_f32 v15, v15, v20
	v_cmp_ngt_f32_e32 vcc_lo, 0xc2ce8ed0, v6
	v_cndmask_b32_e32 v15, 0, v15, vcc_lo
	v_cmp_ngt_f32_e32 vcc_lo, 0xc2ce8ed0, v7
	v_cndmask_b32_e32 v16, 0, v16, vcc_lo
	v_cmp_nlt_f32_e32 vcc_lo, 0x42b17218, v4
	v_cndmask_b32_e32 v2, 0x7f800000, v2, vcc_lo
	v_cmp_nlt_f32_e32 vcc_lo, 0x42b17218, v6
	s_waitcnt vmcnt(0)
	s_delay_alu instid0(VALU_DEP_2) | instskip(SKIP_2) | instid1(VALU_DEP_2)
	v_fma_mixlo_f16 v4, -v10, v2, v11
	v_cndmask_b32_e32 v6, 0x7f800000, v15, vcc_lo
	v_cmp_nlt_f32_e32 vcc_lo, 0x42b17218, v5
	v_fma_mixlo_f16 v5, -v10, v6, v13
	v_cndmask_b32_e32 v15, 0x7f800000, v17, vcc_lo
	v_cmp_nlt_f32_e32 vcc_lo, 0x42b17218, v7
	s_delay_alu instid0(VALU_DEP_2) | instskip(SKIP_4) | instid1(VALU_DEP_4)
	v_fma_mixhi_f16 v4, -v10, v15, v12
	v_cndmask_b32_e32 v16, 0x7f800000, v16, vcc_lo
	v_add_co_u32 v6, vcc_lo, s18, v8
	v_add_co_ci_u32_e32 v7, vcc_lo, s19, v9, vcc_lo
	v_cmp_le_i32_e32 vcc_lo, s0, v22
	v_fma_mixhi_f16 v5, -v10, v16, v14
	s_or_b32 s2, vcc_lo, s2
	global_store_b64 v[6:7], v[4:5], off
	s_and_not1_b32 exec_lo, exec_lo, s2
	s_cbranch_execnz .LBB299_88
.LBB299_89:
	s_or_b32 exec_lo, exec_lo, s1
	v_add_nc_u32_e32 v0, s0, v0
	s_mov_b32 s0, exec_lo
	s_delay_alu instid0(VALU_DEP_1)
	v_cmpx_gt_i32_e64 s10, v0
	s_cbranch_execz .LBB299_93
; %bb.90:
	s_mov_b32 s1, 0
.LBB299_91:                             ; =>This Inner Loop Header: Depth=1
	v_ashrrev_i32_e32 v1, 31, v0
	s_delay_alu instid0(VALU_DEP_1) | instskip(NEXT) | instid1(VALU_DEP_1)
	v_lshlrev_b64 v[4:5], 2, v[0:1]
	v_add_co_u32 v6, vcc_lo, s20, v4
	s_delay_alu instid0(VALU_DEP_2)
	v_add_co_ci_u32_e32 v7, vcc_lo, s21, v5, vcc_lo
	v_add_co_u32 v4, vcc_lo, s12, v4
	v_add_co_ci_u32_e32 v5, vcc_lo, s13, v5, vcc_lo
	global_load_b32 v6, v[6:7], off
	global_load_b32 v4, v[4:5], off
	s_waitcnt vmcnt(1)
	v_mul_f32_e32 v2, 0x3fb8aa3b, v6
	v_cmp_ngt_f32_e32 vcc_lo, 0xc2ce8ed0, v6
	s_delay_alu instid0(VALU_DEP_2) | instskip(SKIP_1) | instid1(VALU_DEP_1)
	v_fma_f32 v5, 0x3fb8aa3b, v6, -v2
	v_rndne_f32_e32 v7, v2
	v_dual_fmac_f32 v5, 0x32a5705f, v6 :: v_dual_sub_f32 v2, v2, v7
	s_delay_alu instid0(VALU_DEP_1) | instskip(SKIP_1) | instid1(VALU_DEP_2)
	v_add_f32_e32 v2, v2, v5
	v_cvt_i32_f32_e32 v5, v7
	v_exp_f32_e32 v2, v2
	s_waitcnt_depctr 0xfff
	v_ldexp_f32 v2, v2, v5
	s_delay_alu instid0(VALU_DEP_1) | instskip(SKIP_2) | instid1(VALU_DEP_3)
	v_cndmask_b32_e32 v5, 0, v2, vcc_lo
	v_cmp_nlt_f32_e32 vcc_lo, 0x42b17218, v6
	v_lshlrev_b64 v[1:2], 1, v[0:1]
	v_dual_cndmask_b32 v5, 0x7f800000, v5 :: v_dual_add_nc_u32 v0, v0, v3
	s_delay_alu instid0(VALU_DEP_1) | instskip(NEXT) | instid1(VALU_DEP_3)
	v_cmp_le_i32_e32 vcc_lo, s10, v0
	v_add_co_u32 v1, s0, s18, v1
	s_waitcnt vmcnt(0)
	s_delay_alu instid0(VALU_DEP_3)
	v_fma_mixlo_f16 v4, -v10, v5, v4
	v_add_co_ci_u32_e64 v2, s0, s19, v2, s0
	s_or_b32 s1, vcc_lo, s1
	global_store_b16 v[1:2], v4, off
	s_and_not1_b32 exec_lo, exec_lo, s1
	s_cbranch_execnz .LBB299_91
	s_branch .LBB299_93
.LBB299_92:
	s_cbranch_execz .LBB299_66
.LBB299_93:
	s_nop 0
	s_sendmsg sendmsg(MSG_DEALLOC_VGPRS)
	s_endpgm
.LBB299_94:
                                        ; implicit-def: $vgpr2_vgpr3
	s_branch .LBB299_73
	.section	.rodata,"a",@progbits
	.p2align	6, 0x0
	.amdhsa_kernel _ZN2at6native12_GLOBAL__N_120cunn_SoftMaxBackwardILi4EN3c104HalfEffNS1_26LogSoftMaxBackwardEpilogueEEEvPT0_PKT2_SA_l
		.amdhsa_group_segment_fixed_size 0
		.amdhsa_private_segment_fixed_size 0
		.amdhsa_kernarg_size 288
		.amdhsa_user_sgpr_count 15
		.amdhsa_user_sgpr_dispatch_ptr 0
		.amdhsa_user_sgpr_queue_ptr 0
		.amdhsa_user_sgpr_kernarg_segment_ptr 1
		.amdhsa_user_sgpr_dispatch_id 0
		.amdhsa_user_sgpr_private_segment_size 0
		.amdhsa_wavefront_size32 1
		.amdhsa_uses_dynamic_stack 0
		.amdhsa_enable_private_segment 0
		.amdhsa_system_sgpr_workgroup_id_x 1
		.amdhsa_system_sgpr_workgroup_id_y 0
		.amdhsa_system_sgpr_workgroup_id_z 0
		.amdhsa_system_sgpr_workgroup_info 0
		.amdhsa_system_vgpr_workitem_id 0
		.amdhsa_next_free_vgpr 34
		.amdhsa_next_free_sgpr 57
		.amdhsa_reserve_vcc 1
		.amdhsa_float_round_mode_32 0
		.amdhsa_float_round_mode_16_64 0
		.amdhsa_float_denorm_mode_32 3
		.amdhsa_float_denorm_mode_16_64 3
		.amdhsa_dx10_clamp 1
		.amdhsa_ieee_mode 1
		.amdhsa_fp16_overflow 0
		.amdhsa_workgroup_processor_mode 1
		.amdhsa_memory_ordered 1
		.amdhsa_forward_progress 0
		.amdhsa_shared_vgpr_count 0
		.amdhsa_exception_fp_ieee_invalid_op 0
		.amdhsa_exception_fp_denorm_src 0
		.amdhsa_exception_fp_ieee_div_zero 0
		.amdhsa_exception_fp_ieee_overflow 0
		.amdhsa_exception_fp_ieee_underflow 0
		.amdhsa_exception_fp_ieee_inexact 0
		.amdhsa_exception_int_div_zero 0
	.end_amdhsa_kernel
	.section	.text._ZN2at6native12_GLOBAL__N_120cunn_SoftMaxBackwardILi4EN3c104HalfEffNS1_26LogSoftMaxBackwardEpilogueEEEvPT0_PKT2_SA_l,"axG",@progbits,_ZN2at6native12_GLOBAL__N_120cunn_SoftMaxBackwardILi4EN3c104HalfEffNS1_26LogSoftMaxBackwardEpilogueEEEvPT0_PKT2_SA_l,comdat
.Lfunc_end299:
	.size	_ZN2at6native12_GLOBAL__N_120cunn_SoftMaxBackwardILi4EN3c104HalfEffNS1_26LogSoftMaxBackwardEpilogueEEEvPT0_PKT2_SA_l, .Lfunc_end299-_ZN2at6native12_GLOBAL__N_120cunn_SoftMaxBackwardILi4EN3c104HalfEffNS1_26LogSoftMaxBackwardEpilogueEEEvPT0_PKT2_SA_l
                                        ; -- End function
	.section	.AMDGPU.csdata,"",@progbits
; Kernel info:
; codeLenInByte = 9172
; NumSgprs: 59
; NumVgprs: 34
; ScratchSize: 0
; MemoryBound: 0
; FloatMode: 240
; IeeeMode: 1
; LDSByteSize: 0 bytes/workgroup (compile time only)
; SGPRBlocks: 7
; VGPRBlocks: 4
; NumSGPRsForWavesPerEU: 59
; NumVGPRsForWavesPerEU: 34
; Occupancy: 16
; WaveLimiterHint : 0
; COMPUTE_PGM_RSRC2:SCRATCH_EN: 0
; COMPUTE_PGM_RSRC2:USER_SGPR: 15
; COMPUTE_PGM_RSRC2:TRAP_HANDLER: 0
; COMPUTE_PGM_RSRC2:TGID_X_EN: 1
; COMPUTE_PGM_RSRC2:TGID_Y_EN: 0
; COMPUTE_PGM_RSRC2:TGID_Z_EN: 0
; COMPUTE_PGM_RSRC2:TIDIG_COMP_CNT: 0
	.section	.text._ZN12_GLOBAL__N_121softmax_warp_backwardIN3c108BFloat16ES2_fLi0ELb1ELb0ELi64EEEvPT0_PKT_S7_iiiPKb,"axG",@progbits,_ZN12_GLOBAL__N_121softmax_warp_backwardIN3c108BFloat16ES2_fLi0ELb1ELb0ELi64EEEvPT0_PKT_S7_iiiPKb,comdat
	.globl	_ZN12_GLOBAL__N_121softmax_warp_backwardIN3c108BFloat16ES2_fLi0ELb1ELb0ELi64EEEvPT0_PKT_S7_iiiPKb ; -- Begin function _ZN12_GLOBAL__N_121softmax_warp_backwardIN3c108BFloat16ES2_fLi0ELb1ELb0ELi64EEEvPT0_PKT_S7_iiiPKb
	.p2align	8
	.type	_ZN12_GLOBAL__N_121softmax_warp_backwardIN3c108BFloat16ES2_fLi0ELb1ELb0ELi64EEEvPT0_PKT_S7_iiiPKb,@function
_ZN12_GLOBAL__N_121softmax_warp_backwardIN3c108BFloat16ES2_fLi0ELb1ELb0ELi64EEEvPT0_PKT_S7_iiiPKb: ; @_ZN12_GLOBAL__N_121softmax_warp_backwardIN3c108BFloat16ES2_fLi0ELb1ELb0ELi64EEEvPT0_PKT_S7_iiiPKb
; %bb.0:
	s_clause 0x1
	s_load_b32 s2, s[0:1], 0x3c
	s_load_b128 s[4:7], s[0:1], 0x18
	v_bfe_u32 v0, v0, 10, 10
	s_load_b128 s[8:11], s[0:1], 0x0
	v_dual_mov_b32 v7, 0 :: v_dual_mov_b32 v8, 0
	v_mov_b32_e32 v10, 0
	s_waitcnt lgkmcnt(0)
	s_lshr_b32 s2, s2, 16
	s_cmp_gt_i32 s6, 0
	s_mul_i32 s15, s15, s2
	s_load_b64 s[2:3], s[0:1], 0x10
	v_add_lshl_u32 v2, s15, v0, 1
	s_cselect_b32 s1, -1, 0
	s_delay_alu instid0(VALU_DEP_1) | instskip(SKIP_1) | instid1(VALU_DEP_1)
	v_mul_lo_u32 v0, v2, s5
	v_sub_nc_u32_e32 v6, s4, v2
	v_cmp_lt_i32_e32 vcc_lo, 0, v6
	s_delay_alu instid0(VALU_DEP_3) | instskip(NEXT) | instid1(VALU_DEP_1)
	v_ashrrev_i32_e32 v1, 31, v0
	v_lshlrev_b64 v[0:1], 1, v[0:1]
	s_delay_alu instid0(VALU_DEP_1) | instskip(NEXT) | instid1(VALU_DEP_1)
	v_add_co_u32 v2, s0, s10, v0
	v_add_co_ci_u32_e64 v3, s0, s11, v1, s0
	s_waitcnt lgkmcnt(0)
	v_add_co_u32 v4, s0, s2, v0
	s_delay_alu instid0(VALU_DEP_1) | instskip(SKIP_1) | instid1(SALU_CYCLE_1)
	v_add_co_ci_u32_e64 v5, s0, s3, v1, s0
	s_and_b32 s2, s1, vcc_lo
	s_and_saveexec_b32 s0, s2
	s_cbranch_execz .LBB300_2
; %bb.1:
	global_load_u16 v8, v[4:5], off
	global_load_u16 v9, v[2:3], off
	s_waitcnt vmcnt(1)
	v_lshlrev_b32_e32 v8, 16, v8
	s_waitcnt vmcnt(0)
	v_lshlrev_b32_e32 v10, 16, v9
.LBB300_2:
	s_or_b32 exec_lo, exec_lo, s0
	v_cmp_lt_i32_e64 s0, 1, v6
	v_mov_b32_e32 v9, 0
	s_mov_b32 s7, 0
	s_delay_alu instid0(VALU_DEP_2) | instskip(NEXT) | instid1(SALU_CYCLE_1)
	s_and_b32 s0, s1, s0
	s_and_saveexec_b32 s2, s0
	s_cbranch_execz .LBB300_4
; %bb.3:
	s_lshl_b64 s[4:5], s[6:7], 1
	s_delay_alu instid0(SALU_CYCLE_1) | instskip(NEXT) | instid1(VALU_DEP_1)
	v_add_co_u32 v4, s0, v4, s4
	v_add_co_ci_u32_e64 v5, s0, s5, v5, s0
	v_add_co_u32 v2, s0, v2, s4
	s_delay_alu instid0(VALU_DEP_1)
	v_add_co_ci_u32_e64 v3, s0, s5, v3, s0
	global_load_u16 v4, v[4:5], off
	global_load_u16 v2, v[2:3], off
	s_waitcnt vmcnt(1)
	v_lshlrev_b32_e32 v7, 16, v4
	s_waitcnt vmcnt(0)
	v_lshlrev_b32_e32 v9, 16, v2
.LBB300_4:
	s_or_b32 exec_lo, exec_lo, s2
	s_and_saveexec_b32 s0, vcc_lo
	s_cbranch_execz .LBB300_10
; %bb.5:
	v_add_co_u32 v0, vcc_lo, s8, v0
	v_cndmask_b32_e64 v2, 0, 1, s1
	v_add_co_ci_u32_e32 v1, vcc_lo, s9, v1, vcc_lo
	s_and_not1_b32 vcc_lo, exec_lo, s1
	s_cbranch_vccnz .LBB300_7
; %bb.6:
	v_mul_f32_e32 v3, 0x3fb8aa3b, v8
	v_cmp_ngt_f32_e32 vcc_lo, 0xc2ce8ed0, v8
	s_delay_alu instid0(VALU_DEP_2) | instskip(SKIP_1) | instid1(VALU_DEP_2)
	v_rndne_f32_e32 v4, v3
	v_fma_f32 v5, 0x3fb8aa3b, v8, -v3
	v_sub_f32_e32 v3, v3, v4
	s_delay_alu instid0(VALU_DEP_2) | instskip(SKIP_1) | instid1(VALU_DEP_2)
	v_fmamk_f32 v5, v8, 0x32a5705f, v5
	v_cvt_i32_f32_e32 v4, v4
	v_add_f32_e32 v3, v3, v5
	s_delay_alu instid0(VALU_DEP_1) | instskip(SKIP_2) | instid1(VALU_DEP_1)
	v_exp_f32_e32 v3, v3
	s_waitcnt_depctr 0xfff
	v_ldexp_f32 v3, v3, v4
	v_dual_add_f32 v4, 0, v10 :: v_dual_cndmask_b32 v3, 0, v3
	v_cmp_nlt_f32_e32 vcc_lo, 0x42b17218, v8
	s_delay_alu instid0(VALU_DEP_2) | instskip(NEXT) | instid1(VALU_DEP_1)
	v_cndmask_b32_e32 v3, 0x7f800000, v3, vcc_lo
	v_fma_f32 v3, -v4, v3, v10
	s_delay_alu instid0(VALU_DEP_1) | instskip(SKIP_1) | instid1(VALU_DEP_2)
	v_bfe_u32 v4, v3, 16, 1
	v_cmp_o_f32_e32 vcc_lo, v3, v3
	v_add3_u32 v4, v3, v4, 0x7fff
	s_delay_alu instid0(VALU_DEP_1) | instskip(NEXT) | instid1(VALU_DEP_1)
	v_lshrrev_b32_e32 v4, 16, v4
	v_cndmask_b32_e32 v3, 0x7fc0, v4, vcc_lo
	global_store_b16 v[0:1], v3, off
.LBB300_7:
	v_cmp_ne_u32_e32 vcc_lo, 1, v6
	s_and_b32 exec_lo, exec_lo, vcc_lo
	s_cbranch_execz .LBB300_10
; %bb.8:
	v_cmp_ne_u32_e32 vcc_lo, 1, v2
	s_cbranch_vccnz .LBB300_10
; %bb.9:
	v_mul_f32_e32 v2, 0x3fb8aa3b, v7
	v_cmp_ngt_f32_e32 vcc_lo, 0xc2ce8ed0, v7
	s_lshl_b64 s[0:1], s[6:7], 1
	s_delay_alu instid0(VALU_DEP_2) | instskip(SKIP_1) | instid1(VALU_DEP_2)
	v_rndne_f32_e32 v3, v2
	v_fma_f32 v4, 0x3fb8aa3b, v7, -v2
	v_sub_f32_e32 v2, v2, v3
	s_delay_alu instid0(VALU_DEP_2) | instskip(SKIP_1) | instid1(VALU_DEP_2)
	v_fmamk_f32 v4, v7, 0x32a5705f, v4
	v_cvt_i32_f32_e32 v3, v3
	v_add_f32_e32 v2, v2, v4
	s_delay_alu instid0(VALU_DEP_1) | instskip(SKIP_2) | instid1(VALU_DEP_1)
	v_exp_f32_e32 v2, v2
	s_waitcnt_depctr 0xfff
	v_ldexp_f32 v2, v2, v3
	v_dual_add_f32 v3, 0, v9 :: v_dual_cndmask_b32 v2, 0, v2
	v_cmp_nlt_f32_e32 vcc_lo, 0x42b17218, v7
	s_delay_alu instid0(VALU_DEP_2) | instskip(NEXT) | instid1(VALU_DEP_1)
	v_cndmask_b32_e32 v2, 0x7f800000, v2, vcc_lo
	v_fma_f32 v2, -v3, v2, v9
	s_delay_alu instid0(VALU_DEP_1) | instskip(SKIP_1) | instid1(VALU_DEP_2)
	v_bfe_u32 v3, v2, 16, 1
	v_cmp_o_f32_e32 vcc_lo, v2, v2
	v_add3_u32 v3, v2, v3, 0x7fff
	s_delay_alu instid0(VALU_DEP_1) | instskip(NEXT) | instid1(VALU_DEP_1)
	v_lshrrev_b32_e32 v3, 16, v3
	v_cndmask_b32_e32 v2, 0x7fc0, v3, vcc_lo
	v_add_co_u32 v0, vcc_lo, v0, s0
	v_add_co_ci_u32_e32 v1, vcc_lo, s1, v1, vcc_lo
	global_store_b16 v[0:1], v2, off
.LBB300_10:
	s_nop 0
	s_sendmsg sendmsg(MSG_DEALLOC_VGPRS)
	s_endpgm
	.section	.rodata,"a",@progbits
	.p2align	6, 0x0
	.amdhsa_kernel _ZN12_GLOBAL__N_121softmax_warp_backwardIN3c108BFloat16ES2_fLi0ELb1ELb0ELi64EEEvPT0_PKT_S7_iiiPKb
		.amdhsa_group_segment_fixed_size 0
		.amdhsa_private_segment_fixed_size 0
		.amdhsa_kernarg_size 304
		.amdhsa_user_sgpr_count 15
		.amdhsa_user_sgpr_dispatch_ptr 0
		.amdhsa_user_sgpr_queue_ptr 0
		.amdhsa_user_sgpr_kernarg_segment_ptr 1
		.amdhsa_user_sgpr_dispatch_id 0
		.amdhsa_user_sgpr_private_segment_size 0
		.amdhsa_wavefront_size32 1
		.amdhsa_uses_dynamic_stack 0
		.amdhsa_enable_private_segment 0
		.amdhsa_system_sgpr_workgroup_id_x 1
		.amdhsa_system_sgpr_workgroup_id_y 0
		.amdhsa_system_sgpr_workgroup_id_z 0
		.amdhsa_system_sgpr_workgroup_info 0
		.amdhsa_system_vgpr_workitem_id 1
		.amdhsa_next_free_vgpr 11
		.amdhsa_next_free_sgpr 16
		.amdhsa_reserve_vcc 1
		.amdhsa_float_round_mode_32 0
		.amdhsa_float_round_mode_16_64 0
		.amdhsa_float_denorm_mode_32 3
		.amdhsa_float_denorm_mode_16_64 3
		.amdhsa_dx10_clamp 1
		.amdhsa_ieee_mode 1
		.amdhsa_fp16_overflow 0
		.amdhsa_workgroup_processor_mode 1
		.amdhsa_memory_ordered 1
		.amdhsa_forward_progress 0
		.amdhsa_shared_vgpr_count 0
		.amdhsa_exception_fp_ieee_invalid_op 0
		.amdhsa_exception_fp_denorm_src 0
		.amdhsa_exception_fp_ieee_div_zero 0
		.amdhsa_exception_fp_ieee_overflow 0
		.amdhsa_exception_fp_ieee_underflow 0
		.amdhsa_exception_fp_ieee_inexact 0
		.amdhsa_exception_int_div_zero 0
	.end_amdhsa_kernel
	.section	.text._ZN12_GLOBAL__N_121softmax_warp_backwardIN3c108BFloat16ES2_fLi0ELb1ELb0ELi64EEEvPT0_PKT_S7_iiiPKb,"axG",@progbits,_ZN12_GLOBAL__N_121softmax_warp_backwardIN3c108BFloat16ES2_fLi0ELb1ELb0ELi64EEEvPT0_PKT_S7_iiiPKb,comdat
.Lfunc_end300:
	.size	_ZN12_GLOBAL__N_121softmax_warp_backwardIN3c108BFloat16ES2_fLi0ELb1ELb0ELi64EEEvPT0_PKT_S7_iiiPKb, .Lfunc_end300-_ZN12_GLOBAL__N_121softmax_warp_backwardIN3c108BFloat16ES2_fLi0ELb1ELb0ELi64EEEvPT0_PKT_S7_iiiPKb
                                        ; -- End function
	.section	.AMDGPU.csdata,"",@progbits
; Kernel info:
; codeLenInByte = 744
; NumSgprs: 18
; NumVgprs: 11
; ScratchSize: 0
; MemoryBound: 0
; FloatMode: 240
; IeeeMode: 1
; LDSByteSize: 0 bytes/workgroup (compile time only)
; SGPRBlocks: 2
; VGPRBlocks: 1
; NumSGPRsForWavesPerEU: 18
; NumVGPRsForWavesPerEU: 11
; Occupancy: 16
; WaveLimiterHint : 0
; COMPUTE_PGM_RSRC2:SCRATCH_EN: 0
; COMPUTE_PGM_RSRC2:USER_SGPR: 15
; COMPUTE_PGM_RSRC2:TRAP_HANDLER: 0
; COMPUTE_PGM_RSRC2:TGID_X_EN: 1
; COMPUTE_PGM_RSRC2:TGID_Y_EN: 0
; COMPUTE_PGM_RSRC2:TGID_Z_EN: 0
; COMPUTE_PGM_RSRC2:TIDIG_COMP_CNT: 1
	.section	.text._ZN12_GLOBAL__N_121softmax_warp_backwardIN3c108BFloat16ES2_fLi0ELb1ELb0ELi32EEEvPT0_PKT_S7_iiiPKb,"axG",@progbits,_ZN12_GLOBAL__N_121softmax_warp_backwardIN3c108BFloat16ES2_fLi0ELb1ELb0ELi32EEEvPT0_PKT_S7_iiiPKb,comdat
	.globl	_ZN12_GLOBAL__N_121softmax_warp_backwardIN3c108BFloat16ES2_fLi0ELb1ELb0ELi32EEEvPT0_PKT_S7_iiiPKb ; -- Begin function _ZN12_GLOBAL__N_121softmax_warp_backwardIN3c108BFloat16ES2_fLi0ELb1ELb0ELi32EEEvPT0_PKT_S7_iiiPKb
	.p2align	8
	.type	_ZN12_GLOBAL__N_121softmax_warp_backwardIN3c108BFloat16ES2_fLi0ELb1ELb0ELi32EEEvPT0_PKT_S7_iiiPKb,@function
_ZN12_GLOBAL__N_121softmax_warp_backwardIN3c108BFloat16ES2_fLi0ELb1ELb0ELi32EEEvPT0_PKT_S7_iiiPKb: ; @_ZN12_GLOBAL__N_121softmax_warp_backwardIN3c108BFloat16ES2_fLi0ELb1ELb0ELi32EEEvPT0_PKT_S7_iiiPKb
; %bb.0:
	s_clause 0x1
	s_load_b32 s2, s[0:1], 0x3c
	s_load_b128 s[4:7], s[0:1], 0x18
	v_bfe_u32 v0, v0, 10, 10
	s_load_b128 s[8:11], s[0:1], 0x0
	v_dual_mov_b32 v7, 0 :: v_dual_mov_b32 v8, 0
	v_mov_b32_e32 v10, 0
	s_waitcnt lgkmcnt(0)
	s_lshr_b32 s2, s2, 16
	s_cmp_gt_i32 s6, 0
	s_mul_i32 s15, s15, s2
	s_load_b64 s[2:3], s[0:1], 0x10
	v_add_lshl_u32 v2, s15, v0, 1
	s_cselect_b32 s1, -1, 0
	s_delay_alu instid0(VALU_DEP_1) | instskip(SKIP_1) | instid1(VALU_DEP_1)
	v_mul_lo_u32 v0, v2, s5
	v_sub_nc_u32_e32 v6, s4, v2
	v_cmp_lt_i32_e32 vcc_lo, 0, v6
	s_delay_alu instid0(VALU_DEP_3) | instskip(NEXT) | instid1(VALU_DEP_1)
	v_ashrrev_i32_e32 v1, 31, v0
	v_lshlrev_b64 v[0:1], 1, v[0:1]
	s_delay_alu instid0(VALU_DEP_1) | instskip(NEXT) | instid1(VALU_DEP_1)
	v_add_co_u32 v2, s0, s10, v0
	v_add_co_ci_u32_e64 v3, s0, s11, v1, s0
	s_waitcnt lgkmcnt(0)
	v_add_co_u32 v4, s0, s2, v0
	s_delay_alu instid0(VALU_DEP_1) | instskip(SKIP_1) | instid1(SALU_CYCLE_1)
	v_add_co_ci_u32_e64 v5, s0, s3, v1, s0
	s_and_b32 s2, s1, vcc_lo
	s_and_saveexec_b32 s0, s2
	s_cbranch_execz .LBB301_2
; %bb.1:
	global_load_u16 v8, v[4:5], off
	global_load_u16 v9, v[2:3], off
	s_waitcnt vmcnt(1)
	v_lshlrev_b32_e32 v8, 16, v8
	s_waitcnt vmcnt(0)
	v_lshlrev_b32_e32 v10, 16, v9
.LBB301_2:
	s_or_b32 exec_lo, exec_lo, s0
	v_cmp_lt_i32_e64 s0, 1, v6
	v_mov_b32_e32 v9, 0
	s_mov_b32 s7, 0
	s_delay_alu instid0(VALU_DEP_2) | instskip(NEXT) | instid1(SALU_CYCLE_1)
	s_and_b32 s0, s1, s0
	s_and_saveexec_b32 s2, s0
	s_cbranch_execz .LBB301_4
; %bb.3:
	s_lshl_b64 s[4:5], s[6:7], 1
	s_delay_alu instid0(SALU_CYCLE_1) | instskip(NEXT) | instid1(VALU_DEP_1)
	v_add_co_u32 v4, s0, v4, s4
	v_add_co_ci_u32_e64 v5, s0, s5, v5, s0
	v_add_co_u32 v2, s0, v2, s4
	s_delay_alu instid0(VALU_DEP_1)
	v_add_co_ci_u32_e64 v3, s0, s5, v3, s0
	global_load_u16 v4, v[4:5], off
	global_load_u16 v2, v[2:3], off
	s_waitcnt vmcnt(1)
	v_lshlrev_b32_e32 v7, 16, v4
	s_waitcnt vmcnt(0)
	v_lshlrev_b32_e32 v9, 16, v2
.LBB301_4:
	s_or_b32 exec_lo, exec_lo, s2
	s_and_saveexec_b32 s0, vcc_lo
	s_cbranch_execz .LBB301_10
; %bb.5:
	v_add_co_u32 v0, vcc_lo, s8, v0
	v_cndmask_b32_e64 v2, 0, 1, s1
	v_add_co_ci_u32_e32 v1, vcc_lo, s9, v1, vcc_lo
	s_and_not1_b32 vcc_lo, exec_lo, s1
	s_cbranch_vccnz .LBB301_7
; %bb.6:
	v_mul_f32_e32 v3, 0x3fb8aa3b, v8
	v_cmp_ngt_f32_e32 vcc_lo, 0xc2ce8ed0, v8
	s_delay_alu instid0(VALU_DEP_2) | instskip(SKIP_1) | instid1(VALU_DEP_2)
	v_rndne_f32_e32 v4, v3
	v_fma_f32 v5, 0x3fb8aa3b, v8, -v3
	v_sub_f32_e32 v3, v3, v4
	s_delay_alu instid0(VALU_DEP_2) | instskip(SKIP_1) | instid1(VALU_DEP_2)
	v_fmamk_f32 v5, v8, 0x32a5705f, v5
	v_cvt_i32_f32_e32 v4, v4
	v_add_f32_e32 v3, v3, v5
	s_delay_alu instid0(VALU_DEP_1) | instskip(SKIP_2) | instid1(VALU_DEP_1)
	v_exp_f32_e32 v3, v3
	s_waitcnt_depctr 0xfff
	v_ldexp_f32 v3, v3, v4
	v_dual_add_f32 v4, 0, v10 :: v_dual_cndmask_b32 v3, 0, v3
	v_cmp_nlt_f32_e32 vcc_lo, 0x42b17218, v8
	s_delay_alu instid0(VALU_DEP_2) | instskip(NEXT) | instid1(VALU_DEP_1)
	v_cndmask_b32_e32 v3, 0x7f800000, v3, vcc_lo
	v_fma_f32 v3, -v4, v3, v10
	s_delay_alu instid0(VALU_DEP_1) | instskip(SKIP_1) | instid1(VALU_DEP_2)
	v_bfe_u32 v4, v3, 16, 1
	v_cmp_o_f32_e32 vcc_lo, v3, v3
	v_add3_u32 v4, v3, v4, 0x7fff
	s_delay_alu instid0(VALU_DEP_1) | instskip(NEXT) | instid1(VALU_DEP_1)
	v_lshrrev_b32_e32 v4, 16, v4
	v_cndmask_b32_e32 v3, 0x7fc0, v4, vcc_lo
	global_store_b16 v[0:1], v3, off
.LBB301_7:
	v_cmp_ne_u32_e32 vcc_lo, 1, v6
	s_and_b32 exec_lo, exec_lo, vcc_lo
	s_cbranch_execz .LBB301_10
; %bb.8:
	v_cmp_ne_u32_e32 vcc_lo, 1, v2
	s_cbranch_vccnz .LBB301_10
; %bb.9:
	v_mul_f32_e32 v2, 0x3fb8aa3b, v7
	v_cmp_ngt_f32_e32 vcc_lo, 0xc2ce8ed0, v7
	s_lshl_b64 s[0:1], s[6:7], 1
	s_delay_alu instid0(VALU_DEP_2) | instskip(SKIP_1) | instid1(VALU_DEP_2)
	v_rndne_f32_e32 v3, v2
	v_fma_f32 v4, 0x3fb8aa3b, v7, -v2
	v_sub_f32_e32 v2, v2, v3
	s_delay_alu instid0(VALU_DEP_2) | instskip(SKIP_1) | instid1(VALU_DEP_2)
	v_fmamk_f32 v4, v7, 0x32a5705f, v4
	v_cvt_i32_f32_e32 v3, v3
	v_add_f32_e32 v2, v2, v4
	s_delay_alu instid0(VALU_DEP_1) | instskip(SKIP_2) | instid1(VALU_DEP_1)
	v_exp_f32_e32 v2, v2
	s_waitcnt_depctr 0xfff
	v_ldexp_f32 v2, v2, v3
	v_dual_add_f32 v3, 0, v9 :: v_dual_cndmask_b32 v2, 0, v2
	v_cmp_nlt_f32_e32 vcc_lo, 0x42b17218, v7
	s_delay_alu instid0(VALU_DEP_2) | instskip(NEXT) | instid1(VALU_DEP_1)
	v_cndmask_b32_e32 v2, 0x7f800000, v2, vcc_lo
	v_fma_f32 v2, -v3, v2, v9
	s_delay_alu instid0(VALU_DEP_1) | instskip(SKIP_1) | instid1(VALU_DEP_2)
	v_bfe_u32 v3, v2, 16, 1
	v_cmp_o_f32_e32 vcc_lo, v2, v2
	v_add3_u32 v3, v2, v3, 0x7fff
	s_delay_alu instid0(VALU_DEP_1) | instskip(NEXT) | instid1(VALU_DEP_1)
	v_lshrrev_b32_e32 v3, 16, v3
	v_cndmask_b32_e32 v2, 0x7fc0, v3, vcc_lo
	v_add_co_u32 v0, vcc_lo, v0, s0
	v_add_co_ci_u32_e32 v1, vcc_lo, s1, v1, vcc_lo
	global_store_b16 v[0:1], v2, off
.LBB301_10:
	s_nop 0
	s_sendmsg sendmsg(MSG_DEALLOC_VGPRS)
	s_endpgm
	.section	.rodata,"a",@progbits
	.p2align	6, 0x0
	.amdhsa_kernel _ZN12_GLOBAL__N_121softmax_warp_backwardIN3c108BFloat16ES2_fLi0ELb1ELb0ELi32EEEvPT0_PKT_S7_iiiPKb
		.amdhsa_group_segment_fixed_size 0
		.amdhsa_private_segment_fixed_size 0
		.amdhsa_kernarg_size 304
		.amdhsa_user_sgpr_count 15
		.amdhsa_user_sgpr_dispatch_ptr 0
		.amdhsa_user_sgpr_queue_ptr 0
		.amdhsa_user_sgpr_kernarg_segment_ptr 1
		.amdhsa_user_sgpr_dispatch_id 0
		.amdhsa_user_sgpr_private_segment_size 0
		.amdhsa_wavefront_size32 1
		.amdhsa_uses_dynamic_stack 0
		.amdhsa_enable_private_segment 0
		.amdhsa_system_sgpr_workgroup_id_x 1
		.amdhsa_system_sgpr_workgroup_id_y 0
		.amdhsa_system_sgpr_workgroup_id_z 0
		.amdhsa_system_sgpr_workgroup_info 0
		.amdhsa_system_vgpr_workitem_id 1
		.amdhsa_next_free_vgpr 11
		.amdhsa_next_free_sgpr 16
		.amdhsa_reserve_vcc 1
		.amdhsa_float_round_mode_32 0
		.amdhsa_float_round_mode_16_64 0
		.amdhsa_float_denorm_mode_32 3
		.amdhsa_float_denorm_mode_16_64 3
		.amdhsa_dx10_clamp 1
		.amdhsa_ieee_mode 1
		.amdhsa_fp16_overflow 0
		.amdhsa_workgroup_processor_mode 1
		.amdhsa_memory_ordered 1
		.amdhsa_forward_progress 0
		.amdhsa_shared_vgpr_count 0
		.amdhsa_exception_fp_ieee_invalid_op 0
		.amdhsa_exception_fp_denorm_src 0
		.amdhsa_exception_fp_ieee_div_zero 0
		.amdhsa_exception_fp_ieee_overflow 0
		.amdhsa_exception_fp_ieee_underflow 0
		.amdhsa_exception_fp_ieee_inexact 0
		.amdhsa_exception_int_div_zero 0
	.end_amdhsa_kernel
	.section	.text._ZN12_GLOBAL__N_121softmax_warp_backwardIN3c108BFloat16ES2_fLi0ELb1ELb0ELi32EEEvPT0_PKT_S7_iiiPKb,"axG",@progbits,_ZN12_GLOBAL__N_121softmax_warp_backwardIN3c108BFloat16ES2_fLi0ELb1ELb0ELi32EEEvPT0_PKT_S7_iiiPKb,comdat
.Lfunc_end301:
	.size	_ZN12_GLOBAL__N_121softmax_warp_backwardIN3c108BFloat16ES2_fLi0ELb1ELb0ELi32EEEvPT0_PKT_S7_iiiPKb, .Lfunc_end301-_ZN12_GLOBAL__N_121softmax_warp_backwardIN3c108BFloat16ES2_fLi0ELb1ELb0ELi32EEEvPT0_PKT_S7_iiiPKb
                                        ; -- End function
	.section	.AMDGPU.csdata,"",@progbits
; Kernel info:
; codeLenInByte = 744
; NumSgprs: 18
; NumVgprs: 11
; ScratchSize: 0
; MemoryBound: 0
; FloatMode: 240
; IeeeMode: 1
; LDSByteSize: 0 bytes/workgroup (compile time only)
; SGPRBlocks: 2
; VGPRBlocks: 1
; NumSGPRsForWavesPerEU: 18
; NumVGPRsForWavesPerEU: 11
; Occupancy: 16
; WaveLimiterHint : 0
; COMPUTE_PGM_RSRC2:SCRATCH_EN: 0
; COMPUTE_PGM_RSRC2:USER_SGPR: 15
; COMPUTE_PGM_RSRC2:TRAP_HANDLER: 0
; COMPUTE_PGM_RSRC2:TGID_X_EN: 1
; COMPUTE_PGM_RSRC2:TGID_Y_EN: 0
; COMPUTE_PGM_RSRC2:TGID_Z_EN: 0
; COMPUTE_PGM_RSRC2:TIDIG_COMP_CNT: 1
	.section	.text._ZN12_GLOBAL__N_121softmax_warp_backwardIN3c108BFloat16ES2_fLi1ELb1ELb0ELi64EEEvPT0_PKT_S7_iiiPKb,"axG",@progbits,_ZN12_GLOBAL__N_121softmax_warp_backwardIN3c108BFloat16ES2_fLi1ELb1ELb0ELi64EEEvPT0_PKT_S7_iiiPKb,comdat
	.globl	_ZN12_GLOBAL__N_121softmax_warp_backwardIN3c108BFloat16ES2_fLi1ELb1ELb0ELi64EEEvPT0_PKT_S7_iiiPKb ; -- Begin function _ZN12_GLOBAL__N_121softmax_warp_backwardIN3c108BFloat16ES2_fLi1ELb1ELb0ELi64EEEvPT0_PKT_S7_iiiPKb
	.p2align	8
	.type	_ZN12_GLOBAL__N_121softmax_warp_backwardIN3c108BFloat16ES2_fLi1ELb1ELb0ELi64EEEvPT0_PKT_S7_iiiPKb,@function
_ZN12_GLOBAL__N_121softmax_warp_backwardIN3c108BFloat16ES2_fLi1ELb1ELb0ELi64EEEvPT0_PKT_S7_iiiPKb: ; @_ZN12_GLOBAL__N_121softmax_warp_backwardIN3c108BFloat16ES2_fLi1ELb1ELb0ELi64EEEvPT0_PKT_S7_iiiPKb
; %bb.0:
	s_clause 0x1
	s_load_b32 s2, s[0:1], 0x3c
	s_load_b128 s[4:7], s[0:1], 0x18
	v_bfe_u32 v1, v0, 10, 10
	v_dual_mov_b32 v8, 0 :: v_dual_and_b32 v3, 1, v0
	v_dual_mov_b32 v7, 0 :: v_dual_mov_b32 v10, 0
	s_waitcnt lgkmcnt(0)
	s_lshr_b32 s2, s2, 16
	s_delay_alu instid0(VALU_DEP_2)
	v_cmp_gt_i32_e32 vcc_lo, s6, v3
	s_mul_i32 s15, s15, s2
	s_clause 0x1
	s_load_b128 s[8:11], s[0:1], 0x0
	s_load_b64 s[2:3], s[0:1], 0x10
	v_add_lshl_u32 v2, s15, v1, 1
	s_delay_alu instid0(VALU_DEP_1) | instskip(SKIP_1) | instid1(VALU_DEP_1)
	v_mul_lo_u32 v1, v2, s5
	v_sub_nc_u32_e32 v6, s4, v2
	v_cmp_lt_i32_e64 s0, 0, v6
	s_delay_alu instid0(VALU_DEP_3) | instskip(NEXT) | instid1(VALU_DEP_1)
	v_or_b32_e32 v0, v1, v3
	v_ashrrev_i32_e32 v1, 31, v0
	s_delay_alu instid0(VALU_DEP_1) | instskip(SKIP_1) | instid1(VALU_DEP_1)
	v_lshlrev_b64 v[0:1], 1, v[0:1]
	s_waitcnt lgkmcnt(0)
	v_add_co_u32 v2, s1, s10, v0
	s_delay_alu instid0(VALU_DEP_1) | instskip(SKIP_1) | instid1(VALU_DEP_1)
	v_add_co_ci_u32_e64 v3, s1, s11, v1, s1
	v_add_co_u32 v4, s1, s2, v0
	v_add_co_ci_u32_e64 v5, s1, s3, v1, s1
	s_and_b32 s2, vcc_lo, s0
	s_delay_alu instid0(SALU_CYCLE_1)
	s_and_saveexec_b32 s1, s2
	s_cbranch_execz .LBB302_2
; %bb.1:
	global_load_u16 v8, v[4:5], off
	global_load_u16 v9, v[2:3], off
	s_waitcnt vmcnt(1)
	v_lshlrev_b32_e32 v8, 16, v8
	s_waitcnt vmcnt(0)
	v_lshlrev_b32_e32 v10, 16, v9
.LBB302_2:
	s_or_b32 exec_lo, exec_lo, s1
	v_cmp_lt_i32_e64 s1, 1, v6
	v_mov_b32_e32 v9, 0
	s_mov_b32 s7, 0
	s_delay_alu instid0(VALU_DEP_2) | instskip(NEXT) | instid1(SALU_CYCLE_1)
	s_and_b32 s1, vcc_lo, s1
	s_and_saveexec_b32 s2, s1
	s_cbranch_execz .LBB302_4
; %bb.3:
	s_lshl_b64 s[4:5], s[6:7], 1
	s_delay_alu instid0(SALU_CYCLE_1) | instskip(NEXT) | instid1(VALU_DEP_1)
	v_add_co_u32 v4, s1, v4, s4
	v_add_co_ci_u32_e64 v5, s1, s5, v5, s1
	v_add_co_u32 v2, s1, v2, s4
	s_delay_alu instid0(VALU_DEP_1)
	v_add_co_ci_u32_e64 v3, s1, s5, v3, s1
	global_load_u16 v4, v[4:5], off
	global_load_u16 v2, v[2:3], off
	s_waitcnt vmcnt(1)
	v_lshlrev_b32_e32 v7, 16, v4
	s_waitcnt vmcnt(0)
	v_lshlrev_b32_e32 v9, 16, v2
.LBB302_4:
	s_or_b32 exec_lo, exec_lo, s2
	v_mbcnt_lo_u32_b32 v2, -1, 0
	s_delay_alu instid0(VALU_DEP_1) | instskip(SKIP_1) | instid1(VALU_DEP_2)
	v_and_b32_e32 v3, 30, v2
	v_xor_b32_e32 v4, 1, v2
	v_add_nc_u32_e32 v3, 2, v3
	s_delay_alu instid0(VALU_DEP_1) | instskip(NEXT) | instid1(VALU_DEP_1)
	v_cmp_lt_i32_e64 s1, v4, v3
	v_cndmask_b32_e64 v2, v2, v4, s1
	v_add_f32_e32 v4, 0, v10
	s_delay_alu instid0(VALU_DEP_2)
	v_dual_add_f32 v2, 0, v9 :: v_dual_lshlrev_b32 v3, 2, v2
	ds_bpermute_b32 v5, v3, v4
	ds_bpermute_b32 v3, v3, v2
	s_and_saveexec_b32 s1, s0
	s_cbranch_execz .LBB302_10
; %bb.5:
	v_add_co_u32 v0, s0, s8, v0
	s_delay_alu instid0(VALU_DEP_1)
	v_add_co_ci_u32_e64 v1, s0, s9, v1, s0
	s_and_saveexec_b32 s1, vcc_lo
	s_cbranch_execz .LBB302_7
; %bb.6:
	s_waitcnt lgkmcnt(1)
	v_dual_mul_f32 v11, 0x3fb8aa3b, v8 :: v_dual_add_f32 v4, v4, v5
	v_cmp_ngt_f32_e64 s0, 0xc2ce8ed0, v8
	s_delay_alu instid0(VALU_DEP_2) | instskip(SKIP_1) | instid1(VALU_DEP_2)
	v_rndne_f32_e32 v12, v11
	v_fma_f32 v13, 0x3fb8aa3b, v8, -v11
	v_sub_f32_e32 v11, v11, v12
	s_delay_alu instid0(VALU_DEP_2) | instskip(SKIP_1) | instid1(VALU_DEP_2)
	v_fmamk_f32 v13, v8, 0x32a5705f, v13
	v_cvt_i32_f32_e32 v12, v12
	v_add_f32_e32 v11, v11, v13
	s_delay_alu instid0(VALU_DEP_1) | instskip(SKIP_2) | instid1(VALU_DEP_1)
	v_exp_f32_e32 v11, v11
	s_waitcnt_depctr 0xfff
	v_ldexp_f32 v11, v11, v12
	v_cndmask_b32_e64 v11, 0, v11, s0
	v_cmp_nlt_f32_e64 s0, 0x42b17218, v8
	s_delay_alu instid0(VALU_DEP_1) | instskip(NEXT) | instid1(VALU_DEP_1)
	v_cndmask_b32_e64 v5, 0x7f800000, v11, s0
	v_fma_f32 v4, -v4, v5, v10
	s_delay_alu instid0(VALU_DEP_1) | instskip(SKIP_1) | instid1(VALU_DEP_2)
	v_bfe_u32 v5, v4, 16, 1
	v_cmp_o_f32_e64 s0, v4, v4
	v_add3_u32 v5, v4, v5, 0x7fff
	s_delay_alu instid0(VALU_DEP_1) | instskip(NEXT) | instid1(VALU_DEP_1)
	v_lshrrev_b32_e32 v5, 16, v5
	v_cndmask_b32_e64 v4, 0x7fc0, v5, s0
	global_store_b16 v[0:1], v4, off
.LBB302_7:
	s_or_b32 exec_lo, exec_lo, s1
	v_cmp_ne_u32_e64 s0, 1, v6
	s_delay_alu instid0(VALU_DEP_1)
	s_and_b32 exec_lo, exec_lo, s0
	s_cbranch_execz .LBB302_10
; %bb.8:
	s_and_b32 exec_lo, exec_lo, vcc_lo
	s_cbranch_execz .LBB302_10
; %bb.9:
	v_mul_f32_e32 v4, 0x3fb8aa3b, v7
	v_cmp_ngt_f32_e32 vcc_lo, 0xc2ce8ed0, v7
	s_lshl_b64 s[0:1], s[6:7], 1
	s_waitcnt lgkmcnt(1)
	s_delay_alu instid0(VALU_DEP_2) | instskip(SKIP_1) | instid1(VALU_DEP_2)
	v_rndne_f32_e32 v5, v4
	v_fma_f32 v6, 0x3fb8aa3b, v7, -v4
	v_sub_f32_e32 v4, v4, v5
	s_delay_alu instid0(VALU_DEP_2) | instskip(SKIP_1) | instid1(VALU_DEP_2)
	v_fmamk_f32 v6, v7, 0x32a5705f, v6
	v_cvt_i32_f32_e32 v5, v5
	v_add_f32_e32 v4, v4, v6
	s_delay_alu instid0(VALU_DEP_1) | instskip(SKIP_2) | instid1(VALU_DEP_1)
	v_exp_f32_e32 v4, v4
	s_waitcnt_depctr 0xfff
	v_ldexp_f32 v4, v4, v5
	v_cndmask_b32_e32 v4, 0, v4, vcc_lo
	v_cmp_nlt_f32_e32 vcc_lo, 0x42b17218, v7
	s_waitcnt lgkmcnt(0)
	s_delay_alu instid0(VALU_DEP_2) | instskip(NEXT) | instid1(VALU_DEP_1)
	v_dual_add_f32 v2, v2, v3 :: v_dual_cndmask_b32 v3, 0x7f800000, v4
	v_fma_f32 v2, -v2, v3, v9
	s_delay_alu instid0(VALU_DEP_1) | instskip(SKIP_1) | instid1(VALU_DEP_2)
	v_bfe_u32 v3, v2, 16, 1
	v_cmp_o_f32_e32 vcc_lo, v2, v2
	v_add3_u32 v3, v2, v3, 0x7fff
	s_delay_alu instid0(VALU_DEP_1) | instskip(NEXT) | instid1(VALU_DEP_1)
	v_lshrrev_b32_e32 v3, 16, v3
	v_cndmask_b32_e32 v2, 0x7fc0, v3, vcc_lo
	v_add_co_u32 v0, vcc_lo, v0, s0
	v_add_co_ci_u32_e32 v1, vcc_lo, s1, v1, vcc_lo
	global_store_b16 v[0:1], v2, off
.LBB302_10:
	s_nop 0
	s_sendmsg sendmsg(MSG_DEALLOC_VGPRS)
	s_endpgm
	.section	.rodata,"a",@progbits
	.p2align	6, 0x0
	.amdhsa_kernel _ZN12_GLOBAL__N_121softmax_warp_backwardIN3c108BFloat16ES2_fLi1ELb1ELb0ELi64EEEvPT0_PKT_S7_iiiPKb
		.amdhsa_group_segment_fixed_size 0
		.amdhsa_private_segment_fixed_size 0
		.amdhsa_kernarg_size 304
		.amdhsa_user_sgpr_count 15
		.amdhsa_user_sgpr_dispatch_ptr 0
		.amdhsa_user_sgpr_queue_ptr 0
		.amdhsa_user_sgpr_kernarg_segment_ptr 1
		.amdhsa_user_sgpr_dispatch_id 0
		.amdhsa_user_sgpr_private_segment_size 0
		.amdhsa_wavefront_size32 1
		.amdhsa_uses_dynamic_stack 0
		.amdhsa_enable_private_segment 0
		.amdhsa_system_sgpr_workgroup_id_x 1
		.amdhsa_system_sgpr_workgroup_id_y 0
		.amdhsa_system_sgpr_workgroup_id_z 0
		.amdhsa_system_sgpr_workgroup_info 0
		.amdhsa_system_vgpr_workitem_id 1
		.amdhsa_next_free_vgpr 14
		.amdhsa_next_free_sgpr 16
		.amdhsa_reserve_vcc 1
		.amdhsa_float_round_mode_32 0
		.amdhsa_float_round_mode_16_64 0
		.amdhsa_float_denorm_mode_32 3
		.amdhsa_float_denorm_mode_16_64 3
		.amdhsa_dx10_clamp 1
		.amdhsa_ieee_mode 1
		.amdhsa_fp16_overflow 0
		.amdhsa_workgroup_processor_mode 1
		.amdhsa_memory_ordered 1
		.amdhsa_forward_progress 0
		.amdhsa_shared_vgpr_count 0
		.amdhsa_exception_fp_ieee_invalid_op 0
		.amdhsa_exception_fp_denorm_src 0
		.amdhsa_exception_fp_ieee_div_zero 0
		.amdhsa_exception_fp_ieee_overflow 0
		.amdhsa_exception_fp_ieee_underflow 0
		.amdhsa_exception_fp_ieee_inexact 0
		.amdhsa_exception_int_div_zero 0
	.end_amdhsa_kernel
	.section	.text._ZN12_GLOBAL__N_121softmax_warp_backwardIN3c108BFloat16ES2_fLi1ELb1ELb0ELi64EEEvPT0_PKT_S7_iiiPKb,"axG",@progbits,_ZN12_GLOBAL__N_121softmax_warp_backwardIN3c108BFloat16ES2_fLi1ELb1ELb0ELi64EEEvPT0_PKT_S7_iiiPKb,comdat
.Lfunc_end302:
	.size	_ZN12_GLOBAL__N_121softmax_warp_backwardIN3c108BFloat16ES2_fLi1ELb1ELb0ELi64EEEvPT0_PKT_S7_iiiPKb, .Lfunc_end302-_ZN12_GLOBAL__N_121softmax_warp_backwardIN3c108BFloat16ES2_fLi1ELb1ELb0ELi64EEEvPT0_PKT_S7_iiiPKb
                                        ; -- End function
	.section	.AMDGPU.csdata,"",@progbits
; Kernel info:
; codeLenInByte = 888
; NumSgprs: 18
; NumVgprs: 14
; ScratchSize: 0
; MemoryBound: 0
; FloatMode: 240
; IeeeMode: 1
; LDSByteSize: 0 bytes/workgroup (compile time only)
; SGPRBlocks: 2
; VGPRBlocks: 1
; NumSGPRsForWavesPerEU: 18
; NumVGPRsForWavesPerEU: 14
; Occupancy: 16
; WaveLimiterHint : 0
; COMPUTE_PGM_RSRC2:SCRATCH_EN: 0
; COMPUTE_PGM_RSRC2:USER_SGPR: 15
; COMPUTE_PGM_RSRC2:TRAP_HANDLER: 0
; COMPUTE_PGM_RSRC2:TGID_X_EN: 1
; COMPUTE_PGM_RSRC2:TGID_Y_EN: 0
; COMPUTE_PGM_RSRC2:TGID_Z_EN: 0
; COMPUTE_PGM_RSRC2:TIDIG_COMP_CNT: 1
	.section	.text._ZN12_GLOBAL__N_121softmax_warp_backwardIN3c108BFloat16ES2_fLi1ELb1ELb0ELi32EEEvPT0_PKT_S7_iiiPKb,"axG",@progbits,_ZN12_GLOBAL__N_121softmax_warp_backwardIN3c108BFloat16ES2_fLi1ELb1ELb0ELi32EEEvPT0_PKT_S7_iiiPKb,comdat
	.globl	_ZN12_GLOBAL__N_121softmax_warp_backwardIN3c108BFloat16ES2_fLi1ELb1ELb0ELi32EEEvPT0_PKT_S7_iiiPKb ; -- Begin function _ZN12_GLOBAL__N_121softmax_warp_backwardIN3c108BFloat16ES2_fLi1ELb1ELb0ELi32EEEvPT0_PKT_S7_iiiPKb
	.p2align	8
	.type	_ZN12_GLOBAL__N_121softmax_warp_backwardIN3c108BFloat16ES2_fLi1ELb1ELb0ELi32EEEvPT0_PKT_S7_iiiPKb,@function
_ZN12_GLOBAL__N_121softmax_warp_backwardIN3c108BFloat16ES2_fLi1ELb1ELb0ELi32EEEvPT0_PKT_S7_iiiPKb: ; @_ZN12_GLOBAL__N_121softmax_warp_backwardIN3c108BFloat16ES2_fLi1ELb1ELb0ELi32EEEvPT0_PKT_S7_iiiPKb
; %bb.0:
	s_clause 0x1
	s_load_b32 s2, s[0:1], 0x3c
	s_load_b128 s[4:7], s[0:1], 0x18
	v_bfe_u32 v1, v0, 10, 10
	v_dual_mov_b32 v8, 0 :: v_dual_and_b32 v3, 1, v0
	v_dual_mov_b32 v7, 0 :: v_dual_mov_b32 v10, 0
	s_waitcnt lgkmcnt(0)
	s_lshr_b32 s2, s2, 16
	s_delay_alu instid0(VALU_DEP_2)
	v_cmp_gt_i32_e32 vcc_lo, s6, v3
	s_mul_i32 s15, s15, s2
	s_clause 0x1
	s_load_b128 s[8:11], s[0:1], 0x0
	s_load_b64 s[2:3], s[0:1], 0x10
	v_add_lshl_u32 v2, s15, v1, 1
	s_delay_alu instid0(VALU_DEP_1) | instskip(SKIP_1) | instid1(VALU_DEP_1)
	v_mul_lo_u32 v1, v2, s5
	v_sub_nc_u32_e32 v6, s4, v2
	v_cmp_lt_i32_e64 s0, 0, v6
	s_delay_alu instid0(VALU_DEP_3) | instskip(NEXT) | instid1(VALU_DEP_1)
	v_or_b32_e32 v0, v1, v3
	v_ashrrev_i32_e32 v1, 31, v0
	s_delay_alu instid0(VALU_DEP_1) | instskip(SKIP_1) | instid1(VALU_DEP_1)
	v_lshlrev_b64 v[0:1], 1, v[0:1]
	s_waitcnt lgkmcnt(0)
	v_add_co_u32 v2, s1, s10, v0
	s_delay_alu instid0(VALU_DEP_1) | instskip(SKIP_1) | instid1(VALU_DEP_1)
	v_add_co_ci_u32_e64 v3, s1, s11, v1, s1
	v_add_co_u32 v4, s1, s2, v0
	v_add_co_ci_u32_e64 v5, s1, s3, v1, s1
	s_and_b32 s2, vcc_lo, s0
	s_delay_alu instid0(SALU_CYCLE_1)
	s_and_saveexec_b32 s1, s2
	s_cbranch_execz .LBB303_2
; %bb.1:
	global_load_u16 v8, v[4:5], off
	global_load_u16 v9, v[2:3], off
	s_waitcnt vmcnt(1)
	v_lshlrev_b32_e32 v8, 16, v8
	s_waitcnt vmcnt(0)
	v_lshlrev_b32_e32 v10, 16, v9
.LBB303_2:
	s_or_b32 exec_lo, exec_lo, s1
	v_cmp_lt_i32_e64 s1, 1, v6
	v_mov_b32_e32 v9, 0
	s_mov_b32 s7, 0
	s_delay_alu instid0(VALU_DEP_2) | instskip(NEXT) | instid1(SALU_CYCLE_1)
	s_and_b32 s1, vcc_lo, s1
	s_and_saveexec_b32 s2, s1
	s_cbranch_execz .LBB303_4
; %bb.3:
	s_lshl_b64 s[4:5], s[6:7], 1
	s_delay_alu instid0(SALU_CYCLE_1) | instskip(NEXT) | instid1(VALU_DEP_1)
	v_add_co_u32 v4, s1, v4, s4
	v_add_co_ci_u32_e64 v5, s1, s5, v5, s1
	v_add_co_u32 v2, s1, v2, s4
	s_delay_alu instid0(VALU_DEP_1)
	v_add_co_ci_u32_e64 v3, s1, s5, v3, s1
	global_load_u16 v4, v[4:5], off
	global_load_u16 v2, v[2:3], off
	s_waitcnt vmcnt(1)
	v_lshlrev_b32_e32 v7, 16, v4
	s_waitcnt vmcnt(0)
	v_lshlrev_b32_e32 v9, 16, v2
.LBB303_4:
	s_or_b32 exec_lo, exec_lo, s2
	v_mbcnt_lo_u32_b32 v2, -1, 0
	s_delay_alu instid0(VALU_DEP_1) | instskip(SKIP_1) | instid1(VALU_DEP_2)
	v_and_b32_e32 v3, 30, v2
	v_xor_b32_e32 v4, 1, v2
	v_add_nc_u32_e32 v3, 2, v3
	s_delay_alu instid0(VALU_DEP_1) | instskip(NEXT) | instid1(VALU_DEP_1)
	v_cmp_lt_i32_e64 s1, v4, v3
	v_cndmask_b32_e64 v2, v2, v4, s1
	v_add_f32_e32 v4, 0, v10
	s_delay_alu instid0(VALU_DEP_2)
	v_dual_add_f32 v2, 0, v9 :: v_dual_lshlrev_b32 v3, 2, v2
	ds_bpermute_b32 v5, v3, v4
	ds_bpermute_b32 v3, v3, v2
	s_and_saveexec_b32 s1, s0
	s_cbranch_execz .LBB303_10
; %bb.5:
	v_add_co_u32 v0, s0, s8, v0
	s_delay_alu instid0(VALU_DEP_1)
	v_add_co_ci_u32_e64 v1, s0, s9, v1, s0
	s_and_saveexec_b32 s1, vcc_lo
	s_cbranch_execz .LBB303_7
; %bb.6:
	s_waitcnt lgkmcnt(1)
	v_dual_mul_f32 v11, 0x3fb8aa3b, v8 :: v_dual_add_f32 v4, v4, v5
	v_cmp_ngt_f32_e64 s0, 0xc2ce8ed0, v8
	s_delay_alu instid0(VALU_DEP_2) | instskip(SKIP_1) | instid1(VALU_DEP_2)
	v_rndne_f32_e32 v12, v11
	v_fma_f32 v13, 0x3fb8aa3b, v8, -v11
	v_sub_f32_e32 v11, v11, v12
	s_delay_alu instid0(VALU_DEP_2) | instskip(SKIP_1) | instid1(VALU_DEP_2)
	v_fmamk_f32 v13, v8, 0x32a5705f, v13
	v_cvt_i32_f32_e32 v12, v12
	v_add_f32_e32 v11, v11, v13
	s_delay_alu instid0(VALU_DEP_1) | instskip(SKIP_2) | instid1(VALU_DEP_1)
	v_exp_f32_e32 v11, v11
	s_waitcnt_depctr 0xfff
	v_ldexp_f32 v11, v11, v12
	v_cndmask_b32_e64 v11, 0, v11, s0
	v_cmp_nlt_f32_e64 s0, 0x42b17218, v8
	s_delay_alu instid0(VALU_DEP_1) | instskip(NEXT) | instid1(VALU_DEP_1)
	v_cndmask_b32_e64 v5, 0x7f800000, v11, s0
	v_fma_f32 v4, -v4, v5, v10
	s_delay_alu instid0(VALU_DEP_1) | instskip(SKIP_1) | instid1(VALU_DEP_2)
	v_bfe_u32 v5, v4, 16, 1
	v_cmp_o_f32_e64 s0, v4, v4
	v_add3_u32 v5, v4, v5, 0x7fff
	s_delay_alu instid0(VALU_DEP_1) | instskip(NEXT) | instid1(VALU_DEP_1)
	v_lshrrev_b32_e32 v5, 16, v5
	v_cndmask_b32_e64 v4, 0x7fc0, v5, s0
	global_store_b16 v[0:1], v4, off
.LBB303_7:
	s_or_b32 exec_lo, exec_lo, s1
	v_cmp_ne_u32_e64 s0, 1, v6
	s_delay_alu instid0(VALU_DEP_1)
	s_and_b32 exec_lo, exec_lo, s0
	s_cbranch_execz .LBB303_10
; %bb.8:
	s_and_b32 exec_lo, exec_lo, vcc_lo
	s_cbranch_execz .LBB303_10
; %bb.9:
	v_mul_f32_e32 v4, 0x3fb8aa3b, v7
	v_cmp_ngt_f32_e32 vcc_lo, 0xc2ce8ed0, v7
	s_lshl_b64 s[0:1], s[6:7], 1
	s_waitcnt lgkmcnt(1)
	s_delay_alu instid0(VALU_DEP_2) | instskip(SKIP_1) | instid1(VALU_DEP_2)
	v_rndne_f32_e32 v5, v4
	v_fma_f32 v6, 0x3fb8aa3b, v7, -v4
	v_sub_f32_e32 v4, v4, v5
	s_delay_alu instid0(VALU_DEP_2) | instskip(SKIP_1) | instid1(VALU_DEP_2)
	v_fmamk_f32 v6, v7, 0x32a5705f, v6
	v_cvt_i32_f32_e32 v5, v5
	v_add_f32_e32 v4, v4, v6
	s_delay_alu instid0(VALU_DEP_1) | instskip(SKIP_2) | instid1(VALU_DEP_1)
	v_exp_f32_e32 v4, v4
	s_waitcnt_depctr 0xfff
	v_ldexp_f32 v4, v4, v5
	v_cndmask_b32_e32 v4, 0, v4, vcc_lo
	v_cmp_nlt_f32_e32 vcc_lo, 0x42b17218, v7
	s_waitcnt lgkmcnt(0)
	s_delay_alu instid0(VALU_DEP_2) | instskip(NEXT) | instid1(VALU_DEP_1)
	v_dual_add_f32 v2, v2, v3 :: v_dual_cndmask_b32 v3, 0x7f800000, v4
	v_fma_f32 v2, -v2, v3, v9
	s_delay_alu instid0(VALU_DEP_1) | instskip(SKIP_1) | instid1(VALU_DEP_2)
	v_bfe_u32 v3, v2, 16, 1
	v_cmp_o_f32_e32 vcc_lo, v2, v2
	v_add3_u32 v3, v2, v3, 0x7fff
	s_delay_alu instid0(VALU_DEP_1) | instskip(NEXT) | instid1(VALU_DEP_1)
	v_lshrrev_b32_e32 v3, 16, v3
	v_cndmask_b32_e32 v2, 0x7fc0, v3, vcc_lo
	v_add_co_u32 v0, vcc_lo, v0, s0
	v_add_co_ci_u32_e32 v1, vcc_lo, s1, v1, vcc_lo
	global_store_b16 v[0:1], v2, off
.LBB303_10:
	s_nop 0
	s_sendmsg sendmsg(MSG_DEALLOC_VGPRS)
	s_endpgm
	.section	.rodata,"a",@progbits
	.p2align	6, 0x0
	.amdhsa_kernel _ZN12_GLOBAL__N_121softmax_warp_backwardIN3c108BFloat16ES2_fLi1ELb1ELb0ELi32EEEvPT0_PKT_S7_iiiPKb
		.amdhsa_group_segment_fixed_size 0
		.amdhsa_private_segment_fixed_size 0
		.amdhsa_kernarg_size 304
		.amdhsa_user_sgpr_count 15
		.amdhsa_user_sgpr_dispatch_ptr 0
		.amdhsa_user_sgpr_queue_ptr 0
		.amdhsa_user_sgpr_kernarg_segment_ptr 1
		.amdhsa_user_sgpr_dispatch_id 0
		.amdhsa_user_sgpr_private_segment_size 0
		.amdhsa_wavefront_size32 1
		.amdhsa_uses_dynamic_stack 0
		.amdhsa_enable_private_segment 0
		.amdhsa_system_sgpr_workgroup_id_x 1
		.amdhsa_system_sgpr_workgroup_id_y 0
		.amdhsa_system_sgpr_workgroup_id_z 0
		.amdhsa_system_sgpr_workgroup_info 0
		.amdhsa_system_vgpr_workitem_id 1
		.amdhsa_next_free_vgpr 14
		.amdhsa_next_free_sgpr 16
		.amdhsa_reserve_vcc 1
		.amdhsa_float_round_mode_32 0
		.amdhsa_float_round_mode_16_64 0
		.amdhsa_float_denorm_mode_32 3
		.amdhsa_float_denorm_mode_16_64 3
		.amdhsa_dx10_clamp 1
		.amdhsa_ieee_mode 1
		.amdhsa_fp16_overflow 0
		.amdhsa_workgroup_processor_mode 1
		.amdhsa_memory_ordered 1
		.amdhsa_forward_progress 0
		.amdhsa_shared_vgpr_count 0
		.amdhsa_exception_fp_ieee_invalid_op 0
		.amdhsa_exception_fp_denorm_src 0
		.amdhsa_exception_fp_ieee_div_zero 0
		.amdhsa_exception_fp_ieee_overflow 0
		.amdhsa_exception_fp_ieee_underflow 0
		.amdhsa_exception_fp_ieee_inexact 0
		.amdhsa_exception_int_div_zero 0
	.end_amdhsa_kernel
	.section	.text._ZN12_GLOBAL__N_121softmax_warp_backwardIN3c108BFloat16ES2_fLi1ELb1ELb0ELi32EEEvPT0_PKT_S7_iiiPKb,"axG",@progbits,_ZN12_GLOBAL__N_121softmax_warp_backwardIN3c108BFloat16ES2_fLi1ELb1ELb0ELi32EEEvPT0_PKT_S7_iiiPKb,comdat
.Lfunc_end303:
	.size	_ZN12_GLOBAL__N_121softmax_warp_backwardIN3c108BFloat16ES2_fLi1ELb1ELb0ELi32EEEvPT0_PKT_S7_iiiPKb, .Lfunc_end303-_ZN12_GLOBAL__N_121softmax_warp_backwardIN3c108BFloat16ES2_fLi1ELb1ELb0ELi32EEEvPT0_PKT_S7_iiiPKb
                                        ; -- End function
	.section	.AMDGPU.csdata,"",@progbits
; Kernel info:
; codeLenInByte = 888
; NumSgprs: 18
; NumVgprs: 14
; ScratchSize: 0
; MemoryBound: 0
; FloatMode: 240
; IeeeMode: 1
; LDSByteSize: 0 bytes/workgroup (compile time only)
; SGPRBlocks: 2
; VGPRBlocks: 1
; NumSGPRsForWavesPerEU: 18
; NumVGPRsForWavesPerEU: 14
; Occupancy: 16
; WaveLimiterHint : 0
; COMPUTE_PGM_RSRC2:SCRATCH_EN: 0
; COMPUTE_PGM_RSRC2:USER_SGPR: 15
; COMPUTE_PGM_RSRC2:TRAP_HANDLER: 0
; COMPUTE_PGM_RSRC2:TGID_X_EN: 1
; COMPUTE_PGM_RSRC2:TGID_Y_EN: 0
; COMPUTE_PGM_RSRC2:TGID_Z_EN: 0
; COMPUTE_PGM_RSRC2:TIDIG_COMP_CNT: 1
	.section	.text._ZN12_GLOBAL__N_121softmax_warp_backwardIN3c108BFloat16ES2_fLi2ELb1ELb0ELi64EEEvPT0_PKT_S7_iiiPKb,"axG",@progbits,_ZN12_GLOBAL__N_121softmax_warp_backwardIN3c108BFloat16ES2_fLi2ELb1ELb0ELi64EEEvPT0_PKT_S7_iiiPKb,comdat
	.globl	_ZN12_GLOBAL__N_121softmax_warp_backwardIN3c108BFloat16ES2_fLi2ELb1ELb0ELi64EEEvPT0_PKT_S7_iiiPKb ; -- Begin function _ZN12_GLOBAL__N_121softmax_warp_backwardIN3c108BFloat16ES2_fLi2ELb1ELb0ELi64EEEvPT0_PKT_S7_iiiPKb
	.p2align	8
	.type	_ZN12_GLOBAL__N_121softmax_warp_backwardIN3c108BFloat16ES2_fLi2ELb1ELb0ELi64EEEvPT0_PKT_S7_iiiPKb,@function
_ZN12_GLOBAL__N_121softmax_warp_backwardIN3c108BFloat16ES2_fLi2ELb1ELb0ELi64EEEvPT0_PKT_S7_iiiPKb: ; @_ZN12_GLOBAL__N_121softmax_warp_backwardIN3c108BFloat16ES2_fLi2ELb1ELb0ELi64EEEvPT0_PKT_S7_iiiPKb
; %bb.0:
	s_clause 0x1
	s_load_b32 s2, s[0:1], 0x3c
	s_load_b128 s[4:7], s[0:1], 0x18
	v_bfe_u32 v1, v0, 10, 10
	v_dual_mov_b32 v7, 0 :: v_dual_and_b32 v2, 3, v0
	s_load_b128 s[8:11], s[0:1], 0x0
	v_mov_b32_e32 v8, 0
	v_mov_b32_e32 v10, 0
	s_waitcnt lgkmcnt(0)
	s_lshr_b32 s2, s2, 16
	v_cmp_gt_i32_e32 vcc_lo, s6, v2
	s_mul_i32 s15, s15, s2
	s_load_b64 s[2:3], s[0:1], 0x10
	v_add_lshl_u32 v3, s15, v1, 1
	s_delay_alu instid0(VALU_DEP_1) | instskip(SKIP_1) | instid1(VALU_DEP_1)
	v_mad_u64_u32 v[0:1], null, v3, s5, v[2:3]
	v_sub_nc_u32_e32 v6, s4, v3
	v_cmp_lt_i32_e64 s0, 0, v6
	s_delay_alu instid0(VALU_DEP_3) | instskip(NEXT) | instid1(VALU_DEP_1)
	v_ashrrev_i32_e32 v1, 31, v0
	v_lshlrev_b64 v[0:1], 1, v[0:1]
	s_delay_alu instid0(VALU_DEP_1) | instskip(NEXT) | instid1(VALU_DEP_1)
	v_add_co_u32 v2, s1, s10, v0
	v_add_co_ci_u32_e64 v3, s1, s11, v1, s1
	s_waitcnt lgkmcnt(0)
	v_add_co_u32 v4, s1, s2, v0
	s_delay_alu instid0(VALU_DEP_1) | instskip(SKIP_1) | instid1(SALU_CYCLE_1)
	v_add_co_ci_u32_e64 v5, s1, s3, v1, s1
	s_and_b32 s2, vcc_lo, s0
	s_and_saveexec_b32 s1, s2
	s_cbranch_execz .LBB304_2
; %bb.1:
	global_load_u16 v8, v[4:5], off
	global_load_u16 v9, v[2:3], off
	s_waitcnt vmcnt(1)
	v_lshlrev_b32_e32 v8, 16, v8
	s_waitcnt vmcnt(0)
	v_lshlrev_b32_e32 v10, 16, v9
.LBB304_2:
	s_or_b32 exec_lo, exec_lo, s1
	v_cmp_lt_i32_e64 s1, 1, v6
	v_mov_b32_e32 v9, 0
	s_mov_b32 s7, 0
	s_delay_alu instid0(VALU_DEP_2) | instskip(NEXT) | instid1(SALU_CYCLE_1)
	s_and_b32 s1, vcc_lo, s1
	s_and_saveexec_b32 s2, s1
	s_cbranch_execz .LBB304_4
; %bb.3:
	s_lshl_b64 s[4:5], s[6:7], 1
	s_delay_alu instid0(SALU_CYCLE_1) | instskip(NEXT) | instid1(VALU_DEP_1)
	v_add_co_u32 v4, s1, v4, s4
	v_add_co_ci_u32_e64 v5, s1, s5, v5, s1
	v_add_co_u32 v2, s1, v2, s4
	s_delay_alu instid0(VALU_DEP_1)
	v_add_co_ci_u32_e64 v3, s1, s5, v3, s1
	global_load_u16 v4, v[4:5], off
	global_load_u16 v2, v[2:3], off
	s_waitcnt vmcnt(1)
	v_lshlrev_b32_e32 v7, 16, v4
	s_waitcnt vmcnt(0)
	v_lshlrev_b32_e32 v9, 16, v2
.LBB304_4:
	s_or_b32 exec_lo, exec_lo, s2
	v_mbcnt_lo_u32_b32 v2, -1, 0
	v_add_f32_e32 v5, 0, v10
	s_delay_alu instid0(VALU_DEP_3) | instskip(NEXT) | instid1(VALU_DEP_3)
	v_add_f32_e32 v11, 0, v9
	v_and_b32_e32 v3, 28, v2
	v_xor_b32_e32 v4, 2, v2
	s_delay_alu instid0(VALU_DEP_2) | instskip(NEXT) | instid1(VALU_DEP_1)
	v_add_nc_u32_e32 v3, 4, v3
	v_cmp_lt_i32_e64 s1, v4, v3
	s_delay_alu instid0(VALU_DEP_1) | instskip(NEXT) | instid1(VALU_DEP_1)
	v_cndmask_b32_e64 v4, v2, v4, s1
	v_lshlrev_b32_e32 v4, 2, v4
	ds_bpermute_b32 v12, v4, v5
	ds_bpermute_b32 v13, v4, v11
	v_xor_b32_e32 v4, 1, v2
	s_delay_alu instid0(VALU_DEP_1) | instskip(NEXT) | instid1(VALU_DEP_1)
	v_cmp_lt_i32_e64 s1, v4, v3
	v_cndmask_b32_e64 v2, v2, v4, s1
	s_waitcnt lgkmcnt(1)
	s_delay_alu instid0(VALU_DEP_1)
	v_dual_add_f32 v4, v5, v12 :: v_dual_lshlrev_b32 v3, 2, v2
	s_waitcnt lgkmcnt(0)
	v_add_f32_e32 v2, v11, v13
	ds_bpermute_b32 v5, v3, v4
	ds_bpermute_b32 v3, v3, v2
	s_and_saveexec_b32 s1, s0
	s_cbranch_execz .LBB304_10
; %bb.5:
	v_add_co_u32 v0, s0, s8, v0
	s_delay_alu instid0(VALU_DEP_1)
	v_add_co_ci_u32_e64 v1, s0, s9, v1, s0
	s_and_saveexec_b32 s1, vcc_lo
	s_cbranch_execz .LBB304_7
; %bb.6:
	s_waitcnt lgkmcnt(1)
	v_dual_mul_f32 v11, 0x3fb8aa3b, v8 :: v_dual_add_f32 v4, v4, v5
	v_cmp_ngt_f32_e64 s0, 0xc2ce8ed0, v8
	s_delay_alu instid0(VALU_DEP_2) | instskip(SKIP_1) | instid1(VALU_DEP_2)
	v_rndne_f32_e32 v12, v11
	v_fma_f32 v13, 0x3fb8aa3b, v8, -v11
	v_sub_f32_e32 v11, v11, v12
	s_delay_alu instid0(VALU_DEP_2) | instskip(SKIP_1) | instid1(VALU_DEP_2)
	v_fmamk_f32 v13, v8, 0x32a5705f, v13
	v_cvt_i32_f32_e32 v12, v12
	v_add_f32_e32 v11, v11, v13
	s_delay_alu instid0(VALU_DEP_1) | instskip(SKIP_2) | instid1(VALU_DEP_1)
	v_exp_f32_e32 v11, v11
	s_waitcnt_depctr 0xfff
	v_ldexp_f32 v11, v11, v12
	v_cndmask_b32_e64 v11, 0, v11, s0
	v_cmp_nlt_f32_e64 s0, 0x42b17218, v8
	s_delay_alu instid0(VALU_DEP_1) | instskip(NEXT) | instid1(VALU_DEP_1)
	v_cndmask_b32_e64 v5, 0x7f800000, v11, s0
	v_fma_f32 v4, -v4, v5, v10
	s_delay_alu instid0(VALU_DEP_1) | instskip(SKIP_1) | instid1(VALU_DEP_2)
	v_bfe_u32 v5, v4, 16, 1
	v_cmp_o_f32_e64 s0, v4, v4
	v_add3_u32 v5, v4, v5, 0x7fff
	s_delay_alu instid0(VALU_DEP_1) | instskip(NEXT) | instid1(VALU_DEP_1)
	v_lshrrev_b32_e32 v5, 16, v5
	v_cndmask_b32_e64 v4, 0x7fc0, v5, s0
	global_store_b16 v[0:1], v4, off
.LBB304_7:
	s_or_b32 exec_lo, exec_lo, s1
	v_cmp_ne_u32_e64 s0, 1, v6
	s_delay_alu instid0(VALU_DEP_1)
	s_and_b32 exec_lo, exec_lo, s0
	s_cbranch_execz .LBB304_10
; %bb.8:
	s_and_b32 exec_lo, exec_lo, vcc_lo
	s_cbranch_execz .LBB304_10
; %bb.9:
	v_mul_f32_e32 v4, 0x3fb8aa3b, v7
	v_cmp_ngt_f32_e32 vcc_lo, 0xc2ce8ed0, v7
	s_lshl_b64 s[0:1], s[6:7], 1
	s_waitcnt lgkmcnt(1)
	s_delay_alu instid0(VALU_DEP_2) | instskip(SKIP_1) | instid1(VALU_DEP_2)
	v_rndne_f32_e32 v5, v4
	v_fma_f32 v6, 0x3fb8aa3b, v7, -v4
	v_sub_f32_e32 v4, v4, v5
	s_delay_alu instid0(VALU_DEP_2) | instskip(SKIP_1) | instid1(VALU_DEP_2)
	v_fmamk_f32 v6, v7, 0x32a5705f, v6
	v_cvt_i32_f32_e32 v5, v5
	v_add_f32_e32 v4, v4, v6
	s_delay_alu instid0(VALU_DEP_1) | instskip(SKIP_2) | instid1(VALU_DEP_1)
	v_exp_f32_e32 v4, v4
	s_waitcnt_depctr 0xfff
	v_ldexp_f32 v4, v4, v5
	v_cndmask_b32_e32 v4, 0, v4, vcc_lo
	v_cmp_nlt_f32_e32 vcc_lo, 0x42b17218, v7
	s_waitcnt lgkmcnt(0)
	s_delay_alu instid0(VALU_DEP_2) | instskip(NEXT) | instid1(VALU_DEP_1)
	v_dual_add_f32 v2, v2, v3 :: v_dual_cndmask_b32 v3, 0x7f800000, v4
	v_fma_f32 v2, -v2, v3, v9
	s_delay_alu instid0(VALU_DEP_1) | instskip(SKIP_1) | instid1(VALU_DEP_2)
	v_bfe_u32 v3, v2, 16, 1
	v_cmp_o_f32_e32 vcc_lo, v2, v2
	v_add3_u32 v3, v2, v3, 0x7fff
	s_delay_alu instid0(VALU_DEP_1) | instskip(NEXT) | instid1(VALU_DEP_1)
	v_lshrrev_b32_e32 v3, 16, v3
	v_cndmask_b32_e32 v2, 0x7fc0, v3, vcc_lo
	v_add_co_u32 v0, vcc_lo, v0, s0
	v_add_co_ci_u32_e32 v1, vcc_lo, s1, v1, vcc_lo
	global_store_b16 v[0:1], v2, off
.LBB304_10:
	s_nop 0
	s_sendmsg sendmsg(MSG_DEALLOC_VGPRS)
	s_endpgm
	.section	.rodata,"a",@progbits
	.p2align	6, 0x0
	.amdhsa_kernel _ZN12_GLOBAL__N_121softmax_warp_backwardIN3c108BFloat16ES2_fLi2ELb1ELb0ELi64EEEvPT0_PKT_S7_iiiPKb
		.amdhsa_group_segment_fixed_size 0
		.amdhsa_private_segment_fixed_size 0
		.amdhsa_kernarg_size 304
		.amdhsa_user_sgpr_count 15
		.amdhsa_user_sgpr_dispatch_ptr 0
		.amdhsa_user_sgpr_queue_ptr 0
		.amdhsa_user_sgpr_kernarg_segment_ptr 1
		.amdhsa_user_sgpr_dispatch_id 0
		.amdhsa_user_sgpr_private_segment_size 0
		.amdhsa_wavefront_size32 1
		.amdhsa_uses_dynamic_stack 0
		.amdhsa_enable_private_segment 0
		.amdhsa_system_sgpr_workgroup_id_x 1
		.amdhsa_system_sgpr_workgroup_id_y 0
		.amdhsa_system_sgpr_workgroup_id_z 0
		.amdhsa_system_sgpr_workgroup_info 0
		.amdhsa_system_vgpr_workitem_id 1
		.amdhsa_next_free_vgpr 14
		.amdhsa_next_free_sgpr 16
		.amdhsa_reserve_vcc 1
		.amdhsa_float_round_mode_32 0
		.amdhsa_float_round_mode_16_64 0
		.amdhsa_float_denorm_mode_32 3
		.amdhsa_float_denorm_mode_16_64 3
		.amdhsa_dx10_clamp 1
		.amdhsa_ieee_mode 1
		.amdhsa_fp16_overflow 0
		.amdhsa_workgroup_processor_mode 1
		.amdhsa_memory_ordered 1
		.amdhsa_forward_progress 0
		.amdhsa_shared_vgpr_count 0
		.amdhsa_exception_fp_ieee_invalid_op 0
		.amdhsa_exception_fp_denorm_src 0
		.amdhsa_exception_fp_ieee_div_zero 0
		.amdhsa_exception_fp_ieee_overflow 0
		.amdhsa_exception_fp_ieee_underflow 0
		.amdhsa_exception_fp_ieee_inexact 0
		.amdhsa_exception_int_div_zero 0
	.end_amdhsa_kernel
	.section	.text._ZN12_GLOBAL__N_121softmax_warp_backwardIN3c108BFloat16ES2_fLi2ELb1ELb0ELi64EEEvPT0_PKT_S7_iiiPKb,"axG",@progbits,_ZN12_GLOBAL__N_121softmax_warp_backwardIN3c108BFloat16ES2_fLi2ELb1ELb0ELi64EEEvPT0_PKT_S7_iiiPKb,comdat
.Lfunc_end304:
	.size	_ZN12_GLOBAL__N_121softmax_warp_backwardIN3c108BFloat16ES2_fLi2ELb1ELb0ELi64EEEvPT0_PKT_S7_iiiPKb, .Lfunc_end304-_ZN12_GLOBAL__N_121softmax_warp_backwardIN3c108BFloat16ES2_fLi2ELb1ELb0ELi64EEEvPT0_PKT_S7_iiiPKb
                                        ; -- End function
	.section	.AMDGPU.csdata,"",@progbits
; Kernel info:
; codeLenInByte = 936
; NumSgprs: 18
; NumVgprs: 14
; ScratchSize: 0
; MemoryBound: 0
; FloatMode: 240
; IeeeMode: 1
; LDSByteSize: 0 bytes/workgroup (compile time only)
; SGPRBlocks: 2
; VGPRBlocks: 1
; NumSGPRsForWavesPerEU: 18
; NumVGPRsForWavesPerEU: 14
; Occupancy: 16
; WaveLimiterHint : 0
; COMPUTE_PGM_RSRC2:SCRATCH_EN: 0
; COMPUTE_PGM_RSRC2:USER_SGPR: 15
; COMPUTE_PGM_RSRC2:TRAP_HANDLER: 0
; COMPUTE_PGM_RSRC2:TGID_X_EN: 1
; COMPUTE_PGM_RSRC2:TGID_Y_EN: 0
; COMPUTE_PGM_RSRC2:TGID_Z_EN: 0
; COMPUTE_PGM_RSRC2:TIDIG_COMP_CNT: 1
	.section	.text._ZN12_GLOBAL__N_121softmax_warp_backwardIN3c108BFloat16ES2_fLi2ELb1ELb0ELi32EEEvPT0_PKT_S7_iiiPKb,"axG",@progbits,_ZN12_GLOBAL__N_121softmax_warp_backwardIN3c108BFloat16ES2_fLi2ELb1ELb0ELi32EEEvPT0_PKT_S7_iiiPKb,comdat
	.globl	_ZN12_GLOBAL__N_121softmax_warp_backwardIN3c108BFloat16ES2_fLi2ELb1ELb0ELi32EEEvPT0_PKT_S7_iiiPKb ; -- Begin function _ZN12_GLOBAL__N_121softmax_warp_backwardIN3c108BFloat16ES2_fLi2ELb1ELb0ELi32EEEvPT0_PKT_S7_iiiPKb
	.p2align	8
	.type	_ZN12_GLOBAL__N_121softmax_warp_backwardIN3c108BFloat16ES2_fLi2ELb1ELb0ELi32EEEvPT0_PKT_S7_iiiPKb,@function
_ZN12_GLOBAL__N_121softmax_warp_backwardIN3c108BFloat16ES2_fLi2ELb1ELb0ELi32EEEvPT0_PKT_S7_iiiPKb: ; @_ZN12_GLOBAL__N_121softmax_warp_backwardIN3c108BFloat16ES2_fLi2ELb1ELb0ELi32EEEvPT0_PKT_S7_iiiPKb
; %bb.0:
	s_clause 0x1
	s_load_b32 s2, s[0:1], 0x3c
	s_load_b128 s[4:7], s[0:1], 0x18
	v_bfe_u32 v1, v0, 10, 10
	v_dual_mov_b32 v7, 0 :: v_dual_and_b32 v2, 3, v0
	s_load_b128 s[8:11], s[0:1], 0x0
	v_mov_b32_e32 v8, 0
	v_mov_b32_e32 v10, 0
	s_waitcnt lgkmcnt(0)
	s_lshr_b32 s2, s2, 16
	v_cmp_gt_i32_e32 vcc_lo, s6, v2
	s_mul_i32 s15, s15, s2
	s_load_b64 s[2:3], s[0:1], 0x10
	v_add_lshl_u32 v3, s15, v1, 1
	s_delay_alu instid0(VALU_DEP_1) | instskip(SKIP_1) | instid1(VALU_DEP_1)
	v_mad_u64_u32 v[0:1], null, v3, s5, v[2:3]
	v_sub_nc_u32_e32 v6, s4, v3
	v_cmp_lt_i32_e64 s0, 0, v6
	s_delay_alu instid0(VALU_DEP_3) | instskip(NEXT) | instid1(VALU_DEP_1)
	v_ashrrev_i32_e32 v1, 31, v0
	v_lshlrev_b64 v[0:1], 1, v[0:1]
	s_delay_alu instid0(VALU_DEP_1) | instskip(NEXT) | instid1(VALU_DEP_1)
	v_add_co_u32 v2, s1, s10, v0
	v_add_co_ci_u32_e64 v3, s1, s11, v1, s1
	s_waitcnt lgkmcnt(0)
	v_add_co_u32 v4, s1, s2, v0
	s_delay_alu instid0(VALU_DEP_1) | instskip(SKIP_1) | instid1(SALU_CYCLE_1)
	v_add_co_ci_u32_e64 v5, s1, s3, v1, s1
	s_and_b32 s2, vcc_lo, s0
	s_and_saveexec_b32 s1, s2
	s_cbranch_execz .LBB305_2
; %bb.1:
	global_load_u16 v8, v[4:5], off
	global_load_u16 v9, v[2:3], off
	s_waitcnt vmcnt(1)
	v_lshlrev_b32_e32 v8, 16, v8
	s_waitcnt vmcnt(0)
	v_lshlrev_b32_e32 v10, 16, v9
.LBB305_2:
	s_or_b32 exec_lo, exec_lo, s1
	v_cmp_lt_i32_e64 s1, 1, v6
	v_mov_b32_e32 v9, 0
	s_mov_b32 s7, 0
	s_delay_alu instid0(VALU_DEP_2) | instskip(NEXT) | instid1(SALU_CYCLE_1)
	s_and_b32 s1, vcc_lo, s1
	s_and_saveexec_b32 s2, s1
	s_cbranch_execz .LBB305_4
; %bb.3:
	s_lshl_b64 s[4:5], s[6:7], 1
	s_delay_alu instid0(SALU_CYCLE_1) | instskip(NEXT) | instid1(VALU_DEP_1)
	v_add_co_u32 v4, s1, v4, s4
	v_add_co_ci_u32_e64 v5, s1, s5, v5, s1
	v_add_co_u32 v2, s1, v2, s4
	s_delay_alu instid0(VALU_DEP_1)
	v_add_co_ci_u32_e64 v3, s1, s5, v3, s1
	global_load_u16 v4, v[4:5], off
	global_load_u16 v2, v[2:3], off
	s_waitcnt vmcnt(1)
	v_lshlrev_b32_e32 v7, 16, v4
	s_waitcnt vmcnt(0)
	v_lshlrev_b32_e32 v9, 16, v2
.LBB305_4:
	s_or_b32 exec_lo, exec_lo, s2
	v_mbcnt_lo_u32_b32 v2, -1, 0
	v_add_f32_e32 v5, 0, v10
	s_delay_alu instid0(VALU_DEP_3) | instskip(NEXT) | instid1(VALU_DEP_3)
	v_add_f32_e32 v11, 0, v9
	v_and_b32_e32 v3, 28, v2
	v_xor_b32_e32 v4, 2, v2
	s_delay_alu instid0(VALU_DEP_2) | instskip(NEXT) | instid1(VALU_DEP_1)
	v_add_nc_u32_e32 v3, 4, v3
	v_cmp_lt_i32_e64 s1, v4, v3
	s_delay_alu instid0(VALU_DEP_1) | instskip(NEXT) | instid1(VALU_DEP_1)
	v_cndmask_b32_e64 v4, v2, v4, s1
	v_lshlrev_b32_e32 v4, 2, v4
	ds_bpermute_b32 v12, v4, v5
	ds_bpermute_b32 v13, v4, v11
	v_xor_b32_e32 v4, 1, v2
	s_delay_alu instid0(VALU_DEP_1) | instskip(NEXT) | instid1(VALU_DEP_1)
	v_cmp_lt_i32_e64 s1, v4, v3
	v_cndmask_b32_e64 v2, v2, v4, s1
	s_waitcnt lgkmcnt(1)
	s_delay_alu instid0(VALU_DEP_1)
	v_dual_add_f32 v4, v5, v12 :: v_dual_lshlrev_b32 v3, 2, v2
	s_waitcnt lgkmcnt(0)
	v_add_f32_e32 v2, v11, v13
	ds_bpermute_b32 v5, v3, v4
	ds_bpermute_b32 v3, v3, v2
	s_and_saveexec_b32 s1, s0
	s_cbranch_execz .LBB305_10
; %bb.5:
	v_add_co_u32 v0, s0, s8, v0
	s_delay_alu instid0(VALU_DEP_1)
	v_add_co_ci_u32_e64 v1, s0, s9, v1, s0
	s_and_saveexec_b32 s1, vcc_lo
	s_cbranch_execz .LBB305_7
; %bb.6:
	s_waitcnt lgkmcnt(1)
	v_dual_mul_f32 v11, 0x3fb8aa3b, v8 :: v_dual_add_f32 v4, v4, v5
	v_cmp_ngt_f32_e64 s0, 0xc2ce8ed0, v8
	s_delay_alu instid0(VALU_DEP_2) | instskip(SKIP_1) | instid1(VALU_DEP_2)
	v_rndne_f32_e32 v12, v11
	v_fma_f32 v13, 0x3fb8aa3b, v8, -v11
	v_sub_f32_e32 v11, v11, v12
	s_delay_alu instid0(VALU_DEP_2) | instskip(SKIP_1) | instid1(VALU_DEP_2)
	v_fmamk_f32 v13, v8, 0x32a5705f, v13
	v_cvt_i32_f32_e32 v12, v12
	v_add_f32_e32 v11, v11, v13
	s_delay_alu instid0(VALU_DEP_1) | instskip(SKIP_2) | instid1(VALU_DEP_1)
	v_exp_f32_e32 v11, v11
	s_waitcnt_depctr 0xfff
	v_ldexp_f32 v11, v11, v12
	v_cndmask_b32_e64 v11, 0, v11, s0
	v_cmp_nlt_f32_e64 s0, 0x42b17218, v8
	s_delay_alu instid0(VALU_DEP_1) | instskip(NEXT) | instid1(VALU_DEP_1)
	v_cndmask_b32_e64 v5, 0x7f800000, v11, s0
	v_fma_f32 v4, -v4, v5, v10
	s_delay_alu instid0(VALU_DEP_1) | instskip(SKIP_1) | instid1(VALU_DEP_2)
	v_bfe_u32 v5, v4, 16, 1
	v_cmp_o_f32_e64 s0, v4, v4
	v_add3_u32 v5, v4, v5, 0x7fff
	s_delay_alu instid0(VALU_DEP_1) | instskip(NEXT) | instid1(VALU_DEP_1)
	v_lshrrev_b32_e32 v5, 16, v5
	v_cndmask_b32_e64 v4, 0x7fc0, v5, s0
	global_store_b16 v[0:1], v4, off
.LBB305_7:
	s_or_b32 exec_lo, exec_lo, s1
	v_cmp_ne_u32_e64 s0, 1, v6
	s_delay_alu instid0(VALU_DEP_1)
	s_and_b32 exec_lo, exec_lo, s0
	s_cbranch_execz .LBB305_10
; %bb.8:
	s_and_b32 exec_lo, exec_lo, vcc_lo
	s_cbranch_execz .LBB305_10
; %bb.9:
	v_mul_f32_e32 v4, 0x3fb8aa3b, v7
	v_cmp_ngt_f32_e32 vcc_lo, 0xc2ce8ed0, v7
	s_lshl_b64 s[0:1], s[6:7], 1
	s_waitcnt lgkmcnt(1)
	s_delay_alu instid0(VALU_DEP_2) | instskip(SKIP_1) | instid1(VALU_DEP_2)
	v_rndne_f32_e32 v5, v4
	v_fma_f32 v6, 0x3fb8aa3b, v7, -v4
	v_sub_f32_e32 v4, v4, v5
	s_delay_alu instid0(VALU_DEP_2) | instskip(SKIP_1) | instid1(VALU_DEP_2)
	v_fmamk_f32 v6, v7, 0x32a5705f, v6
	v_cvt_i32_f32_e32 v5, v5
	v_add_f32_e32 v4, v4, v6
	s_delay_alu instid0(VALU_DEP_1) | instskip(SKIP_2) | instid1(VALU_DEP_1)
	v_exp_f32_e32 v4, v4
	s_waitcnt_depctr 0xfff
	v_ldexp_f32 v4, v4, v5
	v_cndmask_b32_e32 v4, 0, v4, vcc_lo
	v_cmp_nlt_f32_e32 vcc_lo, 0x42b17218, v7
	s_waitcnt lgkmcnt(0)
	s_delay_alu instid0(VALU_DEP_2) | instskip(NEXT) | instid1(VALU_DEP_1)
	v_dual_add_f32 v2, v2, v3 :: v_dual_cndmask_b32 v3, 0x7f800000, v4
	v_fma_f32 v2, -v2, v3, v9
	s_delay_alu instid0(VALU_DEP_1) | instskip(SKIP_1) | instid1(VALU_DEP_2)
	v_bfe_u32 v3, v2, 16, 1
	v_cmp_o_f32_e32 vcc_lo, v2, v2
	v_add3_u32 v3, v2, v3, 0x7fff
	s_delay_alu instid0(VALU_DEP_1) | instskip(NEXT) | instid1(VALU_DEP_1)
	v_lshrrev_b32_e32 v3, 16, v3
	v_cndmask_b32_e32 v2, 0x7fc0, v3, vcc_lo
	v_add_co_u32 v0, vcc_lo, v0, s0
	v_add_co_ci_u32_e32 v1, vcc_lo, s1, v1, vcc_lo
	global_store_b16 v[0:1], v2, off
.LBB305_10:
	s_nop 0
	s_sendmsg sendmsg(MSG_DEALLOC_VGPRS)
	s_endpgm
	.section	.rodata,"a",@progbits
	.p2align	6, 0x0
	.amdhsa_kernel _ZN12_GLOBAL__N_121softmax_warp_backwardIN3c108BFloat16ES2_fLi2ELb1ELb0ELi32EEEvPT0_PKT_S7_iiiPKb
		.amdhsa_group_segment_fixed_size 0
		.amdhsa_private_segment_fixed_size 0
		.amdhsa_kernarg_size 304
		.amdhsa_user_sgpr_count 15
		.amdhsa_user_sgpr_dispatch_ptr 0
		.amdhsa_user_sgpr_queue_ptr 0
		.amdhsa_user_sgpr_kernarg_segment_ptr 1
		.amdhsa_user_sgpr_dispatch_id 0
		.amdhsa_user_sgpr_private_segment_size 0
		.amdhsa_wavefront_size32 1
		.amdhsa_uses_dynamic_stack 0
		.amdhsa_enable_private_segment 0
		.amdhsa_system_sgpr_workgroup_id_x 1
		.amdhsa_system_sgpr_workgroup_id_y 0
		.amdhsa_system_sgpr_workgroup_id_z 0
		.amdhsa_system_sgpr_workgroup_info 0
		.amdhsa_system_vgpr_workitem_id 1
		.amdhsa_next_free_vgpr 14
		.amdhsa_next_free_sgpr 16
		.amdhsa_reserve_vcc 1
		.amdhsa_float_round_mode_32 0
		.amdhsa_float_round_mode_16_64 0
		.amdhsa_float_denorm_mode_32 3
		.amdhsa_float_denorm_mode_16_64 3
		.amdhsa_dx10_clamp 1
		.amdhsa_ieee_mode 1
		.amdhsa_fp16_overflow 0
		.amdhsa_workgroup_processor_mode 1
		.amdhsa_memory_ordered 1
		.amdhsa_forward_progress 0
		.amdhsa_shared_vgpr_count 0
		.amdhsa_exception_fp_ieee_invalid_op 0
		.amdhsa_exception_fp_denorm_src 0
		.amdhsa_exception_fp_ieee_div_zero 0
		.amdhsa_exception_fp_ieee_overflow 0
		.amdhsa_exception_fp_ieee_underflow 0
		.amdhsa_exception_fp_ieee_inexact 0
		.amdhsa_exception_int_div_zero 0
	.end_amdhsa_kernel
	.section	.text._ZN12_GLOBAL__N_121softmax_warp_backwardIN3c108BFloat16ES2_fLi2ELb1ELb0ELi32EEEvPT0_PKT_S7_iiiPKb,"axG",@progbits,_ZN12_GLOBAL__N_121softmax_warp_backwardIN3c108BFloat16ES2_fLi2ELb1ELb0ELi32EEEvPT0_PKT_S7_iiiPKb,comdat
.Lfunc_end305:
	.size	_ZN12_GLOBAL__N_121softmax_warp_backwardIN3c108BFloat16ES2_fLi2ELb1ELb0ELi32EEEvPT0_PKT_S7_iiiPKb, .Lfunc_end305-_ZN12_GLOBAL__N_121softmax_warp_backwardIN3c108BFloat16ES2_fLi2ELb1ELb0ELi32EEEvPT0_PKT_S7_iiiPKb
                                        ; -- End function
	.section	.AMDGPU.csdata,"",@progbits
; Kernel info:
; codeLenInByte = 936
; NumSgprs: 18
; NumVgprs: 14
; ScratchSize: 0
; MemoryBound: 0
; FloatMode: 240
; IeeeMode: 1
; LDSByteSize: 0 bytes/workgroup (compile time only)
; SGPRBlocks: 2
; VGPRBlocks: 1
; NumSGPRsForWavesPerEU: 18
; NumVGPRsForWavesPerEU: 14
; Occupancy: 16
; WaveLimiterHint : 0
; COMPUTE_PGM_RSRC2:SCRATCH_EN: 0
; COMPUTE_PGM_RSRC2:USER_SGPR: 15
; COMPUTE_PGM_RSRC2:TRAP_HANDLER: 0
; COMPUTE_PGM_RSRC2:TGID_X_EN: 1
; COMPUTE_PGM_RSRC2:TGID_Y_EN: 0
; COMPUTE_PGM_RSRC2:TGID_Z_EN: 0
; COMPUTE_PGM_RSRC2:TIDIG_COMP_CNT: 1
	.section	.text._ZN12_GLOBAL__N_121softmax_warp_backwardIN3c108BFloat16ES2_fLi3ELb1ELb0ELi64EEEvPT0_PKT_S7_iiiPKb,"axG",@progbits,_ZN12_GLOBAL__N_121softmax_warp_backwardIN3c108BFloat16ES2_fLi3ELb1ELb0ELi64EEEvPT0_PKT_S7_iiiPKb,comdat
	.globl	_ZN12_GLOBAL__N_121softmax_warp_backwardIN3c108BFloat16ES2_fLi3ELb1ELb0ELi64EEEvPT0_PKT_S7_iiiPKb ; -- Begin function _ZN12_GLOBAL__N_121softmax_warp_backwardIN3c108BFloat16ES2_fLi3ELb1ELb0ELi64EEEvPT0_PKT_S7_iiiPKb
	.p2align	8
	.type	_ZN12_GLOBAL__N_121softmax_warp_backwardIN3c108BFloat16ES2_fLi3ELb1ELb0ELi64EEEvPT0_PKT_S7_iiiPKb,@function
_ZN12_GLOBAL__N_121softmax_warp_backwardIN3c108BFloat16ES2_fLi3ELb1ELb0ELi64EEEvPT0_PKT_S7_iiiPKb: ; @_ZN12_GLOBAL__N_121softmax_warp_backwardIN3c108BFloat16ES2_fLi3ELb1ELb0ELi64EEEvPT0_PKT_S7_iiiPKb
; %bb.0:
	s_clause 0x1
	s_load_b32 s2, s[0:1], 0x3c
	s_load_b128 s[4:7], s[0:1], 0x18
	v_bfe_u32 v1, v0, 10, 10
	v_dual_mov_b32 v7, 0 :: v_dual_and_b32 v2, 7, v0
	s_load_b128 s[8:11], s[0:1], 0x0
	v_mov_b32_e32 v8, 0
	v_mov_b32_e32 v10, 0
	s_waitcnt lgkmcnt(0)
	s_lshr_b32 s2, s2, 16
	v_cmp_gt_i32_e32 vcc_lo, s6, v2
	s_mul_i32 s15, s15, s2
	s_load_b64 s[2:3], s[0:1], 0x10
	v_add_lshl_u32 v3, s15, v1, 1
	s_delay_alu instid0(VALU_DEP_1) | instskip(SKIP_1) | instid1(VALU_DEP_1)
	v_mad_u64_u32 v[0:1], null, v3, s5, v[2:3]
	v_sub_nc_u32_e32 v6, s4, v3
	v_cmp_lt_i32_e64 s0, 0, v6
	s_delay_alu instid0(VALU_DEP_3) | instskip(NEXT) | instid1(VALU_DEP_1)
	v_ashrrev_i32_e32 v1, 31, v0
	v_lshlrev_b64 v[0:1], 1, v[0:1]
	s_delay_alu instid0(VALU_DEP_1) | instskip(NEXT) | instid1(VALU_DEP_1)
	v_add_co_u32 v2, s1, s10, v0
	v_add_co_ci_u32_e64 v3, s1, s11, v1, s1
	s_waitcnt lgkmcnt(0)
	v_add_co_u32 v4, s1, s2, v0
	s_delay_alu instid0(VALU_DEP_1) | instskip(SKIP_1) | instid1(SALU_CYCLE_1)
	v_add_co_ci_u32_e64 v5, s1, s3, v1, s1
	s_and_b32 s2, vcc_lo, s0
	s_and_saveexec_b32 s1, s2
	s_cbranch_execz .LBB306_2
; %bb.1:
	global_load_u16 v8, v[4:5], off
	global_load_u16 v9, v[2:3], off
	s_waitcnt vmcnt(1)
	v_lshlrev_b32_e32 v8, 16, v8
	s_waitcnt vmcnt(0)
	v_lshlrev_b32_e32 v10, 16, v9
.LBB306_2:
	s_or_b32 exec_lo, exec_lo, s1
	v_cmp_lt_i32_e64 s1, 1, v6
	v_mov_b32_e32 v9, 0
	s_mov_b32 s7, 0
	s_delay_alu instid0(VALU_DEP_2) | instskip(NEXT) | instid1(SALU_CYCLE_1)
	s_and_b32 s1, vcc_lo, s1
	s_and_saveexec_b32 s2, s1
	s_cbranch_execz .LBB306_4
; %bb.3:
	s_lshl_b64 s[4:5], s[6:7], 1
	s_delay_alu instid0(SALU_CYCLE_1) | instskip(NEXT) | instid1(VALU_DEP_1)
	v_add_co_u32 v4, s1, v4, s4
	v_add_co_ci_u32_e64 v5, s1, s5, v5, s1
	v_add_co_u32 v2, s1, v2, s4
	s_delay_alu instid0(VALU_DEP_1)
	v_add_co_ci_u32_e64 v3, s1, s5, v3, s1
	global_load_u16 v4, v[4:5], off
	global_load_u16 v2, v[2:3], off
	s_waitcnt vmcnt(1)
	v_lshlrev_b32_e32 v7, 16, v4
	s_waitcnt vmcnt(0)
	v_lshlrev_b32_e32 v9, 16, v2
.LBB306_4:
	s_or_b32 exec_lo, exec_lo, s2
	v_mbcnt_lo_u32_b32 v2, -1, 0
	s_delay_alu instid0(VALU_DEP_2) | instskip(NEXT) | instid1(VALU_DEP_2)
	v_add_f32_e32 v11, 0, v9
	v_and_b32_e32 v3, 24, v2
	v_xor_b32_e32 v4, 4, v2
	v_xor_b32_e32 v13, 2, v2
	s_delay_alu instid0(VALU_DEP_3) | instskip(NEXT) | instid1(VALU_DEP_1)
	v_add_nc_u32_e32 v3, 8, v3
	v_cmp_lt_i32_e64 s1, v4, v3
	s_delay_alu instid0(VALU_DEP_1) | instskip(SKIP_2) | instid1(VALU_DEP_3)
	v_cndmask_b32_e64 v4, v2, v4, s1
	v_add_f32_e32 v5, 0, v10
	v_cmp_lt_i32_e64 s1, v13, v3
	v_lshlrev_b32_e32 v4, 2, v4
	s_delay_alu instid0(VALU_DEP_2)
	v_cndmask_b32_e64 v13, v2, v13, s1
	ds_bpermute_b32 v12, v4, v5
	ds_bpermute_b32 v4, v4, v11
	v_lshlrev_b32_e32 v13, 2, v13
	s_waitcnt lgkmcnt(1)
	v_add_f32_e32 v5, v5, v12
	s_waitcnt lgkmcnt(0)
	v_add_f32_e32 v11, v11, v4
	ds_bpermute_b32 v4, v13, v5
	ds_bpermute_b32 v12, v13, v11
	v_xor_b32_e32 v13, 1, v2
	s_delay_alu instid0(VALU_DEP_1) | instskip(NEXT) | instid1(VALU_DEP_1)
	v_cmp_lt_i32_e64 s1, v13, v3
	v_cndmask_b32_e64 v2, v2, v13, s1
	s_waitcnt lgkmcnt(1)
	s_delay_alu instid0(VALU_DEP_1)
	v_dual_add_f32 v4, v5, v4 :: v_dual_lshlrev_b32 v3, 2, v2
	s_waitcnt lgkmcnt(0)
	v_add_f32_e32 v2, v11, v12
	ds_bpermute_b32 v5, v3, v4
	ds_bpermute_b32 v3, v3, v2
	s_and_saveexec_b32 s1, s0
	s_cbranch_execz .LBB306_10
; %bb.5:
	v_add_co_u32 v0, s0, s8, v0
	s_delay_alu instid0(VALU_DEP_1)
	v_add_co_ci_u32_e64 v1, s0, s9, v1, s0
	s_and_saveexec_b32 s1, vcc_lo
	s_cbranch_execz .LBB306_7
; %bb.6:
	s_waitcnt lgkmcnt(1)
	v_dual_mul_f32 v11, 0x3fb8aa3b, v8 :: v_dual_add_f32 v4, v4, v5
	v_cmp_ngt_f32_e64 s0, 0xc2ce8ed0, v8
	s_delay_alu instid0(VALU_DEP_2) | instskip(SKIP_1) | instid1(VALU_DEP_2)
	v_rndne_f32_e32 v12, v11
	v_fma_f32 v13, 0x3fb8aa3b, v8, -v11
	v_sub_f32_e32 v11, v11, v12
	s_delay_alu instid0(VALU_DEP_2) | instskip(SKIP_1) | instid1(VALU_DEP_2)
	v_fmamk_f32 v13, v8, 0x32a5705f, v13
	v_cvt_i32_f32_e32 v12, v12
	v_add_f32_e32 v11, v11, v13
	s_delay_alu instid0(VALU_DEP_1) | instskip(SKIP_2) | instid1(VALU_DEP_1)
	v_exp_f32_e32 v11, v11
	s_waitcnt_depctr 0xfff
	v_ldexp_f32 v11, v11, v12
	v_cndmask_b32_e64 v11, 0, v11, s0
	v_cmp_nlt_f32_e64 s0, 0x42b17218, v8
	s_delay_alu instid0(VALU_DEP_1) | instskip(NEXT) | instid1(VALU_DEP_1)
	v_cndmask_b32_e64 v5, 0x7f800000, v11, s0
	v_fma_f32 v4, -v4, v5, v10
	s_delay_alu instid0(VALU_DEP_1) | instskip(SKIP_1) | instid1(VALU_DEP_2)
	v_bfe_u32 v5, v4, 16, 1
	v_cmp_o_f32_e64 s0, v4, v4
	v_add3_u32 v5, v4, v5, 0x7fff
	s_delay_alu instid0(VALU_DEP_1) | instskip(NEXT) | instid1(VALU_DEP_1)
	v_lshrrev_b32_e32 v5, 16, v5
	v_cndmask_b32_e64 v4, 0x7fc0, v5, s0
	global_store_b16 v[0:1], v4, off
.LBB306_7:
	s_or_b32 exec_lo, exec_lo, s1
	v_cmp_ne_u32_e64 s0, 1, v6
	s_delay_alu instid0(VALU_DEP_1)
	s_and_b32 exec_lo, exec_lo, s0
	s_cbranch_execz .LBB306_10
; %bb.8:
	s_and_b32 exec_lo, exec_lo, vcc_lo
	s_cbranch_execz .LBB306_10
; %bb.9:
	v_mul_f32_e32 v4, 0x3fb8aa3b, v7
	v_cmp_ngt_f32_e32 vcc_lo, 0xc2ce8ed0, v7
	s_lshl_b64 s[0:1], s[6:7], 1
	s_waitcnt lgkmcnt(1)
	s_delay_alu instid0(VALU_DEP_2) | instskip(SKIP_1) | instid1(VALU_DEP_2)
	v_rndne_f32_e32 v5, v4
	v_fma_f32 v6, 0x3fb8aa3b, v7, -v4
	v_sub_f32_e32 v4, v4, v5
	s_delay_alu instid0(VALU_DEP_2) | instskip(SKIP_1) | instid1(VALU_DEP_2)
	v_fmamk_f32 v6, v7, 0x32a5705f, v6
	v_cvt_i32_f32_e32 v5, v5
	v_add_f32_e32 v4, v4, v6
	s_delay_alu instid0(VALU_DEP_1) | instskip(SKIP_2) | instid1(VALU_DEP_1)
	v_exp_f32_e32 v4, v4
	s_waitcnt_depctr 0xfff
	v_ldexp_f32 v4, v4, v5
	v_cndmask_b32_e32 v4, 0, v4, vcc_lo
	v_cmp_nlt_f32_e32 vcc_lo, 0x42b17218, v7
	s_waitcnt lgkmcnt(0)
	s_delay_alu instid0(VALU_DEP_2) | instskip(NEXT) | instid1(VALU_DEP_1)
	v_dual_add_f32 v2, v2, v3 :: v_dual_cndmask_b32 v3, 0x7f800000, v4
	v_fma_f32 v2, -v2, v3, v9
	s_delay_alu instid0(VALU_DEP_1) | instskip(SKIP_1) | instid1(VALU_DEP_2)
	v_bfe_u32 v3, v2, 16, 1
	v_cmp_o_f32_e32 vcc_lo, v2, v2
	v_add3_u32 v3, v2, v3, 0x7fff
	s_delay_alu instid0(VALU_DEP_1) | instskip(NEXT) | instid1(VALU_DEP_1)
	v_lshrrev_b32_e32 v3, 16, v3
	v_cndmask_b32_e32 v2, 0x7fc0, v3, vcc_lo
	v_add_co_u32 v0, vcc_lo, v0, s0
	v_add_co_ci_u32_e32 v1, vcc_lo, s1, v1, vcc_lo
	global_store_b16 v[0:1], v2, off
.LBB306_10:
	s_nop 0
	s_sendmsg sendmsg(MSG_DEALLOC_VGPRS)
	s_endpgm
	.section	.rodata,"a",@progbits
	.p2align	6, 0x0
	.amdhsa_kernel _ZN12_GLOBAL__N_121softmax_warp_backwardIN3c108BFloat16ES2_fLi3ELb1ELb0ELi64EEEvPT0_PKT_S7_iiiPKb
		.amdhsa_group_segment_fixed_size 0
		.amdhsa_private_segment_fixed_size 0
		.amdhsa_kernarg_size 304
		.amdhsa_user_sgpr_count 15
		.amdhsa_user_sgpr_dispatch_ptr 0
		.amdhsa_user_sgpr_queue_ptr 0
		.amdhsa_user_sgpr_kernarg_segment_ptr 1
		.amdhsa_user_sgpr_dispatch_id 0
		.amdhsa_user_sgpr_private_segment_size 0
		.amdhsa_wavefront_size32 1
		.amdhsa_uses_dynamic_stack 0
		.amdhsa_enable_private_segment 0
		.amdhsa_system_sgpr_workgroup_id_x 1
		.amdhsa_system_sgpr_workgroup_id_y 0
		.amdhsa_system_sgpr_workgroup_id_z 0
		.amdhsa_system_sgpr_workgroup_info 0
		.amdhsa_system_vgpr_workitem_id 1
		.amdhsa_next_free_vgpr 14
		.amdhsa_next_free_sgpr 16
		.amdhsa_reserve_vcc 1
		.amdhsa_float_round_mode_32 0
		.amdhsa_float_round_mode_16_64 0
		.amdhsa_float_denorm_mode_32 3
		.amdhsa_float_denorm_mode_16_64 3
		.amdhsa_dx10_clamp 1
		.amdhsa_ieee_mode 1
		.amdhsa_fp16_overflow 0
		.amdhsa_workgroup_processor_mode 1
		.amdhsa_memory_ordered 1
		.amdhsa_forward_progress 0
		.amdhsa_shared_vgpr_count 0
		.amdhsa_exception_fp_ieee_invalid_op 0
		.amdhsa_exception_fp_denorm_src 0
		.amdhsa_exception_fp_ieee_div_zero 0
		.amdhsa_exception_fp_ieee_overflow 0
		.amdhsa_exception_fp_ieee_underflow 0
		.amdhsa_exception_fp_ieee_inexact 0
		.amdhsa_exception_int_div_zero 0
	.end_amdhsa_kernel
	.section	.text._ZN12_GLOBAL__N_121softmax_warp_backwardIN3c108BFloat16ES2_fLi3ELb1ELb0ELi64EEEvPT0_PKT_S7_iiiPKb,"axG",@progbits,_ZN12_GLOBAL__N_121softmax_warp_backwardIN3c108BFloat16ES2_fLi3ELb1ELb0ELi64EEEvPT0_PKT_S7_iiiPKb,comdat
.Lfunc_end306:
	.size	_ZN12_GLOBAL__N_121softmax_warp_backwardIN3c108BFloat16ES2_fLi3ELb1ELb0ELi64EEEvPT0_PKT_S7_iiiPKb, .Lfunc_end306-_ZN12_GLOBAL__N_121softmax_warp_backwardIN3c108BFloat16ES2_fLi3ELb1ELb0ELi64EEEvPT0_PKT_S7_iiiPKb
                                        ; -- End function
	.section	.AMDGPU.csdata,"",@progbits
; Kernel info:
; codeLenInByte = 996
; NumSgprs: 18
; NumVgprs: 14
; ScratchSize: 0
; MemoryBound: 0
; FloatMode: 240
; IeeeMode: 1
; LDSByteSize: 0 bytes/workgroup (compile time only)
; SGPRBlocks: 2
; VGPRBlocks: 1
; NumSGPRsForWavesPerEU: 18
; NumVGPRsForWavesPerEU: 14
; Occupancy: 16
; WaveLimiterHint : 0
; COMPUTE_PGM_RSRC2:SCRATCH_EN: 0
; COMPUTE_PGM_RSRC2:USER_SGPR: 15
; COMPUTE_PGM_RSRC2:TRAP_HANDLER: 0
; COMPUTE_PGM_RSRC2:TGID_X_EN: 1
; COMPUTE_PGM_RSRC2:TGID_Y_EN: 0
; COMPUTE_PGM_RSRC2:TGID_Z_EN: 0
; COMPUTE_PGM_RSRC2:TIDIG_COMP_CNT: 1
	.section	.text._ZN12_GLOBAL__N_121softmax_warp_backwardIN3c108BFloat16ES2_fLi3ELb1ELb0ELi32EEEvPT0_PKT_S7_iiiPKb,"axG",@progbits,_ZN12_GLOBAL__N_121softmax_warp_backwardIN3c108BFloat16ES2_fLi3ELb1ELb0ELi32EEEvPT0_PKT_S7_iiiPKb,comdat
	.globl	_ZN12_GLOBAL__N_121softmax_warp_backwardIN3c108BFloat16ES2_fLi3ELb1ELb0ELi32EEEvPT0_PKT_S7_iiiPKb ; -- Begin function _ZN12_GLOBAL__N_121softmax_warp_backwardIN3c108BFloat16ES2_fLi3ELb1ELb0ELi32EEEvPT0_PKT_S7_iiiPKb
	.p2align	8
	.type	_ZN12_GLOBAL__N_121softmax_warp_backwardIN3c108BFloat16ES2_fLi3ELb1ELb0ELi32EEEvPT0_PKT_S7_iiiPKb,@function
_ZN12_GLOBAL__N_121softmax_warp_backwardIN3c108BFloat16ES2_fLi3ELb1ELb0ELi32EEEvPT0_PKT_S7_iiiPKb: ; @_ZN12_GLOBAL__N_121softmax_warp_backwardIN3c108BFloat16ES2_fLi3ELb1ELb0ELi32EEEvPT0_PKT_S7_iiiPKb
; %bb.0:
	s_clause 0x1
	s_load_b32 s2, s[0:1], 0x3c
	s_load_b128 s[4:7], s[0:1], 0x18
	v_bfe_u32 v1, v0, 10, 10
	v_dual_mov_b32 v7, 0 :: v_dual_and_b32 v2, 7, v0
	s_load_b128 s[8:11], s[0:1], 0x0
	v_mov_b32_e32 v8, 0
	v_mov_b32_e32 v10, 0
	s_waitcnt lgkmcnt(0)
	s_lshr_b32 s2, s2, 16
	v_cmp_gt_i32_e32 vcc_lo, s6, v2
	s_mul_i32 s15, s15, s2
	s_load_b64 s[2:3], s[0:1], 0x10
	v_add_lshl_u32 v3, s15, v1, 1
	s_delay_alu instid0(VALU_DEP_1) | instskip(SKIP_1) | instid1(VALU_DEP_1)
	v_mad_u64_u32 v[0:1], null, v3, s5, v[2:3]
	v_sub_nc_u32_e32 v6, s4, v3
	v_cmp_lt_i32_e64 s0, 0, v6
	s_delay_alu instid0(VALU_DEP_3) | instskip(NEXT) | instid1(VALU_DEP_1)
	v_ashrrev_i32_e32 v1, 31, v0
	v_lshlrev_b64 v[0:1], 1, v[0:1]
	s_delay_alu instid0(VALU_DEP_1) | instskip(NEXT) | instid1(VALU_DEP_1)
	v_add_co_u32 v2, s1, s10, v0
	v_add_co_ci_u32_e64 v3, s1, s11, v1, s1
	s_waitcnt lgkmcnt(0)
	v_add_co_u32 v4, s1, s2, v0
	s_delay_alu instid0(VALU_DEP_1) | instskip(SKIP_1) | instid1(SALU_CYCLE_1)
	v_add_co_ci_u32_e64 v5, s1, s3, v1, s1
	s_and_b32 s2, vcc_lo, s0
	s_and_saveexec_b32 s1, s2
	s_cbranch_execz .LBB307_2
; %bb.1:
	global_load_u16 v8, v[4:5], off
	global_load_u16 v9, v[2:3], off
	s_waitcnt vmcnt(1)
	v_lshlrev_b32_e32 v8, 16, v8
	s_waitcnt vmcnt(0)
	v_lshlrev_b32_e32 v10, 16, v9
.LBB307_2:
	s_or_b32 exec_lo, exec_lo, s1
	v_cmp_lt_i32_e64 s1, 1, v6
	v_mov_b32_e32 v9, 0
	s_mov_b32 s7, 0
	s_delay_alu instid0(VALU_DEP_2) | instskip(NEXT) | instid1(SALU_CYCLE_1)
	s_and_b32 s1, vcc_lo, s1
	s_and_saveexec_b32 s2, s1
	s_cbranch_execz .LBB307_4
; %bb.3:
	s_lshl_b64 s[4:5], s[6:7], 1
	s_delay_alu instid0(SALU_CYCLE_1) | instskip(NEXT) | instid1(VALU_DEP_1)
	v_add_co_u32 v4, s1, v4, s4
	v_add_co_ci_u32_e64 v5, s1, s5, v5, s1
	v_add_co_u32 v2, s1, v2, s4
	s_delay_alu instid0(VALU_DEP_1)
	v_add_co_ci_u32_e64 v3, s1, s5, v3, s1
	global_load_u16 v4, v[4:5], off
	global_load_u16 v2, v[2:3], off
	s_waitcnt vmcnt(1)
	v_lshlrev_b32_e32 v7, 16, v4
	s_waitcnt vmcnt(0)
	v_lshlrev_b32_e32 v9, 16, v2
.LBB307_4:
	s_or_b32 exec_lo, exec_lo, s2
	v_mbcnt_lo_u32_b32 v2, -1, 0
	s_delay_alu instid0(VALU_DEP_2) | instskip(NEXT) | instid1(VALU_DEP_2)
	v_add_f32_e32 v11, 0, v9
	v_and_b32_e32 v3, 24, v2
	v_xor_b32_e32 v4, 4, v2
	v_xor_b32_e32 v13, 2, v2
	s_delay_alu instid0(VALU_DEP_3) | instskip(NEXT) | instid1(VALU_DEP_1)
	v_add_nc_u32_e32 v3, 8, v3
	v_cmp_lt_i32_e64 s1, v4, v3
	s_delay_alu instid0(VALU_DEP_1) | instskip(SKIP_2) | instid1(VALU_DEP_3)
	v_cndmask_b32_e64 v4, v2, v4, s1
	v_add_f32_e32 v5, 0, v10
	v_cmp_lt_i32_e64 s1, v13, v3
	v_lshlrev_b32_e32 v4, 2, v4
	s_delay_alu instid0(VALU_DEP_2)
	v_cndmask_b32_e64 v13, v2, v13, s1
	ds_bpermute_b32 v12, v4, v5
	ds_bpermute_b32 v4, v4, v11
	v_lshlrev_b32_e32 v13, 2, v13
	s_waitcnt lgkmcnt(1)
	v_add_f32_e32 v5, v5, v12
	s_waitcnt lgkmcnt(0)
	v_add_f32_e32 v11, v11, v4
	ds_bpermute_b32 v4, v13, v5
	ds_bpermute_b32 v12, v13, v11
	v_xor_b32_e32 v13, 1, v2
	s_delay_alu instid0(VALU_DEP_1) | instskip(NEXT) | instid1(VALU_DEP_1)
	v_cmp_lt_i32_e64 s1, v13, v3
	v_cndmask_b32_e64 v2, v2, v13, s1
	s_waitcnt lgkmcnt(1)
	s_delay_alu instid0(VALU_DEP_1)
	v_dual_add_f32 v4, v5, v4 :: v_dual_lshlrev_b32 v3, 2, v2
	s_waitcnt lgkmcnt(0)
	v_add_f32_e32 v2, v11, v12
	ds_bpermute_b32 v5, v3, v4
	ds_bpermute_b32 v3, v3, v2
	s_and_saveexec_b32 s1, s0
	s_cbranch_execz .LBB307_10
; %bb.5:
	v_add_co_u32 v0, s0, s8, v0
	s_delay_alu instid0(VALU_DEP_1)
	v_add_co_ci_u32_e64 v1, s0, s9, v1, s0
	s_and_saveexec_b32 s1, vcc_lo
	s_cbranch_execz .LBB307_7
; %bb.6:
	s_waitcnt lgkmcnt(1)
	v_dual_mul_f32 v11, 0x3fb8aa3b, v8 :: v_dual_add_f32 v4, v4, v5
	v_cmp_ngt_f32_e64 s0, 0xc2ce8ed0, v8
	s_delay_alu instid0(VALU_DEP_2) | instskip(SKIP_1) | instid1(VALU_DEP_2)
	v_rndne_f32_e32 v12, v11
	v_fma_f32 v13, 0x3fb8aa3b, v8, -v11
	v_sub_f32_e32 v11, v11, v12
	s_delay_alu instid0(VALU_DEP_2) | instskip(SKIP_1) | instid1(VALU_DEP_2)
	v_fmamk_f32 v13, v8, 0x32a5705f, v13
	v_cvt_i32_f32_e32 v12, v12
	v_add_f32_e32 v11, v11, v13
	s_delay_alu instid0(VALU_DEP_1) | instskip(SKIP_2) | instid1(VALU_DEP_1)
	v_exp_f32_e32 v11, v11
	s_waitcnt_depctr 0xfff
	v_ldexp_f32 v11, v11, v12
	v_cndmask_b32_e64 v11, 0, v11, s0
	v_cmp_nlt_f32_e64 s0, 0x42b17218, v8
	s_delay_alu instid0(VALU_DEP_1) | instskip(NEXT) | instid1(VALU_DEP_1)
	v_cndmask_b32_e64 v5, 0x7f800000, v11, s0
	v_fma_f32 v4, -v4, v5, v10
	s_delay_alu instid0(VALU_DEP_1) | instskip(SKIP_1) | instid1(VALU_DEP_2)
	v_bfe_u32 v5, v4, 16, 1
	v_cmp_o_f32_e64 s0, v4, v4
	v_add3_u32 v5, v4, v5, 0x7fff
	s_delay_alu instid0(VALU_DEP_1) | instskip(NEXT) | instid1(VALU_DEP_1)
	v_lshrrev_b32_e32 v5, 16, v5
	v_cndmask_b32_e64 v4, 0x7fc0, v5, s0
	global_store_b16 v[0:1], v4, off
.LBB307_7:
	s_or_b32 exec_lo, exec_lo, s1
	v_cmp_ne_u32_e64 s0, 1, v6
	s_delay_alu instid0(VALU_DEP_1)
	s_and_b32 exec_lo, exec_lo, s0
	s_cbranch_execz .LBB307_10
; %bb.8:
	s_and_b32 exec_lo, exec_lo, vcc_lo
	s_cbranch_execz .LBB307_10
; %bb.9:
	v_mul_f32_e32 v4, 0x3fb8aa3b, v7
	v_cmp_ngt_f32_e32 vcc_lo, 0xc2ce8ed0, v7
	s_lshl_b64 s[0:1], s[6:7], 1
	s_waitcnt lgkmcnt(1)
	s_delay_alu instid0(VALU_DEP_2) | instskip(SKIP_1) | instid1(VALU_DEP_2)
	v_rndne_f32_e32 v5, v4
	v_fma_f32 v6, 0x3fb8aa3b, v7, -v4
	v_sub_f32_e32 v4, v4, v5
	s_delay_alu instid0(VALU_DEP_2) | instskip(SKIP_1) | instid1(VALU_DEP_2)
	v_fmamk_f32 v6, v7, 0x32a5705f, v6
	v_cvt_i32_f32_e32 v5, v5
	v_add_f32_e32 v4, v4, v6
	s_delay_alu instid0(VALU_DEP_1) | instskip(SKIP_2) | instid1(VALU_DEP_1)
	v_exp_f32_e32 v4, v4
	s_waitcnt_depctr 0xfff
	v_ldexp_f32 v4, v4, v5
	v_cndmask_b32_e32 v4, 0, v4, vcc_lo
	v_cmp_nlt_f32_e32 vcc_lo, 0x42b17218, v7
	s_waitcnt lgkmcnt(0)
	s_delay_alu instid0(VALU_DEP_2) | instskip(NEXT) | instid1(VALU_DEP_1)
	v_dual_add_f32 v2, v2, v3 :: v_dual_cndmask_b32 v3, 0x7f800000, v4
	v_fma_f32 v2, -v2, v3, v9
	s_delay_alu instid0(VALU_DEP_1) | instskip(SKIP_1) | instid1(VALU_DEP_2)
	v_bfe_u32 v3, v2, 16, 1
	v_cmp_o_f32_e32 vcc_lo, v2, v2
	v_add3_u32 v3, v2, v3, 0x7fff
	s_delay_alu instid0(VALU_DEP_1) | instskip(NEXT) | instid1(VALU_DEP_1)
	v_lshrrev_b32_e32 v3, 16, v3
	v_cndmask_b32_e32 v2, 0x7fc0, v3, vcc_lo
	v_add_co_u32 v0, vcc_lo, v0, s0
	v_add_co_ci_u32_e32 v1, vcc_lo, s1, v1, vcc_lo
	global_store_b16 v[0:1], v2, off
.LBB307_10:
	s_nop 0
	s_sendmsg sendmsg(MSG_DEALLOC_VGPRS)
	s_endpgm
	.section	.rodata,"a",@progbits
	.p2align	6, 0x0
	.amdhsa_kernel _ZN12_GLOBAL__N_121softmax_warp_backwardIN3c108BFloat16ES2_fLi3ELb1ELb0ELi32EEEvPT0_PKT_S7_iiiPKb
		.amdhsa_group_segment_fixed_size 0
		.amdhsa_private_segment_fixed_size 0
		.amdhsa_kernarg_size 304
		.amdhsa_user_sgpr_count 15
		.amdhsa_user_sgpr_dispatch_ptr 0
		.amdhsa_user_sgpr_queue_ptr 0
		.amdhsa_user_sgpr_kernarg_segment_ptr 1
		.amdhsa_user_sgpr_dispatch_id 0
		.amdhsa_user_sgpr_private_segment_size 0
		.amdhsa_wavefront_size32 1
		.amdhsa_uses_dynamic_stack 0
		.amdhsa_enable_private_segment 0
		.amdhsa_system_sgpr_workgroup_id_x 1
		.amdhsa_system_sgpr_workgroup_id_y 0
		.amdhsa_system_sgpr_workgroup_id_z 0
		.amdhsa_system_sgpr_workgroup_info 0
		.amdhsa_system_vgpr_workitem_id 1
		.amdhsa_next_free_vgpr 14
		.amdhsa_next_free_sgpr 16
		.amdhsa_reserve_vcc 1
		.amdhsa_float_round_mode_32 0
		.amdhsa_float_round_mode_16_64 0
		.amdhsa_float_denorm_mode_32 3
		.amdhsa_float_denorm_mode_16_64 3
		.amdhsa_dx10_clamp 1
		.amdhsa_ieee_mode 1
		.amdhsa_fp16_overflow 0
		.amdhsa_workgroup_processor_mode 1
		.amdhsa_memory_ordered 1
		.amdhsa_forward_progress 0
		.amdhsa_shared_vgpr_count 0
		.amdhsa_exception_fp_ieee_invalid_op 0
		.amdhsa_exception_fp_denorm_src 0
		.amdhsa_exception_fp_ieee_div_zero 0
		.amdhsa_exception_fp_ieee_overflow 0
		.amdhsa_exception_fp_ieee_underflow 0
		.amdhsa_exception_fp_ieee_inexact 0
		.amdhsa_exception_int_div_zero 0
	.end_amdhsa_kernel
	.section	.text._ZN12_GLOBAL__N_121softmax_warp_backwardIN3c108BFloat16ES2_fLi3ELb1ELb0ELi32EEEvPT0_PKT_S7_iiiPKb,"axG",@progbits,_ZN12_GLOBAL__N_121softmax_warp_backwardIN3c108BFloat16ES2_fLi3ELb1ELb0ELi32EEEvPT0_PKT_S7_iiiPKb,comdat
.Lfunc_end307:
	.size	_ZN12_GLOBAL__N_121softmax_warp_backwardIN3c108BFloat16ES2_fLi3ELb1ELb0ELi32EEEvPT0_PKT_S7_iiiPKb, .Lfunc_end307-_ZN12_GLOBAL__N_121softmax_warp_backwardIN3c108BFloat16ES2_fLi3ELb1ELb0ELi32EEEvPT0_PKT_S7_iiiPKb
                                        ; -- End function
	.section	.AMDGPU.csdata,"",@progbits
; Kernel info:
; codeLenInByte = 996
; NumSgprs: 18
; NumVgprs: 14
; ScratchSize: 0
; MemoryBound: 0
; FloatMode: 240
; IeeeMode: 1
; LDSByteSize: 0 bytes/workgroup (compile time only)
; SGPRBlocks: 2
; VGPRBlocks: 1
; NumSGPRsForWavesPerEU: 18
; NumVGPRsForWavesPerEU: 14
; Occupancy: 16
; WaveLimiterHint : 0
; COMPUTE_PGM_RSRC2:SCRATCH_EN: 0
; COMPUTE_PGM_RSRC2:USER_SGPR: 15
; COMPUTE_PGM_RSRC2:TRAP_HANDLER: 0
; COMPUTE_PGM_RSRC2:TGID_X_EN: 1
; COMPUTE_PGM_RSRC2:TGID_Y_EN: 0
; COMPUTE_PGM_RSRC2:TGID_Z_EN: 0
; COMPUTE_PGM_RSRC2:TIDIG_COMP_CNT: 1
	.section	.text._ZN12_GLOBAL__N_121softmax_warp_backwardIN3c108BFloat16ES2_fLi4ELb1ELb0ELi64EEEvPT0_PKT_S7_iiiPKb,"axG",@progbits,_ZN12_GLOBAL__N_121softmax_warp_backwardIN3c108BFloat16ES2_fLi4ELb1ELb0ELi64EEEvPT0_PKT_S7_iiiPKb,comdat
	.globl	_ZN12_GLOBAL__N_121softmax_warp_backwardIN3c108BFloat16ES2_fLi4ELb1ELb0ELi64EEEvPT0_PKT_S7_iiiPKb ; -- Begin function _ZN12_GLOBAL__N_121softmax_warp_backwardIN3c108BFloat16ES2_fLi4ELb1ELb0ELi64EEEvPT0_PKT_S7_iiiPKb
	.p2align	8
	.type	_ZN12_GLOBAL__N_121softmax_warp_backwardIN3c108BFloat16ES2_fLi4ELb1ELb0ELi64EEEvPT0_PKT_S7_iiiPKb,@function
_ZN12_GLOBAL__N_121softmax_warp_backwardIN3c108BFloat16ES2_fLi4ELb1ELb0ELi64EEEvPT0_PKT_S7_iiiPKb: ; @_ZN12_GLOBAL__N_121softmax_warp_backwardIN3c108BFloat16ES2_fLi4ELb1ELb0ELi64EEEvPT0_PKT_S7_iiiPKb
; %bb.0:
	s_clause 0x1
	s_load_b32 s2, s[0:1], 0x3c
	s_load_b128 s[4:7], s[0:1], 0x18
	v_bfe_u32 v1, v0, 10, 10
	v_dual_mov_b32 v7, 0 :: v_dual_and_b32 v2, 15, v0
	s_load_b128 s[8:11], s[0:1], 0x0
	v_mov_b32_e32 v8, 0
	v_mov_b32_e32 v10, 0
	s_waitcnt lgkmcnt(0)
	s_lshr_b32 s2, s2, 16
	v_cmp_gt_i32_e32 vcc_lo, s6, v2
	s_mul_i32 s15, s15, s2
	s_load_b64 s[2:3], s[0:1], 0x10
	v_add_lshl_u32 v3, s15, v1, 1
	s_delay_alu instid0(VALU_DEP_1) | instskip(SKIP_1) | instid1(VALU_DEP_1)
	v_mad_u64_u32 v[0:1], null, v3, s5, v[2:3]
	v_sub_nc_u32_e32 v6, s4, v3
	v_cmp_lt_i32_e64 s0, 0, v6
	s_delay_alu instid0(VALU_DEP_3) | instskip(NEXT) | instid1(VALU_DEP_1)
	v_ashrrev_i32_e32 v1, 31, v0
	v_lshlrev_b64 v[0:1], 1, v[0:1]
	s_delay_alu instid0(VALU_DEP_1) | instskip(NEXT) | instid1(VALU_DEP_1)
	v_add_co_u32 v2, s1, s10, v0
	v_add_co_ci_u32_e64 v3, s1, s11, v1, s1
	s_waitcnt lgkmcnt(0)
	v_add_co_u32 v4, s1, s2, v0
	s_delay_alu instid0(VALU_DEP_1) | instskip(SKIP_1) | instid1(SALU_CYCLE_1)
	v_add_co_ci_u32_e64 v5, s1, s3, v1, s1
	s_and_b32 s2, vcc_lo, s0
	s_and_saveexec_b32 s1, s2
	s_cbranch_execz .LBB308_2
; %bb.1:
	global_load_u16 v8, v[4:5], off
	global_load_u16 v9, v[2:3], off
	s_waitcnt vmcnt(1)
	v_lshlrev_b32_e32 v8, 16, v8
	s_waitcnt vmcnt(0)
	v_lshlrev_b32_e32 v10, 16, v9
.LBB308_2:
	s_or_b32 exec_lo, exec_lo, s1
	v_cmp_lt_i32_e64 s1, 1, v6
	v_mov_b32_e32 v9, 0
	s_mov_b32 s7, 0
	s_delay_alu instid0(VALU_DEP_2) | instskip(NEXT) | instid1(SALU_CYCLE_1)
	s_and_b32 s1, vcc_lo, s1
	s_and_saveexec_b32 s2, s1
	s_cbranch_execz .LBB308_4
; %bb.3:
	s_lshl_b64 s[4:5], s[6:7], 1
	s_delay_alu instid0(SALU_CYCLE_1) | instskip(NEXT) | instid1(VALU_DEP_1)
	v_add_co_u32 v4, s1, v4, s4
	v_add_co_ci_u32_e64 v5, s1, s5, v5, s1
	v_add_co_u32 v2, s1, v2, s4
	s_delay_alu instid0(VALU_DEP_1)
	v_add_co_ci_u32_e64 v3, s1, s5, v3, s1
	global_load_u16 v4, v[4:5], off
	global_load_u16 v2, v[2:3], off
	s_waitcnt vmcnt(1)
	v_lshlrev_b32_e32 v7, 16, v4
	s_waitcnt vmcnt(0)
	v_lshlrev_b32_e32 v9, 16, v2
.LBB308_4:
	s_or_b32 exec_lo, exec_lo, s2
	v_mbcnt_lo_u32_b32 v2, -1, 0
	s_delay_alu instid0(VALU_DEP_2) | instskip(NEXT) | instid1(VALU_DEP_2)
	v_add_f32_e32 v11, 0, v9
	v_and_b32_e32 v3, 16, v2
	v_xor_b32_e32 v4, 8, v2
	v_xor_b32_e32 v13, 4, v2
	s_delay_alu instid0(VALU_DEP_3) | instskip(NEXT) | instid1(VALU_DEP_1)
	v_add_nc_u32_e32 v3, 16, v3
	v_cmp_lt_i32_e64 s1, v4, v3
	s_delay_alu instid0(VALU_DEP_1) | instskip(SKIP_2) | instid1(VALU_DEP_3)
	v_cndmask_b32_e64 v4, v2, v4, s1
	v_add_f32_e32 v5, 0, v10
	v_cmp_lt_i32_e64 s1, v13, v3
	v_lshlrev_b32_e32 v4, 2, v4
	s_delay_alu instid0(VALU_DEP_2)
	v_cndmask_b32_e64 v13, v2, v13, s1
	ds_bpermute_b32 v12, v4, v5
	ds_bpermute_b32 v4, v4, v11
	v_lshlrev_b32_e32 v13, 2, v13
	s_waitcnt lgkmcnt(1)
	v_add_f32_e32 v5, v5, v12
	s_waitcnt lgkmcnt(0)
	v_add_f32_e32 v4, v11, v4
	ds_bpermute_b32 v11, v13, v5
	ds_bpermute_b32 v12, v13, v4
	v_xor_b32_e32 v13, 2, v2
	s_delay_alu instid0(VALU_DEP_1) | instskip(NEXT) | instid1(VALU_DEP_1)
	v_cmp_lt_i32_e64 s1, v13, v3
	v_cndmask_b32_e64 v13, v2, v13, s1
	s_delay_alu instid0(VALU_DEP_1)
	v_lshlrev_b32_e32 v13, 2, v13
	s_waitcnt lgkmcnt(1)
	v_add_f32_e32 v5, v5, v11
	s_waitcnt lgkmcnt(0)
	v_add_f32_e32 v11, v4, v12
	ds_bpermute_b32 v4, v13, v5
	ds_bpermute_b32 v12, v13, v11
	v_xor_b32_e32 v13, 1, v2
	s_waitcnt lgkmcnt(1)
	v_add_f32_e32 v4, v5, v4
	s_delay_alu instid0(VALU_DEP_2) | instskip(NEXT) | instid1(VALU_DEP_1)
	v_cmp_lt_i32_e64 s1, v13, v3
	v_cndmask_b32_e64 v2, v2, v13, s1
	s_waitcnt lgkmcnt(0)
	s_delay_alu instid0(VALU_DEP_1)
	v_dual_add_f32 v2, v11, v12 :: v_dual_lshlrev_b32 v3, 2, v2
	ds_bpermute_b32 v5, v3, v4
	ds_bpermute_b32 v3, v3, v2
	s_and_saveexec_b32 s1, s0
	s_cbranch_execz .LBB308_10
; %bb.5:
	v_add_co_u32 v0, s0, s8, v0
	s_delay_alu instid0(VALU_DEP_1)
	v_add_co_ci_u32_e64 v1, s0, s9, v1, s0
	s_and_saveexec_b32 s1, vcc_lo
	s_cbranch_execz .LBB308_7
; %bb.6:
	s_waitcnt lgkmcnt(1)
	v_dual_mul_f32 v11, 0x3fb8aa3b, v8 :: v_dual_add_f32 v4, v4, v5
	v_cmp_ngt_f32_e64 s0, 0xc2ce8ed0, v8
	s_delay_alu instid0(VALU_DEP_2) | instskip(SKIP_1) | instid1(VALU_DEP_2)
	v_rndne_f32_e32 v12, v11
	v_fma_f32 v13, 0x3fb8aa3b, v8, -v11
	v_sub_f32_e32 v11, v11, v12
	s_delay_alu instid0(VALU_DEP_2) | instskip(SKIP_1) | instid1(VALU_DEP_2)
	v_fmamk_f32 v13, v8, 0x32a5705f, v13
	v_cvt_i32_f32_e32 v12, v12
	v_add_f32_e32 v11, v11, v13
	s_delay_alu instid0(VALU_DEP_1) | instskip(SKIP_2) | instid1(VALU_DEP_1)
	v_exp_f32_e32 v11, v11
	s_waitcnt_depctr 0xfff
	v_ldexp_f32 v11, v11, v12
	v_cndmask_b32_e64 v11, 0, v11, s0
	v_cmp_nlt_f32_e64 s0, 0x42b17218, v8
	s_delay_alu instid0(VALU_DEP_1) | instskip(NEXT) | instid1(VALU_DEP_1)
	v_cndmask_b32_e64 v5, 0x7f800000, v11, s0
	v_fma_f32 v4, -v4, v5, v10
	s_delay_alu instid0(VALU_DEP_1) | instskip(SKIP_1) | instid1(VALU_DEP_2)
	v_bfe_u32 v5, v4, 16, 1
	v_cmp_o_f32_e64 s0, v4, v4
	v_add3_u32 v5, v4, v5, 0x7fff
	s_delay_alu instid0(VALU_DEP_1) | instskip(NEXT) | instid1(VALU_DEP_1)
	v_lshrrev_b32_e32 v5, 16, v5
	v_cndmask_b32_e64 v4, 0x7fc0, v5, s0
	global_store_b16 v[0:1], v4, off
.LBB308_7:
	s_or_b32 exec_lo, exec_lo, s1
	v_cmp_ne_u32_e64 s0, 1, v6
	s_delay_alu instid0(VALU_DEP_1)
	s_and_b32 exec_lo, exec_lo, s0
	s_cbranch_execz .LBB308_10
; %bb.8:
	s_and_b32 exec_lo, exec_lo, vcc_lo
	s_cbranch_execz .LBB308_10
; %bb.9:
	v_mul_f32_e32 v4, 0x3fb8aa3b, v7
	v_cmp_ngt_f32_e32 vcc_lo, 0xc2ce8ed0, v7
	s_lshl_b64 s[0:1], s[6:7], 1
	s_waitcnt lgkmcnt(1)
	s_delay_alu instid0(VALU_DEP_2) | instskip(SKIP_1) | instid1(VALU_DEP_2)
	v_rndne_f32_e32 v5, v4
	v_fma_f32 v6, 0x3fb8aa3b, v7, -v4
	v_sub_f32_e32 v4, v4, v5
	s_delay_alu instid0(VALU_DEP_2) | instskip(SKIP_1) | instid1(VALU_DEP_2)
	v_fmamk_f32 v6, v7, 0x32a5705f, v6
	v_cvt_i32_f32_e32 v5, v5
	v_add_f32_e32 v4, v4, v6
	s_delay_alu instid0(VALU_DEP_1) | instskip(SKIP_2) | instid1(VALU_DEP_1)
	v_exp_f32_e32 v4, v4
	s_waitcnt_depctr 0xfff
	v_ldexp_f32 v4, v4, v5
	v_cndmask_b32_e32 v4, 0, v4, vcc_lo
	v_cmp_nlt_f32_e32 vcc_lo, 0x42b17218, v7
	s_waitcnt lgkmcnt(0)
	s_delay_alu instid0(VALU_DEP_2) | instskip(NEXT) | instid1(VALU_DEP_1)
	v_dual_add_f32 v2, v2, v3 :: v_dual_cndmask_b32 v3, 0x7f800000, v4
	v_fma_f32 v2, -v2, v3, v9
	s_delay_alu instid0(VALU_DEP_1) | instskip(SKIP_1) | instid1(VALU_DEP_2)
	v_bfe_u32 v3, v2, 16, 1
	v_cmp_o_f32_e32 vcc_lo, v2, v2
	v_add3_u32 v3, v2, v3, 0x7fff
	s_delay_alu instid0(VALU_DEP_1) | instskip(NEXT) | instid1(VALU_DEP_1)
	v_lshrrev_b32_e32 v3, 16, v3
	v_cndmask_b32_e32 v2, 0x7fc0, v3, vcc_lo
	v_add_co_u32 v0, vcc_lo, v0, s0
	v_add_co_ci_u32_e32 v1, vcc_lo, s1, v1, vcc_lo
	global_store_b16 v[0:1], v2, off
.LBB308_10:
	s_nop 0
	s_sendmsg sendmsg(MSG_DEALLOC_VGPRS)
	s_endpgm
	.section	.rodata,"a",@progbits
	.p2align	6, 0x0
	.amdhsa_kernel _ZN12_GLOBAL__N_121softmax_warp_backwardIN3c108BFloat16ES2_fLi4ELb1ELb0ELi64EEEvPT0_PKT_S7_iiiPKb
		.amdhsa_group_segment_fixed_size 0
		.amdhsa_private_segment_fixed_size 0
		.amdhsa_kernarg_size 304
		.amdhsa_user_sgpr_count 15
		.amdhsa_user_sgpr_dispatch_ptr 0
		.amdhsa_user_sgpr_queue_ptr 0
		.amdhsa_user_sgpr_kernarg_segment_ptr 1
		.amdhsa_user_sgpr_dispatch_id 0
		.amdhsa_user_sgpr_private_segment_size 0
		.amdhsa_wavefront_size32 1
		.amdhsa_uses_dynamic_stack 0
		.amdhsa_enable_private_segment 0
		.amdhsa_system_sgpr_workgroup_id_x 1
		.amdhsa_system_sgpr_workgroup_id_y 0
		.amdhsa_system_sgpr_workgroup_id_z 0
		.amdhsa_system_sgpr_workgroup_info 0
		.amdhsa_system_vgpr_workitem_id 1
		.amdhsa_next_free_vgpr 14
		.amdhsa_next_free_sgpr 16
		.amdhsa_reserve_vcc 1
		.amdhsa_float_round_mode_32 0
		.amdhsa_float_round_mode_16_64 0
		.amdhsa_float_denorm_mode_32 3
		.amdhsa_float_denorm_mode_16_64 3
		.amdhsa_dx10_clamp 1
		.amdhsa_ieee_mode 1
		.amdhsa_fp16_overflow 0
		.amdhsa_workgroup_processor_mode 1
		.amdhsa_memory_ordered 1
		.amdhsa_forward_progress 0
		.amdhsa_shared_vgpr_count 0
		.amdhsa_exception_fp_ieee_invalid_op 0
		.amdhsa_exception_fp_denorm_src 0
		.amdhsa_exception_fp_ieee_div_zero 0
		.amdhsa_exception_fp_ieee_overflow 0
		.amdhsa_exception_fp_ieee_underflow 0
		.amdhsa_exception_fp_ieee_inexact 0
		.amdhsa_exception_int_div_zero 0
	.end_amdhsa_kernel
	.section	.text._ZN12_GLOBAL__N_121softmax_warp_backwardIN3c108BFloat16ES2_fLi4ELb1ELb0ELi64EEEvPT0_PKT_S7_iiiPKb,"axG",@progbits,_ZN12_GLOBAL__N_121softmax_warp_backwardIN3c108BFloat16ES2_fLi4ELb1ELb0ELi64EEEvPT0_PKT_S7_iiiPKb,comdat
.Lfunc_end308:
	.size	_ZN12_GLOBAL__N_121softmax_warp_backwardIN3c108BFloat16ES2_fLi4ELb1ELb0ELi64EEEvPT0_PKT_S7_iiiPKb, .Lfunc_end308-_ZN12_GLOBAL__N_121softmax_warp_backwardIN3c108BFloat16ES2_fLi4ELb1ELb0ELi64EEEvPT0_PKT_S7_iiiPKb
                                        ; -- End function
	.section	.AMDGPU.csdata,"",@progbits
; Kernel info:
; codeLenInByte = 1060
; NumSgprs: 18
; NumVgprs: 14
; ScratchSize: 0
; MemoryBound: 0
; FloatMode: 240
; IeeeMode: 1
; LDSByteSize: 0 bytes/workgroup (compile time only)
; SGPRBlocks: 2
; VGPRBlocks: 1
; NumSGPRsForWavesPerEU: 18
; NumVGPRsForWavesPerEU: 14
; Occupancy: 16
; WaveLimiterHint : 0
; COMPUTE_PGM_RSRC2:SCRATCH_EN: 0
; COMPUTE_PGM_RSRC2:USER_SGPR: 15
; COMPUTE_PGM_RSRC2:TRAP_HANDLER: 0
; COMPUTE_PGM_RSRC2:TGID_X_EN: 1
; COMPUTE_PGM_RSRC2:TGID_Y_EN: 0
; COMPUTE_PGM_RSRC2:TGID_Z_EN: 0
; COMPUTE_PGM_RSRC2:TIDIG_COMP_CNT: 1
	.section	.text._ZN12_GLOBAL__N_121softmax_warp_backwardIN3c108BFloat16ES2_fLi4ELb1ELb0ELi32EEEvPT0_PKT_S7_iiiPKb,"axG",@progbits,_ZN12_GLOBAL__N_121softmax_warp_backwardIN3c108BFloat16ES2_fLi4ELb1ELb0ELi32EEEvPT0_PKT_S7_iiiPKb,comdat
	.globl	_ZN12_GLOBAL__N_121softmax_warp_backwardIN3c108BFloat16ES2_fLi4ELb1ELb0ELi32EEEvPT0_PKT_S7_iiiPKb ; -- Begin function _ZN12_GLOBAL__N_121softmax_warp_backwardIN3c108BFloat16ES2_fLi4ELb1ELb0ELi32EEEvPT0_PKT_S7_iiiPKb
	.p2align	8
	.type	_ZN12_GLOBAL__N_121softmax_warp_backwardIN3c108BFloat16ES2_fLi4ELb1ELb0ELi32EEEvPT0_PKT_S7_iiiPKb,@function
_ZN12_GLOBAL__N_121softmax_warp_backwardIN3c108BFloat16ES2_fLi4ELb1ELb0ELi32EEEvPT0_PKT_S7_iiiPKb: ; @_ZN12_GLOBAL__N_121softmax_warp_backwardIN3c108BFloat16ES2_fLi4ELb1ELb0ELi32EEEvPT0_PKT_S7_iiiPKb
; %bb.0:
	s_clause 0x1
	s_load_b32 s2, s[0:1], 0x3c
	s_load_b128 s[4:7], s[0:1], 0x18
	v_bfe_u32 v1, v0, 10, 10
	v_dual_mov_b32 v7, 0 :: v_dual_and_b32 v2, 15, v0
	s_load_b128 s[8:11], s[0:1], 0x0
	v_mov_b32_e32 v8, 0
	v_mov_b32_e32 v10, 0
	s_waitcnt lgkmcnt(0)
	s_lshr_b32 s2, s2, 16
	v_cmp_gt_i32_e32 vcc_lo, s6, v2
	s_mul_i32 s15, s15, s2
	s_load_b64 s[2:3], s[0:1], 0x10
	v_add_lshl_u32 v3, s15, v1, 1
	s_delay_alu instid0(VALU_DEP_1) | instskip(SKIP_1) | instid1(VALU_DEP_1)
	v_mad_u64_u32 v[0:1], null, v3, s5, v[2:3]
	v_sub_nc_u32_e32 v6, s4, v3
	v_cmp_lt_i32_e64 s0, 0, v6
	s_delay_alu instid0(VALU_DEP_3) | instskip(NEXT) | instid1(VALU_DEP_1)
	v_ashrrev_i32_e32 v1, 31, v0
	v_lshlrev_b64 v[0:1], 1, v[0:1]
	s_delay_alu instid0(VALU_DEP_1) | instskip(NEXT) | instid1(VALU_DEP_1)
	v_add_co_u32 v2, s1, s10, v0
	v_add_co_ci_u32_e64 v3, s1, s11, v1, s1
	s_waitcnt lgkmcnt(0)
	v_add_co_u32 v4, s1, s2, v0
	s_delay_alu instid0(VALU_DEP_1) | instskip(SKIP_1) | instid1(SALU_CYCLE_1)
	v_add_co_ci_u32_e64 v5, s1, s3, v1, s1
	s_and_b32 s2, vcc_lo, s0
	s_and_saveexec_b32 s1, s2
	s_cbranch_execz .LBB309_2
; %bb.1:
	global_load_u16 v8, v[4:5], off
	global_load_u16 v9, v[2:3], off
	s_waitcnt vmcnt(1)
	v_lshlrev_b32_e32 v8, 16, v8
	s_waitcnt vmcnt(0)
	v_lshlrev_b32_e32 v10, 16, v9
.LBB309_2:
	s_or_b32 exec_lo, exec_lo, s1
	v_cmp_lt_i32_e64 s1, 1, v6
	v_mov_b32_e32 v9, 0
	s_mov_b32 s7, 0
	s_delay_alu instid0(VALU_DEP_2) | instskip(NEXT) | instid1(SALU_CYCLE_1)
	s_and_b32 s1, vcc_lo, s1
	s_and_saveexec_b32 s2, s1
	s_cbranch_execz .LBB309_4
; %bb.3:
	s_lshl_b64 s[4:5], s[6:7], 1
	s_delay_alu instid0(SALU_CYCLE_1) | instskip(NEXT) | instid1(VALU_DEP_1)
	v_add_co_u32 v4, s1, v4, s4
	v_add_co_ci_u32_e64 v5, s1, s5, v5, s1
	v_add_co_u32 v2, s1, v2, s4
	s_delay_alu instid0(VALU_DEP_1)
	v_add_co_ci_u32_e64 v3, s1, s5, v3, s1
	global_load_u16 v4, v[4:5], off
	global_load_u16 v2, v[2:3], off
	s_waitcnt vmcnt(1)
	v_lshlrev_b32_e32 v7, 16, v4
	s_waitcnt vmcnt(0)
	v_lshlrev_b32_e32 v9, 16, v2
.LBB309_4:
	s_or_b32 exec_lo, exec_lo, s2
	v_mbcnt_lo_u32_b32 v2, -1, 0
	s_delay_alu instid0(VALU_DEP_2) | instskip(NEXT) | instid1(VALU_DEP_2)
	v_add_f32_e32 v11, 0, v9
	v_and_b32_e32 v3, 16, v2
	v_xor_b32_e32 v4, 8, v2
	v_xor_b32_e32 v13, 4, v2
	s_delay_alu instid0(VALU_DEP_3) | instskip(NEXT) | instid1(VALU_DEP_1)
	v_add_nc_u32_e32 v3, 16, v3
	v_cmp_lt_i32_e64 s1, v4, v3
	s_delay_alu instid0(VALU_DEP_1) | instskip(SKIP_2) | instid1(VALU_DEP_3)
	v_cndmask_b32_e64 v4, v2, v4, s1
	v_add_f32_e32 v5, 0, v10
	v_cmp_lt_i32_e64 s1, v13, v3
	v_lshlrev_b32_e32 v4, 2, v4
	s_delay_alu instid0(VALU_DEP_2)
	v_cndmask_b32_e64 v13, v2, v13, s1
	ds_bpermute_b32 v12, v4, v5
	ds_bpermute_b32 v4, v4, v11
	v_lshlrev_b32_e32 v13, 2, v13
	s_waitcnt lgkmcnt(1)
	v_add_f32_e32 v5, v5, v12
	s_waitcnt lgkmcnt(0)
	v_add_f32_e32 v4, v11, v4
	ds_bpermute_b32 v11, v13, v5
	ds_bpermute_b32 v12, v13, v4
	v_xor_b32_e32 v13, 2, v2
	s_delay_alu instid0(VALU_DEP_1) | instskip(NEXT) | instid1(VALU_DEP_1)
	v_cmp_lt_i32_e64 s1, v13, v3
	v_cndmask_b32_e64 v13, v2, v13, s1
	s_delay_alu instid0(VALU_DEP_1)
	v_lshlrev_b32_e32 v13, 2, v13
	s_waitcnt lgkmcnt(1)
	v_add_f32_e32 v5, v5, v11
	s_waitcnt lgkmcnt(0)
	v_add_f32_e32 v11, v4, v12
	ds_bpermute_b32 v4, v13, v5
	ds_bpermute_b32 v12, v13, v11
	v_xor_b32_e32 v13, 1, v2
	s_waitcnt lgkmcnt(1)
	v_add_f32_e32 v4, v5, v4
	s_delay_alu instid0(VALU_DEP_2) | instskip(NEXT) | instid1(VALU_DEP_1)
	v_cmp_lt_i32_e64 s1, v13, v3
	v_cndmask_b32_e64 v2, v2, v13, s1
	s_waitcnt lgkmcnt(0)
	s_delay_alu instid0(VALU_DEP_1)
	v_dual_add_f32 v2, v11, v12 :: v_dual_lshlrev_b32 v3, 2, v2
	ds_bpermute_b32 v5, v3, v4
	ds_bpermute_b32 v3, v3, v2
	s_and_saveexec_b32 s1, s0
	s_cbranch_execz .LBB309_10
; %bb.5:
	v_add_co_u32 v0, s0, s8, v0
	s_delay_alu instid0(VALU_DEP_1)
	v_add_co_ci_u32_e64 v1, s0, s9, v1, s0
	s_and_saveexec_b32 s1, vcc_lo
	s_cbranch_execz .LBB309_7
; %bb.6:
	s_waitcnt lgkmcnt(1)
	v_dual_mul_f32 v11, 0x3fb8aa3b, v8 :: v_dual_add_f32 v4, v4, v5
	v_cmp_ngt_f32_e64 s0, 0xc2ce8ed0, v8
	s_delay_alu instid0(VALU_DEP_2) | instskip(SKIP_1) | instid1(VALU_DEP_2)
	v_rndne_f32_e32 v12, v11
	v_fma_f32 v13, 0x3fb8aa3b, v8, -v11
	v_sub_f32_e32 v11, v11, v12
	s_delay_alu instid0(VALU_DEP_2) | instskip(SKIP_1) | instid1(VALU_DEP_2)
	v_fmamk_f32 v13, v8, 0x32a5705f, v13
	v_cvt_i32_f32_e32 v12, v12
	v_add_f32_e32 v11, v11, v13
	s_delay_alu instid0(VALU_DEP_1) | instskip(SKIP_2) | instid1(VALU_DEP_1)
	v_exp_f32_e32 v11, v11
	s_waitcnt_depctr 0xfff
	v_ldexp_f32 v11, v11, v12
	v_cndmask_b32_e64 v11, 0, v11, s0
	v_cmp_nlt_f32_e64 s0, 0x42b17218, v8
	s_delay_alu instid0(VALU_DEP_1) | instskip(NEXT) | instid1(VALU_DEP_1)
	v_cndmask_b32_e64 v5, 0x7f800000, v11, s0
	v_fma_f32 v4, -v4, v5, v10
	s_delay_alu instid0(VALU_DEP_1) | instskip(SKIP_1) | instid1(VALU_DEP_2)
	v_bfe_u32 v5, v4, 16, 1
	v_cmp_o_f32_e64 s0, v4, v4
	v_add3_u32 v5, v4, v5, 0x7fff
	s_delay_alu instid0(VALU_DEP_1) | instskip(NEXT) | instid1(VALU_DEP_1)
	v_lshrrev_b32_e32 v5, 16, v5
	v_cndmask_b32_e64 v4, 0x7fc0, v5, s0
	global_store_b16 v[0:1], v4, off
.LBB309_7:
	s_or_b32 exec_lo, exec_lo, s1
	v_cmp_ne_u32_e64 s0, 1, v6
	s_delay_alu instid0(VALU_DEP_1)
	s_and_b32 exec_lo, exec_lo, s0
	s_cbranch_execz .LBB309_10
; %bb.8:
	s_and_b32 exec_lo, exec_lo, vcc_lo
	s_cbranch_execz .LBB309_10
; %bb.9:
	v_mul_f32_e32 v4, 0x3fb8aa3b, v7
	v_cmp_ngt_f32_e32 vcc_lo, 0xc2ce8ed0, v7
	s_lshl_b64 s[0:1], s[6:7], 1
	s_waitcnt lgkmcnt(1)
	s_delay_alu instid0(VALU_DEP_2) | instskip(SKIP_1) | instid1(VALU_DEP_2)
	v_rndne_f32_e32 v5, v4
	v_fma_f32 v6, 0x3fb8aa3b, v7, -v4
	v_sub_f32_e32 v4, v4, v5
	s_delay_alu instid0(VALU_DEP_2) | instskip(SKIP_1) | instid1(VALU_DEP_2)
	v_fmamk_f32 v6, v7, 0x32a5705f, v6
	v_cvt_i32_f32_e32 v5, v5
	v_add_f32_e32 v4, v4, v6
	s_delay_alu instid0(VALU_DEP_1) | instskip(SKIP_2) | instid1(VALU_DEP_1)
	v_exp_f32_e32 v4, v4
	s_waitcnt_depctr 0xfff
	v_ldexp_f32 v4, v4, v5
	v_cndmask_b32_e32 v4, 0, v4, vcc_lo
	v_cmp_nlt_f32_e32 vcc_lo, 0x42b17218, v7
	s_waitcnt lgkmcnt(0)
	s_delay_alu instid0(VALU_DEP_2) | instskip(NEXT) | instid1(VALU_DEP_1)
	v_dual_add_f32 v2, v2, v3 :: v_dual_cndmask_b32 v3, 0x7f800000, v4
	v_fma_f32 v2, -v2, v3, v9
	s_delay_alu instid0(VALU_DEP_1) | instskip(SKIP_1) | instid1(VALU_DEP_2)
	v_bfe_u32 v3, v2, 16, 1
	v_cmp_o_f32_e32 vcc_lo, v2, v2
	v_add3_u32 v3, v2, v3, 0x7fff
	s_delay_alu instid0(VALU_DEP_1) | instskip(NEXT) | instid1(VALU_DEP_1)
	v_lshrrev_b32_e32 v3, 16, v3
	v_cndmask_b32_e32 v2, 0x7fc0, v3, vcc_lo
	v_add_co_u32 v0, vcc_lo, v0, s0
	v_add_co_ci_u32_e32 v1, vcc_lo, s1, v1, vcc_lo
	global_store_b16 v[0:1], v2, off
.LBB309_10:
	s_nop 0
	s_sendmsg sendmsg(MSG_DEALLOC_VGPRS)
	s_endpgm
	.section	.rodata,"a",@progbits
	.p2align	6, 0x0
	.amdhsa_kernel _ZN12_GLOBAL__N_121softmax_warp_backwardIN3c108BFloat16ES2_fLi4ELb1ELb0ELi32EEEvPT0_PKT_S7_iiiPKb
		.amdhsa_group_segment_fixed_size 0
		.amdhsa_private_segment_fixed_size 0
		.amdhsa_kernarg_size 304
		.amdhsa_user_sgpr_count 15
		.amdhsa_user_sgpr_dispatch_ptr 0
		.amdhsa_user_sgpr_queue_ptr 0
		.amdhsa_user_sgpr_kernarg_segment_ptr 1
		.amdhsa_user_sgpr_dispatch_id 0
		.amdhsa_user_sgpr_private_segment_size 0
		.amdhsa_wavefront_size32 1
		.amdhsa_uses_dynamic_stack 0
		.amdhsa_enable_private_segment 0
		.amdhsa_system_sgpr_workgroup_id_x 1
		.amdhsa_system_sgpr_workgroup_id_y 0
		.amdhsa_system_sgpr_workgroup_id_z 0
		.amdhsa_system_sgpr_workgroup_info 0
		.amdhsa_system_vgpr_workitem_id 1
		.amdhsa_next_free_vgpr 14
		.amdhsa_next_free_sgpr 16
		.amdhsa_reserve_vcc 1
		.amdhsa_float_round_mode_32 0
		.amdhsa_float_round_mode_16_64 0
		.amdhsa_float_denorm_mode_32 3
		.amdhsa_float_denorm_mode_16_64 3
		.amdhsa_dx10_clamp 1
		.amdhsa_ieee_mode 1
		.amdhsa_fp16_overflow 0
		.amdhsa_workgroup_processor_mode 1
		.amdhsa_memory_ordered 1
		.amdhsa_forward_progress 0
		.amdhsa_shared_vgpr_count 0
		.amdhsa_exception_fp_ieee_invalid_op 0
		.amdhsa_exception_fp_denorm_src 0
		.amdhsa_exception_fp_ieee_div_zero 0
		.amdhsa_exception_fp_ieee_overflow 0
		.amdhsa_exception_fp_ieee_underflow 0
		.amdhsa_exception_fp_ieee_inexact 0
		.amdhsa_exception_int_div_zero 0
	.end_amdhsa_kernel
	.section	.text._ZN12_GLOBAL__N_121softmax_warp_backwardIN3c108BFloat16ES2_fLi4ELb1ELb0ELi32EEEvPT0_PKT_S7_iiiPKb,"axG",@progbits,_ZN12_GLOBAL__N_121softmax_warp_backwardIN3c108BFloat16ES2_fLi4ELb1ELb0ELi32EEEvPT0_PKT_S7_iiiPKb,comdat
.Lfunc_end309:
	.size	_ZN12_GLOBAL__N_121softmax_warp_backwardIN3c108BFloat16ES2_fLi4ELb1ELb0ELi32EEEvPT0_PKT_S7_iiiPKb, .Lfunc_end309-_ZN12_GLOBAL__N_121softmax_warp_backwardIN3c108BFloat16ES2_fLi4ELb1ELb0ELi32EEEvPT0_PKT_S7_iiiPKb
                                        ; -- End function
	.section	.AMDGPU.csdata,"",@progbits
; Kernel info:
; codeLenInByte = 1060
; NumSgprs: 18
; NumVgprs: 14
; ScratchSize: 0
; MemoryBound: 0
; FloatMode: 240
; IeeeMode: 1
; LDSByteSize: 0 bytes/workgroup (compile time only)
; SGPRBlocks: 2
; VGPRBlocks: 1
; NumSGPRsForWavesPerEU: 18
; NumVGPRsForWavesPerEU: 14
; Occupancy: 16
; WaveLimiterHint : 0
; COMPUTE_PGM_RSRC2:SCRATCH_EN: 0
; COMPUTE_PGM_RSRC2:USER_SGPR: 15
; COMPUTE_PGM_RSRC2:TRAP_HANDLER: 0
; COMPUTE_PGM_RSRC2:TGID_X_EN: 1
; COMPUTE_PGM_RSRC2:TGID_Y_EN: 0
; COMPUTE_PGM_RSRC2:TGID_Z_EN: 0
; COMPUTE_PGM_RSRC2:TIDIG_COMP_CNT: 1
	.section	.text._ZN12_GLOBAL__N_121softmax_warp_backwardIN3c108BFloat16ES2_fLi5ELb1ELb0ELi64EEEvPT0_PKT_S7_iiiPKb,"axG",@progbits,_ZN12_GLOBAL__N_121softmax_warp_backwardIN3c108BFloat16ES2_fLi5ELb1ELb0ELi64EEEvPT0_PKT_S7_iiiPKb,comdat
	.globl	_ZN12_GLOBAL__N_121softmax_warp_backwardIN3c108BFloat16ES2_fLi5ELb1ELb0ELi64EEEvPT0_PKT_S7_iiiPKb ; -- Begin function _ZN12_GLOBAL__N_121softmax_warp_backwardIN3c108BFloat16ES2_fLi5ELb1ELb0ELi64EEEvPT0_PKT_S7_iiiPKb
	.p2align	8
	.type	_ZN12_GLOBAL__N_121softmax_warp_backwardIN3c108BFloat16ES2_fLi5ELb1ELb0ELi64EEEvPT0_PKT_S7_iiiPKb,@function
_ZN12_GLOBAL__N_121softmax_warp_backwardIN3c108BFloat16ES2_fLi5ELb1ELb0ELi64EEEvPT0_PKT_S7_iiiPKb: ; @_ZN12_GLOBAL__N_121softmax_warp_backwardIN3c108BFloat16ES2_fLi5ELb1ELb0ELi64EEEvPT0_PKT_S7_iiiPKb
; %bb.0:
	s_clause 0x1
	s_load_b32 s2, s[0:1], 0x3c
	s_load_b128 s[4:7], s[0:1], 0x18
	v_bfe_u32 v1, v0, 10, 10
	v_dual_mov_b32 v7, 0 :: v_dual_and_b32 v2, 31, v0
	s_load_b128 s[8:11], s[0:1], 0x0
	v_mov_b32_e32 v8, 0
	v_mov_b32_e32 v10, 0
	s_waitcnt lgkmcnt(0)
	s_lshr_b32 s2, s2, 16
	v_cmp_gt_i32_e32 vcc_lo, s6, v2
	s_mul_i32 s15, s15, s2
	s_load_b64 s[2:3], s[0:1], 0x10
	v_add_lshl_u32 v3, s15, v1, 1
	s_delay_alu instid0(VALU_DEP_1) | instskip(SKIP_1) | instid1(VALU_DEP_1)
	v_mad_u64_u32 v[0:1], null, v3, s5, v[2:3]
	v_sub_nc_u32_e32 v6, s4, v3
	v_cmp_lt_i32_e64 s0, 0, v6
	s_delay_alu instid0(VALU_DEP_3) | instskip(NEXT) | instid1(VALU_DEP_1)
	v_ashrrev_i32_e32 v1, 31, v0
	v_lshlrev_b64 v[0:1], 1, v[0:1]
	s_delay_alu instid0(VALU_DEP_1) | instskip(NEXT) | instid1(VALU_DEP_1)
	v_add_co_u32 v2, s1, s10, v0
	v_add_co_ci_u32_e64 v3, s1, s11, v1, s1
	s_waitcnt lgkmcnt(0)
	v_add_co_u32 v4, s1, s2, v0
	s_delay_alu instid0(VALU_DEP_1) | instskip(SKIP_1) | instid1(SALU_CYCLE_1)
	v_add_co_ci_u32_e64 v5, s1, s3, v1, s1
	s_and_b32 s2, vcc_lo, s0
	s_and_saveexec_b32 s1, s2
	s_cbranch_execz .LBB310_2
; %bb.1:
	global_load_u16 v8, v[4:5], off
	global_load_u16 v9, v[2:3], off
	s_waitcnt vmcnt(1)
	v_lshlrev_b32_e32 v8, 16, v8
	s_waitcnt vmcnt(0)
	v_lshlrev_b32_e32 v10, 16, v9
.LBB310_2:
	s_or_b32 exec_lo, exec_lo, s1
	v_cmp_lt_i32_e64 s1, 1, v6
	v_mov_b32_e32 v9, 0
	s_mov_b32 s7, 0
	s_delay_alu instid0(VALU_DEP_2) | instskip(NEXT) | instid1(SALU_CYCLE_1)
	s_and_b32 s1, vcc_lo, s1
	s_and_saveexec_b32 s2, s1
	s_cbranch_execz .LBB310_4
; %bb.3:
	s_lshl_b64 s[4:5], s[6:7], 1
	s_delay_alu instid0(SALU_CYCLE_1) | instskip(NEXT) | instid1(VALU_DEP_1)
	v_add_co_u32 v4, s1, v4, s4
	v_add_co_ci_u32_e64 v5, s1, s5, v5, s1
	v_add_co_u32 v2, s1, v2, s4
	s_delay_alu instid0(VALU_DEP_1)
	v_add_co_ci_u32_e64 v3, s1, s5, v3, s1
	global_load_u16 v4, v[4:5], off
	global_load_u16 v2, v[2:3], off
	s_waitcnt vmcnt(1)
	v_lshlrev_b32_e32 v7, 16, v4
	s_waitcnt vmcnt(0)
	v_lshlrev_b32_e32 v9, 16, v2
.LBB310_4:
	s_or_b32 exec_lo, exec_lo, s2
	v_mbcnt_lo_u32_b32 v2, -1, 0
	s_delay_alu instid0(VALU_DEP_1) | instskip(SKIP_1) | instid1(VALU_DEP_2)
	v_xor_b32_e32 v3, 16, v2
	v_xor_b32_e32 v12, 8, v2
	v_cmp_gt_i32_e64 s1, 32, v3
	s_delay_alu instid0(VALU_DEP_1) | instskip(NEXT) | instid1(VALU_DEP_3)
	v_cndmask_b32_e64 v3, v2, v3, s1
	v_cmp_gt_i32_e64 s1, 32, v12
	s_delay_alu instid0(VALU_DEP_2) | instskip(NEXT) | instid1(VALU_DEP_2)
	v_dual_add_f32 v4, 0, v10 :: v_dual_lshlrev_b32 v3, 2, v3
	v_cndmask_b32_e64 v12, v2, v12, s1
	v_add_f32_e32 v5, 0, v9
	ds_bpermute_b32 v11, v3, v4
	v_lshlrev_b32_e32 v12, 2, v12
	ds_bpermute_b32 v3, v3, v5
	s_waitcnt lgkmcnt(1)
	v_add_f32_e32 v4, v4, v11
	s_waitcnt lgkmcnt(0)
	v_add_f32_e32 v3, v5, v3
	ds_bpermute_b32 v5, v12, v4
	ds_bpermute_b32 v11, v12, v3
	v_xor_b32_e32 v12, 4, v2
	s_delay_alu instid0(VALU_DEP_1) | instskip(NEXT) | instid1(VALU_DEP_1)
	v_cmp_gt_i32_e64 s1, 32, v12
	v_cndmask_b32_e64 v12, v2, v12, s1
	s_delay_alu instid0(VALU_DEP_1)
	v_lshlrev_b32_e32 v12, 2, v12
	s_waitcnt lgkmcnt(0)
	v_dual_add_f32 v4, v4, v5 :: v_dual_add_f32 v3, v3, v11
	ds_bpermute_b32 v5, v12, v4
	ds_bpermute_b32 v11, v12, v3
	v_xor_b32_e32 v12, 2, v2
	s_delay_alu instid0(VALU_DEP_1) | instskip(NEXT) | instid1(VALU_DEP_1)
	v_cmp_gt_i32_e64 s1, 32, v12
	v_cndmask_b32_e64 v12, v2, v12, s1
	s_delay_alu instid0(VALU_DEP_1)
	v_lshlrev_b32_e32 v12, 2, v12
	s_waitcnt lgkmcnt(0)
	v_dual_add_f32 v4, v4, v5 :: v_dual_add_f32 v3, v3, v11
	ds_bpermute_b32 v5, v12, v4
	ds_bpermute_b32 v11, v12, v3
	v_xor_b32_e32 v12, 1, v2
	s_delay_alu instid0(VALU_DEP_1) | instskip(NEXT) | instid1(VALU_DEP_1)
	v_cmp_gt_i32_e64 s1, 32, v12
	v_cndmask_b32_e64 v2, v2, v12, s1
	s_delay_alu instid0(VALU_DEP_1)
	v_lshlrev_b32_e32 v12, 2, v2
	s_waitcnt lgkmcnt(1)
	v_add_f32_e32 v4, v4, v5
	s_waitcnt lgkmcnt(0)
	v_add_f32_e32 v2, v3, v11
	ds_bpermute_b32 v5, v12, v4
	ds_bpermute_b32 v3, v12, v2
	s_and_saveexec_b32 s1, s0
	s_cbranch_execz .LBB310_10
; %bb.5:
	v_add_co_u32 v0, s0, s8, v0
	s_delay_alu instid0(VALU_DEP_1)
	v_add_co_ci_u32_e64 v1, s0, s9, v1, s0
	s_and_saveexec_b32 s1, vcc_lo
	s_cbranch_execz .LBB310_7
; %bb.6:
	s_waitcnt lgkmcnt(1)
	v_dual_mul_f32 v11, 0x3fb8aa3b, v8 :: v_dual_add_f32 v4, v4, v5
	v_cmp_ngt_f32_e64 s0, 0xc2ce8ed0, v8
	s_delay_alu instid0(VALU_DEP_2) | instskip(SKIP_1) | instid1(VALU_DEP_2)
	v_rndne_f32_e32 v12, v11
	v_fma_f32 v13, 0x3fb8aa3b, v8, -v11
	v_sub_f32_e32 v11, v11, v12
	s_delay_alu instid0(VALU_DEP_2) | instskip(SKIP_1) | instid1(VALU_DEP_2)
	v_fmamk_f32 v13, v8, 0x32a5705f, v13
	v_cvt_i32_f32_e32 v12, v12
	v_add_f32_e32 v11, v11, v13
	s_delay_alu instid0(VALU_DEP_1) | instskip(SKIP_2) | instid1(VALU_DEP_1)
	v_exp_f32_e32 v11, v11
	s_waitcnt_depctr 0xfff
	v_ldexp_f32 v11, v11, v12
	v_cndmask_b32_e64 v11, 0, v11, s0
	v_cmp_nlt_f32_e64 s0, 0x42b17218, v8
	s_delay_alu instid0(VALU_DEP_1) | instskip(NEXT) | instid1(VALU_DEP_1)
	v_cndmask_b32_e64 v5, 0x7f800000, v11, s0
	v_fma_f32 v4, -v4, v5, v10
	s_delay_alu instid0(VALU_DEP_1) | instskip(SKIP_1) | instid1(VALU_DEP_2)
	v_bfe_u32 v5, v4, 16, 1
	v_cmp_o_f32_e64 s0, v4, v4
	v_add3_u32 v5, v4, v5, 0x7fff
	s_delay_alu instid0(VALU_DEP_1) | instskip(NEXT) | instid1(VALU_DEP_1)
	v_lshrrev_b32_e32 v5, 16, v5
	v_cndmask_b32_e64 v4, 0x7fc0, v5, s0
	global_store_b16 v[0:1], v4, off
.LBB310_7:
	s_or_b32 exec_lo, exec_lo, s1
	v_cmp_ne_u32_e64 s0, 1, v6
	s_delay_alu instid0(VALU_DEP_1)
	s_and_b32 exec_lo, exec_lo, s0
	s_cbranch_execz .LBB310_10
; %bb.8:
	s_and_b32 exec_lo, exec_lo, vcc_lo
	s_cbranch_execz .LBB310_10
; %bb.9:
	v_mul_f32_e32 v4, 0x3fb8aa3b, v7
	v_cmp_ngt_f32_e32 vcc_lo, 0xc2ce8ed0, v7
	s_lshl_b64 s[0:1], s[6:7], 1
	s_waitcnt lgkmcnt(1)
	s_delay_alu instid0(VALU_DEP_2) | instskip(SKIP_1) | instid1(VALU_DEP_2)
	v_rndne_f32_e32 v5, v4
	v_fma_f32 v6, 0x3fb8aa3b, v7, -v4
	v_sub_f32_e32 v4, v4, v5
	s_delay_alu instid0(VALU_DEP_2) | instskip(SKIP_1) | instid1(VALU_DEP_2)
	v_fmamk_f32 v6, v7, 0x32a5705f, v6
	v_cvt_i32_f32_e32 v5, v5
	v_add_f32_e32 v4, v4, v6
	s_delay_alu instid0(VALU_DEP_1) | instskip(SKIP_2) | instid1(VALU_DEP_1)
	v_exp_f32_e32 v4, v4
	s_waitcnt_depctr 0xfff
	v_ldexp_f32 v4, v4, v5
	v_cndmask_b32_e32 v4, 0, v4, vcc_lo
	v_cmp_nlt_f32_e32 vcc_lo, 0x42b17218, v7
	s_waitcnt lgkmcnt(0)
	s_delay_alu instid0(VALU_DEP_2) | instskip(NEXT) | instid1(VALU_DEP_1)
	v_dual_add_f32 v2, v2, v3 :: v_dual_cndmask_b32 v3, 0x7f800000, v4
	v_fma_f32 v2, -v2, v3, v9
	s_delay_alu instid0(VALU_DEP_1) | instskip(SKIP_1) | instid1(VALU_DEP_2)
	v_bfe_u32 v3, v2, 16, 1
	v_cmp_o_f32_e32 vcc_lo, v2, v2
	v_add3_u32 v3, v2, v3, 0x7fff
	s_delay_alu instid0(VALU_DEP_1) | instskip(NEXT) | instid1(VALU_DEP_1)
	v_lshrrev_b32_e32 v3, 16, v3
	v_cndmask_b32_e32 v2, 0x7fc0, v3, vcc_lo
	v_add_co_u32 v0, vcc_lo, v0, s0
	v_add_co_ci_u32_e32 v1, vcc_lo, s1, v1, vcc_lo
	global_store_b16 v[0:1], v2, off
.LBB310_10:
	s_nop 0
	s_sendmsg sendmsg(MSG_DEALLOC_VGPRS)
	s_endpgm
	.section	.rodata,"a",@progbits
	.p2align	6, 0x0
	.amdhsa_kernel _ZN12_GLOBAL__N_121softmax_warp_backwardIN3c108BFloat16ES2_fLi5ELb1ELb0ELi64EEEvPT0_PKT_S7_iiiPKb
		.amdhsa_group_segment_fixed_size 0
		.amdhsa_private_segment_fixed_size 0
		.amdhsa_kernarg_size 304
		.amdhsa_user_sgpr_count 15
		.amdhsa_user_sgpr_dispatch_ptr 0
		.amdhsa_user_sgpr_queue_ptr 0
		.amdhsa_user_sgpr_kernarg_segment_ptr 1
		.amdhsa_user_sgpr_dispatch_id 0
		.amdhsa_user_sgpr_private_segment_size 0
		.amdhsa_wavefront_size32 1
		.amdhsa_uses_dynamic_stack 0
		.amdhsa_enable_private_segment 0
		.amdhsa_system_sgpr_workgroup_id_x 1
		.amdhsa_system_sgpr_workgroup_id_y 0
		.amdhsa_system_sgpr_workgroup_id_z 0
		.amdhsa_system_sgpr_workgroup_info 0
		.amdhsa_system_vgpr_workitem_id 1
		.amdhsa_next_free_vgpr 14
		.amdhsa_next_free_sgpr 16
		.amdhsa_reserve_vcc 1
		.amdhsa_float_round_mode_32 0
		.amdhsa_float_round_mode_16_64 0
		.amdhsa_float_denorm_mode_32 3
		.amdhsa_float_denorm_mode_16_64 3
		.amdhsa_dx10_clamp 1
		.amdhsa_ieee_mode 1
		.amdhsa_fp16_overflow 0
		.amdhsa_workgroup_processor_mode 1
		.amdhsa_memory_ordered 1
		.amdhsa_forward_progress 0
		.amdhsa_shared_vgpr_count 0
		.amdhsa_exception_fp_ieee_invalid_op 0
		.amdhsa_exception_fp_denorm_src 0
		.amdhsa_exception_fp_ieee_div_zero 0
		.amdhsa_exception_fp_ieee_overflow 0
		.amdhsa_exception_fp_ieee_underflow 0
		.amdhsa_exception_fp_ieee_inexact 0
		.amdhsa_exception_int_div_zero 0
	.end_amdhsa_kernel
	.section	.text._ZN12_GLOBAL__N_121softmax_warp_backwardIN3c108BFloat16ES2_fLi5ELb1ELb0ELi64EEEvPT0_PKT_S7_iiiPKb,"axG",@progbits,_ZN12_GLOBAL__N_121softmax_warp_backwardIN3c108BFloat16ES2_fLi5ELb1ELb0ELi64EEEvPT0_PKT_S7_iiiPKb,comdat
.Lfunc_end310:
	.size	_ZN12_GLOBAL__N_121softmax_warp_backwardIN3c108BFloat16ES2_fLi5ELb1ELb0ELi64EEEvPT0_PKT_S7_iiiPKb, .Lfunc_end310-_ZN12_GLOBAL__N_121softmax_warp_backwardIN3c108BFloat16ES2_fLi5ELb1ELb0ELi64EEEvPT0_PKT_S7_iiiPKb
                                        ; -- End function
	.section	.AMDGPU.csdata,"",@progbits
; Kernel info:
; codeLenInByte = 1104
; NumSgprs: 18
; NumVgprs: 14
; ScratchSize: 0
; MemoryBound: 0
; FloatMode: 240
; IeeeMode: 1
; LDSByteSize: 0 bytes/workgroup (compile time only)
; SGPRBlocks: 2
; VGPRBlocks: 1
; NumSGPRsForWavesPerEU: 18
; NumVGPRsForWavesPerEU: 14
; Occupancy: 16
; WaveLimiterHint : 0
; COMPUTE_PGM_RSRC2:SCRATCH_EN: 0
; COMPUTE_PGM_RSRC2:USER_SGPR: 15
; COMPUTE_PGM_RSRC2:TRAP_HANDLER: 0
; COMPUTE_PGM_RSRC2:TGID_X_EN: 1
; COMPUTE_PGM_RSRC2:TGID_Y_EN: 0
; COMPUTE_PGM_RSRC2:TGID_Z_EN: 0
; COMPUTE_PGM_RSRC2:TIDIG_COMP_CNT: 1
	.section	.text._ZN12_GLOBAL__N_121softmax_warp_backwardIN3c108BFloat16ES2_fLi5ELb1ELb0ELi32EEEvPT0_PKT_S7_iiiPKb,"axG",@progbits,_ZN12_GLOBAL__N_121softmax_warp_backwardIN3c108BFloat16ES2_fLi5ELb1ELb0ELi32EEEvPT0_PKT_S7_iiiPKb,comdat
	.globl	_ZN12_GLOBAL__N_121softmax_warp_backwardIN3c108BFloat16ES2_fLi5ELb1ELb0ELi32EEEvPT0_PKT_S7_iiiPKb ; -- Begin function _ZN12_GLOBAL__N_121softmax_warp_backwardIN3c108BFloat16ES2_fLi5ELb1ELb0ELi32EEEvPT0_PKT_S7_iiiPKb
	.p2align	8
	.type	_ZN12_GLOBAL__N_121softmax_warp_backwardIN3c108BFloat16ES2_fLi5ELb1ELb0ELi32EEEvPT0_PKT_S7_iiiPKb,@function
_ZN12_GLOBAL__N_121softmax_warp_backwardIN3c108BFloat16ES2_fLi5ELb1ELb0ELi32EEEvPT0_PKT_S7_iiiPKb: ; @_ZN12_GLOBAL__N_121softmax_warp_backwardIN3c108BFloat16ES2_fLi5ELb1ELb0ELi32EEEvPT0_PKT_S7_iiiPKb
; %bb.0:
	s_clause 0x1
	s_load_b32 s2, s[0:1], 0x3c
	s_load_b128 s[4:7], s[0:1], 0x18
	v_bfe_u32 v1, v0, 10, 10
	v_dual_mov_b32 v7, 0 :: v_dual_and_b32 v2, 31, v0
	s_load_b128 s[8:11], s[0:1], 0x0
	v_mov_b32_e32 v8, 0
	v_mov_b32_e32 v10, 0
	s_waitcnt lgkmcnt(0)
	s_lshr_b32 s2, s2, 16
	v_cmp_gt_i32_e32 vcc_lo, s6, v2
	s_mul_i32 s15, s15, s2
	s_load_b64 s[2:3], s[0:1], 0x10
	v_add_lshl_u32 v3, s15, v1, 1
	s_delay_alu instid0(VALU_DEP_1) | instskip(SKIP_1) | instid1(VALU_DEP_1)
	v_mad_u64_u32 v[0:1], null, v3, s5, v[2:3]
	v_sub_nc_u32_e32 v6, s4, v3
	v_cmp_lt_i32_e64 s0, 0, v6
	s_delay_alu instid0(VALU_DEP_3) | instskip(NEXT) | instid1(VALU_DEP_1)
	v_ashrrev_i32_e32 v1, 31, v0
	v_lshlrev_b64 v[0:1], 1, v[0:1]
	s_delay_alu instid0(VALU_DEP_1) | instskip(NEXT) | instid1(VALU_DEP_1)
	v_add_co_u32 v2, s1, s10, v0
	v_add_co_ci_u32_e64 v3, s1, s11, v1, s1
	s_waitcnt lgkmcnt(0)
	v_add_co_u32 v4, s1, s2, v0
	s_delay_alu instid0(VALU_DEP_1) | instskip(SKIP_1) | instid1(SALU_CYCLE_1)
	v_add_co_ci_u32_e64 v5, s1, s3, v1, s1
	s_and_b32 s2, vcc_lo, s0
	s_and_saveexec_b32 s1, s2
	s_cbranch_execz .LBB311_2
; %bb.1:
	global_load_u16 v8, v[4:5], off
	global_load_u16 v9, v[2:3], off
	s_waitcnt vmcnt(1)
	v_lshlrev_b32_e32 v8, 16, v8
	s_waitcnt vmcnt(0)
	v_lshlrev_b32_e32 v10, 16, v9
.LBB311_2:
	s_or_b32 exec_lo, exec_lo, s1
	v_cmp_lt_i32_e64 s1, 1, v6
	v_mov_b32_e32 v9, 0
	s_mov_b32 s7, 0
	s_delay_alu instid0(VALU_DEP_2) | instskip(NEXT) | instid1(SALU_CYCLE_1)
	s_and_b32 s1, vcc_lo, s1
	s_and_saveexec_b32 s2, s1
	s_cbranch_execz .LBB311_4
; %bb.3:
	s_lshl_b64 s[4:5], s[6:7], 1
	s_delay_alu instid0(SALU_CYCLE_1) | instskip(NEXT) | instid1(VALU_DEP_1)
	v_add_co_u32 v4, s1, v4, s4
	v_add_co_ci_u32_e64 v5, s1, s5, v5, s1
	v_add_co_u32 v2, s1, v2, s4
	s_delay_alu instid0(VALU_DEP_1)
	v_add_co_ci_u32_e64 v3, s1, s5, v3, s1
	global_load_u16 v4, v[4:5], off
	global_load_u16 v2, v[2:3], off
	s_waitcnt vmcnt(1)
	v_lshlrev_b32_e32 v7, 16, v4
	s_waitcnt vmcnt(0)
	v_lshlrev_b32_e32 v9, 16, v2
.LBB311_4:
	s_or_b32 exec_lo, exec_lo, s2
	v_mbcnt_lo_u32_b32 v2, -1, 0
	s_delay_alu instid0(VALU_DEP_1) | instskip(SKIP_1) | instid1(VALU_DEP_2)
	v_xor_b32_e32 v3, 16, v2
	v_xor_b32_e32 v12, 8, v2
	v_cmp_gt_i32_e64 s1, 32, v3
	s_delay_alu instid0(VALU_DEP_1) | instskip(NEXT) | instid1(VALU_DEP_3)
	v_cndmask_b32_e64 v3, v2, v3, s1
	v_cmp_gt_i32_e64 s1, 32, v12
	s_delay_alu instid0(VALU_DEP_2) | instskip(NEXT) | instid1(VALU_DEP_2)
	v_dual_add_f32 v4, 0, v10 :: v_dual_lshlrev_b32 v3, 2, v3
	v_cndmask_b32_e64 v12, v2, v12, s1
	v_add_f32_e32 v5, 0, v9
	ds_bpermute_b32 v11, v3, v4
	v_lshlrev_b32_e32 v12, 2, v12
	ds_bpermute_b32 v3, v3, v5
	s_waitcnt lgkmcnt(1)
	v_add_f32_e32 v4, v4, v11
	s_waitcnt lgkmcnt(0)
	v_add_f32_e32 v3, v5, v3
	ds_bpermute_b32 v5, v12, v4
	ds_bpermute_b32 v11, v12, v3
	v_xor_b32_e32 v12, 4, v2
	s_delay_alu instid0(VALU_DEP_1) | instskip(NEXT) | instid1(VALU_DEP_1)
	v_cmp_gt_i32_e64 s1, 32, v12
	v_cndmask_b32_e64 v12, v2, v12, s1
	s_delay_alu instid0(VALU_DEP_1)
	v_lshlrev_b32_e32 v12, 2, v12
	s_waitcnt lgkmcnt(0)
	v_dual_add_f32 v4, v4, v5 :: v_dual_add_f32 v3, v3, v11
	ds_bpermute_b32 v5, v12, v4
	ds_bpermute_b32 v11, v12, v3
	v_xor_b32_e32 v12, 2, v2
	s_delay_alu instid0(VALU_DEP_1) | instskip(NEXT) | instid1(VALU_DEP_1)
	v_cmp_gt_i32_e64 s1, 32, v12
	v_cndmask_b32_e64 v12, v2, v12, s1
	s_delay_alu instid0(VALU_DEP_1)
	v_lshlrev_b32_e32 v12, 2, v12
	s_waitcnt lgkmcnt(0)
	v_dual_add_f32 v4, v4, v5 :: v_dual_add_f32 v3, v3, v11
	ds_bpermute_b32 v5, v12, v4
	ds_bpermute_b32 v11, v12, v3
	v_xor_b32_e32 v12, 1, v2
	s_delay_alu instid0(VALU_DEP_1) | instskip(NEXT) | instid1(VALU_DEP_1)
	v_cmp_gt_i32_e64 s1, 32, v12
	v_cndmask_b32_e64 v2, v2, v12, s1
	s_delay_alu instid0(VALU_DEP_1)
	v_lshlrev_b32_e32 v12, 2, v2
	s_waitcnt lgkmcnt(1)
	v_add_f32_e32 v4, v4, v5
	s_waitcnt lgkmcnt(0)
	v_add_f32_e32 v2, v3, v11
	ds_bpermute_b32 v5, v12, v4
	ds_bpermute_b32 v3, v12, v2
	s_and_saveexec_b32 s1, s0
	s_cbranch_execz .LBB311_10
; %bb.5:
	v_add_co_u32 v0, s0, s8, v0
	s_delay_alu instid0(VALU_DEP_1)
	v_add_co_ci_u32_e64 v1, s0, s9, v1, s0
	s_and_saveexec_b32 s1, vcc_lo
	s_cbranch_execz .LBB311_7
; %bb.6:
	s_waitcnt lgkmcnt(1)
	v_dual_mul_f32 v11, 0x3fb8aa3b, v8 :: v_dual_add_f32 v4, v4, v5
	v_cmp_ngt_f32_e64 s0, 0xc2ce8ed0, v8
	s_delay_alu instid0(VALU_DEP_2) | instskip(SKIP_1) | instid1(VALU_DEP_2)
	v_rndne_f32_e32 v12, v11
	v_fma_f32 v13, 0x3fb8aa3b, v8, -v11
	v_sub_f32_e32 v11, v11, v12
	s_delay_alu instid0(VALU_DEP_2) | instskip(SKIP_1) | instid1(VALU_DEP_2)
	v_fmamk_f32 v13, v8, 0x32a5705f, v13
	v_cvt_i32_f32_e32 v12, v12
	v_add_f32_e32 v11, v11, v13
	s_delay_alu instid0(VALU_DEP_1) | instskip(SKIP_2) | instid1(VALU_DEP_1)
	v_exp_f32_e32 v11, v11
	s_waitcnt_depctr 0xfff
	v_ldexp_f32 v11, v11, v12
	v_cndmask_b32_e64 v11, 0, v11, s0
	v_cmp_nlt_f32_e64 s0, 0x42b17218, v8
	s_delay_alu instid0(VALU_DEP_1) | instskip(NEXT) | instid1(VALU_DEP_1)
	v_cndmask_b32_e64 v5, 0x7f800000, v11, s0
	v_fma_f32 v4, -v4, v5, v10
	s_delay_alu instid0(VALU_DEP_1) | instskip(SKIP_1) | instid1(VALU_DEP_2)
	v_bfe_u32 v5, v4, 16, 1
	v_cmp_o_f32_e64 s0, v4, v4
	v_add3_u32 v5, v4, v5, 0x7fff
	s_delay_alu instid0(VALU_DEP_1) | instskip(NEXT) | instid1(VALU_DEP_1)
	v_lshrrev_b32_e32 v5, 16, v5
	v_cndmask_b32_e64 v4, 0x7fc0, v5, s0
	global_store_b16 v[0:1], v4, off
.LBB311_7:
	s_or_b32 exec_lo, exec_lo, s1
	v_cmp_ne_u32_e64 s0, 1, v6
	s_delay_alu instid0(VALU_DEP_1)
	s_and_b32 exec_lo, exec_lo, s0
	s_cbranch_execz .LBB311_10
; %bb.8:
	s_and_b32 exec_lo, exec_lo, vcc_lo
	s_cbranch_execz .LBB311_10
; %bb.9:
	v_mul_f32_e32 v4, 0x3fb8aa3b, v7
	v_cmp_ngt_f32_e32 vcc_lo, 0xc2ce8ed0, v7
	s_lshl_b64 s[0:1], s[6:7], 1
	s_waitcnt lgkmcnt(1)
	s_delay_alu instid0(VALU_DEP_2) | instskip(SKIP_1) | instid1(VALU_DEP_2)
	v_rndne_f32_e32 v5, v4
	v_fma_f32 v6, 0x3fb8aa3b, v7, -v4
	v_sub_f32_e32 v4, v4, v5
	s_delay_alu instid0(VALU_DEP_2) | instskip(SKIP_1) | instid1(VALU_DEP_2)
	v_fmamk_f32 v6, v7, 0x32a5705f, v6
	v_cvt_i32_f32_e32 v5, v5
	v_add_f32_e32 v4, v4, v6
	s_delay_alu instid0(VALU_DEP_1) | instskip(SKIP_2) | instid1(VALU_DEP_1)
	v_exp_f32_e32 v4, v4
	s_waitcnt_depctr 0xfff
	v_ldexp_f32 v4, v4, v5
	v_cndmask_b32_e32 v4, 0, v4, vcc_lo
	v_cmp_nlt_f32_e32 vcc_lo, 0x42b17218, v7
	s_waitcnt lgkmcnt(0)
	s_delay_alu instid0(VALU_DEP_2) | instskip(NEXT) | instid1(VALU_DEP_1)
	v_dual_add_f32 v2, v2, v3 :: v_dual_cndmask_b32 v3, 0x7f800000, v4
	v_fma_f32 v2, -v2, v3, v9
	s_delay_alu instid0(VALU_DEP_1) | instskip(SKIP_1) | instid1(VALU_DEP_2)
	v_bfe_u32 v3, v2, 16, 1
	v_cmp_o_f32_e32 vcc_lo, v2, v2
	v_add3_u32 v3, v2, v3, 0x7fff
	s_delay_alu instid0(VALU_DEP_1) | instskip(NEXT) | instid1(VALU_DEP_1)
	v_lshrrev_b32_e32 v3, 16, v3
	v_cndmask_b32_e32 v2, 0x7fc0, v3, vcc_lo
	v_add_co_u32 v0, vcc_lo, v0, s0
	v_add_co_ci_u32_e32 v1, vcc_lo, s1, v1, vcc_lo
	global_store_b16 v[0:1], v2, off
.LBB311_10:
	s_nop 0
	s_sendmsg sendmsg(MSG_DEALLOC_VGPRS)
	s_endpgm
	.section	.rodata,"a",@progbits
	.p2align	6, 0x0
	.amdhsa_kernel _ZN12_GLOBAL__N_121softmax_warp_backwardIN3c108BFloat16ES2_fLi5ELb1ELb0ELi32EEEvPT0_PKT_S7_iiiPKb
		.amdhsa_group_segment_fixed_size 0
		.amdhsa_private_segment_fixed_size 0
		.amdhsa_kernarg_size 304
		.amdhsa_user_sgpr_count 15
		.amdhsa_user_sgpr_dispatch_ptr 0
		.amdhsa_user_sgpr_queue_ptr 0
		.amdhsa_user_sgpr_kernarg_segment_ptr 1
		.amdhsa_user_sgpr_dispatch_id 0
		.amdhsa_user_sgpr_private_segment_size 0
		.amdhsa_wavefront_size32 1
		.amdhsa_uses_dynamic_stack 0
		.amdhsa_enable_private_segment 0
		.amdhsa_system_sgpr_workgroup_id_x 1
		.amdhsa_system_sgpr_workgroup_id_y 0
		.amdhsa_system_sgpr_workgroup_id_z 0
		.amdhsa_system_sgpr_workgroup_info 0
		.amdhsa_system_vgpr_workitem_id 1
		.amdhsa_next_free_vgpr 14
		.amdhsa_next_free_sgpr 16
		.amdhsa_reserve_vcc 1
		.amdhsa_float_round_mode_32 0
		.amdhsa_float_round_mode_16_64 0
		.amdhsa_float_denorm_mode_32 3
		.amdhsa_float_denorm_mode_16_64 3
		.amdhsa_dx10_clamp 1
		.amdhsa_ieee_mode 1
		.amdhsa_fp16_overflow 0
		.amdhsa_workgroup_processor_mode 1
		.amdhsa_memory_ordered 1
		.amdhsa_forward_progress 0
		.amdhsa_shared_vgpr_count 0
		.amdhsa_exception_fp_ieee_invalid_op 0
		.amdhsa_exception_fp_denorm_src 0
		.amdhsa_exception_fp_ieee_div_zero 0
		.amdhsa_exception_fp_ieee_overflow 0
		.amdhsa_exception_fp_ieee_underflow 0
		.amdhsa_exception_fp_ieee_inexact 0
		.amdhsa_exception_int_div_zero 0
	.end_amdhsa_kernel
	.section	.text._ZN12_GLOBAL__N_121softmax_warp_backwardIN3c108BFloat16ES2_fLi5ELb1ELb0ELi32EEEvPT0_PKT_S7_iiiPKb,"axG",@progbits,_ZN12_GLOBAL__N_121softmax_warp_backwardIN3c108BFloat16ES2_fLi5ELb1ELb0ELi32EEEvPT0_PKT_S7_iiiPKb,comdat
.Lfunc_end311:
	.size	_ZN12_GLOBAL__N_121softmax_warp_backwardIN3c108BFloat16ES2_fLi5ELb1ELb0ELi32EEEvPT0_PKT_S7_iiiPKb, .Lfunc_end311-_ZN12_GLOBAL__N_121softmax_warp_backwardIN3c108BFloat16ES2_fLi5ELb1ELb0ELi32EEEvPT0_PKT_S7_iiiPKb
                                        ; -- End function
	.section	.AMDGPU.csdata,"",@progbits
; Kernel info:
; codeLenInByte = 1104
; NumSgprs: 18
; NumVgprs: 14
; ScratchSize: 0
; MemoryBound: 0
; FloatMode: 240
; IeeeMode: 1
; LDSByteSize: 0 bytes/workgroup (compile time only)
; SGPRBlocks: 2
; VGPRBlocks: 1
; NumSGPRsForWavesPerEU: 18
; NumVGPRsForWavesPerEU: 14
; Occupancy: 16
; WaveLimiterHint : 0
; COMPUTE_PGM_RSRC2:SCRATCH_EN: 0
; COMPUTE_PGM_RSRC2:USER_SGPR: 15
; COMPUTE_PGM_RSRC2:TRAP_HANDLER: 0
; COMPUTE_PGM_RSRC2:TGID_X_EN: 1
; COMPUTE_PGM_RSRC2:TGID_Y_EN: 0
; COMPUTE_PGM_RSRC2:TGID_Z_EN: 0
; COMPUTE_PGM_RSRC2:TIDIG_COMP_CNT: 1
	.section	.text._ZN12_GLOBAL__N_121softmax_warp_backwardIN3c108BFloat16ES2_fLi6ELb1ELb0ELi64EEEvPT0_PKT_S7_iiiPKb,"axG",@progbits,_ZN12_GLOBAL__N_121softmax_warp_backwardIN3c108BFloat16ES2_fLi6ELb1ELb0ELi64EEEvPT0_PKT_S7_iiiPKb,comdat
	.globl	_ZN12_GLOBAL__N_121softmax_warp_backwardIN3c108BFloat16ES2_fLi6ELb1ELb0ELi64EEEvPT0_PKT_S7_iiiPKb ; -- Begin function _ZN12_GLOBAL__N_121softmax_warp_backwardIN3c108BFloat16ES2_fLi6ELb1ELb0ELi64EEEvPT0_PKT_S7_iiiPKb
	.p2align	8
	.type	_ZN12_GLOBAL__N_121softmax_warp_backwardIN3c108BFloat16ES2_fLi6ELb1ELb0ELi64EEEvPT0_PKT_S7_iiiPKb,@function
_ZN12_GLOBAL__N_121softmax_warp_backwardIN3c108BFloat16ES2_fLi6ELb1ELb0ELi64EEEvPT0_PKT_S7_iiiPKb: ; @_ZN12_GLOBAL__N_121softmax_warp_backwardIN3c108BFloat16ES2_fLi6ELb1ELb0ELi64EEEvPT0_PKT_S7_iiiPKb
; %bb.0:
	s_clause 0x1
	s_load_b32 s2, s[0:1], 0x3c
	s_load_b128 s[4:7], s[0:1], 0x18
	v_bfe_u32 v1, v0, 10, 10
	v_dual_mov_b32 v7, 0 :: v_dual_and_b32 v2, 63, v0
	s_load_b128 s[8:11], s[0:1], 0x0
	v_mov_b32_e32 v8, 0
	v_mov_b32_e32 v10, 0
	s_waitcnt lgkmcnt(0)
	s_lshr_b32 s2, s2, 16
	v_cmp_gt_i32_e32 vcc_lo, s6, v2
	s_mul_i32 s15, s15, s2
	s_load_b64 s[2:3], s[0:1], 0x10
	v_add_lshl_u32 v3, s15, v1, 1
	s_delay_alu instid0(VALU_DEP_1) | instskip(SKIP_1) | instid1(VALU_DEP_1)
	v_mad_u64_u32 v[0:1], null, v3, s5, v[2:3]
	v_sub_nc_u32_e32 v6, s4, v3
	v_cmp_lt_i32_e64 s0, 0, v6
	s_delay_alu instid0(VALU_DEP_3) | instskip(NEXT) | instid1(VALU_DEP_1)
	v_ashrrev_i32_e32 v1, 31, v0
	v_lshlrev_b64 v[0:1], 1, v[0:1]
	s_delay_alu instid0(VALU_DEP_1) | instskip(NEXT) | instid1(VALU_DEP_1)
	v_add_co_u32 v2, s1, s10, v0
	v_add_co_ci_u32_e64 v3, s1, s11, v1, s1
	s_waitcnt lgkmcnt(0)
	v_add_co_u32 v4, s1, s2, v0
	s_delay_alu instid0(VALU_DEP_1) | instskip(SKIP_1) | instid1(SALU_CYCLE_1)
	v_add_co_ci_u32_e64 v5, s1, s3, v1, s1
	s_and_b32 s2, vcc_lo, s0
	s_and_saveexec_b32 s1, s2
	s_cbranch_execz .LBB312_2
; %bb.1:
	global_load_u16 v8, v[4:5], off
	global_load_u16 v9, v[2:3], off
	s_waitcnt vmcnt(1)
	v_lshlrev_b32_e32 v8, 16, v8
	s_waitcnt vmcnt(0)
	v_lshlrev_b32_e32 v10, 16, v9
.LBB312_2:
	s_or_b32 exec_lo, exec_lo, s1
	v_cmp_lt_i32_e64 s1, 1, v6
	v_mov_b32_e32 v9, 0
	s_mov_b32 s7, 0
	s_delay_alu instid0(VALU_DEP_2) | instskip(NEXT) | instid1(SALU_CYCLE_1)
	s_and_b32 s1, vcc_lo, s1
	s_and_saveexec_b32 s2, s1
	s_cbranch_execz .LBB312_4
; %bb.3:
	s_lshl_b64 s[4:5], s[6:7], 1
	s_delay_alu instid0(SALU_CYCLE_1) | instskip(NEXT) | instid1(VALU_DEP_1)
	v_add_co_u32 v4, s1, v4, s4
	v_add_co_ci_u32_e64 v5, s1, s5, v5, s1
	v_add_co_u32 v2, s1, v2, s4
	s_delay_alu instid0(VALU_DEP_1)
	v_add_co_ci_u32_e64 v3, s1, s5, v3, s1
	global_load_u16 v4, v[4:5], off
	global_load_u16 v2, v[2:3], off
	s_waitcnt vmcnt(1)
	v_lshlrev_b32_e32 v7, 16, v4
	s_waitcnt vmcnt(0)
	v_lshlrev_b32_e32 v9, 16, v2
.LBB312_4:
	s_or_b32 exec_lo, exec_lo, s2
	v_mbcnt_lo_u32_b32 v2, -1, 0
	s_delay_alu instid0(VALU_DEP_1) | instskip(SKIP_1) | instid1(VALU_DEP_2)
	v_or_b32_e32 v3, 32, v2
	v_xor_b32_e32 v12, 16, v2
	v_cmp_gt_i32_e64 s1, 64, v3
	s_delay_alu instid0(VALU_DEP_1) | instskip(NEXT) | instid1(VALU_DEP_3)
	v_cndmask_b32_e64 v3, v2, v3, s1
	v_cmp_gt_i32_e64 s1, 64, v12
	s_delay_alu instid0(VALU_DEP_2) | instskip(NEXT) | instid1(VALU_DEP_2)
	v_dual_add_f32 v4, 0, v10 :: v_dual_lshlrev_b32 v3, 2, v3
	v_cndmask_b32_e64 v12, v2, v12, s1
	v_add_f32_e32 v5, 0, v9
	ds_bpermute_b32 v11, v3, v4
	v_lshlrev_b32_e32 v12, 2, v12
	ds_bpermute_b32 v3, v3, v5
	s_waitcnt lgkmcnt(1)
	v_add_f32_e32 v4, v4, v11
	s_waitcnt lgkmcnt(0)
	v_add_f32_e32 v3, v5, v3
	ds_bpermute_b32 v5, v12, v4
	ds_bpermute_b32 v11, v12, v3
	v_xor_b32_e32 v12, 8, v2
	s_delay_alu instid0(VALU_DEP_1) | instskip(NEXT) | instid1(VALU_DEP_1)
	v_cmp_gt_i32_e64 s1, 64, v12
	v_cndmask_b32_e64 v12, v2, v12, s1
	s_delay_alu instid0(VALU_DEP_1)
	v_lshlrev_b32_e32 v12, 2, v12
	s_waitcnt lgkmcnt(0)
	v_dual_add_f32 v4, v4, v5 :: v_dual_add_f32 v3, v3, v11
	ds_bpermute_b32 v5, v12, v4
	ds_bpermute_b32 v11, v12, v3
	v_xor_b32_e32 v12, 4, v2
	s_delay_alu instid0(VALU_DEP_1) | instskip(NEXT) | instid1(VALU_DEP_1)
	v_cmp_gt_i32_e64 s1, 64, v12
	v_cndmask_b32_e64 v12, v2, v12, s1
	s_waitcnt lgkmcnt(0)
	s_delay_alu instid0(VALU_DEP_1)
	v_dual_add_f32 v3, v3, v11 :: v_dual_lshlrev_b32 v12, 2, v12
	ds_bpermute_b32 v11, v12, v3
	s_waitcnt lgkmcnt(0)
	v_dual_add_f32 v4, v4, v5 :: v_dual_add_f32 v3, v3, v11
	ds_bpermute_b32 v5, v12, v4
	v_xor_b32_e32 v12, 2, v2
	s_delay_alu instid0(VALU_DEP_1) | instskip(NEXT) | instid1(VALU_DEP_1)
	v_cmp_gt_i32_e64 s1, 64, v12
	v_cndmask_b32_e64 v12, v2, v12, s1
	s_delay_alu instid0(VALU_DEP_1)
	v_lshlrev_b32_e32 v12, 2, v12
	s_waitcnt lgkmcnt(0)
	v_add_f32_e32 v4, v4, v5
	ds_bpermute_b32 v11, v12, v3
	ds_bpermute_b32 v5, v12, v4
	v_xor_b32_e32 v12, 1, v2
	s_delay_alu instid0(VALU_DEP_1) | instskip(NEXT) | instid1(VALU_DEP_1)
	v_cmp_gt_i32_e64 s1, 64, v12
	v_cndmask_b32_e64 v2, v2, v12, s1
	s_delay_alu instid0(VALU_DEP_1)
	v_lshlrev_b32_e32 v12, 2, v2
	s_waitcnt lgkmcnt(1)
	v_add_f32_e32 v2, v3, v11
	s_waitcnt lgkmcnt(0)
	v_add_f32_e32 v4, v4, v5
	ds_bpermute_b32 v3, v12, v2
	ds_bpermute_b32 v5, v12, v4
	s_and_saveexec_b32 s1, s0
	s_cbranch_execz .LBB312_10
; %bb.5:
	v_add_co_u32 v0, s0, s8, v0
	s_delay_alu instid0(VALU_DEP_1)
	v_add_co_ci_u32_e64 v1, s0, s9, v1, s0
	s_and_saveexec_b32 s1, vcc_lo
	s_cbranch_execz .LBB312_7
; %bb.6:
	s_waitcnt lgkmcnt(0)
	v_dual_mul_f32 v11, 0x3fb8aa3b, v8 :: v_dual_add_f32 v4, v4, v5
	v_cmp_ngt_f32_e64 s0, 0xc2ce8ed0, v8
	s_delay_alu instid0(VALU_DEP_2) | instskip(SKIP_1) | instid1(VALU_DEP_2)
	v_rndne_f32_e32 v12, v11
	v_fma_f32 v13, 0x3fb8aa3b, v8, -v11
	v_sub_f32_e32 v11, v11, v12
	s_delay_alu instid0(VALU_DEP_2) | instskip(SKIP_1) | instid1(VALU_DEP_2)
	v_fmamk_f32 v13, v8, 0x32a5705f, v13
	v_cvt_i32_f32_e32 v12, v12
	v_add_f32_e32 v11, v11, v13
	s_delay_alu instid0(VALU_DEP_1) | instskip(SKIP_2) | instid1(VALU_DEP_1)
	v_exp_f32_e32 v11, v11
	s_waitcnt_depctr 0xfff
	v_ldexp_f32 v11, v11, v12
	v_cndmask_b32_e64 v11, 0, v11, s0
	v_cmp_nlt_f32_e64 s0, 0x42b17218, v8
	s_delay_alu instid0(VALU_DEP_1) | instskip(NEXT) | instid1(VALU_DEP_1)
	v_cndmask_b32_e64 v5, 0x7f800000, v11, s0
	v_fma_f32 v4, -v4, v5, v10
	s_delay_alu instid0(VALU_DEP_1) | instskip(SKIP_1) | instid1(VALU_DEP_2)
	v_bfe_u32 v5, v4, 16, 1
	v_cmp_o_f32_e64 s0, v4, v4
	v_add3_u32 v5, v4, v5, 0x7fff
	s_delay_alu instid0(VALU_DEP_1) | instskip(NEXT) | instid1(VALU_DEP_1)
	v_lshrrev_b32_e32 v5, 16, v5
	v_cndmask_b32_e64 v4, 0x7fc0, v5, s0
	global_store_b16 v[0:1], v4, off
.LBB312_7:
	s_or_b32 exec_lo, exec_lo, s1
	v_cmp_ne_u32_e64 s0, 1, v6
	s_delay_alu instid0(VALU_DEP_1)
	s_and_b32 exec_lo, exec_lo, s0
	s_cbranch_execz .LBB312_10
; %bb.8:
	s_and_b32 exec_lo, exec_lo, vcc_lo
	s_cbranch_execz .LBB312_10
; %bb.9:
	v_mul_f32_e32 v4, 0x3fb8aa3b, v7
	v_cmp_ngt_f32_e32 vcc_lo, 0xc2ce8ed0, v7
	s_lshl_b64 s[0:1], s[6:7], 1
	s_waitcnt lgkmcnt(0)
	s_delay_alu instid0(VALU_DEP_2) | instskip(SKIP_1) | instid1(VALU_DEP_2)
	v_rndne_f32_e32 v5, v4
	v_fma_f32 v6, 0x3fb8aa3b, v7, -v4
	v_sub_f32_e32 v4, v4, v5
	s_delay_alu instid0(VALU_DEP_2) | instskip(SKIP_1) | instid1(VALU_DEP_2)
	v_fmamk_f32 v6, v7, 0x32a5705f, v6
	v_cvt_i32_f32_e32 v5, v5
	v_add_f32_e32 v4, v4, v6
	s_delay_alu instid0(VALU_DEP_1) | instskip(SKIP_2) | instid1(VALU_DEP_1)
	v_exp_f32_e32 v4, v4
	s_waitcnt_depctr 0xfff
	v_ldexp_f32 v4, v4, v5
	v_cndmask_b32_e32 v4, 0, v4, vcc_lo
	v_cmp_nlt_f32_e32 vcc_lo, 0x42b17218, v7
	s_delay_alu instid0(VALU_DEP_2) | instskip(NEXT) | instid1(VALU_DEP_1)
	v_dual_add_f32 v2, v2, v3 :: v_dual_cndmask_b32 v3, 0x7f800000, v4
	v_fma_f32 v2, -v2, v3, v9
	s_delay_alu instid0(VALU_DEP_1) | instskip(SKIP_1) | instid1(VALU_DEP_2)
	v_bfe_u32 v3, v2, 16, 1
	v_cmp_o_f32_e32 vcc_lo, v2, v2
	v_add3_u32 v3, v2, v3, 0x7fff
	s_delay_alu instid0(VALU_DEP_1) | instskip(NEXT) | instid1(VALU_DEP_1)
	v_lshrrev_b32_e32 v3, 16, v3
	v_cndmask_b32_e32 v2, 0x7fc0, v3, vcc_lo
	v_add_co_u32 v0, vcc_lo, v0, s0
	v_add_co_ci_u32_e32 v1, vcc_lo, s1, v1, vcc_lo
	global_store_b16 v[0:1], v2, off
.LBB312_10:
	s_nop 0
	s_sendmsg sendmsg(MSG_DEALLOC_VGPRS)
	s_endpgm
	.section	.rodata,"a",@progbits
	.p2align	6, 0x0
	.amdhsa_kernel _ZN12_GLOBAL__N_121softmax_warp_backwardIN3c108BFloat16ES2_fLi6ELb1ELb0ELi64EEEvPT0_PKT_S7_iiiPKb
		.amdhsa_group_segment_fixed_size 0
		.amdhsa_private_segment_fixed_size 0
		.amdhsa_kernarg_size 304
		.amdhsa_user_sgpr_count 15
		.amdhsa_user_sgpr_dispatch_ptr 0
		.amdhsa_user_sgpr_queue_ptr 0
		.amdhsa_user_sgpr_kernarg_segment_ptr 1
		.amdhsa_user_sgpr_dispatch_id 0
		.amdhsa_user_sgpr_private_segment_size 0
		.amdhsa_wavefront_size32 1
		.amdhsa_uses_dynamic_stack 0
		.amdhsa_enable_private_segment 0
		.amdhsa_system_sgpr_workgroup_id_x 1
		.amdhsa_system_sgpr_workgroup_id_y 0
		.amdhsa_system_sgpr_workgroup_id_z 0
		.amdhsa_system_sgpr_workgroup_info 0
		.amdhsa_system_vgpr_workitem_id 1
		.amdhsa_next_free_vgpr 14
		.amdhsa_next_free_sgpr 16
		.amdhsa_reserve_vcc 1
		.amdhsa_float_round_mode_32 0
		.amdhsa_float_round_mode_16_64 0
		.amdhsa_float_denorm_mode_32 3
		.amdhsa_float_denorm_mode_16_64 3
		.amdhsa_dx10_clamp 1
		.amdhsa_ieee_mode 1
		.amdhsa_fp16_overflow 0
		.amdhsa_workgroup_processor_mode 1
		.amdhsa_memory_ordered 1
		.amdhsa_forward_progress 0
		.amdhsa_shared_vgpr_count 0
		.amdhsa_exception_fp_ieee_invalid_op 0
		.amdhsa_exception_fp_denorm_src 0
		.amdhsa_exception_fp_ieee_div_zero 0
		.amdhsa_exception_fp_ieee_overflow 0
		.amdhsa_exception_fp_ieee_underflow 0
		.amdhsa_exception_fp_ieee_inexact 0
		.amdhsa_exception_int_div_zero 0
	.end_amdhsa_kernel
	.section	.text._ZN12_GLOBAL__N_121softmax_warp_backwardIN3c108BFloat16ES2_fLi6ELb1ELb0ELi64EEEvPT0_PKT_S7_iiiPKb,"axG",@progbits,_ZN12_GLOBAL__N_121softmax_warp_backwardIN3c108BFloat16ES2_fLi6ELb1ELb0ELi64EEEvPT0_PKT_S7_iiiPKb,comdat
.Lfunc_end312:
	.size	_ZN12_GLOBAL__N_121softmax_warp_backwardIN3c108BFloat16ES2_fLi6ELb1ELb0ELi64EEEvPT0_PKT_S7_iiiPKb, .Lfunc_end312-_ZN12_GLOBAL__N_121softmax_warp_backwardIN3c108BFloat16ES2_fLi6ELb1ELb0ELi64EEEvPT0_PKT_S7_iiiPKb
                                        ; -- End function
	.section	.AMDGPU.csdata,"",@progbits
; Kernel info:
; codeLenInByte = 1164
; NumSgprs: 18
; NumVgprs: 14
; ScratchSize: 0
; MemoryBound: 0
; FloatMode: 240
; IeeeMode: 1
; LDSByteSize: 0 bytes/workgroup (compile time only)
; SGPRBlocks: 2
; VGPRBlocks: 1
; NumSGPRsForWavesPerEU: 18
; NumVGPRsForWavesPerEU: 14
; Occupancy: 16
; WaveLimiterHint : 0
; COMPUTE_PGM_RSRC2:SCRATCH_EN: 0
; COMPUTE_PGM_RSRC2:USER_SGPR: 15
; COMPUTE_PGM_RSRC2:TRAP_HANDLER: 0
; COMPUTE_PGM_RSRC2:TGID_X_EN: 1
; COMPUTE_PGM_RSRC2:TGID_Y_EN: 0
; COMPUTE_PGM_RSRC2:TGID_Z_EN: 0
; COMPUTE_PGM_RSRC2:TIDIG_COMP_CNT: 1
	.section	.text._ZN12_GLOBAL__N_121softmax_warp_backwardIN3c108BFloat16ES2_fLi6ELb1ELb0ELi32EEEvPT0_PKT_S7_iiiPKb,"axG",@progbits,_ZN12_GLOBAL__N_121softmax_warp_backwardIN3c108BFloat16ES2_fLi6ELb1ELb0ELi32EEEvPT0_PKT_S7_iiiPKb,comdat
	.globl	_ZN12_GLOBAL__N_121softmax_warp_backwardIN3c108BFloat16ES2_fLi6ELb1ELb0ELi32EEEvPT0_PKT_S7_iiiPKb ; -- Begin function _ZN12_GLOBAL__N_121softmax_warp_backwardIN3c108BFloat16ES2_fLi6ELb1ELb0ELi32EEEvPT0_PKT_S7_iiiPKb
	.p2align	8
	.type	_ZN12_GLOBAL__N_121softmax_warp_backwardIN3c108BFloat16ES2_fLi6ELb1ELb0ELi32EEEvPT0_PKT_S7_iiiPKb,@function
_ZN12_GLOBAL__N_121softmax_warp_backwardIN3c108BFloat16ES2_fLi6ELb1ELb0ELi32EEEvPT0_PKT_S7_iiiPKb: ; @_ZN12_GLOBAL__N_121softmax_warp_backwardIN3c108BFloat16ES2_fLi6ELb1ELb0ELi32EEEvPT0_PKT_S7_iiiPKb
; %bb.0:
	s_clause 0x1
	s_load_b32 s2, s[0:1], 0x3c
	s_load_b128 s[4:7], s[0:1], 0x18
	v_bfe_u32 v1, v0, 10, 10
	v_dual_mov_b32 v13, 0 :: v_dual_and_b32 v6, 31, v0
	s_load_b128 s[8:11], s[0:1], 0x0
	v_mov_b32_e32 v8, 0
	v_mov_b32_e32 v14, 0
	s_waitcnt lgkmcnt(0)
	s_lshr_b32 s2, s2, 16
	s_delay_alu instid0(SALU_CYCLE_1) | instskip(SKIP_3) | instid1(VALU_DEP_2)
	s_mul_i32 s15, s15, s2
	s_load_b64 s[2:3], s[0:1], 0x10
	v_add_lshl_u32 v2, s15, v1, 1
	v_cmp_gt_i32_e64 s0, s6, v6
	v_mad_u64_u32 v[0:1], null, v2, s5, v[6:7]
	v_sub_nc_u32_e32 v7, s4, v2
	s_delay_alu instid0(VALU_DEP_1) | instskip(NEXT) | instid1(VALU_DEP_3)
	v_cmp_lt_i32_e64 s1, 0, v7
	v_ashrrev_i32_e32 v1, 31, v0
	s_delay_alu instid0(VALU_DEP_1) | instskip(NEXT) | instid1(VALU_DEP_1)
	v_lshlrev_b64 v[0:1], 1, v[0:1]
	v_add_co_u32 v2, vcc_lo, s10, v0
	s_delay_alu instid0(VALU_DEP_2) | instskip(SKIP_4) | instid1(SALU_CYCLE_1)
	v_add_co_ci_u32_e32 v3, vcc_lo, s11, v1, vcc_lo
	s_waitcnt lgkmcnt(0)
	v_add_co_u32 v4, vcc_lo, s2, v0
	v_add_co_ci_u32_e32 v5, vcc_lo, s3, v1, vcc_lo
	s_and_b32 s3, s1, s0
	s_and_saveexec_b32 s2, s3
	s_cbranch_execz .LBB313_2
; %bb.1:
	global_load_u16 v9, v[4:5], off
	global_load_u16 v10, v[2:3], off
	s_waitcnt vmcnt(1)
	v_lshlrev_b32_e32 v13, 16, v9
	s_waitcnt vmcnt(0)
	v_lshlrev_b32_e32 v14, 16, v10
.LBB313_2:
	s_or_b32 exec_lo, exec_lo, s2
	v_or_b32_e32 v6, 32, v6
	v_mov_b32_e32 v12, 0
	s_delay_alu instid0(VALU_DEP_2) | instskip(SKIP_1) | instid1(SALU_CYCLE_1)
	v_cmp_gt_i32_e32 vcc_lo, s6, v6
	s_and_b32 s3, s1, vcc_lo
	s_and_saveexec_b32 s2, s3
	s_cbranch_execz .LBB313_4
; %bb.3:
	global_load_u16 v6, v[4:5], off offset:64
	global_load_u16 v9, v[2:3], off offset:64
	s_waitcnt vmcnt(1)
	v_lshlrev_b32_e32 v8, 16, v6
	s_waitcnt vmcnt(0)
	v_lshlrev_b32_e32 v12, 16, v9
.LBB313_4:
	s_or_b32 exec_lo, exec_lo, s2
	v_cmp_lt_i32_e64 s2, 1, v7
	v_dual_mov_b32 v6, 0 :: v_dual_mov_b32 v11, 0
	v_mov_b32_e32 v10, 0
	s_mov_b32 s7, 0
	s_delay_alu instid0(VALU_DEP_3) | instskip(NEXT) | instid1(SALU_CYCLE_1)
	s_and_b32 s3, s2, s0
	s_and_saveexec_b32 s4, s3
	s_cbranch_execz .LBB313_6
; %bb.5:
	s_lshl_b64 s[10:11], s[6:7], 1
	s_delay_alu instid0(SALU_CYCLE_1) | instskip(NEXT) | instid1(VALU_DEP_1)
	v_add_co_u32 v9, s3, v4, s10
	v_add_co_ci_u32_e64 v10, s3, s11, v5, s3
	v_add_co_u32 v15, s3, v2, s10
	s_delay_alu instid0(VALU_DEP_1)
	v_add_co_ci_u32_e64 v16, s3, s11, v3, s3
	global_load_u16 v9, v[9:10], off
	global_load_u16 v11, v[15:16], off
	s_waitcnt vmcnt(1)
	v_lshlrev_b32_e32 v10, 16, v9
	s_waitcnt vmcnt(0)
	v_lshlrev_b32_e32 v11, 16, v11
.LBB313_6:
	s_or_b32 exec_lo, exec_lo, s4
	v_mov_b32_e32 v9, 0
	s_and_b32 s2, s2, vcc_lo
	s_delay_alu instid0(SALU_CYCLE_1)
	s_and_saveexec_b32 s3, s2
	s_cbranch_execz .LBB313_8
; %bb.7:
	s_lshl_b64 s[4:5], s[6:7], 1
	s_delay_alu instid0(SALU_CYCLE_1) | instskip(NEXT) | instid1(VALU_DEP_1)
	v_add_co_u32 v4, s2, v4, s4
	v_add_co_ci_u32_e64 v5, s2, s5, v5, s2
	v_add_co_u32 v2, s2, v2, s4
	s_delay_alu instid0(VALU_DEP_1)
	v_add_co_ci_u32_e64 v3, s2, s5, v3, s2
	global_load_u16 v4, v[4:5], off offset:64
	global_load_u16 v2, v[2:3], off offset:64
	s_waitcnt vmcnt(1)
	v_lshlrev_b32_e32 v6, 16, v4
	s_waitcnt vmcnt(0)
	v_lshlrev_b32_e32 v9, 16, v2
.LBB313_8:
	s_or_b32 exec_lo, exec_lo, s3
	v_mbcnt_lo_u32_b32 v2, -1, 0
	v_dual_add_f32 v4, 0, v14 :: v_dual_add_f32 v5, 0, v11
	s_delay_alu instid0(VALU_DEP_2) | instskip(SKIP_1) | instid1(VALU_DEP_2)
	v_xor_b32_e32 v3, 16, v2
	v_xor_b32_e32 v16, 8, v2
	v_cmp_gt_i32_e64 s2, 32, v3
	s_delay_alu instid0(VALU_DEP_1) | instskip(NEXT) | instid1(VALU_DEP_3)
	v_cndmask_b32_e64 v3, v2, v3, s2
	v_cmp_gt_i32_e64 s2, 32, v16
	s_delay_alu instid0(VALU_DEP_2) | instskip(NEXT) | instid1(VALU_DEP_2)
	v_dual_add_f32 v4, v4, v12 :: v_dual_lshlrev_b32 v3, 2, v3
	v_cndmask_b32_e64 v16, v2, v16, s2
	v_add_f32_e32 v5, v5, v9
	ds_bpermute_b32 v15, v3, v4
	v_lshlrev_b32_e32 v16, 2, v16
	ds_bpermute_b32 v3, v3, v5
	s_waitcnt lgkmcnt(1)
	v_add_f32_e32 v4, v4, v15
	s_waitcnt lgkmcnt(0)
	v_add_f32_e32 v3, v5, v3
	ds_bpermute_b32 v5, v16, v4
	ds_bpermute_b32 v15, v16, v3
	v_xor_b32_e32 v16, 4, v2
	s_delay_alu instid0(VALU_DEP_1) | instskip(NEXT) | instid1(VALU_DEP_1)
	v_cmp_gt_i32_e64 s2, 32, v16
	v_cndmask_b32_e64 v16, v2, v16, s2
	s_delay_alu instid0(VALU_DEP_1)
	v_lshlrev_b32_e32 v16, 2, v16
	s_waitcnt lgkmcnt(0)
	v_dual_add_f32 v4, v4, v5 :: v_dual_add_f32 v3, v3, v15
	ds_bpermute_b32 v5, v16, v4
	ds_bpermute_b32 v15, v16, v3
	v_xor_b32_e32 v16, 2, v2
	s_delay_alu instid0(VALU_DEP_1) | instskip(NEXT) | instid1(VALU_DEP_1)
	v_cmp_gt_i32_e64 s2, 32, v16
	v_cndmask_b32_e64 v16, v2, v16, s2
	s_delay_alu instid0(VALU_DEP_1)
	v_lshlrev_b32_e32 v16, 2, v16
	s_waitcnt lgkmcnt(0)
	v_dual_add_f32 v4, v4, v5 :: v_dual_add_f32 v3, v3, v15
	ds_bpermute_b32 v5, v16, v4
	ds_bpermute_b32 v15, v16, v3
	v_xor_b32_e32 v16, 1, v2
	s_delay_alu instid0(VALU_DEP_1) | instskip(NEXT) | instid1(VALU_DEP_1)
	v_cmp_gt_i32_e64 s2, 32, v16
	v_cndmask_b32_e64 v2, v2, v16, s2
	s_delay_alu instid0(VALU_DEP_1)
	v_lshlrev_b32_e32 v16, 2, v2
	s_waitcnt lgkmcnt(1)
	v_add_f32_e32 v4, v4, v5
	s_waitcnt lgkmcnt(0)
	v_add_f32_e32 v2, v3, v15
	ds_bpermute_b32 v5, v16, v4
	ds_bpermute_b32 v3, v16, v2
	s_and_saveexec_b32 s2, s1
	s_cbranch_execz .LBB313_12
; %bb.9:
	v_add_co_u32 v0, s1, s8, v0
	s_delay_alu instid0(VALU_DEP_1)
	v_add_co_ci_u32_e64 v1, s1, s9, v1, s1
	s_waitcnt lgkmcnt(1)
	v_add_f32_e32 v4, v4, v5
	s_and_saveexec_b32 s2, s0
	s_cbranch_execnz .LBB313_13
; %bb.10:
	s_or_b32 exec_lo, exec_lo, s2
	s_and_saveexec_b32 s2, vcc_lo
	s_cbranch_execnz .LBB313_14
.LBB313_11:
	s_or_b32 exec_lo, exec_lo, s2
	v_cmp_ne_u32_e64 s1, 1, v7
	s_delay_alu instid0(VALU_DEP_1)
	s_and_b32 exec_lo, exec_lo, s1
	s_cbranch_execnz .LBB313_15
.LBB313_12:
	s_nop 0
	s_sendmsg sendmsg(MSG_DEALLOC_VGPRS)
	s_endpgm
.LBB313_13:
	v_mul_f32_e32 v5, 0x3fb8aa3b, v13
	v_cmp_ngt_f32_e64 s1, 0xc2ce8ed0, v13
	s_delay_alu instid0(VALU_DEP_2) | instskip(SKIP_1) | instid1(VALU_DEP_2)
	v_rndne_f32_e32 v15, v5
	v_fma_f32 v16, 0x3fb8aa3b, v13, -v5
	v_sub_f32_e32 v5, v5, v15
	s_delay_alu instid0(VALU_DEP_2) | instskip(SKIP_1) | instid1(VALU_DEP_2)
	v_fmamk_f32 v16, v13, 0x32a5705f, v16
	v_cvt_i32_f32_e32 v15, v15
	v_add_f32_e32 v5, v5, v16
	s_delay_alu instid0(VALU_DEP_1) | instskip(SKIP_2) | instid1(VALU_DEP_1)
	v_exp_f32_e32 v5, v5
	s_waitcnt_depctr 0xfff
	v_ldexp_f32 v5, v5, v15
	v_cndmask_b32_e64 v5, 0, v5, s1
	v_cmp_nlt_f32_e64 s1, 0x42b17218, v13
	s_delay_alu instid0(VALU_DEP_1) | instskip(NEXT) | instid1(VALU_DEP_1)
	v_cndmask_b32_e64 v5, 0x7f800000, v5, s1
	v_fma_f32 v5, -v4, v5, v14
	s_delay_alu instid0(VALU_DEP_1) | instskip(SKIP_1) | instid1(VALU_DEP_2)
	v_bfe_u32 v13, v5, 16, 1
	v_cmp_o_f32_e64 s1, v5, v5
	v_add3_u32 v13, v5, v13, 0x7fff
	s_delay_alu instid0(VALU_DEP_1) | instskip(NEXT) | instid1(VALU_DEP_1)
	v_lshrrev_b32_e32 v13, 16, v13
	v_cndmask_b32_e64 v5, 0x7fc0, v13, s1
	global_store_b16 v[0:1], v5, off
	s_or_b32 exec_lo, exec_lo, s2
	s_and_saveexec_b32 s2, vcc_lo
	s_cbranch_execz .LBB313_11
.LBB313_14:
	v_mul_f32_e32 v5, 0x3fb8aa3b, v8
	v_cmp_ngt_f32_e64 s1, 0xc2ce8ed0, v8
	s_delay_alu instid0(VALU_DEP_2) | instskip(SKIP_1) | instid1(VALU_DEP_1)
	v_rndne_f32_e32 v13, v5
	v_fma_f32 v14, 0x3fb8aa3b, v8, -v5
	v_dual_sub_f32 v5, v5, v13 :: v_dual_fmamk_f32 v14, v8, 0x32a5705f, v14
	v_cvt_i32_f32_e32 v13, v13
	s_delay_alu instid0(VALU_DEP_2) | instskip(NEXT) | instid1(VALU_DEP_1)
	v_add_f32_e32 v5, v5, v14
	v_exp_f32_e32 v5, v5
	s_waitcnt_depctr 0xfff
	v_ldexp_f32 v5, v5, v13
	s_delay_alu instid0(VALU_DEP_1) | instskip(SKIP_1) | instid1(VALU_DEP_1)
	v_cndmask_b32_e64 v5, 0, v5, s1
	v_cmp_nlt_f32_e64 s1, 0x42b17218, v8
	v_cndmask_b32_e64 v5, 0x7f800000, v5, s1
	s_delay_alu instid0(VALU_DEP_1) | instskip(NEXT) | instid1(VALU_DEP_1)
	v_fma_f32 v4, -v4, v5, v12
	v_bfe_u32 v5, v4, 16, 1
	v_cmp_o_f32_e64 s1, v4, v4
	s_delay_alu instid0(VALU_DEP_2) | instskip(NEXT) | instid1(VALU_DEP_1)
	v_add3_u32 v5, v4, v5, 0x7fff
	v_lshrrev_b32_e32 v5, 16, v5
	s_delay_alu instid0(VALU_DEP_1) | instskip(SKIP_3) | instid1(VALU_DEP_1)
	v_cndmask_b32_e64 v4, 0x7fc0, v5, s1
	global_store_b16 v[0:1], v4, off offset:64
	s_or_b32 exec_lo, exec_lo, s2
	v_cmp_ne_u32_e64 s1, 1, v7
	s_and_b32 exec_lo, exec_lo, s1
	s_cbranch_execz .LBB313_12
.LBB313_15:
	s_waitcnt lgkmcnt(0)
	v_add_f32_e32 v2, v2, v3
	s_and_saveexec_b32 s1, s0
	s_cbranch_execz .LBB313_17
; %bb.16:
	v_mul_f32_e32 v3, 0x3fb8aa3b, v10
	v_cmp_ngt_f32_e64 s0, 0xc2ce8ed0, v10
	s_lshl_b64 s[2:3], s[6:7], 1
	s_delay_alu instid0(VALU_DEP_2) | instskip(SKIP_1) | instid1(VALU_DEP_2)
	v_rndne_f32_e32 v4, v3
	v_fma_f32 v5, 0x3fb8aa3b, v10, -v3
	v_sub_f32_e32 v3, v3, v4
	s_delay_alu instid0(VALU_DEP_2) | instskip(SKIP_1) | instid1(VALU_DEP_2)
	v_fmamk_f32 v5, v10, 0x32a5705f, v5
	v_cvt_i32_f32_e32 v4, v4
	v_add_f32_e32 v3, v3, v5
	s_delay_alu instid0(VALU_DEP_1) | instskip(SKIP_2) | instid1(VALU_DEP_1)
	v_exp_f32_e32 v3, v3
	s_waitcnt_depctr 0xfff
	v_ldexp_f32 v3, v3, v4
	v_cndmask_b32_e64 v3, 0, v3, s0
	v_cmp_nlt_f32_e64 s0, 0x42b17218, v10
	s_delay_alu instid0(VALU_DEP_1) | instskip(NEXT) | instid1(VALU_DEP_1)
	v_cndmask_b32_e64 v3, 0x7f800000, v3, s0
	v_fma_f32 v3, -v2, v3, v11
	s_delay_alu instid0(VALU_DEP_1) | instskip(SKIP_1) | instid1(VALU_DEP_2)
	v_bfe_u32 v4, v3, 16, 1
	v_cmp_o_f32_e64 s0, v3, v3
	v_add3_u32 v4, v3, v4, 0x7fff
	s_delay_alu instid0(VALU_DEP_1) | instskip(NEXT) | instid1(VALU_DEP_1)
	v_lshrrev_b32_e32 v4, 16, v4
	v_cndmask_b32_e64 v5, 0x7fc0, v4, s0
	v_add_co_u32 v3, s0, v0, s2
	s_delay_alu instid0(VALU_DEP_1)
	v_add_co_ci_u32_e64 v4, s0, s3, v1, s0
	global_store_b16 v[3:4], v5, off
.LBB313_17:
	s_or_b32 exec_lo, exec_lo, s1
	s_delay_alu instid0(SALU_CYCLE_1)
	s_and_b32 exec_lo, exec_lo, vcc_lo
	s_cbranch_execz .LBB313_12
; %bb.18:
	v_mul_f32_e32 v3, 0x3fb8aa3b, v6
	v_cmp_ngt_f32_e32 vcc_lo, 0xc2ce8ed0, v6
	s_ashr_i32 s7, s6, 31
	s_delay_alu instid0(SALU_CYCLE_1) | instskip(NEXT) | instid1(VALU_DEP_2)
	s_lshl_b64 s[0:1], s[6:7], 1
	v_rndne_f32_e32 v4, v3
	v_fma_f32 v5, 0x3fb8aa3b, v6, -v3
	s_delay_alu instid0(VALU_DEP_2) | instskip(NEXT) | instid1(VALU_DEP_2)
	v_sub_f32_e32 v3, v3, v4
	v_fmamk_f32 v5, v6, 0x32a5705f, v5
	v_cvt_i32_f32_e32 v4, v4
	s_delay_alu instid0(VALU_DEP_2) | instskip(NEXT) | instid1(VALU_DEP_1)
	v_add_f32_e32 v3, v3, v5
	v_exp_f32_e32 v3, v3
	s_waitcnt_depctr 0xfff
	v_ldexp_f32 v3, v3, v4
	s_delay_alu instid0(VALU_DEP_1) | instskip(SKIP_1) | instid1(VALU_DEP_2)
	v_cndmask_b32_e32 v3, 0, v3, vcc_lo
	v_cmp_nlt_f32_e32 vcc_lo, 0x42b17218, v6
	v_cndmask_b32_e32 v3, 0x7f800000, v3, vcc_lo
	s_delay_alu instid0(VALU_DEP_1) | instskip(NEXT) | instid1(VALU_DEP_1)
	v_fma_f32 v2, -v2, v3, v9
	v_bfe_u32 v3, v2, 16, 1
	v_cmp_o_f32_e32 vcc_lo, v2, v2
	s_delay_alu instid0(VALU_DEP_2) | instskip(NEXT) | instid1(VALU_DEP_1)
	v_add3_u32 v3, v2, v3, 0x7fff
	v_lshrrev_b32_e32 v3, 16, v3
	s_delay_alu instid0(VALU_DEP_1)
	v_cndmask_b32_e32 v2, 0x7fc0, v3, vcc_lo
	v_add_co_u32 v0, vcc_lo, v0, s0
	v_add_co_ci_u32_e32 v1, vcc_lo, s1, v1, vcc_lo
	global_store_b16 v[0:1], v2, off offset:64
	s_nop 0
	s_sendmsg sendmsg(MSG_DEALLOC_VGPRS)
	s_endpgm
	.section	.rodata,"a",@progbits
	.p2align	6, 0x0
	.amdhsa_kernel _ZN12_GLOBAL__N_121softmax_warp_backwardIN3c108BFloat16ES2_fLi6ELb1ELb0ELi32EEEvPT0_PKT_S7_iiiPKb
		.amdhsa_group_segment_fixed_size 0
		.amdhsa_private_segment_fixed_size 0
		.amdhsa_kernarg_size 304
		.amdhsa_user_sgpr_count 15
		.amdhsa_user_sgpr_dispatch_ptr 0
		.amdhsa_user_sgpr_queue_ptr 0
		.amdhsa_user_sgpr_kernarg_segment_ptr 1
		.amdhsa_user_sgpr_dispatch_id 0
		.amdhsa_user_sgpr_private_segment_size 0
		.amdhsa_wavefront_size32 1
		.amdhsa_uses_dynamic_stack 0
		.amdhsa_enable_private_segment 0
		.amdhsa_system_sgpr_workgroup_id_x 1
		.amdhsa_system_sgpr_workgroup_id_y 0
		.amdhsa_system_sgpr_workgroup_id_z 0
		.amdhsa_system_sgpr_workgroup_info 0
		.amdhsa_system_vgpr_workitem_id 1
		.amdhsa_next_free_vgpr 17
		.amdhsa_next_free_sgpr 16
		.amdhsa_reserve_vcc 1
		.amdhsa_float_round_mode_32 0
		.amdhsa_float_round_mode_16_64 0
		.amdhsa_float_denorm_mode_32 3
		.amdhsa_float_denorm_mode_16_64 3
		.amdhsa_dx10_clamp 1
		.amdhsa_ieee_mode 1
		.amdhsa_fp16_overflow 0
		.amdhsa_workgroup_processor_mode 1
		.amdhsa_memory_ordered 1
		.amdhsa_forward_progress 0
		.amdhsa_shared_vgpr_count 0
		.amdhsa_exception_fp_ieee_invalid_op 0
		.amdhsa_exception_fp_denorm_src 0
		.amdhsa_exception_fp_ieee_div_zero 0
		.amdhsa_exception_fp_ieee_overflow 0
		.amdhsa_exception_fp_ieee_underflow 0
		.amdhsa_exception_fp_ieee_inexact 0
		.amdhsa_exception_int_div_zero 0
	.end_amdhsa_kernel
	.section	.text._ZN12_GLOBAL__N_121softmax_warp_backwardIN3c108BFloat16ES2_fLi6ELb1ELb0ELi32EEEvPT0_PKT_S7_iiiPKb,"axG",@progbits,_ZN12_GLOBAL__N_121softmax_warp_backwardIN3c108BFloat16ES2_fLi6ELb1ELb0ELi32EEEvPT0_PKT_S7_iiiPKb,comdat
.Lfunc_end313:
	.size	_ZN12_GLOBAL__N_121softmax_warp_backwardIN3c108BFloat16ES2_fLi6ELb1ELb0ELi32EEEvPT0_PKT_S7_iiiPKb, .Lfunc_end313-_ZN12_GLOBAL__N_121softmax_warp_backwardIN3c108BFloat16ES2_fLi6ELb1ELb0ELi32EEEvPT0_PKT_S7_iiiPKb
                                        ; -- End function
	.section	.AMDGPU.csdata,"",@progbits
; Kernel info:
; codeLenInByte = 1756
; NumSgprs: 18
; NumVgprs: 17
; ScratchSize: 0
; MemoryBound: 0
; FloatMode: 240
; IeeeMode: 1
; LDSByteSize: 0 bytes/workgroup (compile time only)
; SGPRBlocks: 2
; VGPRBlocks: 2
; NumSGPRsForWavesPerEU: 18
; NumVGPRsForWavesPerEU: 17
; Occupancy: 16
; WaveLimiterHint : 0
; COMPUTE_PGM_RSRC2:SCRATCH_EN: 0
; COMPUTE_PGM_RSRC2:USER_SGPR: 15
; COMPUTE_PGM_RSRC2:TRAP_HANDLER: 0
; COMPUTE_PGM_RSRC2:TGID_X_EN: 1
; COMPUTE_PGM_RSRC2:TGID_Y_EN: 0
; COMPUTE_PGM_RSRC2:TGID_Z_EN: 0
; COMPUTE_PGM_RSRC2:TIDIG_COMP_CNT: 1
	.section	.text._ZN12_GLOBAL__N_121softmax_warp_backwardIN3c108BFloat16ES2_fLi7ELb1ELb0ELi64EEEvPT0_PKT_S7_iiiPKb,"axG",@progbits,_ZN12_GLOBAL__N_121softmax_warp_backwardIN3c108BFloat16ES2_fLi7ELb1ELb0ELi64EEEvPT0_PKT_S7_iiiPKb,comdat
	.globl	_ZN12_GLOBAL__N_121softmax_warp_backwardIN3c108BFloat16ES2_fLi7ELb1ELb0ELi64EEEvPT0_PKT_S7_iiiPKb ; -- Begin function _ZN12_GLOBAL__N_121softmax_warp_backwardIN3c108BFloat16ES2_fLi7ELb1ELb0ELi64EEEvPT0_PKT_S7_iiiPKb
	.p2align	8
	.type	_ZN12_GLOBAL__N_121softmax_warp_backwardIN3c108BFloat16ES2_fLi7ELb1ELb0ELi64EEEvPT0_PKT_S7_iiiPKb,@function
_ZN12_GLOBAL__N_121softmax_warp_backwardIN3c108BFloat16ES2_fLi7ELb1ELb0ELi64EEEvPT0_PKT_S7_iiiPKb: ; @_ZN12_GLOBAL__N_121softmax_warp_backwardIN3c108BFloat16ES2_fLi7ELb1ELb0ELi64EEEvPT0_PKT_S7_iiiPKb
; %bb.0:
	s_clause 0x1
	s_load_b32 s2, s[0:1], 0x3c
	s_load_b128 s[4:7], s[0:1], 0x18
	v_bfe_u32 v1, v0, 10, 10
	v_dual_mov_b32 v13, 0 :: v_dual_and_b32 v6, 63, v0
	s_load_b128 s[8:11], s[0:1], 0x0
	v_mov_b32_e32 v8, 0
	v_mov_b32_e32 v14, 0
	s_waitcnt lgkmcnt(0)
	s_lshr_b32 s2, s2, 16
	s_delay_alu instid0(SALU_CYCLE_1) | instskip(SKIP_3) | instid1(VALU_DEP_2)
	s_mul_i32 s15, s15, s2
	s_load_b64 s[2:3], s[0:1], 0x10
	v_add_lshl_u32 v2, s15, v1, 1
	v_cmp_gt_i32_e64 s0, s6, v6
	v_mad_u64_u32 v[0:1], null, v2, s5, v[6:7]
	v_sub_nc_u32_e32 v7, s4, v2
	s_delay_alu instid0(VALU_DEP_1) | instskip(NEXT) | instid1(VALU_DEP_3)
	v_cmp_lt_i32_e64 s1, 0, v7
	v_ashrrev_i32_e32 v1, 31, v0
	s_delay_alu instid0(VALU_DEP_1) | instskip(NEXT) | instid1(VALU_DEP_1)
	v_lshlrev_b64 v[0:1], 1, v[0:1]
	v_add_co_u32 v2, vcc_lo, s10, v0
	s_delay_alu instid0(VALU_DEP_2) | instskip(SKIP_4) | instid1(SALU_CYCLE_1)
	v_add_co_ci_u32_e32 v3, vcc_lo, s11, v1, vcc_lo
	s_waitcnt lgkmcnt(0)
	v_add_co_u32 v4, vcc_lo, s2, v0
	v_add_co_ci_u32_e32 v5, vcc_lo, s3, v1, vcc_lo
	s_and_b32 s3, s1, s0
	s_and_saveexec_b32 s2, s3
	s_cbranch_execz .LBB314_2
; %bb.1:
	global_load_u16 v9, v[4:5], off
	global_load_u16 v10, v[2:3], off
	s_waitcnt vmcnt(1)
	v_lshlrev_b32_e32 v13, 16, v9
	s_waitcnt vmcnt(0)
	v_lshlrev_b32_e32 v14, 16, v10
.LBB314_2:
	s_or_b32 exec_lo, exec_lo, s2
	v_or_b32_e32 v6, 64, v6
	v_mov_b32_e32 v12, 0
	s_delay_alu instid0(VALU_DEP_2) | instskip(SKIP_1) | instid1(SALU_CYCLE_1)
	v_cmp_gt_i32_e32 vcc_lo, s6, v6
	s_and_b32 s3, s1, vcc_lo
	s_and_saveexec_b32 s2, s3
	s_cbranch_execz .LBB314_4
; %bb.3:
	global_load_u16 v6, v[4:5], off offset:128
	global_load_u16 v9, v[2:3], off offset:128
	s_waitcnt vmcnt(1)
	v_lshlrev_b32_e32 v8, 16, v6
	s_waitcnt vmcnt(0)
	v_lshlrev_b32_e32 v12, 16, v9
.LBB314_4:
	s_or_b32 exec_lo, exec_lo, s2
	v_cmp_lt_i32_e64 s2, 1, v7
	v_dual_mov_b32 v6, 0 :: v_dual_mov_b32 v11, 0
	v_mov_b32_e32 v10, 0
	s_mov_b32 s7, 0
	s_delay_alu instid0(VALU_DEP_3) | instskip(NEXT) | instid1(SALU_CYCLE_1)
	s_and_b32 s3, s2, s0
	s_and_saveexec_b32 s4, s3
	s_cbranch_execz .LBB314_6
; %bb.5:
	s_lshl_b64 s[10:11], s[6:7], 1
	s_delay_alu instid0(SALU_CYCLE_1) | instskip(NEXT) | instid1(VALU_DEP_1)
	v_add_co_u32 v9, s3, v4, s10
	v_add_co_ci_u32_e64 v10, s3, s11, v5, s3
	v_add_co_u32 v15, s3, v2, s10
	s_delay_alu instid0(VALU_DEP_1)
	v_add_co_ci_u32_e64 v16, s3, s11, v3, s3
	global_load_u16 v9, v[9:10], off
	global_load_u16 v11, v[15:16], off
	s_waitcnt vmcnt(1)
	v_lshlrev_b32_e32 v10, 16, v9
	s_waitcnt vmcnt(0)
	v_lshlrev_b32_e32 v11, 16, v11
.LBB314_6:
	s_or_b32 exec_lo, exec_lo, s4
	v_mov_b32_e32 v9, 0
	s_and_b32 s2, s2, vcc_lo
	s_delay_alu instid0(SALU_CYCLE_1)
	s_and_saveexec_b32 s3, s2
	s_cbranch_execz .LBB314_8
; %bb.7:
	s_lshl_b64 s[4:5], s[6:7], 1
	s_delay_alu instid0(SALU_CYCLE_1) | instskip(NEXT) | instid1(VALU_DEP_1)
	v_add_co_u32 v4, s2, v4, s4
	v_add_co_ci_u32_e64 v5, s2, s5, v5, s2
	v_add_co_u32 v2, s2, v2, s4
	s_delay_alu instid0(VALU_DEP_1)
	v_add_co_ci_u32_e64 v3, s2, s5, v3, s2
	global_load_u16 v4, v[4:5], off offset:128
	global_load_u16 v2, v[2:3], off offset:128
	s_waitcnt vmcnt(1)
	v_lshlrev_b32_e32 v6, 16, v4
	s_waitcnt vmcnt(0)
	v_lshlrev_b32_e32 v9, 16, v2
.LBB314_8:
	s_or_b32 exec_lo, exec_lo, s3
	v_mbcnt_lo_u32_b32 v2, -1, 0
	v_dual_add_f32 v4, 0, v14 :: v_dual_add_f32 v5, 0, v11
	s_delay_alu instid0(VALU_DEP_2) | instskip(SKIP_1) | instid1(VALU_DEP_2)
	v_or_b32_e32 v3, 32, v2
	v_xor_b32_e32 v16, 16, v2
	v_cmp_gt_i32_e64 s2, 64, v3
	s_delay_alu instid0(VALU_DEP_1) | instskip(NEXT) | instid1(VALU_DEP_3)
	v_cndmask_b32_e64 v3, v2, v3, s2
	v_cmp_gt_i32_e64 s2, 64, v16
	s_delay_alu instid0(VALU_DEP_2) | instskip(NEXT) | instid1(VALU_DEP_2)
	v_dual_add_f32 v4, v4, v12 :: v_dual_lshlrev_b32 v3, 2, v3
	v_cndmask_b32_e64 v16, v2, v16, s2
	v_add_f32_e32 v5, v5, v9
	ds_bpermute_b32 v15, v3, v4
	v_lshlrev_b32_e32 v16, 2, v16
	ds_bpermute_b32 v3, v3, v5
	s_waitcnt lgkmcnt(1)
	v_add_f32_e32 v4, v4, v15
	s_waitcnt lgkmcnt(0)
	v_add_f32_e32 v3, v5, v3
	ds_bpermute_b32 v5, v16, v4
	ds_bpermute_b32 v15, v16, v3
	v_xor_b32_e32 v16, 8, v2
	s_delay_alu instid0(VALU_DEP_1) | instskip(NEXT) | instid1(VALU_DEP_1)
	v_cmp_gt_i32_e64 s2, 64, v16
	v_cndmask_b32_e64 v16, v2, v16, s2
	s_delay_alu instid0(VALU_DEP_1)
	v_lshlrev_b32_e32 v16, 2, v16
	s_waitcnt lgkmcnt(0)
	v_dual_add_f32 v4, v4, v5 :: v_dual_add_f32 v3, v3, v15
	ds_bpermute_b32 v5, v16, v4
	ds_bpermute_b32 v15, v16, v3
	v_xor_b32_e32 v16, 4, v2
	s_delay_alu instid0(VALU_DEP_1) | instskip(NEXT) | instid1(VALU_DEP_1)
	v_cmp_gt_i32_e64 s2, 64, v16
	v_cndmask_b32_e64 v16, v2, v16, s2
	s_waitcnt lgkmcnt(0)
	s_delay_alu instid0(VALU_DEP_1)
	v_dual_add_f32 v3, v3, v15 :: v_dual_lshlrev_b32 v16, 2, v16
	ds_bpermute_b32 v15, v16, v3
	s_waitcnt lgkmcnt(0)
	v_dual_add_f32 v4, v4, v5 :: v_dual_add_f32 v3, v3, v15
	ds_bpermute_b32 v5, v16, v4
	v_xor_b32_e32 v16, 2, v2
	s_delay_alu instid0(VALU_DEP_1) | instskip(NEXT) | instid1(VALU_DEP_1)
	v_cmp_gt_i32_e64 s2, 64, v16
	v_cndmask_b32_e64 v16, v2, v16, s2
	s_delay_alu instid0(VALU_DEP_1)
	v_lshlrev_b32_e32 v16, 2, v16
	s_waitcnt lgkmcnt(0)
	v_add_f32_e32 v4, v4, v5
	ds_bpermute_b32 v15, v16, v3
	ds_bpermute_b32 v5, v16, v4
	v_xor_b32_e32 v16, 1, v2
	s_delay_alu instid0(VALU_DEP_1) | instskip(NEXT) | instid1(VALU_DEP_1)
	v_cmp_gt_i32_e64 s2, 64, v16
	v_cndmask_b32_e64 v2, v2, v16, s2
	s_delay_alu instid0(VALU_DEP_1)
	v_lshlrev_b32_e32 v16, 2, v2
	s_waitcnt lgkmcnt(1)
	v_add_f32_e32 v2, v3, v15
	s_waitcnt lgkmcnt(0)
	v_add_f32_e32 v4, v4, v5
	ds_bpermute_b32 v3, v16, v2
	ds_bpermute_b32 v5, v16, v4
	s_and_saveexec_b32 s2, s1
	s_cbranch_execz .LBB314_12
; %bb.9:
	v_add_co_u32 v0, s1, s8, v0
	s_delay_alu instid0(VALU_DEP_1)
	v_add_co_ci_u32_e64 v1, s1, s9, v1, s1
	s_waitcnt lgkmcnt(0)
	v_add_f32_e32 v4, v4, v5
	s_and_saveexec_b32 s2, s0
	s_cbranch_execnz .LBB314_13
; %bb.10:
	s_or_b32 exec_lo, exec_lo, s2
	s_and_saveexec_b32 s2, vcc_lo
	s_cbranch_execnz .LBB314_14
.LBB314_11:
	s_or_b32 exec_lo, exec_lo, s2
	v_cmp_ne_u32_e64 s1, 1, v7
	s_delay_alu instid0(VALU_DEP_1)
	s_and_b32 exec_lo, exec_lo, s1
	s_cbranch_execnz .LBB314_15
.LBB314_12:
	s_nop 0
	s_sendmsg sendmsg(MSG_DEALLOC_VGPRS)
	s_endpgm
.LBB314_13:
	v_mul_f32_e32 v5, 0x3fb8aa3b, v13
	v_cmp_ngt_f32_e64 s1, 0xc2ce8ed0, v13
	s_delay_alu instid0(VALU_DEP_2) | instskip(SKIP_1) | instid1(VALU_DEP_2)
	v_rndne_f32_e32 v15, v5
	v_fma_f32 v16, 0x3fb8aa3b, v13, -v5
	v_sub_f32_e32 v5, v5, v15
	s_delay_alu instid0(VALU_DEP_2) | instskip(SKIP_1) | instid1(VALU_DEP_2)
	v_fmamk_f32 v16, v13, 0x32a5705f, v16
	v_cvt_i32_f32_e32 v15, v15
	v_add_f32_e32 v5, v5, v16
	s_delay_alu instid0(VALU_DEP_1) | instskip(SKIP_2) | instid1(VALU_DEP_1)
	v_exp_f32_e32 v5, v5
	s_waitcnt_depctr 0xfff
	v_ldexp_f32 v5, v5, v15
	v_cndmask_b32_e64 v5, 0, v5, s1
	v_cmp_nlt_f32_e64 s1, 0x42b17218, v13
	s_delay_alu instid0(VALU_DEP_1) | instskip(NEXT) | instid1(VALU_DEP_1)
	v_cndmask_b32_e64 v5, 0x7f800000, v5, s1
	v_fma_f32 v5, -v4, v5, v14
	s_delay_alu instid0(VALU_DEP_1) | instskip(SKIP_1) | instid1(VALU_DEP_2)
	v_bfe_u32 v13, v5, 16, 1
	v_cmp_o_f32_e64 s1, v5, v5
	v_add3_u32 v13, v5, v13, 0x7fff
	s_delay_alu instid0(VALU_DEP_1) | instskip(NEXT) | instid1(VALU_DEP_1)
	v_lshrrev_b32_e32 v13, 16, v13
	v_cndmask_b32_e64 v5, 0x7fc0, v13, s1
	global_store_b16 v[0:1], v5, off
	s_or_b32 exec_lo, exec_lo, s2
	s_and_saveexec_b32 s2, vcc_lo
	s_cbranch_execz .LBB314_11
.LBB314_14:
	v_mul_f32_e32 v5, 0x3fb8aa3b, v8
	v_cmp_ngt_f32_e64 s1, 0xc2ce8ed0, v8
	s_delay_alu instid0(VALU_DEP_2) | instskip(SKIP_1) | instid1(VALU_DEP_1)
	v_rndne_f32_e32 v13, v5
	v_fma_f32 v14, 0x3fb8aa3b, v8, -v5
	v_dual_sub_f32 v5, v5, v13 :: v_dual_fmamk_f32 v14, v8, 0x32a5705f, v14
	v_cvt_i32_f32_e32 v13, v13
	s_delay_alu instid0(VALU_DEP_2) | instskip(NEXT) | instid1(VALU_DEP_1)
	v_add_f32_e32 v5, v5, v14
	v_exp_f32_e32 v5, v5
	s_waitcnt_depctr 0xfff
	v_ldexp_f32 v5, v5, v13
	s_delay_alu instid0(VALU_DEP_1) | instskip(SKIP_1) | instid1(VALU_DEP_1)
	v_cndmask_b32_e64 v5, 0, v5, s1
	v_cmp_nlt_f32_e64 s1, 0x42b17218, v8
	v_cndmask_b32_e64 v5, 0x7f800000, v5, s1
	s_delay_alu instid0(VALU_DEP_1) | instskip(NEXT) | instid1(VALU_DEP_1)
	v_fma_f32 v4, -v4, v5, v12
	v_bfe_u32 v5, v4, 16, 1
	v_cmp_o_f32_e64 s1, v4, v4
	s_delay_alu instid0(VALU_DEP_2) | instskip(NEXT) | instid1(VALU_DEP_1)
	v_add3_u32 v5, v4, v5, 0x7fff
	v_lshrrev_b32_e32 v5, 16, v5
	s_delay_alu instid0(VALU_DEP_1) | instskip(SKIP_3) | instid1(VALU_DEP_1)
	v_cndmask_b32_e64 v4, 0x7fc0, v5, s1
	global_store_b16 v[0:1], v4, off offset:128
	s_or_b32 exec_lo, exec_lo, s2
	v_cmp_ne_u32_e64 s1, 1, v7
	s_and_b32 exec_lo, exec_lo, s1
	s_cbranch_execz .LBB314_12
.LBB314_15:
	v_add_f32_e32 v2, v2, v3
	s_and_saveexec_b32 s1, s0
	s_cbranch_execz .LBB314_17
; %bb.16:
	v_mul_f32_e32 v3, 0x3fb8aa3b, v10
	v_cmp_ngt_f32_e64 s0, 0xc2ce8ed0, v10
	s_lshl_b64 s[2:3], s[6:7], 1
	s_delay_alu instid0(VALU_DEP_2) | instskip(SKIP_1) | instid1(VALU_DEP_2)
	v_rndne_f32_e32 v4, v3
	v_fma_f32 v5, 0x3fb8aa3b, v10, -v3
	v_sub_f32_e32 v3, v3, v4
	s_delay_alu instid0(VALU_DEP_2) | instskip(SKIP_1) | instid1(VALU_DEP_2)
	v_fmamk_f32 v5, v10, 0x32a5705f, v5
	v_cvt_i32_f32_e32 v4, v4
	v_add_f32_e32 v3, v3, v5
	s_delay_alu instid0(VALU_DEP_1) | instskip(SKIP_2) | instid1(VALU_DEP_1)
	v_exp_f32_e32 v3, v3
	s_waitcnt_depctr 0xfff
	v_ldexp_f32 v3, v3, v4
	v_cndmask_b32_e64 v3, 0, v3, s0
	v_cmp_nlt_f32_e64 s0, 0x42b17218, v10
	s_delay_alu instid0(VALU_DEP_1) | instskip(NEXT) | instid1(VALU_DEP_1)
	v_cndmask_b32_e64 v3, 0x7f800000, v3, s0
	v_fma_f32 v3, -v2, v3, v11
	s_delay_alu instid0(VALU_DEP_1) | instskip(SKIP_1) | instid1(VALU_DEP_2)
	v_bfe_u32 v4, v3, 16, 1
	v_cmp_o_f32_e64 s0, v3, v3
	v_add3_u32 v4, v3, v4, 0x7fff
	s_delay_alu instid0(VALU_DEP_1) | instskip(NEXT) | instid1(VALU_DEP_1)
	v_lshrrev_b32_e32 v4, 16, v4
	v_cndmask_b32_e64 v5, 0x7fc0, v4, s0
	v_add_co_u32 v3, s0, v0, s2
	s_delay_alu instid0(VALU_DEP_1)
	v_add_co_ci_u32_e64 v4, s0, s3, v1, s0
	global_store_b16 v[3:4], v5, off
.LBB314_17:
	s_or_b32 exec_lo, exec_lo, s1
	s_delay_alu instid0(SALU_CYCLE_1)
	s_and_b32 exec_lo, exec_lo, vcc_lo
	s_cbranch_execz .LBB314_12
; %bb.18:
	v_mul_f32_e32 v3, 0x3fb8aa3b, v6
	v_cmp_ngt_f32_e32 vcc_lo, 0xc2ce8ed0, v6
	s_ashr_i32 s7, s6, 31
	s_delay_alu instid0(SALU_CYCLE_1) | instskip(NEXT) | instid1(VALU_DEP_2)
	s_lshl_b64 s[0:1], s[6:7], 1
	v_rndne_f32_e32 v4, v3
	v_fma_f32 v5, 0x3fb8aa3b, v6, -v3
	s_delay_alu instid0(VALU_DEP_2) | instskip(NEXT) | instid1(VALU_DEP_2)
	v_sub_f32_e32 v3, v3, v4
	v_fmamk_f32 v5, v6, 0x32a5705f, v5
	v_cvt_i32_f32_e32 v4, v4
	s_delay_alu instid0(VALU_DEP_2) | instskip(NEXT) | instid1(VALU_DEP_1)
	v_add_f32_e32 v3, v3, v5
	v_exp_f32_e32 v3, v3
	s_waitcnt_depctr 0xfff
	v_ldexp_f32 v3, v3, v4
	s_delay_alu instid0(VALU_DEP_1) | instskip(SKIP_1) | instid1(VALU_DEP_2)
	v_cndmask_b32_e32 v3, 0, v3, vcc_lo
	v_cmp_nlt_f32_e32 vcc_lo, 0x42b17218, v6
	v_cndmask_b32_e32 v3, 0x7f800000, v3, vcc_lo
	s_delay_alu instid0(VALU_DEP_1) | instskip(NEXT) | instid1(VALU_DEP_1)
	v_fma_f32 v2, -v2, v3, v9
	v_bfe_u32 v3, v2, 16, 1
	v_cmp_o_f32_e32 vcc_lo, v2, v2
	s_delay_alu instid0(VALU_DEP_2) | instskip(NEXT) | instid1(VALU_DEP_1)
	v_add3_u32 v3, v2, v3, 0x7fff
	v_lshrrev_b32_e32 v3, 16, v3
	s_delay_alu instid0(VALU_DEP_1)
	v_cndmask_b32_e32 v2, 0x7fc0, v3, vcc_lo
	v_add_co_u32 v0, vcc_lo, v0, s0
	v_add_co_ci_u32_e32 v1, vcc_lo, s1, v1, vcc_lo
	global_store_b16 v[0:1], v2, off offset:128
	s_nop 0
	s_sendmsg sendmsg(MSG_DEALLOC_VGPRS)
	s_endpgm
	.section	.rodata,"a",@progbits
	.p2align	6, 0x0
	.amdhsa_kernel _ZN12_GLOBAL__N_121softmax_warp_backwardIN3c108BFloat16ES2_fLi7ELb1ELb0ELi64EEEvPT0_PKT_S7_iiiPKb
		.amdhsa_group_segment_fixed_size 0
		.amdhsa_private_segment_fixed_size 0
		.amdhsa_kernarg_size 304
		.amdhsa_user_sgpr_count 15
		.amdhsa_user_sgpr_dispatch_ptr 0
		.amdhsa_user_sgpr_queue_ptr 0
		.amdhsa_user_sgpr_kernarg_segment_ptr 1
		.amdhsa_user_sgpr_dispatch_id 0
		.amdhsa_user_sgpr_private_segment_size 0
		.amdhsa_wavefront_size32 1
		.amdhsa_uses_dynamic_stack 0
		.amdhsa_enable_private_segment 0
		.amdhsa_system_sgpr_workgroup_id_x 1
		.amdhsa_system_sgpr_workgroup_id_y 0
		.amdhsa_system_sgpr_workgroup_id_z 0
		.amdhsa_system_sgpr_workgroup_info 0
		.amdhsa_system_vgpr_workitem_id 1
		.amdhsa_next_free_vgpr 17
		.amdhsa_next_free_sgpr 16
		.amdhsa_reserve_vcc 1
		.amdhsa_float_round_mode_32 0
		.amdhsa_float_round_mode_16_64 0
		.amdhsa_float_denorm_mode_32 3
		.amdhsa_float_denorm_mode_16_64 3
		.amdhsa_dx10_clamp 1
		.amdhsa_ieee_mode 1
		.amdhsa_fp16_overflow 0
		.amdhsa_workgroup_processor_mode 1
		.amdhsa_memory_ordered 1
		.amdhsa_forward_progress 0
		.amdhsa_shared_vgpr_count 0
		.amdhsa_exception_fp_ieee_invalid_op 0
		.amdhsa_exception_fp_denorm_src 0
		.amdhsa_exception_fp_ieee_div_zero 0
		.amdhsa_exception_fp_ieee_overflow 0
		.amdhsa_exception_fp_ieee_underflow 0
		.amdhsa_exception_fp_ieee_inexact 0
		.amdhsa_exception_int_div_zero 0
	.end_amdhsa_kernel
	.section	.text._ZN12_GLOBAL__N_121softmax_warp_backwardIN3c108BFloat16ES2_fLi7ELb1ELb0ELi64EEEvPT0_PKT_S7_iiiPKb,"axG",@progbits,_ZN12_GLOBAL__N_121softmax_warp_backwardIN3c108BFloat16ES2_fLi7ELb1ELb0ELi64EEEvPT0_PKT_S7_iiiPKb,comdat
.Lfunc_end314:
	.size	_ZN12_GLOBAL__N_121softmax_warp_backwardIN3c108BFloat16ES2_fLi7ELb1ELb0ELi64EEEvPT0_PKT_S7_iiiPKb, .Lfunc_end314-_ZN12_GLOBAL__N_121softmax_warp_backwardIN3c108BFloat16ES2_fLi7ELb1ELb0ELi64EEEvPT0_PKT_S7_iiiPKb
                                        ; -- End function
	.section	.AMDGPU.csdata,"",@progbits
; Kernel info:
; codeLenInByte = 1816
; NumSgprs: 18
; NumVgprs: 17
; ScratchSize: 0
; MemoryBound: 0
; FloatMode: 240
; IeeeMode: 1
; LDSByteSize: 0 bytes/workgroup (compile time only)
; SGPRBlocks: 2
; VGPRBlocks: 2
; NumSGPRsForWavesPerEU: 18
; NumVGPRsForWavesPerEU: 17
; Occupancy: 16
; WaveLimiterHint : 0
; COMPUTE_PGM_RSRC2:SCRATCH_EN: 0
; COMPUTE_PGM_RSRC2:USER_SGPR: 15
; COMPUTE_PGM_RSRC2:TRAP_HANDLER: 0
; COMPUTE_PGM_RSRC2:TGID_X_EN: 1
; COMPUTE_PGM_RSRC2:TGID_Y_EN: 0
; COMPUTE_PGM_RSRC2:TGID_Z_EN: 0
; COMPUTE_PGM_RSRC2:TIDIG_COMP_CNT: 1
	.section	.text._ZN12_GLOBAL__N_121softmax_warp_backwardIN3c108BFloat16ES2_fLi7ELb1ELb0ELi32EEEvPT0_PKT_S7_iiiPKb,"axG",@progbits,_ZN12_GLOBAL__N_121softmax_warp_backwardIN3c108BFloat16ES2_fLi7ELb1ELb0ELi32EEEvPT0_PKT_S7_iiiPKb,comdat
	.globl	_ZN12_GLOBAL__N_121softmax_warp_backwardIN3c108BFloat16ES2_fLi7ELb1ELb0ELi32EEEvPT0_PKT_S7_iiiPKb ; -- Begin function _ZN12_GLOBAL__N_121softmax_warp_backwardIN3c108BFloat16ES2_fLi7ELb1ELb0ELi32EEEvPT0_PKT_S7_iiiPKb
	.p2align	8
	.type	_ZN12_GLOBAL__N_121softmax_warp_backwardIN3c108BFloat16ES2_fLi7ELb1ELb0ELi32EEEvPT0_PKT_S7_iiiPKb,@function
_ZN12_GLOBAL__N_121softmax_warp_backwardIN3c108BFloat16ES2_fLi7ELb1ELb0ELi32EEEvPT0_PKT_S7_iiiPKb: ; @_ZN12_GLOBAL__N_121softmax_warp_backwardIN3c108BFloat16ES2_fLi7ELb1ELb0ELi32EEEvPT0_PKT_S7_iiiPKb
; %bb.0:
	s_clause 0x1
	s_load_b32 s2, s[0:1], 0x3c
	s_load_b128 s[4:7], s[0:1], 0x18
	v_bfe_u32 v1, v0, 10, 10
	v_dual_mov_b32 v21, 0 :: v_dual_and_b32 v6, 31, v0
	s_clause 0x1
	s_load_b128 s[8:11], s[0:1], 0x0
	s_load_b64 s[0:1], s[0:1], 0x10
	v_mov_b32_e32 v10, 0
	v_mov_b32_e32 v22, 0
	s_waitcnt lgkmcnt(0)
	s_lshr_b32 s2, s2, 16
	s_delay_alu instid0(SALU_CYCLE_1) | instskip(SKIP_2) | instid1(VALU_DEP_1)
	s_mul_i32 s15, s15, s2
	v_cmp_gt_i32_e64 s2, s6, v6
	v_add_lshl_u32 v2, s15, v1, 1
	v_mad_u64_u32 v[0:1], null, v2, s5, v[6:7]
	v_sub_nc_u32_e32 v7, s4, v2
	s_delay_alu instid0(VALU_DEP_1) | instskip(NEXT) | instid1(VALU_DEP_3)
	v_cmp_lt_i32_e64 s3, 0, v7
	v_ashrrev_i32_e32 v1, 31, v0
	s_delay_alu instid0(VALU_DEP_1) | instskip(NEXT) | instid1(VALU_DEP_1)
	v_lshlrev_b64 v[0:1], 1, v[0:1]
	v_add_co_u32 v2, vcc_lo, s10, v0
	s_delay_alu instid0(VALU_DEP_2) | instskip(SKIP_3) | instid1(SALU_CYCLE_1)
	v_add_co_ci_u32_e32 v3, vcc_lo, s11, v1, vcc_lo
	v_add_co_u32 v4, vcc_lo, s0, v0
	v_add_co_ci_u32_e32 v5, vcc_lo, s1, v1, vcc_lo
	s_and_b32 s1, s3, s2
	s_and_saveexec_b32 s0, s1
	s_cbranch_execz .LBB315_2
; %bb.1:
	global_load_u16 v8, v[4:5], off
	global_load_u16 v9, v[2:3], off
	s_waitcnt vmcnt(1)
	v_lshlrev_b32_e32 v21, 16, v8
	s_waitcnt vmcnt(0)
	v_lshlrev_b32_e32 v22, 16, v9
.LBB315_2:
	s_or_b32 exec_lo, exec_lo, s0
	v_or_b32_e32 v8, 32, v6
	v_mov_b32_e32 v20, 0
	s_delay_alu instid0(VALU_DEP_2) | instskip(NEXT) | instid1(VALU_DEP_1)
	v_cmp_gt_i32_e64 s1, s6, v8
	s_and_b32 s4, s3, s1
	s_delay_alu instid0(SALU_CYCLE_1)
	s_and_saveexec_b32 s0, s4
	s_cbranch_execz .LBB315_4
; %bb.3:
	global_load_u16 v8, v[4:5], off offset:64
	global_load_u16 v9, v[2:3], off offset:64
	s_waitcnt vmcnt(1)
	v_lshlrev_b32_e32 v10, 16, v8
	s_waitcnt vmcnt(0)
	v_lshlrev_b32_e32 v20, 16, v9
.LBB315_4:
	s_or_b32 exec_lo, exec_lo, s0
	v_or_b32_e32 v8, 64, v6
	v_dual_mov_b32 v9, 0 :: v_dual_mov_b32 v18, 0
	v_mov_b32_e32 v17, 0
	s_delay_alu instid0(VALU_DEP_3) | instskip(NEXT) | instid1(VALU_DEP_1)
	v_cmp_gt_i32_e64 s0, s6, v8
	s_and_b32 s5, s3, s0
	s_delay_alu instid0(SALU_CYCLE_1)
	s_and_saveexec_b32 s4, s5
	s_cbranch_execz .LBB315_6
; %bb.5:
	global_load_u16 v8, v[4:5], off offset:128
	global_load_u16 v11, v[2:3], off offset:128
	s_waitcnt vmcnt(1)
	v_lshlrev_b32_e32 v17, 16, v8
	s_waitcnt vmcnt(0)
	v_lshlrev_b32_e32 v18, 16, v11
.LBB315_6:
	s_or_b32 exec_lo, exec_lo, s4
	v_or_b32_e32 v6, 0x60, v6
	v_mov_b32_e32 v14, 0
	s_delay_alu instid0(VALU_DEP_2) | instskip(SKIP_1) | instid1(SALU_CYCLE_1)
	v_cmp_gt_i32_e32 vcc_lo, s6, v6
	s_and_b32 s5, s3, vcc_lo
	s_and_saveexec_b32 s4, s5
	s_cbranch_execz .LBB315_8
; %bb.7:
	global_load_u16 v6, v[4:5], off offset:192
	global_load_u16 v8, v[2:3], off offset:192
	s_waitcnt vmcnt(1)
	v_lshlrev_b32_e32 v9, 16, v6
	s_waitcnt vmcnt(0)
	v_lshlrev_b32_e32 v14, 16, v8
.LBB315_8:
	s_or_b32 exec_lo, exec_lo, s4
	v_cmp_lt_i32_e64 s4, 1, v7
	v_dual_mov_b32 v6, 0 :: v_dual_mov_b32 v11, 0
	v_mov_b32_e32 v12, 0
	s_mov_b32 s7, 0
	s_delay_alu instid0(VALU_DEP_3) | instskip(NEXT) | instid1(SALU_CYCLE_1)
	s_and_b32 s5, s4, s2
	s_and_saveexec_b32 s10, s5
	s_cbranch_execz .LBB315_10
; %bb.9:
	s_lshl_b64 s[12:13], s[6:7], 1
	s_delay_alu instid0(SALU_CYCLE_1) | instskip(NEXT) | instid1(VALU_DEP_1)
	v_add_co_u32 v11, s5, v4, s12
	v_add_co_ci_u32_e64 v12, s5, s13, v5, s5
	v_add_co_u32 v15, s5, v2, s12
	s_delay_alu instid0(VALU_DEP_1)
	v_add_co_ci_u32_e64 v16, s5, s13, v3, s5
	global_load_u16 v8, v[11:12], off
	global_load_u16 v12, v[15:16], off
	s_waitcnt vmcnt(1)
	v_lshlrev_b32_e32 v11, 16, v8
	s_waitcnt vmcnt(0)
	v_lshlrev_b32_e32 v12, 16, v12
.LBB315_10:
	s_or_b32 exec_lo, exec_lo, s10
	v_mov_b32_e32 v13, 0
	s_and_b32 s5, s4, s1
	s_delay_alu instid0(SALU_CYCLE_1)
	s_and_saveexec_b32 s10, s5
	s_cbranch_execz .LBB315_12
; %bb.11:
	s_lshl_b64 s[12:13], s[6:7], 1
	s_delay_alu instid0(SALU_CYCLE_1) | instskip(NEXT) | instid1(VALU_DEP_1)
	v_add_co_u32 v15, s5, v4, s12
	v_add_co_ci_u32_e64 v16, s5, s13, v5, s5
	v_add_co_u32 v23, s5, v2, s12
	s_delay_alu instid0(VALU_DEP_1)
	v_add_co_ci_u32_e64 v24, s5, s13, v3, s5
	global_load_u16 v6, v[15:16], off offset:64
	global_load_u16 v8, v[23:24], off offset:64
	s_waitcnt vmcnt(1)
	v_lshlrev_b32_e32 v6, 16, v6
	s_waitcnt vmcnt(0)
	v_lshlrev_b32_e32 v13, 16, v8
.LBB315_12:
	s_or_b32 exec_lo, exec_lo, s10
	v_dual_mov_b32 v8, 0 :: v_dual_mov_b32 v15, 0
	v_mov_b32_e32 v16, 0
	s_and_b32 s5, s4, s0
	s_delay_alu instid0(SALU_CYCLE_1)
	s_and_saveexec_b32 s10, s5
	s_cbranch_execz .LBB315_14
; %bb.13:
	s_lshl_b64 s[12:13], s[6:7], 1
	s_delay_alu instid0(SALU_CYCLE_1) | instskip(NEXT) | instid1(VALU_DEP_1)
	v_add_co_u32 v15, s5, v4, s12
	v_add_co_ci_u32_e64 v16, s5, s13, v5, s5
	v_add_co_u32 v23, s5, v2, s12
	s_delay_alu instid0(VALU_DEP_1)
	v_add_co_ci_u32_e64 v24, s5, s13, v3, s5
	global_load_u16 v15, v[15:16], off offset:128
	global_load_u16 v16, v[23:24], off offset:128
	s_waitcnt vmcnt(1)
	v_lshlrev_b32_e32 v15, 16, v15
	s_waitcnt vmcnt(0)
	v_lshlrev_b32_e32 v16, 16, v16
.LBB315_14:
	s_or_b32 exec_lo, exec_lo, s10
	v_mov_b32_e32 v19, 0
	s_and_b32 s4, s4, vcc_lo
	s_delay_alu instid0(SALU_CYCLE_1)
	s_and_saveexec_b32 s5, s4
	s_cbranch_execz .LBB315_16
; %bb.15:
	s_lshl_b64 s[10:11], s[6:7], 1
	s_delay_alu instid0(SALU_CYCLE_1) | instskip(NEXT) | instid1(VALU_DEP_1)
	v_add_co_u32 v4, s4, v4, s10
	v_add_co_ci_u32_e64 v5, s4, s11, v5, s4
	v_add_co_u32 v2, s4, v2, s10
	s_delay_alu instid0(VALU_DEP_1)
	v_add_co_ci_u32_e64 v3, s4, s11, v3, s4
	global_load_u16 v4, v[4:5], off offset:192
	global_load_u16 v2, v[2:3], off offset:192
	s_waitcnt vmcnt(1)
	v_lshlrev_b32_e32 v8, 16, v4
	s_waitcnt vmcnt(0)
	v_lshlrev_b32_e32 v19, 16, v2
.LBB315_16:
	s_or_b32 exec_lo, exec_lo, s5
	v_mbcnt_lo_u32_b32 v3, -1, 0
	v_add_f32_e32 v4, 0, v12
	s_delay_alu instid0(VALU_DEP_2) | instskip(NEXT) | instid1(VALU_DEP_2)
	v_xor_b32_e32 v5, 16, v3
	v_add_f32_e32 v4, v4, v13
	v_xor_b32_e32 v24, 8, v3
	s_delay_alu instid0(VALU_DEP_3) | instskip(NEXT) | instid1(VALU_DEP_3)
	v_cmp_gt_i32_e64 s4, 32, v5
	v_add_f32_e32 v4, v4, v16
	s_delay_alu instid0(VALU_DEP_2) | instskip(SKIP_1) | instid1(VALU_DEP_3)
	v_cndmask_b32_e64 v5, v3, v5, s4
	v_add_f32_e32 v2, 0, v22
	v_add_f32_e32 v4, v4, v19
	v_cmp_gt_i32_e64 s4, 32, v24
	s_delay_alu instid0(VALU_DEP_3) | instskip(NEXT) | instid1(VALU_DEP_2)
	v_dual_add_f32 v2, v2, v20 :: v_dual_lshlrev_b32 v5, 2, v5
	v_cndmask_b32_e64 v24, v3, v24, s4
	s_delay_alu instid0(VALU_DEP_2) | instskip(NEXT) | instid1(VALU_DEP_2)
	v_add_f32_e32 v2, v2, v18
	v_lshlrev_b32_e32 v24, 2, v24
	s_delay_alu instid0(VALU_DEP_2)
	v_add_f32_e32 v2, v2, v14
	ds_bpermute_b32 v23, v5, v2
	ds_bpermute_b32 v5, v5, v4
	s_waitcnt lgkmcnt(1)
	v_add_f32_e32 v2, v2, v23
	s_waitcnt lgkmcnt(0)
	v_add_f32_e32 v4, v4, v5
	ds_bpermute_b32 v5, v24, v2
	ds_bpermute_b32 v23, v24, v4
	v_xor_b32_e32 v24, 4, v3
	s_delay_alu instid0(VALU_DEP_1) | instskip(NEXT) | instid1(VALU_DEP_1)
	v_cmp_gt_i32_e64 s4, 32, v24
	v_cndmask_b32_e64 v24, v3, v24, s4
	s_delay_alu instid0(VALU_DEP_1)
	v_lshlrev_b32_e32 v24, 2, v24
	s_waitcnt lgkmcnt(1)
	v_add_f32_e32 v2, v2, v5
	s_waitcnt lgkmcnt(0)
	v_add_f32_e32 v4, v4, v23
	ds_bpermute_b32 v5, v24, v2
	ds_bpermute_b32 v23, v24, v4
	v_xor_b32_e32 v24, 2, v3
	s_delay_alu instid0(VALU_DEP_1) | instskip(NEXT) | instid1(VALU_DEP_1)
	v_cmp_gt_i32_e64 s4, 32, v24
	v_cndmask_b32_e64 v24, v3, v24, s4
	s_delay_alu instid0(VALU_DEP_1)
	v_lshlrev_b32_e32 v24, 2, v24
	s_waitcnt lgkmcnt(0)
	v_dual_add_f32 v2, v2, v5 :: v_dual_add_f32 v5, v4, v23
	ds_bpermute_b32 v4, v24, v2
	ds_bpermute_b32 v23, v24, v5
	v_xor_b32_e32 v24, 1, v3
	s_delay_alu instid0(VALU_DEP_1) | instskip(NEXT) | instid1(VALU_DEP_1)
	v_cmp_gt_i32_e64 s4, 32, v24
	v_cndmask_b32_e64 v3, v3, v24, s4
	s_waitcnt lgkmcnt(1)
	s_delay_alu instid0(VALU_DEP_1)
	v_dual_add_f32 v4, v2, v4 :: v_dual_lshlrev_b32 v3, 2, v3
	s_waitcnt lgkmcnt(0)
	v_add_f32_e32 v2, v5, v23
	ds_bpermute_b32 v5, v3, v4
	ds_bpermute_b32 v3, v3, v2
	s_and_saveexec_b32 s4, s3
	s_cbranch_execz .LBB315_22
; %bb.17:
	v_add_co_u32 v0, s3, s8, v0
	s_delay_alu instid0(VALU_DEP_1)
	v_add_co_ci_u32_e64 v1, s3, s9, v1, s3
	s_waitcnt lgkmcnt(1)
	v_add_f32_e32 v4, v4, v5
	s_and_saveexec_b32 s4, s2
	s_cbranch_execnz .LBB315_23
; %bb.18:
	s_or_b32 exec_lo, exec_lo, s4
	s_and_saveexec_b32 s4, s1
	s_cbranch_execnz .LBB315_24
.LBB315_19:
	s_or_b32 exec_lo, exec_lo, s4
	s_and_saveexec_b32 s4, s0
	s_cbranch_execnz .LBB315_25
.LBB315_20:
	s_or_b32 exec_lo, exec_lo, s4
	s_and_saveexec_b32 s4, vcc_lo
	s_cbranch_execnz .LBB315_26
.LBB315_21:
	s_or_b32 exec_lo, exec_lo, s4
	v_cmp_ne_u32_e64 s3, 1, v7
	s_delay_alu instid0(VALU_DEP_1)
	s_and_b32 exec_lo, exec_lo, s3
	s_cbranch_execnz .LBB315_27
.LBB315_22:
	s_nop 0
	s_sendmsg sendmsg(MSG_DEALLOC_VGPRS)
	s_endpgm
.LBB315_23:
	v_mul_f32_e32 v5, 0x3fb8aa3b, v21
	v_cmp_ngt_f32_e64 s3, 0xc2ce8ed0, v21
	s_delay_alu instid0(VALU_DEP_2) | instskip(SKIP_1) | instid1(VALU_DEP_2)
	v_rndne_f32_e32 v23, v5
	v_fma_f32 v24, 0x3fb8aa3b, v21, -v5
	v_sub_f32_e32 v5, v5, v23
	s_delay_alu instid0(VALU_DEP_2) | instskip(SKIP_1) | instid1(VALU_DEP_2)
	v_fmamk_f32 v24, v21, 0x32a5705f, v24
	v_cvt_i32_f32_e32 v23, v23
	v_add_f32_e32 v5, v5, v24
	s_delay_alu instid0(VALU_DEP_1) | instskip(SKIP_2) | instid1(VALU_DEP_1)
	v_exp_f32_e32 v5, v5
	s_waitcnt_depctr 0xfff
	v_ldexp_f32 v5, v5, v23
	v_cndmask_b32_e64 v5, 0, v5, s3
	v_cmp_nlt_f32_e64 s3, 0x42b17218, v21
	s_delay_alu instid0(VALU_DEP_1) | instskip(NEXT) | instid1(VALU_DEP_1)
	v_cndmask_b32_e64 v5, 0x7f800000, v5, s3
	v_fma_f32 v5, -v4, v5, v22
	s_delay_alu instid0(VALU_DEP_1) | instskip(SKIP_1) | instid1(VALU_DEP_2)
	v_bfe_u32 v21, v5, 16, 1
	v_cmp_o_f32_e64 s3, v5, v5
	v_add3_u32 v21, v5, v21, 0x7fff
	s_delay_alu instid0(VALU_DEP_1) | instskip(NEXT) | instid1(VALU_DEP_1)
	v_lshrrev_b32_e32 v21, 16, v21
	v_cndmask_b32_e64 v5, 0x7fc0, v21, s3
	global_store_b16 v[0:1], v5, off
	s_or_b32 exec_lo, exec_lo, s4
	s_and_saveexec_b32 s4, s1
	s_cbranch_execz .LBB315_19
.LBB315_24:
	v_mul_f32_e32 v5, 0x3fb8aa3b, v10
	v_cmp_ngt_f32_e64 s3, 0xc2ce8ed0, v10
	s_delay_alu instid0(VALU_DEP_2) | instskip(SKIP_1) | instid1(VALU_DEP_1)
	v_rndne_f32_e32 v21, v5
	v_fma_f32 v22, 0x3fb8aa3b, v10, -v5
	v_dual_sub_f32 v5, v5, v21 :: v_dual_fmamk_f32 v22, v10, 0x32a5705f, v22
	v_cvt_i32_f32_e32 v21, v21
	s_delay_alu instid0(VALU_DEP_2) | instskip(NEXT) | instid1(VALU_DEP_1)
	v_add_f32_e32 v5, v5, v22
	v_exp_f32_e32 v5, v5
	s_waitcnt_depctr 0xfff
	v_ldexp_f32 v5, v5, v21
	s_delay_alu instid0(VALU_DEP_1) | instskip(SKIP_1) | instid1(VALU_DEP_1)
	v_cndmask_b32_e64 v5, 0, v5, s3
	v_cmp_nlt_f32_e64 s3, 0x42b17218, v10
	v_cndmask_b32_e64 v5, 0x7f800000, v5, s3
	s_delay_alu instid0(VALU_DEP_1) | instskip(NEXT) | instid1(VALU_DEP_1)
	v_fma_f32 v5, -v4, v5, v20
	v_bfe_u32 v10, v5, 16, 1
	v_cmp_o_f32_e64 s3, v5, v5
	s_delay_alu instid0(VALU_DEP_2) | instskip(NEXT) | instid1(VALU_DEP_1)
	v_add3_u32 v10, v5, v10, 0x7fff
	v_lshrrev_b32_e32 v10, 16, v10
	s_delay_alu instid0(VALU_DEP_1)
	v_cndmask_b32_e64 v5, 0x7fc0, v10, s3
	global_store_b16 v[0:1], v5, off offset:64
	s_or_b32 exec_lo, exec_lo, s4
	s_and_saveexec_b32 s4, s0
	s_cbranch_execz .LBB315_20
.LBB315_25:
	v_mul_f32_e32 v5, 0x3fb8aa3b, v17
	v_cmp_ngt_f32_e64 s3, 0xc2ce8ed0, v17
	s_delay_alu instid0(VALU_DEP_2) | instskip(SKIP_1) | instid1(VALU_DEP_2)
	v_rndne_f32_e32 v10, v5
	v_fma_f32 v20, 0x3fb8aa3b, v17, -v5
	v_sub_f32_e32 v5, v5, v10
	s_delay_alu instid0(VALU_DEP_2) | instskip(SKIP_1) | instid1(VALU_DEP_2)
	v_fmamk_f32 v20, v17, 0x32a5705f, v20
	v_cvt_i32_f32_e32 v10, v10
	v_add_f32_e32 v5, v5, v20
	s_delay_alu instid0(VALU_DEP_1) | instskip(SKIP_2) | instid1(VALU_DEP_1)
	v_exp_f32_e32 v5, v5
	s_waitcnt_depctr 0xfff
	v_ldexp_f32 v5, v5, v10
	v_cndmask_b32_e64 v5, 0, v5, s3
	v_cmp_nlt_f32_e64 s3, 0x42b17218, v17
	s_delay_alu instid0(VALU_DEP_1) | instskip(NEXT) | instid1(VALU_DEP_1)
	v_cndmask_b32_e64 v5, 0x7f800000, v5, s3
	v_fma_f32 v5, -v4, v5, v18
	s_delay_alu instid0(VALU_DEP_1) | instskip(SKIP_1) | instid1(VALU_DEP_2)
	v_bfe_u32 v10, v5, 16, 1
	v_cmp_o_f32_e64 s3, v5, v5
	v_add3_u32 v10, v5, v10, 0x7fff
	s_delay_alu instid0(VALU_DEP_1) | instskip(NEXT) | instid1(VALU_DEP_1)
	v_lshrrev_b32_e32 v10, 16, v10
	v_cndmask_b32_e64 v5, 0x7fc0, v10, s3
	global_store_b16 v[0:1], v5, off offset:128
	s_or_b32 exec_lo, exec_lo, s4
	s_and_saveexec_b32 s4, vcc_lo
	s_cbranch_execz .LBB315_21
.LBB315_26:
	v_mul_f32_e32 v5, 0x3fb8aa3b, v9
	v_cmp_ngt_f32_e64 s3, 0xc2ce8ed0, v9
	s_delay_alu instid0(VALU_DEP_2) | instskip(SKIP_1) | instid1(VALU_DEP_2)
	v_rndne_f32_e32 v10, v5
	v_fma_f32 v17, 0x3fb8aa3b, v9, -v5
	v_sub_f32_e32 v5, v5, v10
	s_delay_alu instid0(VALU_DEP_2) | instskip(SKIP_1) | instid1(VALU_DEP_2)
	v_fmamk_f32 v17, v9, 0x32a5705f, v17
	v_cvt_i32_f32_e32 v10, v10
	v_add_f32_e32 v5, v5, v17
	s_delay_alu instid0(VALU_DEP_1) | instskip(SKIP_2) | instid1(VALU_DEP_1)
	v_exp_f32_e32 v5, v5
	s_waitcnt_depctr 0xfff
	v_ldexp_f32 v5, v5, v10
	v_cndmask_b32_e64 v5, 0, v5, s3
	v_cmp_nlt_f32_e64 s3, 0x42b17218, v9
	s_delay_alu instid0(VALU_DEP_1) | instskip(NEXT) | instid1(VALU_DEP_1)
	v_cndmask_b32_e64 v5, 0x7f800000, v5, s3
	v_fma_f32 v4, -v4, v5, v14
	s_delay_alu instid0(VALU_DEP_1) | instskip(SKIP_1) | instid1(VALU_DEP_2)
	v_bfe_u32 v5, v4, 16, 1
	v_cmp_o_f32_e64 s3, v4, v4
	v_add3_u32 v5, v4, v5, 0x7fff
	s_delay_alu instid0(VALU_DEP_1) | instskip(NEXT) | instid1(VALU_DEP_1)
	v_lshrrev_b32_e32 v5, 16, v5
	v_cndmask_b32_e64 v4, 0x7fc0, v5, s3
	global_store_b16 v[0:1], v4, off offset:192
	s_or_b32 exec_lo, exec_lo, s4
	v_cmp_ne_u32_e64 s3, 1, v7
	s_delay_alu instid0(VALU_DEP_1)
	s_and_b32 exec_lo, exec_lo, s3
	s_cbranch_execz .LBB315_22
.LBB315_27:
	s_ashr_i32 s7, s6, 31
	s_waitcnt lgkmcnt(0)
	v_add_f32_e32 v2, v2, v3
	s_lshl_b64 s[4:5], s[6:7], 1
	s_delay_alu instid0(SALU_CYCLE_1) | instskip(NEXT) | instid1(VALU_DEP_1)
	v_add_co_u32 v0, s3, v0, s4
	v_add_co_ci_u32_e64 v1, s3, s5, v1, s3
	s_and_saveexec_b32 s3, s2
	s_cbranch_execnz .LBB315_31
; %bb.28:
	s_or_b32 exec_lo, exec_lo, s3
	s_and_saveexec_b32 s2, s1
	s_cbranch_execnz .LBB315_32
.LBB315_29:
	s_or_b32 exec_lo, exec_lo, s2
	s_and_saveexec_b32 s1, s0
	s_cbranch_execnz .LBB315_33
.LBB315_30:
	s_or_b32 exec_lo, exec_lo, s1
	s_delay_alu instid0(SALU_CYCLE_1)
	s_and_b32 exec_lo, exec_lo, vcc_lo
	s_cbranch_execz .LBB315_22
	s_branch .LBB315_34
.LBB315_31:
	v_mul_f32_e32 v3, 0x3fb8aa3b, v11
	v_cmp_ngt_f32_e64 s2, 0xc2ce8ed0, v11
	s_delay_alu instid0(VALU_DEP_2) | instskip(SKIP_1) | instid1(VALU_DEP_2)
	v_rndne_f32_e32 v4, v3
	v_fma_f32 v5, 0x3fb8aa3b, v11, -v3
	v_sub_f32_e32 v3, v3, v4
	s_delay_alu instid0(VALU_DEP_2) | instskip(SKIP_1) | instid1(VALU_DEP_2)
	v_fmamk_f32 v5, v11, 0x32a5705f, v5
	v_cvt_i32_f32_e32 v4, v4
	v_add_f32_e32 v3, v3, v5
	s_delay_alu instid0(VALU_DEP_1) | instskip(SKIP_2) | instid1(VALU_DEP_1)
	v_exp_f32_e32 v3, v3
	s_waitcnt_depctr 0xfff
	v_ldexp_f32 v3, v3, v4
	v_cndmask_b32_e64 v3, 0, v3, s2
	v_cmp_nlt_f32_e64 s2, 0x42b17218, v11
	s_delay_alu instid0(VALU_DEP_1) | instskip(NEXT) | instid1(VALU_DEP_1)
	v_cndmask_b32_e64 v3, 0x7f800000, v3, s2
	v_fma_f32 v3, -v2, v3, v12
	s_delay_alu instid0(VALU_DEP_1) | instskip(SKIP_1) | instid1(VALU_DEP_2)
	v_bfe_u32 v4, v3, 16, 1
	v_cmp_o_f32_e64 s2, v3, v3
	v_add3_u32 v4, v3, v4, 0x7fff
	s_delay_alu instid0(VALU_DEP_1) | instskip(NEXT) | instid1(VALU_DEP_1)
	v_lshrrev_b32_e32 v4, 16, v4
	v_cndmask_b32_e64 v3, 0x7fc0, v4, s2
	global_store_b16 v[0:1], v3, off
	s_or_b32 exec_lo, exec_lo, s3
	s_and_saveexec_b32 s2, s1
	s_cbranch_execz .LBB315_29
.LBB315_32:
	v_mul_f32_e32 v3, 0x3fb8aa3b, v6
	v_cmp_ngt_f32_e64 s1, 0xc2ce8ed0, v6
	s_delay_alu instid0(VALU_DEP_2) | instskip(SKIP_1) | instid1(VALU_DEP_2)
	v_rndne_f32_e32 v4, v3
	v_fma_f32 v5, 0x3fb8aa3b, v6, -v3
	v_sub_f32_e32 v3, v3, v4
	s_delay_alu instid0(VALU_DEP_2) | instskip(SKIP_1) | instid1(VALU_DEP_2)
	v_fmamk_f32 v5, v6, 0x32a5705f, v5
	v_cvt_i32_f32_e32 v4, v4
	v_add_f32_e32 v3, v3, v5
	s_delay_alu instid0(VALU_DEP_1) | instskip(SKIP_2) | instid1(VALU_DEP_1)
	v_exp_f32_e32 v3, v3
	s_waitcnt_depctr 0xfff
	v_ldexp_f32 v3, v3, v4
	v_cndmask_b32_e64 v3, 0, v3, s1
	v_cmp_nlt_f32_e64 s1, 0x42b17218, v6
	s_delay_alu instid0(VALU_DEP_1) | instskip(NEXT) | instid1(VALU_DEP_1)
	v_cndmask_b32_e64 v3, 0x7f800000, v3, s1
	v_fma_f32 v3, -v2, v3, v13
	s_delay_alu instid0(VALU_DEP_1) | instskip(SKIP_1) | instid1(VALU_DEP_2)
	v_bfe_u32 v4, v3, 16, 1
	v_cmp_o_f32_e64 s1, v3, v3
	v_add3_u32 v4, v3, v4, 0x7fff
	s_delay_alu instid0(VALU_DEP_1) | instskip(NEXT) | instid1(VALU_DEP_1)
	v_lshrrev_b32_e32 v4, 16, v4
	v_cndmask_b32_e64 v3, 0x7fc0, v4, s1
	global_store_b16 v[0:1], v3, off offset:64
	s_or_b32 exec_lo, exec_lo, s2
	s_and_saveexec_b32 s1, s0
	s_cbranch_execz .LBB315_30
.LBB315_33:
	v_mul_f32_e32 v3, 0x3fb8aa3b, v15
	v_cmp_ngt_f32_e64 s0, 0xc2ce8ed0, v15
	s_delay_alu instid0(VALU_DEP_2) | instskip(SKIP_1) | instid1(VALU_DEP_2)
	v_rndne_f32_e32 v4, v3
	v_fma_f32 v5, 0x3fb8aa3b, v15, -v3
	v_sub_f32_e32 v3, v3, v4
	s_delay_alu instid0(VALU_DEP_2) | instskip(SKIP_1) | instid1(VALU_DEP_2)
	v_fmamk_f32 v5, v15, 0x32a5705f, v5
	v_cvt_i32_f32_e32 v4, v4
	v_add_f32_e32 v3, v3, v5
	s_delay_alu instid0(VALU_DEP_1) | instskip(SKIP_2) | instid1(VALU_DEP_1)
	v_exp_f32_e32 v3, v3
	s_waitcnt_depctr 0xfff
	v_ldexp_f32 v3, v3, v4
	v_cndmask_b32_e64 v3, 0, v3, s0
	v_cmp_nlt_f32_e64 s0, 0x42b17218, v15
	s_delay_alu instid0(VALU_DEP_1) | instskip(NEXT) | instid1(VALU_DEP_1)
	v_cndmask_b32_e64 v3, 0x7f800000, v3, s0
	v_fma_f32 v3, -v2, v3, v16
	s_delay_alu instid0(VALU_DEP_1) | instskip(SKIP_1) | instid1(VALU_DEP_2)
	v_bfe_u32 v4, v3, 16, 1
	v_cmp_o_f32_e64 s0, v3, v3
	v_add3_u32 v4, v3, v4, 0x7fff
	s_delay_alu instid0(VALU_DEP_1) | instskip(NEXT) | instid1(VALU_DEP_1)
	v_lshrrev_b32_e32 v4, 16, v4
	v_cndmask_b32_e64 v3, 0x7fc0, v4, s0
	global_store_b16 v[0:1], v3, off offset:128
	s_or_b32 exec_lo, exec_lo, s1
	s_delay_alu instid0(SALU_CYCLE_1)
	s_and_b32 exec_lo, exec_lo, vcc_lo
	s_cbranch_execz .LBB315_22
.LBB315_34:
	v_mul_f32_e32 v3, 0x3fb8aa3b, v8
	v_cmp_ngt_f32_e32 vcc_lo, 0xc2ce8ed0, v8
	s_delay_alu instid0(VALU_DEP_2) | instskip(SKIP_1) | instid1(VALU_DEP_2)
	v_rndne_f32_e32 v4, v3
	v_fma_f32 v5, 0x3fb8aa3b, v8, -v3
	v_sub_f32_e32 v3, v3, v4
	s_delay_alu instid0(VALU_DEP_2) | instskip(SKIP_1) | instid1(VALU_DEP_2)
	v_fmamk_f32 v5, v8, 0x32a5705f, v5
	v_cvt_i32_f32_e32 v4, v4
	v_add_f32_e32 v3, v3, v5
	s_delay_alu instid0(VALU_DEP_1) | instskip(SKIP_2) | instid1(VALU_DEP_1)
	v_exp_f32_e32 v3, v3
	s_waitcnt_depctr 0xfff
	v_ldexp_f32 v3, v3, v4
	v_cndmask_b32_e32 v3, 0, v3, vcc_lo
	v_cmp_nlt_f32_e32 vcc_lo, 0x42b17218, v8
	s_delay_alu instid0(VALU_DEP_2) | instskip(NEXT) | instid1(VALU_DEP_1)
	v_cndmask_b32_e32 v3, 0x7f800000, v3, vcc_lo
	v_fma_f32 v2, -v2, v3, v19
	s_delay_alu instid0(VALU_DEP_1) | instskip(SKIP_1) | instid1(VALU_DEP_2)
	v_bfe_u32 v3, v2, 16, 1
	v_cmp_o_f32_e32 vcc_lo, v2, v2
	v_add3_u32 v3, v2, v3, 0x7fff
	s_delay_alu instid0(VALU_DEP_1) | instskip(NEXT) | instid1(VALU_DEP_1)
	v_lshrrev_b32_e32 v3, 16, v3
	v_cndmask_b32_e32 v2, 0x7fc0, v3, vcc_lo
	global_store_b16 v[0:1], v2, off offset:192
	s_nop 0
	s_sendmsg sendmsg(MSG_DEALLOC_VGPRS)
	s_endpgm
	.section	.rodata,"a",@progbits
	.p2align	6, 0x0
	.amdhsa_kernel _ZN12_GLOBAL__N_121softmax_warp_backwardIN3c108BFloat16ES2_fLi7ELb1ELb0ELi32EEEvPT0_PKT_S7_iiiPKb
		.amdhsa_group_segment_fixed_size 0
		.amdhsa_private_segment_fixed_size 0
		.amdhsa_kernarg_size 304
		.amdhsa_user_sgpr_count 15
		.amdhsa_user_sgpr_dispatch_ptr 0
		.amdhsa_user_sgpr_queue_ptr 0
		.amdhsa_user_sgpr_kernarg_segment_ptr 1
		.amdhsa_user_sgpr_dispatch_id 0
		.amdhsa_user_sgpr_private_segment_size 0
		.amdhsa_wavefront_size32 1
		.amdhsa_uses_dynamic_stack 0
		.amdhsa_enable_private_segment 0
		.amdhsa_system_sgpr_workgroup_id_x 1
		.amdhsa_system_sgpr_workgroup_id_y 0
		.amdhsa_system_sgpr_workgroup_id_z 0
		.amdhsa_system_sgpr_workgroup_info 0
		.amdhsa_system_vgpr_workitem_id 1
		.amdhsa_next_free_vgpr 25
		.amdhsa_next_free_sgpr 16
		.amdhsa_reserve_vcc 1
		.amdhsa_float_round_mode_32 0
		.amdhsa_float_round_mode_16_64 0
		.amdhsa_float_denorm_mode_32 3
		.amdhsa_float_denorm_mode_16_64 3
		.amdhsa_dx10_clamp 1
		.amdhsa_ieee_mode 1
		.amdhsa_fp16_overflow 0
		.amdhsa_workgroup_processor_mode 1
		.amdhsa_memory_ordered 1
		.amdhsa_forward_progress 0
		.amdhsa_shared_vgpr_count 0
		.amdhsa_exception_fp_ieee_invalid_op 0
		.amdhsa_exception_fp_denorm_src 0
		.amdhsa_exception_fp_ieee_div_zero 0
		.amdhsa_exception_fp_ieee_overflow 0
		.amdhsa_exception_fp_ieee_underflow 0
		.amdhsa_exception_fp_ieee_inexact 0
		.amdhsa_exception_int_div_zero 0
	.end_amdhsa_kernel
	.section	.text._ZN12_GLOBAL__N_121softmax_warp_backwardIN3c108BFloat16ES2_fLi7ELb1ELb0ELi32EEEvPT0_PKT_S7_iiiPKb,"axG",@progbits,_ZN12_GLOBAL__N_121softmax_warp_backwardIN3c108BFloat16ES2_fLi7ELb1ELb0ELi32EEEvPT0_PKT_S7_iiiPKb,comdat
.Lfunc_end315:
	.size	_ZN12_GLOBAL__N_121softmax_warp_backwardIN3c108BFloat16ES2_fLi7ELb1ELb0ELi32EEEvPT0_PKT_S7_iiiPKb, .Lfunc_end315-_ZN12_GLOBAL__N_121softmax_warp_backwardIN3c108BFloat16ES2_fLi7ELb1ELb0ELi32EEEvPT0_PKT_S7_iiiPKb
                                        ; -- End function
	.section	.AMDGPU.csdata,"",@progbits
; Kernel info:
; codeLenInByte = 3004
; NumSgprs: 18
; NumVgprs: 25
; ScratchSize: 0
; MemoryBound: 0
; FloatMode: 240
; IeeeMode: 1
; LDSByteSize: 0 bytes/workgroup (compile time only)
; SGPRBlocks: 2
; VGPRBlocks: 3
; NumSGPRsForWavesPerEU: 18
; NumVGPRsForWavesPerEU: 25
; Occupancy: 16
; WaveLimiterHint : 0
; COMPUTE_PGM_RSRC2:SCRATCH_EN: 0
; COMPUTE_PGM_RSRC2:USER_SGPR: 15
; COMPUTE_PGM_RSRC2:TRAP_HANDLER: 0
; COMPUTE_PGM_RSRC2:TGID_X_EN: 1
; COMPUTE_PGM_RSRC2:TGID_Y_EN: 0
; COMPUTE_PGM_RSRC2:TGID_Z_EN: 0
; COMPUTE_PGM_RSRC2:TIDIG_COMP_CNT: 1
	.section	.text._ZN12_GLOBAL__N_121softmax_warp_backwardIN3c108BFloat16ES2_fLi8ELb1ELb0ELi64EEEvPT0_PKT_S7_iiiPKb,"axG",@progbits,_ZN12_GLOBAL__N_121softmax_warp_backwardIN3c108BFloat16ES2_fLi8ELb1ELb0ELi64EEEvPT0_PKT_S7_iiiPKb,comdat
	.globl	_ZN12_GLOBAL__N_121softmax_warp_backwardIN3c108BFloat16ES2_fLi8ELb1ELb0ELi64EEEvPT0_PKT_S7_iiiPKb ; -- Begin function _ZN12_GLOBAL__N_121softmax_warp_backwardIN3c108BFloat16ES2_fLi8ELb1ELb0ELi64EEEvPT0_PKT_S7_iiiPKb
	.p2align	8
	.type	_ZN12_GLOBAL__N_121softmax_warp_backwardIN3c108BFloat16ES2_fLi8ELb1ELb0ELi64EEEvPT0_PKT_S7_iiiPKb,@function
_ZN12_GLOBAL__N_121softmax_warp_backwardIN3c108BFloat16ES2_fLi8ELb1ELb0ELi64EEEvPT0_PKT_S7_iiiPKb: ; @_ZN12_GLOBAL__N_121softmax_warp_backwardIN3c108BFloat16ES2_fLi8ELb1ELb0ELi64EEEvPT0_PKT_S7_iiiPKb
; %bb.0:
	s_clause 0x1
	s_load_b32 s2, s[0:1], 0x3c
	s_load_b128 s[8:11], s[0:1], 0x18
	v_bfe_u32 v1, v0, 10, 10
	s_clause 0x1
	s_load_b128 s[4:7], s[0:1], 0x0
	s_load_b64 s[0:1], s[0:1], 0x10
	v_dual_mov_b32 v8, 0 :: v_dual_mov_b32 v13, 0
	v_mov_b32_e32 v11, 0
	s_waitcnt lgkmcnt(0)
	s_lshr_b32 s2, s2, 16
	s_delay_alu instid0(SALU_CYCLE_1) | instskip(SKIP_1) | instid1(VALU_DEP_1)
	v_mad_u64_u32 v[3:4], null, s15, s2, v[1:2]
	v_and_b32_e32 v2, 63, v0
	v_cmp_gt_i32_e64 s2, s10, v2
	s_delay_alu instid0(VALU_DEP_3) | instskip(SKIP_1) | instid1(VALU_DEP_1)
	v_mad_u64_u32 v[0:1], null, v3, s9, v[2:3]
	v_sub_nc_u32_e32 v14, s8, v3
	v_cmp_lt_i32_e64 s3, 0, v14
	s_delay_alu instid0(VALU_DEP_3) | instskip(NEXT) | instid1(VALU_DEP_1)
	v_ashrrev_i32_e32 v1, 31, v0
	v_lshlrev_b64 v[0:1], 1, v[0:1]
	s_delay_alu instid0(VALU_DEP_1) | instskip(NEXT) | instid1(VALU_DEP_2)
	v_add_co_u32 v3, vcc_lo, s6, v0
	v_add_co_ci_u32_e32 v4, vcc_lo, s7, v1, vcc_lo
	v_add_co_u32 v5, vcc_lo, s0, v0
	v_add_co_ci_u32_e32 v6, vcc_lo, s1, v1, vcc_lo
	s_and_b32 s1, s3, s2
	s_delay_alu instid0(SALU_CYCLE_1)
	s_and_saveexec_b32 s0, s1
	s_cbranch_execz .LBB316_2
; %bb.1:
	global_load_u16 v7, v[3:4], off
	global_load_u16 v9, v[5:6], off
	s_waitcnt vmcnt(1)
	v_lshlrev_b32_e32 v11, 16, v7
	s_waitcnt vmcnt(0)
	v_lshlrev_b32_e32 v13, 16, v9
.LBB316_2:
	s_or_b32 exec_lo, exec_lo, s0
	v_or_b32_e32 v7, 64, v2
	v_mov_b32_e32 v12, 0
	s_delay_alu instid0(VALU_DEP_2) | instskip(NEXT) | instid1(VALU_DEP_1)
	v_cmp_gt_i32_e64 s1, s10, v7
	s_and_b32 s6, s3, s1
	s_delay_alu instid0(SALU_CYCLE_1)
	s_and_saveexec_b32 s0, s6
	s_cbranch_execz .LBB316_4
; %bb.3:
	global_load_u16 v7, v[3:4], off offset:128
	global_load_u16 v9, v[5:6], off offset:128
	s_waitcnt vmcnt(1)
	v_lshlrev_b32_e32 v8, 16, v7
	s_waitcnt vmcnt(0)
	v_lshlrev_b32_e32 v12, 16, v9
.LBB316_4:
	s_or_b32 exec_lo, exec_lo, s0
	v_or_b32_e32 v7, 0x80, v2
	v_dual_mov_b32 v9, 0 :: v_dual_mov_b32 v10, 0
	s_delay_alu instid0(VALU_DEP_2) | instskip(SKIP_1) | instid1(VALU_DEP_2)
	v_cmp_gt_i32_e64 s0, s10, v7
	v_mov_b32_e32 v7, 0
	s_and_b32 s7, s3, s0
	s_delay_alu instid0(SALU_CYCLE_1)
	s_and_saveexec_b32 s6, s7
	s_cbranch_execz .LBB316_6
; %bb.5:
	global_load_u16 v9, v[3:4], off offset:256
	global_load_u16 v10, v[5:6], off offset:256
	s_waitcnt vmcnt(1)
	v_lshlrev_b32_e32 v9, 16, v9
	s_waitcnt vmcnt(0)
	v_lshlrev_b32_e32 v10, 16, v10
.LBB316_6:
	s_or_b32 exec_lo, exec_lo, s6
	v_or_b32_e32 v2, 0xc0, v2
	s_delay_alu instid0(VALU_DEP_1) | instskip(SKIP_2) | instid1(SALU_CYCLE_1)
	v_cmp_gt_i32_e32 vcc_lo, s10, v2
	v_mov_b32_e32 v2, 0
	s_and_b32 s6, s3, vcc_lo
	s_and_saveexec_b32 s3, s6
	s_cbranch_execz .LBB316_8
; %bb.7:
	global_load_u16 v2, v[3:4], off offset:384
	global_load_u16 v3, v[5:6], off offset:384
	s_waitcnt vmcnt(1)
	v_lshlrev_b32_e32 v7, 16, v2
	s_waitcnt vmcnt(0)
	v_lshlrev_b32_e32 v2, 16, v3
.LBB316_8:
	s_or_b32 exec_lo, exec_lo, s3
	v_mbcnt_lo_u32_b32 v4, -1, 0
	s_mov_b32 s6, exec_lo
	s_delay_alu instid0(VALU_DEP_1) | instskip(SKIP_1) | instid1(VALU_DEP_2)
	v_or_b32_e32 v5, 32, v4
	v_xor_b32_e32 v6, 16, v4
	v_cmp_gt_i32_e64 s3, 64, v5
	s_delay_alu instid0(VALU_DEP_1) | instskip(NEXT) | instid1(VALU_DEP_3)
	v_cndmask_b32_e64 v5, v4, v5, s3
	v_cmp_gt_i32_e64 s3, 64, v6
	s_delay_alu instid0(VALU_DEP_2) | instskip(NEXT) | instid1(VALU_DEP_2)
	v_lshlrev_b32_e32 v5, 2, v5
	v_cndmask_b32_e64 v6, v4, v6, s3
	s_delay_alu instid0(VALU_DEP_1) | instskip(NEXT) | instid1(VALU_DEP_1)
	v_dual_add_f32 v3, 0, v11 :: v_dual_lshlrev_b32 v6, 2, v6
	v_add_f32_e32 v3, v3, v8
	s_delay_alu instid0(VALU_DEP_1) | instskip(NEXT) | instid1(VALU_DEP_1)
	v_add_f32_e32 v3, v3, v9
	v_add_f32_e32 v3, v3, v7
	ds_bpermute_b32 v5, v5, v3
	s_waitcnt lgkmcnt(0)
	v_add_f32_e32 v3, v3, v5
	ds_bpermute_b32 v5, v6, v3
	v_xor_b32_e32 v6, 8, v4
	s_delay_alu instid0(VALU_DEP_1) | instskip(NEXT) | instid1(VALU_DEP_1)
	v_cmp_gt_i32_e64 s3, 64, v6
	v_cndmask_b32_e64 v6, v4, v6, s3
	s_waitcnt lgkmcnt(0)
	s_delay_alu instid0(VALU_DEP_1) | instskip(SKIP_2) | instid1(VALU_DEP_1)
	v_dual_add_f32 v3, v3, v5 :: v_dual_lshlrev_b32 v6, 2, v6
	ds_bpermute_b32 v5, v6, v3
	v_xor_b32_e32 v6, 4, v4
	v_cmp_gt_i32_e64 s3, 64, v6
	s_delay_alu instid0(VALU_DEP_1) | instskip(SKIP_1) | instid1(VALU_DEP_1)
	v_cndmask_b32_e64 v6, v4, v6, s3
	s_waitcnt lgkmcnt(0)
	v_dual_add_f32 v3, v3, v5 :: v_dual_lshlrev_b32 v6, 2, v6
	ds_bpermute_b32 v5, v6, v3
	v_xor_b32_e32 v6, 2, v4
	s_delay_alu instid0(VALU_DEP_1) | instskip(NEXT) | instid1(VALU_DEP_1)
	v_cmp_gt_i32_e64 s3, 64, v6
	v_cndmask_b32_e64 v6, v4, v6, s3
	s_waitcnt lgkmcnt(0)
	s_delay_alu instid0(VALU_DEP_1) | instskip(SKIP_2) | instid1(VALU_DEP_1)
	v_dual_add_f32 v3, v3, v5 :: v_dual_lshlrev_b32 v6, 2, v6
	ds_bpermute_b32 v5, v6, v3
	v_xor_b32_e32 v6, 1, v4
	v_cmp_gt_i32_e64 s3, 64, v6
	s_delay_alu instid0(VALU_DEP_1) | instskip(SKIP_1) | instid1(VALU_DEP_1)
	v_cndmask_b32_e64 v4, v4, v6, s3
	s_waitcnt lgkmcnt(0)
	v_dual_add_f32 v3, v3, v5 :: v_dual_lshlrev_b32 v4, 2, v4
	ds_bpermute_b32 v4, v4, v3
	v_cmpx_lt_i32_e32 0, v14
	s_cbranch_execz .LBB316_14
; %bb.9:
	v_add_co_u32 v0, s3, s4, v0
	s_delay_alu instid0(VALU_DEP_1)
	v_add_co_ci_u32_e64 v1, s3, s5, v1, s3
	s_waitcnt lgkmcnt(0)
	v_add_f32_e32 v3, v3, v4
	s_and_saveexec_b32 s3, s2
	s_cbranch_execnz .LBB316_15
; %bb.10:
	s_or_b32 exec_lo, exec_lo, s3
	s_and_saveexec_b32 s2, s1
	s_cbranch_execnz .LBB316_16
.LBB316_11:
	s_or_b32 exec_lo, exec_lo, s2
	s_and_saveexec_b32 s1, s0
	s_cbranch_execnz .LBB316_17
.LBB316_12:
	s_or_b32 exec_lo, exec_lo, s1
	s_delay_alu instid0(SALU_CYCLE_1)
	s_and_b32 exec_lo, exec_lo, vcc_lo
	s_cbranch_execz .LBB316_14
.LBB316_13:
	v_mul_f32_e32 v4, 0x3fb8aa3b, v2
	v_cmp_ngt_f32_e32 vcc_lo, 0xc2ce8ed0, v2
	s_delay_alu instid0(VALU_DEP_2) | instskip(SKIP_1) | instid1(VALU_DEP_2)
	v_rndne_f32_e32 v5, v4
	v_fma_f32 v6, 0x3fb8aa3b, v2, -v4
	v_sub_f32_e32 v4, v4, v5
	s_delay_alu instid0(VALU_DEP_2) | instskip(SKIP_1) | instid1(VALU_DEP_2)
	v_fmamk_f32 v6, v2, 0x32a5705f, v6
	v_cvt_i32_f32_e32 v5, v5
	v_add_f32_e32 v4, v4, v6
	s_delay_alu instid0(VALU_DEP_1) | instskip(SKIP_2) | instid1(VALU_DEP_1)
	v_exp_f32_e32 v4, v4
	s_waitcnt_depctr 0xfff
	v_ldexp_f32 v4, v4, v5
	v_cndmask_b32_e32 v4, 0, v4, vcc_lo
	v_cmp_nlt_f32_e32 vcc_lo, 0x42b17218, v2
	s_delay_alu instid0(VALU_DEP_2) | instskip(NEXT) | instid1(VALU_DEP_1)
	v_cndmask_b32_e32 v2, 0x7f800000, v4, vcc_lo
	v_fma_f32 v2, -v3, v2, v7
	s_delay_alu instid0(VALU_DEP_1) | instskip(SKIP_1) | instid1(VALU_DEP_2)
	v_bfe_u32 v3, v2, 16, 1
	v_cmp_o_f32_e32 vcc_lo, v2, v2
	v_add3_u32 v3, v2, v3, 0x7fff
	s_delay_alu instid0(VALU_DEP_1) | instskip(NEXT) | instid1(VALU_DEP_1)
	v_lshrrev_b32_e32 v3, 16, v3
	v_cndmask_b32_e32 v2, 0x7fc0, v3, vcc_lo
	global_store_b16 v[0:1], v2, off offset:384
.LBB316_14:
	s_nop 0
	s_sendmsg sendmsg(MSG_DEALLOC_VGPRS)
	s_endpgm
.LBB316_15:
	v_mul_f32_e32 v4, 0x3fb8aa3b, v13
	v_cmp_ngt_f32_e64 s2, 0xc2ce8ed0, v13
	s_delay_alu instid0(VALU_DEP_2) | instskip(SKIP_1) | instid1(VALU_DEP_2)
	v_rndne_f32_e32 v5, v4
	v_fma_f32 v6, 0x3fb8aa3b, v13, -v4
	v_sub_f32_e32 v4, v4, v5
	s_delay_alu instid0(VALU_DEP_2) | instskip(SKIP_1) | instid1(VALU_DEP_2)
	v_fmamk_f32 v6, v13, 0x32a5705f, v6
	v_cvt_i32_f32_e32 v5, v5
	v_add_f32_e32 v4, v4, v6
	s_delay_alu instid0(VALU_DEP_1) | instskip(SKIP_2) | instid1(VALU_DEP_1)
	v_exp_f32_e32 v4, v4
	s_waitcnt_depctr 0xfff
	v_ldexp_f32 v4, v4, v5
	v_cndmask_b32_e64 v4, 0, v4, s2
	v_cmp_nlt_f32_e64 s2, 0x42b17218, v13
	s_delay_alu instid0(VALU_DEP_1) | instskip(NEXT) | instid1(VALU_DEP_1)
	v_cndmask_b32_e64 v4, 0x7f800000, v4, s2
	v_fma_f32 v4, -v3, v4, v11
	s_delay_alu instid0(VALU_DEP_1) | instskip(SKIP_1) | instid1(VALU_DEP_2)
	v_bfe_u32 v5, v4, 16, 1
	v_cmp_o_f32_e64 s2, v4, v4
	v_add3_u32 v5, v4, v5, 0x7fff
	s_delay_alu instid0(VALU_DEP_1) | instskip(NEXT) | instid1(VALU_DEP_1)
	v_lshrrev_b32_e32 v5, 16, v5
	v_cndmask_b32_e64 v4, 0x7fc0, v5, s2
	global_store_b16 v[0:1], v4, off
	s_or_b32 exec_lo, exec_lo, s3
	s_and_saveexec_b32 s2, s1
	s_cbranch_execz .LBB316_11
.LBB316_16:
	v_mul_f32_e32 v4, 0x3fb8aa3b, v12
	v_cmp_ngt_f32_e64 s1, 0xc2ce8ed0, v12
	s_delay_alu instid0(VALU_DEP_2) | instskip(SKIP_1) | instid1(VALU_DEP_2)
	v_rndne_f32_e32 v5, v4
	v_fma_f32 v6, 0x3fb8aa3b, v12, -v4
	v_sub_f32_e32 v4, v4, v5
	s_delay_alu instid0(VALU_DEP_2) | instskip(SKIP_1) | instid1(VALU_DEP_2)
	v_fmamk_f32 v6, v12, 0x32a5705f, v6
	v_cvt_i32_f32_e32 v5, v5
	v_add_f32_e32 v4, v4, v6
	s_delay_alu instid0(VALU_DEP_1) | instskip(SKIP_2) | instid1(VALU_DEP_1)
	v_exp_f32_e32 v4, v4
	s_waitcnt_depctr 0xfff
	v_ldexp_f32 v4, v4, v5
	v_cndmask_b32_e64 v4, 0, v4, s1
	v_cmp_nlt_f32_e64 s1, 0x42b17218, v12
	s_delay_alu instid0(VALU_DEP_1) | instskip(NEXT) | instid1(VALU_DEP_1)
	v_cndmask_b32_e64 v4, 0x7f800000, v4, s1
	v_fma_f32 v4, -v3, v4, v8
	s_delay_alu instid0(VALU_DEP_1) | instskip(SKIP_1) | instid1(VALU_DEP_2)
	v_bfe_u32 v5, v4, 16, 1
	v_cmp_o_f32_e64 s1, v4, v4
	v_add3_u32 v5, v4, v5, 0x7fff
	s_delay_alu instid0(VALU_DEP_1) | instskip(NEXT) | instid1(VALU_DEP_1)
	v_lshrrev_b32_e32 v5, 16, v5
	v_cndmask_b32_e64 v4, 0x7fc0, v5, s1
	global_store_b16 v[0:1], v4, off offset:128
	s_or_b32 exec_lo, exec_lo, s2
	s_and_saveexec_b32 s1, s0
	s_cbranch_execz .LBB316_12
.LBB316_17:
	v_mul_f32_e32 v4, 0x3fb8aa3b, v10
	v_cmp_ngt_f32_e64 s0, 0xc2ce8ed0, v10
	s_delay_alu instid0(VALU_DEP_2) | instskip(SKIP_1) | instid1(VALU_DEP_2)
	v_rndne_f32_e32 v5, v4
	v_fma_f32 v6, 0x3fb8aa3b, v10, -v4
	v_sub_f32_e32 v4, v4, v5
	s_delay_alu instid0(VALU_DEP_2) | instskip(SKIP_1) | instid1(VALU_DEP_2)
	v_fmamk_f32 v6, v10, 0x32a5705f, v6
	v_cvt_i32_f32_e32 v5, v5
	v_add_f32_e32 v4, v4, v6
	s_delay_alu instid0(VALU_DEP_1) | instskip(SKIP_2) | instid1(VALU_DEP_1)
	v_exp_f32_e32 v4, v4
	s_waitcnt_depctr 0xfff
	v_ldexp_f32 v4, v4, v5
	v_cndmask_b32_e64 v4, 0, v4, s0
	v_cmp_nlt_f32_e64 s0, 0x42b17218, v10
	s_delay_alu instid0(VALU_DEP_1) | instskip(NEXT) | instid1(VALU_DEP_1)
	v_cndmask_b32_e64 v4, 0x7f800000, v4, s0
	v_fma_f32 v4, -v3, v4, v9
	s_delay_alu instid0(VALU_DEP_1) | instskip(SKIP_1) | instid1(VALU_DEP_2)
	v_bfe_u32 v5, v4, 16, 1
	v_cmp_o_f32_e64 s0, v4, v4
	v_add3_u32 v5, v4, v5, 0x7fff
	s_delay_alu instid0(VALU_DEP_1) | instskip(NEXT) | instid1(VALU_DEP_1)
	v_lshrrev_b32_e32 v5, 16, v5
	v_cndmask_b32_e64 v4, 0x7fc0, v5, s0
	global_store_b16 v[0:1], v4, off offset:256
	s_or_b32 exec_lo, exec_lo, s1
	s_delay_alu instid0(SALU_CYCLE_1)
	s_and_b32 exec_lo, exec_lo, vcc_lo
	s_cbranch_execnz .LBB316_13
	s_branch .LBB316_14
	.section	.rodata,"a",@progbits
	.p2align	6, 0x0
	.amdhsa_kernel _ZN12_GLOBAL__N_121softmax_warp_backwardIN3c108BFloat16ES2_fLi8ELb1ELb0ELi64EEEvPT0_PKT_S7_iiiPKb
		.amdhsa_group_segment_fixed_size 0
		.amdhsa_private_segment_fixed_size 0
		.amdhsa_kernarg_size 304
		.amdhsa_user_sgpr_count 15
		.amdhsa_user_sgpr_dispatch_ptr 0
		.amdhsa_user_sgpr_queue_ptr 0
		.amdhsa_user_sgpr_kernarg_segment_ptr 1
		.amdhsa_user_sgpr_dispatch_id 0
		.amdhsa_user_sgpr_private_segment_size 0
		.amdhsa_wavefront_size32 1
		.amdhsa_uses_dynamic_stack 0
		.amdhsa_enable_private_segment 0
		.amdhsa_system_sgpr_workgroup_id_x 1
		.amdhsa_system_sgpr_workgroup_id_y 0
		.amdhsa_system_sgpr_workgroup_id_z 0
		.amdhsa_system_sgpr_workgroup_info 0
		.amdhsa_system_vgpr_workitem_id 1
		.amdhsa_next_free_vgpr 15
		.amdhsa_next_free_sgpr 16
		.amdhsa_reserve_vcc 1
		.amdhsa_float_round_mode_32 0
		.amdhsa_float_round_mode_16_64 0
		.amdhsa_float_denorm_mode_32 3
		.amdhsa_float_denorm_mode_16_64 3
		.amdhsa_dx10_clamp 1
		.amdhsa_ieee_mode 1
		.amdhsa_fp16_overflow 0
		.amdhsa_workgroup_processor_mode 1
		.amdhsa_memory_ordered 1
		.amdhsa_forward_progress 0
		.amdhsa_shared_vgpr_count 0
		.amdhsa_exception_fp_ieee_invalid_op 0
		.amdhsa_exception_fp_denorm_src 0
		.amdhsa_exception_fp_ieee_div_zero 0
		.amdhsa_exception_fp_ieee_overflow 0
		.amdhsa_exception_fp_ieee_underflow 0
		.amdhsa_exception_fp_ieee_inexact 0
		.amdhsa_exception_int_div_zero 0
	.end_amdhsa_kernel
	.section	.text._ZN12_GLOBAL__N_121softmax_warp_backwardIN3c108BFloat16ES2_fLi8ELb1ELb0ELi64EEEvPT0_PKT_S7_iiiPKb,"axG",@progbits,_ZN12_GLOBAL__N_121softmax_warp_backwardIN3c108BFloat16ES2_fLi8ELb1ELb0ELi64EEEvPT0_PKT_S7_iiiPKb,comdat
.Lfunc_end316:
	.size	_ZN12_GLOBAL__N_121softmax_warp_backwardIN3c108BFloat16ES2_fLi8ELb1ELb0ELi64EEEvPT0_PKT_S7_iiiPKb, .Lfunc_end316-_ZN12_GLOBAL__N_121softmax_warp_backwardIN3c108BFloat16ES2_fLi8ELb1ELb0ELi64EEEvPT0_PKT_S7_iiiPKb
                                        ; -- End function
	.section	.AMDGPU.csdata,"",@progbits
; Kernel info:
; codeLenInByte = 1608
; NumSgprs: 18
; NumVgprs: 15
; ScratchSize: 0
; MemoryBound: 0
; FloatMode: 240
; IeeeMode: 1
; LDSByteSize: 0 bytes/workgroup (compile time only)
; SGPRBlocks: 2
; VGPRBlocks: 1
; NumSGPRsForWavesPerEU: 18
; NumVGPRsForWavesPerEU: 15
; Occupancy: 16
; WaveLimiterHint : 0
; COMPUTE_PGM_RSRC2:SCRATCH_EN: 0
; COMPUTE_PGM_RSRC2:USER_SGPR: 15
; COMPUTE_PGM_RSRC2:TRAP_HANDLER: 0
; COMPUTE_PGM_RSRC2:TGID_X_EN: 1
; COMPUTE_PGM_RSRC2:TGID_Y_EN: 0
; COMPUTE_PGM_RSRC2:TGID_Z_EN: 0
; COMPUTE_PGM_RSRC2:TIDIG_COMP_CNT: 1
	.section	.text._ZN12_GLOBAL__N_121softmax_warp_backwardIN3c108BFloat16ES2_fLi8ELb1ELb0ELi32EEEvPT0_PKT_S7_iiiPKb,"axG",@progbits,_ZN12_GLOBAL__N_121softmax_warp_backwardIN3c108BFloat16ES2_fLi8ELb1ELb0ELi32EEEvPT0_PKT_S7_iiiPKb,comdat
	.globl	_ZN12_GLOBAL__N_121softmax_warp_backwardIN3c108BFloat16ES2_fLi8ELb1ELb0ELi32EEEvPT0_PKT_S7_iiiPKb ; -- Begin function _ZN12_GLOBAL__N_121softmax_warp_backwardIN3c108BFloat16ES2_fLi8ELb1ELb0ELi32EEEvPT0_PKT_S7_iiiPKb
	.p2align	8
	.type	_ZN12_GLOBAL__N_121softmax_warp_backwardIN3c108BFloat16ES2_fLi8ELb1ELb0ELi32EEEvPT0_PKT_S7_iiiPKb,@function
_ZN12_GLOBAL__N_121softmax_warp_backwardIN3c108BFloat16ES2_fLi8ELb1ELb0ELi32EEEvPT0_PKT_S7_iiiPKb: ; @_ZN12_GLOBAL__N_121softmax_warp_backwardIN3c108BFloat16ES2_fLi8ELb1ELb0ELi32EEEvPT0_PKT_S7_iiiPKb
; %bb.0:
	s_clause 0x1
	s_load_b32 s2, s[0:1], 0x3c
	s_load_b128 s[16:19], s[0:1], 0x18
	v_bfe_u32 v1, v0, 10, 10
	s_clause 0x1
	s_load_b128 s[8:11], s[0:1], 0x0
	s_load_b64 s[0:1], s[0:1], 0x10
	v_dual_mov_b32 v10, 0 :: v_dual_mov_b32 v21, 0
	v_mov_b32_e32 v19, 0
	s_waitcnt lgkmcnt(0)
	s_lshr_b32 s2, s2, 16
	s_delay_alu instid0(SALU_CYCLE_1) | instskip(SKIP_1) | instid1(VALU_DEP_1)
	v_mad_u64_u32 v[3:4], null, s15, s2, v[1:2]
	v_and_b32_e32 v2, 31, v0
	v_cmp_gt_i32_e64 s6, s18, v2
	s_delay_alu instid0(VALU_DEP_3) | instskip(SKIP_1) | instid1(VALU_DEP_1)
	v_mad_u64_u32 v[0:1], null, v3, s17, v[2:3]
	v_sub_nc_u32_e32 v22, s16, v3
	v_cmp_lt_i32_e64 s7, 0, v22
	s_delay_alu instid0(VALU_DEP_3) | instskip(NEXT) | instid1(VALU_DEP_1)
	v_ashrrev_i32_e32 v1, 31, v0
	v_lshlrev_b64 v[0:1], 1, v[0:1]
	s_delay_alu instid0(VALU_DEP_1) | instskip(NEXT) | instid1(VALU_DEP_2)
	v_add_co_u32 v3, vcc_lo, s10, v0
	v_add_co_ci_u32_e32 v4, vcc_lo, s11, v1, vcc_lo
	v_add_co_u32 v5, vcc_lo, s0, v0
	v_add_co_ci_u32_e32 v6, vcc_lo, s1, v1, vcc_lo
	s_and_b32 s1, s7, s6
	s_delay_alu instid0(SALU_CYCLE_1)
	s_and_saveexec_b32 s0, s1
	s_cbranch_execz .LBB317_2
; %bb.1:
	global_load_u16 v7, v[3:4], off
	global_load_u16 v8, v[5:6], off
	s_waitcnt vmcnt(1)
	v_lshlrev_b32_e32 v19, 16, v7
	s_waitcnt vmcnt(0)
	v_lshlrev_b32_e32 v21, 16, v8
.LBB317_2:
	s_or_b32 exec_lo, exec_lo, s0
	v_or_b32_e32 v7, 32, v2
	v_mov_b32_e32 v20, 0
	s_delay_alu instid0(VALU_DEP_2) | instskip(NEXT) | instid1(VALU_DEP_1)
	v_cmp_gt_i32_e64 s5, s18, v7
	s_and_b32 s1, s7, s5
	s_delay_alu instid0(SALU_CYCLE_1)
	s_and_saveexec_b32 s0, s1
	s_cbranch_execz .LBB317_4
; %bb.3:
	global_load_u16 v7, v[3:4], off offset:64
	global_load_u16 v8, v[5:6], off offset:64
	s_waitcnt vmcnt(1)
	v_lshlrev_b32_e32 v10, 16, v7
	s_waitcnt vmcnt(0)
	v_lshlrev_b32_e32 v20, 16, v8
.LBB317_4:
	s_or_b32 exec_lo, exec_lo, s0
	v_or_b32_e32 v7, 64, v2
	v_dual_mov_b32 v9, 0 :: v_dual_mov_b32 v18, 0
	v_mov_b32_e32 v17, 0
	s_delay_alu instid0(VALU_DEP_3) | instskip(NEXT) | instid1(VALU_DEP_1)
	v_cmp_gt_i32_e64 s4, s18, v7
	s_and_b32 s1, s7, s4
	s_delay_alu instid0(SALU_CYCLE_1)
	s_and_saveexec_b32 s0, s1
	s_cbranch_execz .LBB317_6
; %bb.5:
	global_load_u16 v7, v[3:4], off offset:128
	global_load_u16 v8, v[5:6], off offset:128
	s_waitcnt vmcnt(1)
	v_lshlrev_b32_e32 v17, 16, v7
	s_waitcnt vmcnt(0)
	v_lshlrev_b32_e32 v18, 16, v8
.LBB317_6:
	s_or_b32 exec_lo, exec_lo, s0
	v_or_b32_e32 v7, 0x60, v2
	v_mov_b32_e32 v16, 0
	s_delay_alu instid0(VALU_DEP_2) | instskip(NEXT) | instid1(VALU_DEP_1)
	v_cmp_gt_i32_e64 s3, s18, v7
	s_and_b32 s1, s7, s3
	s_delay_alu instid0(SALU_CYCLE_1)
	s_and_saveexec_b32 s0, s1
	s_cbranch_execz .LBB317_8
; %bb.7:
	global_load_u16 v7, v[3:4], off offset:192
	global_load_u16 v8, v[5:6], off offset:192
	s_waitcnt vmcnt(1)
	v_lshlrev_b32_e32 v9, 16, v7
	s_waitcnt vmcnt(0)
	v_lshlrev_b32_e32 v16, 16, v8
.LBB317_8:
	s_or_b32 exec_lo, exec_lo, s0
	v_or_b32_e32 v7, 0x80, v2
	v_dual_mov_b32 v8, 0 :: v_dual_mov_b32 v15, 0
	v_mov_b32_e32 v14, 0
	s_delay_alu instid0(VALU_DEP_3) | instskip(NEXT) | instid1(VALU_DEP_1)
	v_cmp_gt_i32_e64 s2, s18, v7
	s_and_b32 s1, s7, s2
	s_delay_alu instid0(SALU_CYCLE_1)
	s_and_saveexec_b32 s0, s1
	s_cbranch_execz .LBB317_10
; %bb.9:
	global_load_u16 v7, v[3:4], off offset:256
	global_load_u16 v11, v[5:6], off offset:256
	s_waitcnt vmcnt(1)
	v_lshlrev_b32_e32 v14, 16, v7
	s_waitcnt vmcnt(0)
	v_lshlrev_b32_e32 v15, 16, v11
.LBB317_10:
	s_or_b32 exec_lo, exec_lo, s0
	v_or_b32_e32 v7, 0xa0, v2
	v_mov_b32_e32 v13, 0
	s_delay_alu instid0(VALU_DEP_2) | instskip(NEXT) | instid1(VALU_DEP_1)
	v_cmp_gt_i32_e64 s1, s18, v7
	s_and_b32 s10, s7, s1
	s_delay_alu instid0(SALU_CYCLE_1)
	s_and_saveexec_b32 s0, s10
	s_cbranch_execz .LBB317_12
; %bb.11:
	global_load_u16 v7, v[3:4], off offset:320
	global_load_u16 v11, v[5:6], off offset:320
	s_waitcnt vmcnt(1)
	v_lshlrev_b32_e32 v8, 16, v7
	s_waitcnt vmcnt(0)
	v_lshlrev_b32_e32 v13, 16, v11
.LBB317_12:
	s_or_b32 exec_lo, exec_lo, s0
	v_or_b32_e32 v7, 0xc0, v2
	v_dual_mov_b32 v11, 0 :: v_dual_mov_b32 v12, 0
	s_delay_alu instid0(VALU_DEP_2) | instskip(SKIP_1) | instid1(VALU_DEP_2)
	v_cmp_gt_i32_e64 s0, s18, v7
	v_mov_b32_e32 v7, 0
	s_and_b32 s11, s7, s0
	s_delay_alu instid0(SALU_CYCLE_1)
	s_and_saveexec_b32 s10, s11
	s_cbranch_execz .LBB317_14
; %bb.13:
	global_load_u16 v11, v[3:4], off offset:384
	global_load_u16 v12, v[5:6], off offset:384
	s_waitcnt vmcnt(1)
	v_lshlrev_b32_e32 v11, 16, v11
	s_waitcnt vmcnt(0)
	v_lshlrev_b32_e32 v12, 16, v12
.LBB317_14:
	s_or_b32 exec_lo, exec_lo, s10
	v_or_b32_e32 v2, 0xe0, v2
	s_delay_alu instid0(VALU_DEP_1) | instskip(SKIP_2) | instid1(SALU_CYCLE_1)
	v_cmp_gt_i32_e32 vcc_lo, s18, v2
	v_mov_b32_e32 v2, 0
	s_and_b32 s10, s7, vcc_lo
	s_and_saveexec_b32 s7, s10
	s_cbranch_execz .LBB317_16
; %bb.15:
	global_load_u16 v2, v[3:4], off offset:448
	global_load_u16 v3, v[5:6], off offset:448
	s_waitcnt vmcnt(1)
	v_lshlrev_b32_e32 v7, 16, v2
	s_waitcnt vmcnt(0)
	v_lshlrev_b32_e32 v2, 16, v3
.LBB317_16:
	s_or_b32 exec_lo, exec_lo, s7
	v_mbcnt_lo_u32_b32 v4, -1, 0
	s_mov_b32 s10, exec_lo
	s_delay_alu instid0(VALU_DEP_1) | instskip(SKIP_1) | instid1(VALU_DEP_2)
	v_xor_b32_e32 v5, 16, v4
	v_xor_b32_e32 v6, 8, v4
	v_cmp_gt_i32_e64 s7, 32, v5
	s_delay_alu instid0(VALU_DEP_1) | instskip(NEXT) | instid1(VALU_DEP_3)
	v_cndmask_b32_e64 v5, v4, v5, s7
	v_cmp_gt_i32_e64 s7, 32, v6
	s_delay_alu instid0(VALU_DEP_2) | instskip(NEXT) | instid1(VALU_DEP_2)
	v_lshlrev_b32_e32 v5, 2, v5
	v_cndmask_b32_e64 v6, v4, v6, s7
	s_delay_alu instid0(VALU_DEP_1) | instskip(NEXT) | instid1(VALU_DEP_1)
	v_dual_add_f32 v3, 0, v19 :: v_dual_lshlrev_b32 v6, 2, v6
	v_add_f32_e32 v3, v3, v10
	s_delay_alu instid0(VALU_DEP_1) | instskip(NEXT) | instid1(VALU_DEP_1)
	v_add_f32_e32 v3, v3, v17
	v_add_f32_e32 v3, v3, v9
	s_delay_alu instid0(VALU_DEP_1) | instskip(NEXT) | instid1(VALU_DEP_1)
	v_add_f32_e32 v3, v3, v14
	;; [unrolled: 3-line block ×3, first 2 shown]
	v_add_f32_e32 v3, v3, v7
	ds_bpermute_b32 v5, v5, v3
	s_waitcnt lgkmcnt(0)
	v_add_f32_e32 v3, v3, v5
	ds_bpermute_b32 v5, v6, v3
	v_xor_b32_e32 v6, 4, v4
	s_delay_alu instid0(VALU_DEP_1) | instskip(NEXT) | instid1(VALU_DEP_1)
	v_cmp_gt_i32_e64 s7, 32, v6
	v_cndmask_b32_e64 v6, v4, v6, s7
	s_waitcnt lgkmcnt(0)
	s_delay_alu instid0(VALU_DEP_1) | instskip(SKIP_2) | instid1(VALU_DEP_1)
	v_dual_add_f32 v3, v3, v5 :: v_dual_lshlrev_b32 v6, 2, v6
	ds_bpermute_b32 v5, v6, v3
	v_xor_b32_e32 v6, 2, v4
	v_cmp_gt_i32_e64 s7, 32, v6
	s_delay_alu instid0(VALU_DEP_1) | instskip(SKIP_1) | instid1(VALU_DEP_1)
	v_cndmask_b32_e64 v6, v4, v6, s7
	s_waitcnt lgkmcnt(0)
	v_dual_add_f32 v3, v3, v5 :: v_dual_lshlrev_b32 v6, 2, v6
	ds_bpermute_b32 v5, v6, v3
	v_xor_b32_e32 v6, 1, v4
	s_delay_alu instid0(VALU_DEP_1) | instskip(NEXT) | instid1(VALU_DEP_1)
	v_cmp_gt_i32_e64 s7, 32, v6
	v_cndmask_b32_e64 v4, v4, v6, s7
	s_waitcnt lgkmcnt(0)
	s_delay_alu instid0(VALU_DEP_1)
	v_dual_add_f32 v3, v3, v5 :: v_dual_lshlrev_b32 v4, 2, v4
	ds_bpermute_b32 v4, v4, v3
	v_cmpx_lt_i32_e32 0, v22
	s_cbranch_execz .LBB317_26
; %bb.17:
	v_add_co_u32 v0, s7, s8, v0
	s_delay_alu instid0(VALU_DEP_1)
	v_add_co_ci_u32_e64 v1, s7, s9, v1, s7
	s_waitcnt lgkmcnt(0)
	v_add_f32_e32 v3, v3, v4
	s_and_saveexec_b32 s7, s6
	s_cbranch_execnz .LBB317_27
; %bb.18:
	s_or_b32 exec_lo, exec_lo, s7
	s_and_saveexec_b32 s6, s5
	s_cbranch_execnz .LBB317_28
.LBB317_19:
	s_or_b32 exec_lo, exec_lo, s6
	s_and_saveexec_b32 s5, s4
	s_cbranch_execnz .LBB317_29
.LBB317_20:
	s_or_b32 exec_lo, exec_lo, s5
	s_and_saveexec_b32 s4, s3
	s_cbranch_execnz .LBB317_30
.LBB317_21:
	s_or_b32 exec_lo, exec_lo, s4
	s_and_saveexec_b32 s3, s2
	s_cbranch_execnz .LBB317_31
.LBB317_22:
	s_or_b32 exec_lo, exec_lo, s3
	s_and_saveexec_b32 s2, s1
	s_cbranch_execnz .LBB317_32
.LBB317_23:
	s_or_b32 exec_lo, exec_lo, s2
	s_and_saveexec_b32 s1, s0
	s_cbranch_execnz .LBB317_33
.LBB317_24:
	s_or_b32 exec_lo, exec_lo, s1
	s_delay_alu instid0(SALU_CYCLE_1)
	s_and_b32 exec_lo, exec_lo, vcc_lo
	s_cbranch_execz .LBB317_26
.LBB317_25:
	v_mul_f32_e32 v4, 0x3fb8aa3b, v2
	v_cmp_ngt_f32_e32 vcc_lo, 0xc2ce8ed0, v2
	s_delay_alu instid0(VALU_DEP_2) | instskip(SKIP_1) | instid1(VALU_DEP_2)
	v_rndne_f32_e32 v5, v4
	v_fma_f32 v6, 0x3fb8aa3b, v2, -v4
	v_sub_f32_e32 v4, v4, v5
	s_delay_alu instid0(VALU_DEP_2) | instskip(SKIP_1) | instid1(VALU_DEP_2)
	v_fmamk_f32 v6, v2, 0x32a5705f, v6
	v_cvt_i32_f32_e32 v5, v5
	v_add_f32_e32 v4, v4, v6
	s_delay_alu instid0(VALU_DEP_1) | instskip(SKIP_2) | instid1(VALU_DEP_1)
	v_exp_f32_e32 v4, v4
	s_waitcnt_depctr 0xfff
	v_ldexp_f32 v4, v4, v5
	v_cndmask_b32_e32 v4, 0, v4, vcc_lo
	v_cmp_nlt_f32_e32 vcc_lo, 0x42b17218, v2
	s_delay_alu instid0(VALU_DEP_2) | instskip(NEXT) | instid1(VALU_DEP_1)
	v_cndmask_b32_e32 v2, 0x7f800000, v4, vcc_lo
	v_fma_f32 v2, -v3, v2, v7
	s_delay_alu instid0(VALU_DEP_1) | instskip(SKIP_1) | instid1(VALU_DEP_2)
	v_bfe_u32 v3, v2, 16, 1
	v_cmp_o_f32_e32 vcc_lo, v2, v2
	v_add3_u32 v3, v2, v3, 0x7fff
	s_delay_alu instid0(VALU_DEP_1) | instskip(NEXT) | instid1(VALU_DEP_1)
	v_lshrrev_b32_e32 v3, 16, v3
	v_cndmask_b32_e32 v2, 0x7fc0, v3, vcc_lo
	global_store_b16 v[0:1], v2, off offset:448
.LBB317_26:
	s_nop 0
	s_sendmsg sendmsg(MSG_DEALLOC_VGPRS)
	s_endpgm
.LBB317_27:
	v_mul_f32_e32 v4, 0x3fb8aa3b, v21
	v_cmp_ngt_f32_e64 s6, 0xc2ce8ed0, v21
	s_delay_alu instid0(VALU_DEP_2) | instskip(SKIP_1) | instid1(VALU_DEP_2)
	v_rndne_f32_e32 v5, v4
	v_fma_f32 v6, 0x3fb8aa3b, v21, -v4
	v_sub_f32_e32 v4, v4, v5
	s_delay_alu instid0(VALU_DEP_2) | instskip(SKIP_1) | instid1(VALU_DEP_2)
	v_fmamk_f32 v6, v21, 0x32a5705f, v6
	v_cvt_i32_f32_e32 v5, v5
	v_add_f32_e32 v4, v4, v6
	s_delay_alu instid0(VALU_DEP_1) | instskip(SKIP_2) | instid1(VALU_DEP_1)
	v_exp_f32_e32 v4, v4
	s_waitcnt_depctr 0xfff
	v_ldexp_f32 v4, v4, v5
	v_cndmask_b32_e64 v4, 0, v4, s6
	v_cmp_nlt_f32_e64 s6, 0x42b17218, v21
	s_delay_alu instid0(VALU_DEP_1) | instskip(NEXT) | instid1(VALU_DEP_1)
	v_cndmask_b32_e64 v4, 0x7f800000, v4, s6
	v_fma_f32 v4, -v3, v4, v19
	s_delay_alu instid0(VALU_DEP_1) | instskip(SKIP_1) | instid1(VALU_DEP_2)
	v_bfe_u32 v5, v4, 16, 1
	v_cmp_o_f32_e64 s6, v4, v4
	v_add3_u32 v5, v4, v5, 0x7fff
	s_delay_alu instid0(VALU_DEP_1) | instskip(NEXT) | instid1(VALU_DEP_1)
	v_lshrrev_b32_e32 v5, 16, v5
	v_cndmask_b32_e64 v4, 0x7fc0, v5, s6
	global_store_b16 v[0:1], v4, off
	s_or_b32 exec_lo, exec_lo, s7
	s_and_saveexec_b32 s6, s5
	s_cbranch_execz .LBB317_19
.LBB317_28:
	v_mul_f32_e32 v4, 0x3fb8aa3b, v20
	v_cmp_ngt_f32_e64 s5, 0xc2ce8ed0, v20
	s_delay_alu instid0(VALU_DEP_2) | instskip(SKIP_1) | instid1(VALU_DEP_2)
	v_rndne_f32_e32 v5, v4
	v_fma_f32 v6, 0x3fb8aa3b, v20, -v4
	v_sub_f32_e32 v4, v4, v5
	s_delay_alu instid0(VALU_DEP_2) | instskip(SKIP_1) | instid1(VALU_DEP_2)
	v_fmamk_f32 v6, v20, 0x32a5705f, v6
	v_cvt_i32_f32_e32 v5, v5
	v_add_f32_e32 v4, v4, v6
	s_delay_alu instid0(VALU_DEP_1) | instskip(SKIP_2) | instid1(VALU_DEP_1)
	v_exp_f32_e32 v4, v4
	s_waitcnt_depctr 0xfff
	v_ldexp_f32 v4, v4, v5
	v_cndmask_b32_e64 v4, 0, v4, s5
	v_cmp_nlt_f32_e64 s5, 0x42b17218, v20
	s_delay_alu instid0(VALU_DEP_1) | instskip(NEXT) | instid1(VALU_DEP_1)
	v_cndmask_b32_e64 v4, 0x7f800000, v4, s5
	v_fma_f32 v4, -v3, v4, v10
	s_delay_alu instid0(VALU_DEP_1) | instskip(SKIP_1) | instid1(VALU_DEP_2)
	v_bfe_u32 v5, v4, 16, 1
	v_cmp_o_f32_e64 s5, v4, v4
	v_add3_u32 v5, v4, v5, 0x7fff
	s_delay_alu instid0(VALU_DEP_1) | instskip(NEXT) | instid1(VALU_DEP_1)
	v_lshrrev_b32_e32 v5, 16, v5
	v_cndmask_b32_e64 v4, 0x7fc0, v5, s5
	global_store_b16 v[0:1], v4, off offset:64
	s_or_b32 exec_lo, exec_lo, s6
	s_and_saveexec_b32 s5, s4
	s_cbranch_execz .LBB317_20
.LBB317_29:
	v_mul_f32_e32 v4, 0x3fb8aa3b, v18
	v_cmp_ngt_f32_e64 s4, 0xc2ce8ed0, v18
	s_delay_alu instid0(VALU_DEP_2) | instskip(SKIP_1) | instid1(VALU_DEP_2)
	v_rndne_f32_e32 v5, v4
	v_fma_f32 v6, 0x3fb8aa3b, v18, -v4
	v_sub_f32_e32 v4, v4, v5
	s_delay_alu instid0(VALU_DEP_2) | instskip(SKIP_1) | instid1(VALU_DEP_2)
	v_fmamk_f32 v6, v18, 0x32a5705f, v6
	v_cvt_i32_f32_e32 v5, v5
	v_add_f32_e32 v4, v4, v6
	s_delay_alu instid0(VALU_DEP_1) | instskip(SKIP_2) | instid1(VALU_DEP_1)
	v_exp_f32_e32 v4, v4
	s_waitcnt_depctr 0xfff
	v_ldexp_f32 v4, v4, v5
	v_cndmask_b32_e64 v4, 0, v4, s4
	v_cmp_nlt_f32_e64 s4, 0x42b17218, v18
	s_delay_alu instid0(VALU_DEP_1) | instskip(NEXT) | instid1(VALU_DEP_1)
	v_cndmask_b32_e64 v4, 0x7f800000, v4, s4
	v_fma_f32 v4, -v3, v4, v17
	s_delay_alu instid0(VALU_DEP_1) | instskip(SKIP_1) | instid1(VALU_DEP_2)
	v_bfe_u32 v5, v4, 16, 1
	v_cmp_o_f32_e64 s4, v4, v4
	v_add3_u32 v5, v4, v5, 0x7fff
	s_delay_alu instid0(VALU_DEP_1) | instskip(NEXT) | instid1(VALU_DEP_1)
	v_lshrrev_b32_e32 v5, 16, v5
	v_cndmask_b32_e64 v4, 0x7fc0, v5, s4
	global_store_b16 v[0:1], v4, off offset:128
	s_or_b32 exec_lo, exec_lo, s5
	s_and_saveexec_b32 s4, s3
	s_cbranch_execz .LBB317_21
.LBB317_30:
	v_mul_f32_e32 v4, 0x3fb8aa3b, v16
	v_cmp_ngt_f32_e64 s3, 0xc2ce8ed0, v16
	s_delay_alu instid0(VALU_DEP_2) | instskip(SKIP_1) | instid1(VALU_DEP_2)
	v_rndne_f32_e32 v5, v4
	v_fma_f32 v6, 0x3fb8aa3b, v16, -v4
	v_sub_f32_e32 v4, v4, v5
	s_delay_alu instid0(VALU_DEP_2) | instskip(SKIP_1) | instid1(VALU_DEP_2)
	v_fmamk_f32 v6, v16, 0x32a5705f, v6
	v_cvt_i32_f32_e32 v5, v5
	v_add_f32_e32 v4, v4, v6
	s_delay_alu instid0(VALU_DEP_1) | instskip(SKIP_2) | instid1(VALU_DEP_1)
	v_exp_f32_e32 v4, v4
	s_waitcnt_depctr 0xfff
	v_ldexp_f32 v4, v4, v5
	v_cndmask_b32_e64 v4, 0, v4, s3
	v_cmp_nlt_f32_e64 s3, 0x42b17218, v16
	s_delay_alu instid0(VALU_DEP_1) | instskip(NEXT) | instid1(VALU_DEP_1)
	v_cndmask_b32_e64 v4, 0x7f800000, v4, s3
	v_fma_f32 v4, -v3, v4, v9
	s_delay_alu instid0(VALU_DEP_1) | instskip(SKIP_1) | instid1(VALU_DEP_2)
	v_bfe_u32 v5, v4, 16, 1
	v_cmp_o_f32_e64 s3, v4, v4
	v_add3_u32 v5, v4, v5, 0x7fff
	s_delay_alu instid0(VALU_DEP_1) | instskip(NEXT) | instid1(VALU_DEP_1)
	v_lshrrev_b32_e32 v5, 16, v5
	v_cndmask_b32_e64 v4, 0x7fc0, v5, s3
	global_store_b16 v[0:1], v4, off offset:192
	s_or_b32 exec_lo, exec_lo, s4
	s_and_saveexec_b32 s3, s2
	s_cbranch_execz .LBB317_22
.LBB317_31:
	v_mul_f32_e32 v4, 0x3fb8aa3b, v15
	v_cmp_ngt_f32_e64 s2, 0xc2ce8ed0, v15
	s_delay_alu instid0(VALU_DEP_2) | instskip(SKIP_1) | instid1(VALU_DEP_2)
	v_rndne_f32_e32 v5, v4
	v_fma_f32 v6, 0x3fb8aa3b, v15, -v4
	v_sub_f32_e32 v4, v4, v5
	s_delay_alu instid0(VALU_DEP_2) | instskip(SKIP_1) | instid1(VALU_DEP_2)
	v_fmamk_f32 v6, v15, 0x32a5705f, v6
	v_cvt_i32_f32_e32 v5, v5
	v_add_f32_e32 v4, v4, v6
	s_delay_alu instid0(VALU_DEP_1) | instskip(SKIP_2) | instid1(VALU_DEP_1)
	v_exp_f32_e32 v4, v4
	s_waitcnt_depctr 0xfff
	v_ldexp_f32 v4, v4, v5
	v_cndmask_b32_e64 v4, 0, v4, s2
	v_cmp_nlt_f32_e64 s2, 0x42b17218, v15
	s_delay_alu instid0(VALU_DEP_1) | instskip(NEXT) | instid1(VALU_DEP_1)
	v_cndmask_b32_e64 v4, 0x7f800000, v4, s2
	v_fma_f32 v4, -v3, v4, v14
	s_delay_alu instid0(VALU_DEP_1) | instskip(SKIP_1) | instid1(VALU_DEP_2)
	v_bfe_u32 v5, v4, 16, 1
	v_cmp_o_f32_e64 s2, v4, v4
	v_add3_u32 v5, v4, v5, 0x7fff
	s_delay_alu instid0(VALU_DEP_1) | instskip(NEXT) | instid1(VALU_DEP_1)
	v_lshrrev_b32_e32 v5, 16, v5
	v_cndmask_b32_e64 v4, 0x7fc0, v5, s2
	global_store_b16 v[0:1], v4, off offset:256
	s_or_b32 exec_lo, exec_lo, s3
	s_and_saveexec_b32 s2, s1
	s_cbranch_execz .LBB317_23
.LBB317_32:
	v_mul_f32_e32 v4, 0x3fb8aa3b, v13
	v_cmp_ngt_f32_e64 s1, 0xc2ce8ed0, v13
	s_delay_alu instid0(VALU_DEP_2) | instskip(SKIP_1) | instid1(VALU_DEP_2)
	v_rndne_f32_e32 v5, v4
	v_fma_f32 v6, 0x3fb8aa3b, v13, -v4
	v_sub_f32_e32 v4, v4, v5
	s_delay_alu instid0(VALU_DEP_2) | instskip(SKIP_1) | instid1(VALU_DEP_2)
	v_fmamk_f32 v6, v13, 0x32a5705f, v6
	v_cvt_i32_f32_e32 v5, v5
	v_add_f32_e32 v4, v4, v6
	s_delay_alu instid0(VALU_DEP_1) | instskip(SKIP_2) | instid1(VALU_DEP_1)
	v_exp_f32_e32 v4, v4
	s_waitcnt_depctr 0xfff
	v_ldexp_f32 v4, v4, v5
	v_cndmask_b32_e64 v4, 0, v4, s1
	v_cmp_nlt_f32_e64 s1, 0x42b17218, v13
	s_delay_alu instid0(VALU_DEP_1) | instskip(NEXT) | instid1(VALU_DEP_1)
	v_cndmask_b32_e64 v4, 0x7f800000, v4, s1
	v_fma_f32 v4, -v3, v4, v8
	s_delay_alu instid0(VALU_DEP_1) | instskip(SKIP_1) | instid1(VALU_DEP_2)
	v_bfe_u32 v5, v4, 16, 1
	v_cmp_o_f32_e64 s1, v4, v4
	v_add3_u32 v5, v4, v5, 0x7fff
	s_delay_alu instid0(VALU_DEP_1) | instskip(NEXT) | instid1(VALU_DEP_1)
	v_lshrrev_b32_e32 v5, 16, v5
	v_cndmask_b32_e64 v4, 0x7fc0, v5, s1
	global_store_b16 v[0:1], v4, off offset:320
	s_or_b32 exec_lo, exec_lo, s2
	s_and_saveexec_b32 s1, s0
	s_cbranch_execz .LBB317_24
.LBB317_33:
	v_mul_f32_e32 v4, 0x3fb8aa3b, v12
	v_cmp_ngt_f32_e64 s0, 0xc2ce8ed0, v12
	s_delay_alu instid0(VALU_DEP_2) | instskip(SKIP_1) | instid1(VALU_DEP_2)
	v_rndne_f32_e32 v5, v4
	v_fma_f32 v6, 0x3fb8aa3b, v12, -v4
	v_sub_f32_e32 v4, v4, v5
	s_delay_alu instid0(VALU_DEP_2) | instskip(SKIP_1) | instid1(VALU_DEP_2)
	v_fmamk_f32 v6, v12, 0x32a5705f, v6
	v_cvt_i32_f32_e32 v5, v5
	v_add_f32_e32 v4, v4, v6
	s_delay_alu instid0(VALU_DEP_1) | instskip(SKIP_2) | instid1(VALU_DEP_1)
	v_exp_f32_e32 v4, v4
	s_waitcnt_depctr 0xfff
	v_ldexp_f32 v4, v4, v5
	v_cndmask_b32_e64 v4, 0, v4, s0
	v_cmp_nlt_f32_e64 s0, 0x42b17218, v12
	s_delay_alu instid0(VALU_DEP_1) | instskip(NEXT) | instid1(VALU_DEP_1)
	v_cndmask_b32_e64 v4, 0x7f800000, v4, s0
	v_fma_f32 v4, -v3, v4, v11
	s_delay_alu instid0(VALU_DEP_1) | instskip(SKIP_1) | instid1(VALU_DEP_2)
	v_bfe_u32 v5, v4, 16, 1
	v_cmp_o_f32_e64 s0, v4, v4
	v_add3_u32 v5, v4, v5, 0x7fff
	s_delay_alu instid0(VALU_DEP_1) | instskip(NEXT) | instid1(VALU_DEP_1)
	v_lshrrev_b32_e32 v5, 16, v5
	v_cndmask_b32_e64 v4, 0x7fc0, v5, s0
	global_store_b16 v[0:1], v4, off offset:384
	s_or_b32 exec_lo, exec_lo, s1
	s_delay_alu instid0(SALU_CYCLE_1)
	s_and_b32 exec_lo, exec_lo, vcc_lo
	s_cbranch_execnz .LBB317_25
	s_branch .LBB317_26
	.section	.rodata,"a",@progbits
	.p2align	6, 0x0
	.amdhsa_kernel _ZN12_GLOBAL__N_121softmax_warp_backwardIN3c108BFloat16ES2_fLi8ELb1ELb0ELi32EEEvPT0_PKT_S7_iiiPKb
		.amdhsa_group_segment_fixed_size 0
		.amdhsa_private_segment_fixed_size 0
		.amdhsa_kernarg_size 304
		.amdhsa_user_sgpr_count 15
		.amdhsa_user_sgpr_dispatch_ptr 0
		.amdhsa_user_sgpr_queue_ptr 0
		.amdhsa_user_sgpr_kernarg_segment_ptr 1
		.amdhsa_user_sgpr_dispatch_id 0
		.amdhsa_user_sgpr_private_segment_size 0
		.amdhsa_wavefront_size32 1
		.amdhsa_uses_dynamic_stack 0
		.amdhsa_enable_private_segment 0
		.amdhsa_system_sgpr_workgroup_id_x 1
		.amdhsa_system_sgpr_workgroup_id_y 0
		.amdhsa_system_sgpr_workgroup_id_z 0
		.amdhsa_system_sgpr_workgroup_info 0
		.amdhsa_system_vgpr_workitem_id 1
		.amdhsa_next_free_vgpr 23
		.amdhsa_next_free_sgpr 20
		.amdhsa_reserve_vcc 1
		.amdhsa_float_round_mode_32 0
		.amdhsa_float_round_mode_16_64 0
		.amdhsa_float_denorm_mode_32 3
		.amdhsa_float_denorm_mode_16_64 3
		.amdhsa_dx10_clamp 1
		.amdhsa_ieee_mode 1
		.amdhsa_fp16_overflow 0
		.amdhsa_workgroup_processor_mode 1
		.amdhsa_memory_ordered 1
		.amdhsa_forward_progress 0
		.amdhsa_shared_vgpr_count 0
		.amdhsa_exception_fp_ieee_invalid_op 0
		.amdhsa_exception_fp_denorm_src 0
		.amdhsa_exception_fp_ieee_div_zero 0
		.amdhsa_exception_fp_ieee_overflow 0
		.amdhsa_exception_fp_ieee_underflow 0
		.amdhsa_exception_fp_ieee_inexact 0
		.amdhsa_exception_int_div_zero 0
	.end_amdhsa_kernel
	.section	.text._ZN12_GLOBAL__N_121softmax_warp_backwardIN3c108BFloat16ES2_fLi8ELb1ELb0ELi32EEEvPT0_PKT_S7_iiiPKb,"axG",@progbits,_ZN12_GLOBAL__N_121softmax_warp_backwardIN3c108BFloat16ES2_fLi8ELb1ELb0ELi32EEEvPT0_PKT_S7_iiiPKb,comdat
.Lfunc_end317:
	.size	_ZN12_GLOBAL__N_121softmax_warp_backwardIN3c108BFloat16ES2_fLi8ELb1ELb0ELi32EEEvPT0_PKT_S7_iiiPKb, .Lfunc_end317-_ZN12_GLOBAL__N_121softmax_warp_backwardIN3c108BFloat16ES2_fLi8ELb1ELb0ELi32EEEvPT0_PKT_S7_iiiPKb
                                        ; -- End function
	.section	.AMDGPU.csdata,"",@progbits
; Kernel info:
; codeLenInByte = 2752
; NumSgprs: 22
; NumVgprs: 23
; ScratchSize: 0
; MemoryBound: 0
; FloatMode: 240
; IeeeMode: 1
; LDSByteSize: 0 bytes/workgroup (compile time only)
; SGPRBlocks: 2
; VGPRBlocks: 2
; NumSGPRsForWavesPerEU: 22
; NumVGPRsForWavesPerEU: 23
; Occupancy: 16
; WaveLimiterHint : 0
; COMPUTE_PGM_RSRC2:SCRATCH_EN: 0
; COMPUTE_PGM_RSRC2:USER_SGPR: 15
; COMPUTE_PGM_RSRC2:TRAP_HANDLER: 0
; COMPUTE_PGM_RSRC2:TGID_X_EN: 1
; COMPUTE_PGM_RSRC2:TGID_Y_EN: 0
; COMPUTE_PGM_RSRC2:TGID_Z_EN: 0
; COMPUTE_PGM_RSRC2:TIDIG_COMP_CNT: 1
	.section	.text._ZN12_GLOBAL__N_121softmax_warp_backwardIN3c108BFloat16ES2_fLi9ELb1ELb0ELi64EEEvPT0_PKT_S7_iiiPKb,"axG",@progbits,_ZN12_GLOBAL__N_121softmax_warp_backwardIN3c108BFloat16ES2_fLi9ELb1ELb0ELi64EEEvPT0_PKT_S7_iiiPKb,comdat
	.globl	_ZN12_GLOBAL__N_121softmax_warp_backwardIN3c108BFloat16ES2_fLi9ELb1ELb0ELi64EEEvPT0_PKT_S7_iiiPKb ; -- Begin function _ZN12_GLOBAL__N_121softmax_warp_backwardIN3c108BFloat16ES2_fLi9ELb1ELb0ELi64EEEvPT0_PKT_S7_iiiPKb
	.p2align	8
	.type	_ZN12_GLOBAL__N_121softmax_warp_backwardIN3c108BFloat16ES2_fLi9ELb1ELb0ELi64EEEvPT0_PKT_S7_iiiPKb,@function
_ZN12_GLOBAL__N_121softmax_warp_backwardIN3c108BFloat16ES2_fLi9ELb1ELb0ELi64EEEvPT0_PKT_S7_iiiPKb: ; @_ZN12_GLOBAL__N_121softmax_warp_backwardIN3c108BFloat16ES2_fLi9ELb1ELb0ELi64EEEvPT0_PKT_S7_iiiPKb
; %bb.0:
	s_clause 0x1
	s_load_b32 s2, s[0:1], 0x3c
	s_load_b128 s[16:19], s[0:1], 0x18
	v_bfe_u32 v1, v0, 10, 10
	s_clause 0x1
	s_load_b128 s[8:11], s[0:1], 0x0
	s_load_b64 s[0:1], s[0:1], 0x10
	v_dual_mov_b32 v10, 0 :: v_dual_mov_b32 v21, 0
	v_mov_b32_e32 v19, 0
	s_waitcnt lgkmcnt(0)
	s_lshr_b32 s2, s2, 16
	s_delay_alu instid0(SALU_CYCLE_1) | instskip(SKIP_1) | instid1(VALU_DEP_1)
	v_mad_u64_u32 v[3:4], null, s15, s2, v[1:2]
	v_and_b32_e32 v2, 63, v0
	v_cmp_gt_i32_e64 s6, s18, v2
	s_delay_alu instid0(VALU_DEP_3) | instskip(SKIP_1) | instid1(VALU_DEP_1)
	v_mad_u64_u32 v[0:1], null, v3, s17, v[2:3]
	v_sub_nc_u32_e32 v22, s16, v3
	v_cmp_lt_i32_e64 s7, 0, v22
	s_delay_alu instid0(VALU_DEP_3) | instskip(NEXT) | instid1(VALU_DEP_1)
	v_ashrrev_i32_e32 v1, 31, v0
	v_lshlrev_b64 v[0:1], 1, v[0:1]
	s_delay_alu instid0(VALU_DEP_1) | instskip(NEXT) | instid1(VALU_DEP_2)
	v_add_co_u32 v3, vcc_lo, s10, v0
	v_add_co_ci_u32_e32 v4, vcc_lo, s11, v1, vcc_lo
	v_add_co_u32 v5, vcc_lo, s0, v0
	v_add_co_ci_u32_e32 v6, vcc_lo, s1, v1, vcc_lo
	s_and_b32 s1, s7, s6
	s_delay_alu instid0(SALU_CYCLE_1)
	s_and_saveexec_b32 s0, s1
	s_cbranch_execz .LBB318_2
; %bb.1:
	global_load_u16 v7, v[3:4], off
	global_load_u16 v8, v[5:6], off
	s_waitcnt vmcnt(1)
	v_lshlrev_b32_e32 v19, 16, v7
	s_waitcnt vmcnt(0)
	v_lshlrev_b32_e32 v21, 16, v8
.LBB318_2:
	s_or_b32 exec_lo, exec_lo, s0
	v_or_b32_e32 v7, 64, v2
	v_mov_b32_e32 v20, 0
	s_delay_alu instid0(VALU_DEP_2) | instskip(NEXT) | instid1(VALU_DEP_1)
	v_cmp_gt_i32_e64 s5, s18, v7
	s_and_b32 s1, s7, s5
	s_delay_alu instid0(SALU_CYCLE_1)
	s_and_saveexec_b32 s0, s1
	s_cbranch_execz .LBB318_4
; %bb.3:
	global_load_u16 v7, v[3:4], off offset:128
	global_load_u16 v8, v[5:6], off offset:128
	s_waitcnt vmcnt(1)
	v_lshlrev_b32_e32 v10, 16, v7
	s_waitcnt vmcnt(0)
	v_lshlrev_b32_e32 v20, 16, v8
.LBB318_4:
	s_or_b32 exec_lo, exec_lo, s0
	v_or_b32_e32 v7, 0x80, v2
	v_dual_mov_b32 v9, 0 :: v_dual_mov_b32 v18, 0
	v_mov_b32_e32 v17, 0
	s_delay_alu instid0(VALU_DEP_3) | instskip(NEXT) | instid1(VALU_DEP_1)
	v_cmp_gt_i32_e64 s4, s18, v7
	s_and_b32 s1, s7, s4
	s_delay_alu instid0(SALU_CYCLE_1)
	s_and_saveexec_b32 s0, s1
	s_cbranch_execz .LBB318_6
; %bb.5:
	global_load_u16 v7, v[3:4], off offset:256
	global_load_u16 v8, v[5:6], off offset:256
	s_waitcnt vmcnt(1)
	v_lshlrev_b32_e32 v17, 16, v7
	s_waitcnt vmcnt(0)
	v_lshlrev_b32_e32 v18, 16, v8
.LBB318_6:
	s_or_b32 exec_lo, exec_lo, s0
	v_or_b32_e32 v7, 0xc0, v2
	v_mov_b32_e32 v16, 0
	s_delay_alu instid0(VALU_DEP_2) | instskip(NEXT) | instid1(VALU_DEP_1)
	v_cmp_gt_i32_e64 s3, s18, v7
	s_and_b32 s1, s7, s3
	s_delay_alu instid0(SALU_CYCLE_1)
	s_and_saveexec_b32 s0, s1
	s_cbranch_execz .LBB318_8
; %bb.7:
	global_load_u16 v7, v[3:4], off offset:384
	global_load_u16 v8, v[5:6], off offset:384
	s_waitcnt vmcnt(1)
	v_lshlrev_b32_e32 v9, 16, v7
	s_waitcnt vmcnt(0)
	v_lshlrev_b32_e32 v16, 16, v8
.LBB318_8:
	s_or_b32 exec_lo, exec_lo, s0
	v_or_b32_e32 v7, 0x100, v2
	v_dual_mov_b32 v8, 0 :: v_dual_mov_b32 v15, 0
	v_mov_b32_e32 v14, 0
	s_delay_alu instid0(VALU_DEP_3) | instskip(NEXT) | instid1(VALU_DEP_1)
	v_cmp_gt_i32_e64 s2, s18, v7
	s_and_b32 s1, s7, s2
	s_delay_alu instid0(SALU_CYCLE_1)
	s_and_saveexec_b32 s0, s1
	s_cbranch_execz .LBB318_10
; %bb.9:
	global_load_u16 v7, v[3:4], off offset:512
	global_load_u16 v11, v[5:6], off offset:512
	s_waitcnt vmcnt(1)
	v_lshlrev_b32_e32 v14, 16, v7
	s_waitcnt vmcnt(0)
	v_lshlrev_b32_e32 v15, 16, v11
.LBB318_10:
	s_or_b32 exec_lo, exec_lo, s0
	v_or_b32_e32 v7, 0x140, v2
	v_mov_b32_e32 v13, 0
	s_delay_alu instid0(VALU_DEP_2) | instskip(NEXT) | instid1(VALU_DEP_1)
	v_cmp_gt_i32_e64 s1, s18, v7
	s_and_b32 s10, s7, s1
	s_delay_alu instid0(SALU_CYCLE_1)
	s_and_saveexec_b32 s0, s10
	s_cbranch_execz .LBB318_12
; %bb.11:
	global_load_u16 v7, v[3:4], off offset:640
	global_load_u16 v11, v[5:6], off offset:640
	s_waitcnt vmcnt(1)
	v_lshlrev_b32_e32 v8, 16, v7
	s_waitcnt vmcnt(0)
	v_lshlrev_b32_e32 v13, 16, v11
.LBB318_12:
	s_or_b32 exec_lo, exec_lo, s0
	v_or_b32_e32 v7, 0x180, v2
	v_dual_mov_b32 v11, 0 :: v_dual_mov_b32 v12, 0
	s_delay_alu instid0(VALU_DEP_2) | instskip(SKIP_1) | instid1(VALU_DEP_2)
	v_cmp_gt_i32_e64 s0, s18, v7
	v_mov_b32_e32 v7, 0
	s_and_b32 s11, s7, s0
	s_delay_alu instid0(SALU_CYCLE_1)
	s_and_saveexec_b32 s10, s11
	s_cbranch_execz .LBB318_14
; %bb.13:
	global_load_u16 v11, v[3:4], off offset:768
	global_load_u16 v12, v[5:6], off offset:768
	s_waitcnt vmcnt(1)
	v_lshlrev_b32_e32 v11, 16, v11
	s_waitcnt vmcnt(0)
	v_lshlrev_b32_e32 v12, 16, v12
.LBB318_14:
	s_or_b32 exec_lo, exec_lo, s10
	v_or_b32_e32 v2, 0x1c0, v2
	s_delay_alu instid0(VALU_DEP_1) | instskip(SKIP_2) | instid1(SALU_CYCLE_1)
	v_cmp_gt_i32_e32 vcc_lo, s18, v2
	v_mov_b32_e32 v2, 0
	s_and_b32 s10, s7, vcc_lo
	s_and_saveexec_b32 s7, s10
	s_cbranch_execz .LBB318_16
; %bb.15:
	global_load_u16 v2, v[3:4], off offset:896
	global_load_u16 v3, v[5:6], off offset:896
	s_waitcnt vmcnt(1)
	v_lshlrev_b32_e32 v7, 16, v2
	s_waitcnt vmcnt(0)
	v_lshlrev_b32_e32 v2, 16, v3
.LBB318_16:
	s_or_b32 exec_lo, exec_lo, s7
	v_mbcnt_lo_u32_b32 v4, -1, 0
	s_mov_b32 s10, exec_lo
	s_delay_alu instid0(VALU_DEP_1) | instskip(SKIP_1) | instid1(VALU_DEP_2)
	v_or_b32_e32 v5, 32, v4
	v_xor_b32_e32 v6, 16, v4
	v_cmp_gt_i32_e64 s7, 64, v5
	s_delay_alu instid0(VALU_DEP_1) | instskip(NEXT) | instid1(VALU_DEP_3)
	v_cndmask_b32_e64 v5, v4, v5, s7
	v_cmp_gt_i32_e64 s7, 64, v6
	s_delay_alu instid0(VALU_DEP_2) | instskip(NEXT) | instid1(VALU_DEP_2)
	v_lshlrev_b32_e32 v5, 2, v5
	v_cndmask_b32_e64 v6, v4, v6, s7
	s_delay_alu instid0(VALU_DEP_1) | instskip(NEXT) | instid1(VALU_DEP_1)
	v_dual_add_f32 v3, 0, v19 :: v_dual_lshlrev_b32 v6, 2, v6
	v_add_f32_e32 v3, v3, v10
	s_delay_alu instid0(VALU_DEP_1) | instskip(NEXT) | instid1(VALU_DEP_1)
	v_add_f32_e32 v3, v3, v17
	v_add_f32_e32 v3, v3, v9
	s_delay_alu instid0(VALU_DEP_1) | instskip(NEXT) | instid1(VALU_DEP_1)
	v_add_f32_e32 v3, v3, v14
	;; [unrolled: 3-line block ×3, first 2 shown]
	v_add_f32_e32 v3, v3, v7
	ds_bpermute_b32 v5, v5, v3
	s_waitcnt lgkmcnt(0)
	v_add_f32_e32 v3, v3, v5
	ds_bpermute_b32 v5, v6, v3
	v_xor_b32_e32 v6, 8, v4
	s_delay_alu instid0(VALU_DEP_1) | instskip(NEXT) | instid1(VALU_DEP_1)
	v_cmp_gt_i32_e64 s7, 64, v6
	v_cndmask_b32_e64 v6, v4, v6, s7
	s_waitcnt lgkmcnt(0)
	s_delay_alu instid0(VALU_DEP_1) | instskip(SKIP_2) | instid1(VALU_DEP_1)
	v_dual_add_f32 v3, v3, v5 :: v_dual_lshlrev_b32 v6, 2, v6
	ds_bpermute_b32 v5, v6, v3
	v_xor_b32_e32 v6, 4, v4
	v_cmp_gt_i32_e64 s7, 64, v6
	s_delay_alu instid0(VALU_DEP_1) | instskip(SKIP_1) | instid1(VALU_DEP_1)
	v_cndmask_b32_e64 v6, v4, v6, s7
	s_waitcnt lgkmcnt(0)
	v_dual_add_f32 v3, v3, v5 :: v_dual_lshlrev_b32 v6, 2, v6
	ds_bpermute_b32 v5, v6, v3
	v_xor_b32_e32 v6, 2, v4
	s_delay_alu instid0(VALU_DEP_1) | instskip(NEXT) | instid1(VALU_DEP_1)
	v_cmp_gt_i32_e64 s7, 64, v6
	v_cndmask_b32_e64 v6, v4, v6, s7
	s_waitcnt lgkmcnt(0)
	s_delay_alu instid0(VALU_DEP_1) | instskip(SKIP_2) | instid1(VALU_DEP_1)
	v_dual_add_f32 v3, v3, v5 :: v_dual_lshlrev_b32 v6, 2, v6
	ds_bpermute_b32 v5, v6, v3
	v_xor_b32_e32 v6, 1, v4
	v_cmp_gt_i32_e64 s7, 64, v6
	s_delay_alu instid0(VALU_DEP_1) | instskip(SKIP_1) | instid1(VALU_DEP_1)
	v_cndmask_b32_e64 v4, v4, v6, s7
	s_waitcnt lgkmcnt(0)
	v_dual_add_f32 v3, v3, v5 :: v_dual_lshlrev_b32 v4, 2, v4
	ds_bpermute_b32 v4, v4, v3
	v_cmpx_lt_i32_e32 0, v22
	s_cbranch_execz .LBB318_26
; %bb.17:
	v_add_co_u32 v0, s7, s8, v0
	s_delay_alu instid0(VALU_DEP_1)
	v_add_co_ci_u32_e64 v1, s7, s9, v1, s7
	s_waitcnt lgkmcnt(0)
	v_add_f32_e32 v3, v3, v4
	s_and_saveexec_b32 s7, s6
	s_cbranch_execnz .LBB318_27
; %bb.18:
	s_or_b32 exec_lo, exec_lo, s7
	s_and_saveexec_b32 s6, s5
	s_cbranch_execnz .LBB318_28
.LBB318_19:
	s_or_b32 exec_lo, exec_lo, s6
	s_and_saveexec_b32 s5, s4
	s_cbranch_execnz .LBB318_29
.LBB318_20:
	s_or_b32 exec_lo, exec_lo, s5
	s_and_saveexec_b32 s4, s3
	s_cbranch_execnz .LBB318_30
.LBB318_21:
	s_or_b32 exec_lo, exec_lo, s4
	s_and_saveexec_b32 s3, s2
	s_cbranch_execnz .LBB318_31
.LBB318_22:
	s_or_b32 exec_lo, exec_lo, s3
	s_and_saveexec_b32 s2, s1
	s_cbranch_execnz .LBB318_32
.LBB318_23:
	s_or_b32 exec_lo, exec_lo, s2
	s_and_saveexec_b32 s1, s0
	s_cbranch_execnz .LBB318_33
.LBB318_24:
	s_or_b32 exec_lo, exec_lo, s1
	s_delay_alu instid0(SALU_CYCLE_1)
	s_and_b32 exec_lo, exec_lo, vcc_lo
	s_cbranch_execz .LBB318_26
.LBB318_25:
	v_mul_f32_e32 v4, 0x3fb8aa3b, v2
	v_cmp_ngt_f32_e32 vcc_lo, 0xc2ce8ed0, v2
	s_delay_alu instid0(VALU_DEP_2) | instskip(SKIP_1) | instid1(VALU_DEP_2)
	v_rndne_f32_e32 v5, v4
	v_fma_f32 v6, 0x3fb8aa3b, v2, -v4
	v_sub_f32_e32 v4, v4, v5
	s_delay_alu instid0(VALU_DEP_2) | instskip(SKIP_1) | instid1(VALU_DEP_2)
	v_fmamk_f32 v6, v2, 0x32a5705f, v6
	v_cvt_i32_f32_e32 v5, v5
	v_add_f32_e32 v4, v4, v6
	s_delay_alu instid0(VALU_DEP_1) | instskip(SKIP_2) | instid1(VALU_DEP_1)
	v_exp_f32_e32 v4, v4
	s_waitcnt_depctr 0xfff
	v_ldexp_f32 v4, v4, v5
	v_cndmask_b32_e32 v4, 0, v4, vcc_lo
	v_cmp_nlt_f32_e32 vcc_lo, 0x42b17218, v2
	s_delay_alu instid0(VALU_DEP_2) | instskip(NEXT) | instid1(VALU_DEP_1)
	v_cndmask_b32_e32 v2, 0x7f800000, v4, vcc_lo
	v_fma_f32 v2, -v3, v2, v7
	s_delay_alu instid0(VALU_DEP_1) | instskip(SKIP_1) | instid1(VALU_DEP_2)
	v_bfe_u32 v3, v2, 16, 1
	v_cmp_o_f32_e32 vcc_lo, v2, v2
	v_add3_u32 v3, v2, v3, 0x7fff
	s_delay_alu instid0(VALU_DEP_1) | instskip(NEXT) | instid1(VALU_DEP_1)
	v_lshrrev_b32_e32 v3, 16, v3
	v_cndmask_b32_e32 v2, 0x7fc0, v3, vcc_lo
	global_store_b16 v[0:1], v2, off offset:896
.LBB318_26:
	s_nop 0
	s_sendmsg sendmsg(MSG_DEALLOC_VGPRS)
	s_endpgm
.LBB318_27:
	v_mul_f32_e32 v4, 0x3fb8aa3b, v21
	v_cmp_ngt_f32_e64 s6, 0xc2ce8ed0, v21
	s_delay_alu instid0(VALU_DEP_2) | instskip(SKIP_1) | instid1(VALU_DEP_2)
	v_rndne_f32_e32 v5, v4
	v_fma_f32 v6, 0x3fb8aa3b, v21, -v4
	v_sub_f32_e32 v4, v4, v5
	s_delay_alu instid0(VALU_DEP_2) | instskip(SKIP_1) | instid1(VALU_DEP_2)
	v_fmamk_f32 v6, v21, 0x32a5705f, v6
	v_cvt_i32_f32_e32 v5, v5
	v_add_f32_e32 v4, v4, v6
	s_delay_alu instid0(VALU_DEP_1) | instskip(SKIP_2) | instid1(VALU_DEP_1)
	v_exp_f32_e32 v4, v4
	s_waitcnt_depctr 0xfff
	v_ldexp_f32 v4, v4, v5
	v_cndmask_b32_e64 v4, 0, v4, s6
	v_cmp_nlt_f32_e64 s6, 0x42b17218, v21
	s_delay_alu instid0(VALU_DEP_1) | instskip(NEXT) | instid1(VALU_DEP_1)
	v_cndmask_b32_e64 v4, 0x7f800000, v4, s6
	v_fma_f32 v4, -v3, v4, v19
	s_delay_alu instid0(VALU_DEP_1) | instskip(SKIP_1) | instid1(VALU_DEP_2)
	v_bfe_u32 v5, v4, 16, 1
	v_cmp_o_f32_e64 s6, v4, v4
	v_add3_u32 v5, v4, v5, 0x7fff
	s_delay_alu instid0(VALU_DEP_1) | instskip(NEXT) | instid1(VALU_DEP_1)
	v_lshrrev_b32_e32 v5, 16, v5
	v_cndmask_b32_e64 v4, 0x7fc0, v5, s6
	global_store_b16 v[0:1], v4, off
	s_or_b32 exec_lo, exec_lo, s7
	s_and_saveexec_b32 s6, s5
	s_cbranch_execz .LBB318_19
.LBB318_28:
	v_mul_f32_e32 v4, 0x3fb8aa3b, v20
	v_cmp_ngt_f32_e64 s5, 0xc2ce8ed0, v20
	s_delay_alu instid0(VALU_DEP_2) | instskip(SKIP_1) | instid1(VALU_DEP_2)
	v_rndne_f32_e32 v5, v4
	v_fma_f32 v6, 0x3fb8aa3b, v20, -v4
	v_sub_f32_e32 v4, v4, v5
	s_delay_alu instid0(VALU_DEP_2) | instskip(SKIP_1) | instid1(VALU_DEP_2)
	v_fmamk_f32 v6, v20, 0x32a5705f, v6
	v_cvt_i32_f32_e32 v5, v5
	v_add_f32_e32 v4, v4, v6
	s_delay_alu instid0(VALU_DEP_1) | instskip(SKIP_2) | instid1(VALU_DEP_1)
	v_exp_f32_e32 v4, v4
	s_waitcnt_depctr 0xfff
	v_ldexp_f32 v4, v4, v5
	v_cndmask_b32_e64 v4, 0, v4, s5
	v_cmp_nlt_f32_e64 s5, 0x42b17218, v20
	s_delay_alu instid0(VALU_DEP_1) | instskip(NEXT) | instid1(VALU_DEP_1)
	v_cndmask_b32_e64 v4, 0x7f800000, v4, s5
	v_fma_f32 v4, -v3, v4, v10
	s_delay_alu instid0(VALU_DEP_1) | instskip(SKIP_1) | instid1(VALU_DEP_2)
	v_bfe_u32 v5, v4, 16, 1
	v_cmp_o_f32_e64 s5, v4, v4
	v_add3_u32 v5, v4, v5, 0x7fff
	s_delay_alu instid0(VALU_DEP_1) | instskip(NEXT) | instid1(VALU_DEP_1)
	v_lshrrev_b32_e32 v5, 16, v5
	v_cndmask_b32_e64 v4, 0x7fc0, v5, s5
	global_store_b16 v[0:1], v4, off offset:128
	s_or_b32 exec_lo, exec_lo, s6
	s_and_saveexec_b32 s5, s4
	s_cbranch_execz .LBB318_20
.LBB318_29:
	v_mul_f32_e32 v4, 0x3fb8aa3b, v18
	v_cmp_ngt_f32_e64 s4, 0xc2ce8ed0, v18
	s_delay_alu instid0(VALU_DEP_2) | instskip(SKIP_1) | instid1(VALU_DEP_2)
	v_rndne_f32_e32 v5, v4
	v_fma_f32 v6, 0x3fb8aa3b, v18, -v4
	v_sub_f32_e32 v4, v4, v5
	s_delay_alu instid0(VALU_DEP_2) | instskip(SKIP_1) | instid1(VALU_DEP_2)
	v_fmamk_f32 v6, v18, 0x32a5705f, v6
	v_cvt_i32_f32_e32 v5, v5
	v_add_f32_e32 v4, v4, v6
	s_delay_alu instid0(VALU_DEP_1) | instskip(SKIP_2) | instid1(VALU_DEP_1)
	v_exp_f32_e32 v4, v4
	s_waitcnt_depctr 0xfff
	v_ldexp_f32 v4, v4, v5
	v_cndmask_b32_e64 v4, 0, v4, s4
	v_cmp_nlt_f32_e64 s4, 0x42b17218, v18
	s_delay_alu instid0(VALU_DEP_1) | instskip(NEXT) | instid1(VALU_DEP_1)
	v_cndmask_b32_e64 v4, 0x7f800000, v4, s4
	v_fma_f32 v4, -v3, v4, v17
	s_delay_alu instid0(VALU_DEP_1) | instskip(SKIP_1) | instid1(VALU_DEP_2)
	v_bfe_u32 v5, v4, 16, 1
	v_cmp_o_f32_e64 s4, v4, v4
	v_add3_u32 v5, v4, v5, 0x7fff
	s_delay_alu instid0(VALU_DEP_1) | instskip(NEXT) | instid1(VALU_DEP_1)
	v_lshrrev_b32_e32 v5, 16, v5
	v_cndmask_b32_e64 v4, 0x7fc0, v5, s4
	global_store_b16 v[0:1], v4, off offset:256
	s_or_b32 exec_lo, exec_lo, s5
	s_and_saveexec_b32 s4, s3
	s_cbranch_execz .LBB318_21
.LBB318_30:
	v_mul_f32_e32 v4, 0x3fb8aa3b, v16
	v_cmp_ngt_f32_e64 s3, 0xc2ce8ed0, v16
	s_delay_alu instid0(VALU_DEP_2) | instskip(SKIP_1) | instid1(VALU_DEP_2)
	v_rndne_f32_e32 v5, v4
	v_fma_f32 v6, 0x3fb8aa3b, v16, -v4
	v_sub_f32_e32 v4, v4, v5
	s_delay_alu instid0(VALU_DEP_2) | instskip(SKIP_1) | instid1(VALU_DEP_2)
	v_fmamk_f32 v6, v16, 0x32a5705f, v6
	v_cvt_i32_f32_e32 v5, v5
	v_add_f32_e32 v4, v4, v6
	s_delay_alu instid0(VALU_DEP_1) | instskip(SKIP_2) | instid1(VALU_DEP_1)
	v_exp_f32_e32 v4, v4
	s_waitcnt_depctr 0xfff
	v_ldexp_f32 v4, v4, v5
	v_cndmask_b32_e64 v4, 0, v4, s3
	v_cmp_nlt_f32_e64 s3, 0x42b17218, v16
	s_delay_alu instid0(VALU_DEP_1) | instskip(NEXT) | instid1(VALU_DEP_1)
	v_cndmask_b32_e64 v4, 0x7f800000, v4, s3
	v_fma_f32 v4, -v3, v4, v9
	s_delay_alu instid0(VALU_DEP_1) | instskip(SKIP_1) | instid1(VALU_DEP_2)
	v_bfe_u32 v5, v4, 16, 1
	v_cmp_o_f32_e64 s3, v4, v4
	v_add3_u32 v5, v4, v5, 0x7fff
	s_delay_alu instid0(VALU_DEP_1) | instskip(NEXT) | instid1(VALU_DEP_1)
	v_lshrrev_b32_e32 v5, 16, v5
	v_cndmask_b32_e64 v4, 0x7fc0, v5, s3
	global_store_b16 v[0:1], v4, off offset:384
	s_or_b32 exec_lo, exec_lo, s4
	s_and_saveexec_b32 s3, s2
	s_cbranch_execz .LBB318_22
.LBB318_31:
	v_mul_f32_e32 v4, 0x3fb8aa3b, v15
	v_cmp_ngt_f32_e64 s2, 0xc2ce8ed0, v15
	s_delay_alu instid0(VALU_DEP_2) | instskip(SKIP_1) | instid1(VALU_DEP_2)
	v_rndne_f32_e32 v5, v4
	v_fma_f32 v6, 0x3fb8aa3b, v15, -v4
	v_sub_f32_e32 v4, v4, v5
	s_delay_alu instid0(VALU_DEP_2) | instskip(SKIP_1) | instid1(VALU_DEP_2)
	v_fmamk_f32 v6, v15, 0x32a5705f, v6
	v_cvt_i32_f32_e32 v5, v5
	v_add_f32_e32 v4, v4, v6
	s_delay_alu instid0(VALU_DEP_1) | instskip(SKIP_2) | instid1(VALU_DEP_1)
	v_exp_f32_e32 v4, v4
	s_waitcnt_depctr 0xfff
	v_ldexp_f32 v4, v4, v5
	v_cndmask_b32_e64 v4, 0, v4, s2
	v_cmp_nlt_f32_e64 s2, 0x42b17218, v15
	s_delay_alu instid0(VALU_DEP_1) | instskip(NEXT) | instid1(VALU_DEP_1)
	v_cndmask_b32_e64 v4, 0x7f800000, v4, s2
	v_fma_f32 v4, -v3, v4, v14
	s_delay_alu instid0(VALU_DEP_1) | instskip(SKIP_1) | instid1(VALU_DEP_2)
	v_bfe_u32 v5, v4, 16, 1
	v_cmp_o_f32_e64 s2, v4, v4
	v_add3_u32 v5, v4, v5, 0x7fff
	s_delay_alu instid0(VALU_DEP_1) | instskip(NEXT) | instid1(VALU_DEP_1)
	v_lshrrev_b32_e32 v5, 16, v5
	v_cndmask_b32_e64 v4, 0x7fc0, v5, s2
	global_store_b16 v[0:1], v4, off offset:512
	s_or_b32 exec_lo, exec_lo, s3
	s_and_saveexec_b32 s2, s1
	s_cbranch_execz .LBB318_23
.LBB318_32:
	v_mul_f32_e32 v4, 0x3fb8aa3b, v13
	v_cmp_ngt_f32_e64 s1, 0xc2ce8ed0, v13
	s_delay_alu instid0(VALU_DEP_2) | instskip(SKIP_1) | instid1(VALU_DEP_2)
	v_rndne_f32_e32 v5, v4
	v_fma_f32 v6, 0x3fb8aa3b, v13, -v4
	v_sub_f32_e32 v4, v4, v5
	s_delay_alu instid0(VALU_DEP_2) | instskip(SKIP_1) | instid1(VALU_DEP_2)
	v_fmamk_f32 v6, v13, 0x32a5705f, v6
	v_cvt_i32_f32_e32 v5, v5
	v_add_f32_e32 v4, v4, v6
	s_delay_alu instid0(VALU_DEP_1) | instskip(SKIP_2) | instid1(VALU_DEP_1)
	v_exp_f32_e32 v4, v4
	s_waitcnt_depctr 0xfff
	v_ldexp_f32 v4, v4, v5
	v_cndmask_b32_e64 v4, 0, v4, s1
	v_cmp_nlt_f32_e64 s1, 0x42b17218, v13
	s_delay_alu instid0(VALU_DEP_1) | instskip(NEXT) | instid1(VALU_DEP_1)
	v_cndmask_b32_e64 v4, 0x7f800000, v4, s1
	v_fma_f32 v4, -v3, v4, v8
	s_delay_alu instid0(VALU_DEP_1) | instskip(SKIP_1) | instid1(VALU_DEP_2)
	v_bfe_u32 v5, v4, 16, 1
	v_cmp_o_f32_e64 s1, v4, v4
	v_add3_u32 v5, v4, v5, 0x7fff
	s_delay_alu instid0(VALU_DEP_1) | instskip(NEXT) | instid1(VALU_DEP_1)
	v_lshrrev_b32_e32 v5, 16, v5
	v_cndmask_b32_e64 v4, 0x7fc0, v5, s1
	global_store_b16 v[0:1], v4, off offset:640
	s_or_b32 exec_lo, exec_lo, s2
	s_and_saveexec_b32 s1, s0
	s_cbranch_execz .LBB318_24
.LBB318_33:
	v_mul_f32_e32 v4, 0x3fb8aa3b, v12
	v_cmp_ngt_f32_e64 s0, 0xc2ce8ed0, v12
	s_delay_alu instid0(VALU_DEP_2) | instskip(SKIP_1) | instid1(VALU_DEP_2)
	v_rndne_f32_e32 v5, v4
	v_fma_f32 v6, 0x3fb8aa3b, v12, -v4
	v_sub_f32_e32 v4, v4, v5
	s_delay_alu instid0(VALU_DEP_2) | instskip(SKIP_1) | instid1(VALU_DEP_2)
	v_fmamk_f32 v6, v12, 0x32a5705f, v6
	v_cvt_i32_f32_e32 v5, v5
	v_add_f32_e32 v4, v4, v6
	s_delay_alu instid0(VALU_DEP_1) | instskip(SKIP_2) | instid1(VALU_DEP_1)
	v_exp_f32_e32 v4, v4
	s_waitcnt_depctr 0xfff
	v_ldexp_f32 v4, v4, v5
	v_cndmask_b32_e64 v4, 0, v4, s0
	v_cmp_nlt_f32_e64 s0, 0x42b17218, v12
	s_delay_alu instid0(VALU_DEP_1) | instskip(NEXT) | instid1(VALU_DEP_1)
	v_cndmask_b32_e64 v4, 0x7f800000, v4, s0
	v_fma_f32 v4, -v3, v4, v11
	s_delay_alu instid0(VALU_DEP_1) | instskip(SKIP_1) | instid1(VALU_DEP_2)
	v_bfe_u32 v5, v4, 16, 1
	v_cmp_o_f32_e64 s0, v4, v4
	v_add3_u32 v5, v4, v5, 0x7fff
	s_delay_alu instid0(VALU_DEP_1) | instskip(NEXT) | instid1(VALU_DEP_1)
	v_lshrrev_b32_e32 v5, 16, v5
	v_cndmask_b32_e64 v4, 0x7fc0, v5, s0
	global_store_b16 v[0:1], v4, off offset:768
	s_or_b32 exec_lo, exec_lo, s1
	s_delay_alu instid0(SALU_CYCLE_1)
	s_and_b32 exec_lo, exec_lo, vcc_lo
	s_cbranch_execnz .LBB318_25
	s_branch .LBB318_26
	.section	.rodata,"a",@progbits
	.p2align	6, 0x0
	.amdhsa_kernel _ZN12_GLOBAL__N_121softmax_warp_backwardIN3c108BFloat16ES2_fLi9ELb1ELb0ELi64EEEvPT0_PKT_S7_iiiPKb
		.amdhsa_group_segment_fixed_size 0
		.amdhsa_private_segment_fixed_size 0
		.amdhsa_kernarg_size 304
		.amdhsa_user_sgpr_count 15
		.amdhsa_user_sgpr_dispatch_ptr 0
		.amdhsa_user_sgpr_queue_ptr 0
		.amdhsa_user_sgpr_kernarg_segment_ptr 1
		.amdhsa_user_sgpr_dispatch_id 0
		.amdhsa_user_sgpr_private_segment_size 0
		.amdhsa_wavefront_size32 1
		.amdhsa_uses_dynamic_stack 0
		.amdhsa_enable_private_segment 0
		.amdhsa_system_sgpr_workgroup_id_x 1
		.amdhsa_system_sgpr_workgroup_id_y 0
		.amdhsa_system_sgpr_workgroup_id_z 0
		.amdhsa_system_sgpr_workgroup_info 0
		.amdhsa_system_vgpr_workitem_id 1
		.amdhsa_next_free_vgpr 23
		.amdhsa_next_free_sgpr 20
		.amdhsa_reserve_vcc 1
		.amdhsa_float_round_mode_32 0
		.amdhsa_float_round_mode_16_64 0
		.amdhsa_float_denorm_mode_32 3
		.amdhsa_float_denorm_mode_16_64 3
		.amdhsa_dx10_clamp 1
		.amdhsa_ieee_mode 1
		.amdhsa_fp16_overflow 0
		.amdhsa_workgroup_processor_mode 1
		.amdhsa_memory_ordered 1
		.amdhsa_forward_progress 0
		.amdhsa_shared_vgpr_count 0
		.amdhsa_exception_fp_ieee_invalid_op 0
		.amdhsa_exception_fp_denorm_src 0
		.amdhsa_exception_fp_ieee_div_zero 0
		.amdhsa_exception_fp_ieee_overflow 0
		.amdhsa_exception_fp_ieee_underflow 0
		.amdhsa_exception_fp_ieee_inexact 0
		.amdhsa_exception_int_div_zero 0
	.end_amdhsa_kernel
	.section	.text._ZN12_GLOBAL__N_121softmax_warp_backwardIN3c108BFloat16ES2_fLi9ELb1ELb0ELi64EEEvPT0_PKT_S7_iiiPKb,"axG",@progbits,_ZN12_GLOBAL__N_121softmax_warp_backwardIN3c108BFloat16ES2_fLi9ELb1ELb0ELi64EEEvPT0_PKT_S7_iiiPKb,comdat
.Lfunc_end318:
	.size	_ZN12_GLOBAL__N_121softmax_warp_backwardIN3c108BFloat16ES2_fLi9ELb1ELb0ELi64EEEvPT0_PKT_S7_iiiPKb, .Lfunc_end318-_ZN12_GLOBAL__N_121softmax_warp_backwardIN3c108BFloat16ES2_fLi9ELb1ELb0ELi64EEEvPT0_PKT_S7_iiiPKb
                                        ; -- End function
	.section	.AMDGPU.csdata,"",@progbits
; Kernel info:
; codeLenInByte = 2800
; NumSgprs: 22
; NumVgprs: 23
; ScratchSize: 0
; MemoryBound: 0
; FloatMode: 240
; IeeeMode: 1
; LDSByteSize: 0 bytes/workgroup (compile time only)
; SGPRBlocks: 2
; VGPRBlocks: 2
; NumSGPRsForWavesPerEU: 22
; NumVGPRsForWavesPerEU: 23
; Occupancy: 16
; WaveLimiterHint : 0
; COMPUTE_PGM_RSRC2:SCRATCH_EN: 0
; COMPUTE_PGM_RSRC2:USER_SGPR: 15
; COMPUTE_PGM_RSRC2:TRAP_HANDLER: 0
; COMPUTE_PGM_RSRC2:TGID_X_EN: 1
; COMPUTE_PGM_RSRC2:TGID_Y_EN: 0
; COMPUTE_PGM_RSRC2:TGID_Z_EN: 0
; COMPUTE_PGM_RSRC2:TIDIG_COMP_CNT: 1
	.section	.text._ZN12_GLOBAL__N_121softmax_warp_backwardIN3c108BFloat16ES2_fLi9ELb1ELb0ELi32EEEvPT0_PKT_S7_iiiPKb,"axG",@progbits,_ZN12_GLOBAL__N_121softmax_warp_backwardIN3c108BFloat16ES2_fLi9ELb1ELb0ELi32EEEvPT0_PKT_S7_iiiPKb,comdat
	.globl	_ZN12_GLOBAL__N_121softmax_warp_backwardIN3c108BFloat16ES2_fLi9ELb1ELb0ELi32EEEvPT0_PKT_S7_iiiPKb ; -- Begin function _ZN12_GLOBAL__N_121softmax_warp_backwardIN3c108BFloat16ES2_fLi9ELb1ELb0ELi32EEEvPT0_PKT_S7_iiiPKb
	.p2align	8
	.type	_ZN12_GLOBAL__N_121softmax_warp_backwardIN3c108BFloat16ES2_fLi9ELb1ELb0ELi32EEEvPT0_PKT_S7_iiiPKb,@function
_ZN12_GLOBAL__N_121softmax_warp_backwardIN3c108BFloat16ES2_fLi9ELb1ELb0ELi32EEEvPT0_PKT_S7_iiiPKb: ; @_ZN12_GLOBAL__N_121softmax_warp_backwardIN3c108BFloat16ES2_fLi9ELb1ELb0ELi32EEEvPT0_PKT_S7_iiiPKb
; %bb.0:
	s_clause 0x1
	s_load_b32 s2, s[0:1], 0x3c
	s_load_b128 s[20:23], s[0:1], 0x18
	v_bfe_u32 v1, v0, 10, 10
	s_clause 0x1
	s_load_b128 s[16:19], s[0:1], 0x0
	s_load_b64 s[0:1], s[0:1], 0x10
	v_mov_b32_e32 v35, 0
	v_mov_b32_e32 v37, 0
	;; [unrolled: 1-line block ×3, first 2 shown]
	s_waitcnt lgkmcnt(0)
	s_lshr_b32 s2, s2, 16
	s_delay_alu instid0(SALU_CYCLE_1) | instskip(SKIP_1) | instid1(VALU_DEP_1)
	v_mad_u64_u32 v[3:4], null, s15, s2, v[1:2]
	v_and_b32_e32 v2, 31, v0
	v_cmp_gt_i32_e64 s14, s22, v2
	s_delay_alu instid0(VALU_DEP_3) | instskip(SKIP_1) | instid1(VALU_DEP_1)
	v_mad_u64_u32 v[0:1], null, v3, s21, v[2:3]
	v_sub_nc_u32_e32 v38, s20, v3
	v_cmp_lt_i32_e64 s15, 0, v38
	s_delay_alu instid0(VALU_DEP_3) | instskip(NEXT) | instid1(VALU_DEP_1)
	v_ashrrev_i32_e32 v1, 31, v0
	v_lshlrev_b64 v[0:1], 1, v[0:1]
	s_delay_alu instid0(VALU_DEP_1) | instskip(NEXT) | instid1(VALU_DEP_2)
	v_add_co_u32 v3, vcc_lo, s18, v0
	v_add_co_ci_u32_e32 v4, vcc_lo, s19, v1, vcc_lo
	v_add_co_u32 v5, vcc_lo, s0, v0
	v_add_co_ci_u32_e32 v6, vcc_lo, s1, v1, vcc_lo
	s_and_b32 s1, s15, s14
	s_delay_alu instid0(SALU_CYCLE_1)
	s_and_saveexec_b32 s0, s1
	s_cbranch_execz .LBB319_2
; %bb.1:
	global_load_u16 v7, v[3:4], off
	global_load_u16 v8, v[5:6], off
	s_waitcnt vmcnt(1)
	v_lshlrev_b32_e32 v35, 16, v7
	s_waitcnt vmcnt(0)
	v_lshlrev_b32_e32 v37, 16, v8
.LBB319_2:
	s_or_b32 exec_lo, exec_lo, s0
	v_or_b32_e32 v7, 32, v2
	v_mov_b32_e32 v36, 0
	s_delay_alu instid0(VALU_DEP_2) | instskip(NEXT) | instid1(VALU_DEP_1)
	v_cmp_gt_i32_e64 s13, s22, v7
	s_and_b32 s1, s15, s13
	s_delay_alu instid0(SALU_CYCLE_1)
	s_and_saveexec_b32 s0, s1
	s_cbranch_execz .LBB319_4
; %bb.3:
	global_load_u16 v7, v[3:4], off offset:64
	global_load_u16 v8, v[5:6], off offset:64
	s_waitcnt vmcnt(1)
	v_lshlrev_b32_e32 v25, 16, v7
	s_waitcnt vmcnt(0)
	v_lshlrev_b32_e32 v36, 16, v8
.LBB319_4:
	s_or_b32 exec_lo, exec_lo, s0
	v_or_b32_e32 v7, 64, v2
	v_dual_mov_b32 v23, 0 :: v_dual_mov_b32 v34, 0
	v_mov_b32_e32 v33, 0
	s_delay_alu instid0(VALU_DEP_3) | instskip(NEXT) | instid1(VALU_DEP_1)
	v_cmp_gt_i32_e64 s12, s22, v7
	s_and_b32 s1, s15, s12
	s_delay_alu instid0(SALU_CYCLE_1)
	s_and_saveexec_b32 s0, s1
	s_cbranch_execz .LBB319_6
; %bb.5:
	global_load_u16 v7, v[3:4], off offset:128
	global_load_u16 v8, v[5:6], off offset:128
	s_waitcnt vmcnt(1)
	v_lshlrev_b32_e32 v33, 16, v7
	s_waitcnt vmcnt(0)
	v_lshlrev_b32_e32 v34, 16, v8
.LBB319_6:
	s_or_b32 exec_lo, exec_lo, s0
	v_or_b32_e32 v7, 0x60, v2
	v_mov_b32_e32 v32, 0
	s_delay_alu instid0(VALU_DEP_2) | instskip(NEXT) | instid1(VALU_DEP_1)
	v_cmp_gt_i32_e64 s11, s22, v7
	s_and_b32 s1, s15, s11
	s_delay_alu instid0(SALU_CYCLE_1)
	s_and_saveexec_b32 s0, s1
	s_cbranch_execz .LBB319_8
; %bb.7:
	global_load_u16 v7, v[3:4], off offset:192
	global_load_u16 v8, v[5:6], off offset:192
	s_waitcnt vmcnt(1)
	v_lshlrev_b32_e32 v23, 16, v7
	s_waitcnt vmcnt(0)
	v_lshlrev_b32_e32 v32, 16, v8
.LBB319_8:
	s_or_b32 exec_lo, exec_lo, s0
	v_or_b32_e32 v7, 0x80, v2
	v_dual_mov_b32 v19, 0 :: v_dual_mov_b32 v30, 0
	v_mov_b32_e32 v31, 0
	s_delay_alu instid0(VALU_DEP_3) | instskip(NEXT) | instid1(VALU_DEP_1)
	v_cmp_gt_i32_e64 s10, s22, v7
	s_and_b32 s1, s15, s10
	s_delay_alu instid0(SALU_CYCLE_1)
	s_and_saveexec_b32 s0, s1
	s_cbranch_execz .LBB319_10
; %bb.9:
	global_load_u16 v7, v[3:4], off offset:256
	global_load_u16 v8, v[5:6], off offset:256
	s_waitcnt vmcnt(1)
	v_lshlrev_b32_e32 v30, 16, v7
	s_waitcnt vmcnt(0)
	v_lshlrev_b32_e32 v31, 16, v8
.LBB319_10:
	;; [unrolled: 35-line block ×5, first 2 shown]
	s_or_b32 exec_lo, exec_lo, s0
	v_or_b32_e32 v7, 0x160, v2
	v_mov_b32_e32 v17, 0
	s_delay_alu instid0(VALU_DEP_2) | instskip(NEXT) | instid1(VALU_DEP_1)
	v_cmp_gt_i32_e64 s3, s22, v7
	s_and_b32 s1, s15, s3
	s_delay_alu instid0(SALU_CYCLE_1)
	s_and_saveexec_b32 s0, s1
	s_cbranch_execz .LBB319_24
; %bb.23:
	global_load_u16 v7, v[3:4], off offset:704
	global_load_u16 v8, v[5:6], off offset:704
	s_waitcnt vmcnt(1)
	v_lshlrev_b32_e32 v9, 16, v7
	s_waitcnt vmcnt(0)
	v_lshlrev_b32_e32 v17, 16, v8
.LBB319_24:
	s_or_b32 exec_lo, exec_lo, s0
	v_or_b32_e32 v7, 0x180, v2
	v_mov_b32_e32 v8, 0
	v_mov_b32_e32 v14, 0
	;; [unrolled: 1-line block ×3, first 2 shown]
	s_delay_alu instid0(VALU_DEP_4) | instskip(NEXT) | instid1(VALU_DEP_1)
	v_cmp_gt_i32_e64 s2, s22, v7
	s_and_b32 s1, s15, s2
	s_delay_alu instid0(SALU_CYCLE_1)
	s_and_saveexec_b32 s0, s1
	s_cbranch_execz .LBB319_26
; %bb.25:
	global_load_u16 v7, v[3:4], off offset:768
	global_load_u16 v10, v[5:6], off offset:768
	s_waitcnt vmcnt(1)
	v_lshlrev_b32_e32 v14, 16, v7
	s_waitcnt vmcnt(0)
	v_lshlrev_b32_e32 v16, 16, v10
.LBB319_26:
	s_or_b32 exec_lo, exec_lo, s0
	v_or_b32_e32 v7, 0x1a0, v2
	v_mov_b32_e32 v13, 0
	s_delay_alu instid0(VALU_DEP_2) | instskip(NEXT) | instid1(VALU_DEP_1)
	v_cmp_gt_i32_e64 s1, s22, v7
	s_and_b32 s18, s15, s1
	s_delay_alu instid0(SALU_CYCLE_1)
	s_and_saveexec_b32 s0, s18
	s_cbranch_execz .LBB319_28
; %bb.27:
	global_load_u16 v7, v[3:4], off offset:832
	global_load_u16 v10, v[5:6], off offset:832
	s_waitcnt vmcnt(1)
	v_lshlrev_b32_e32 v8, 16, v7
	s_waitcnt vmcnt(0)
	v_lshlrev_b32_e32 v13, 16, v10
.LBB319_28:
	s_or_b32 exec_lo, exec_lo, s0
	v_or_b32_e32 v7, 0x1c0, v2
	v_mov_b32_e32 v12, 0
	v_mov_b32_e32 v10, 0
	s_delay_alu instid0(VALU_DEP_3) | instskip(SKIP_1) | instid1(VALU_DEP_2)
	v_cmp_gt_i32_e64 s0, s22, v7
	v_mov_b32_e32 v7, 0
	s_and_b32 s19, s15, s0
	s_delay_alu instid0(SALU_CYCLE_1)
	s_and_saveexec_b32 s18, s19
	s_cbranch_execz .LBB319_30
; %bb.29:
	global_load_u16 v10, v[3:4], off offset:896
	global_load_u16 v12, v[5:6], off offset:896
	s_waitcnt vmcnt(1)
	v_lshlrev_b32_e32 v10, 16, v10
	s_waitcnt vmcnt(0)
	v_lshlrev_b32_e32 v12, 16, v12
.LBB319_30:
	s_or_b32 exec_lo, exec_lo, s18
	v_or_b32_e32 v2, 0x1e0, v2
	s_delay_alu instid0(VALU_DEP_1) | instskip(SKIP_2) | instid1(SALU_CYCLE_1)
	v_cmp_gt_i32_e32 vcc_lo, s22, v2
	v_mov_b32_e32 v2, 0
	s_and_b32 s18, s15, vcc_lo
	s_and_saveexec_b32 s15, s18
	s_cbranch_execz .LBB319_32
; %bb.31:
	global_load_u16 v2, v[3:4], off offset:960
	global_load_u16 v3, v[5:6], off offset:960
	s_waitcnt vmcnt(1)
	v_lshlrev_b32_e32 v7, 16, v2
	s_waitcnt vmcnt(0)
	v_lshlrev_b32_e32 v2, 16, v3
.LBB319_32:
	s_or_b32 exec_lo, exec_lo, s15
	v_mbcnt_lo_u32_b32 v4, -1, 0
	s_mov_b32 s18, exec_lo
	s_delay_alu instid0(VALU_DEP_1) | instskip(SKIP_1) | instid1(VALU_DEP_2)
	v_xor_b32_e32 v5, 16, v4
	v_xor_b32_e32 v6, 8, v4
	v_cmp_gt_i32_e64 s15, 32, v5
	s_delay_alu instid0(VALU_DEP_1) | instskip(NEXT) | instid1(VALU_DEP_3)
	v_cndmask_b32_e64 v5, v4, v5, s15
	v_cmp_gt_i32_e64 s15, 32, v6
	s_delay_alu instid0(VALU_DEP_2) | instskip(NEXT) | instid1(VALU_DEP_2)
	v_lshlrev_b32_e32 v5, 2, v5
	v_cndmask_b32_e64 v6, v4, v6, s15
	s_delay_alu instid0(VALU_DEP_1) | instskip(NEXT) | instid1(VALU_DEP_1)
	v_dual_add_f32 v3, 0, v35 :: v_dual_lshlrev_b32 v6, 2, v6
	v_add_f32_e32 v3, v3, v25
	s_delay_alu instid0(VALU_DEP_1) | instskip(NEXT) | instid1(VALU_DEP_1)
	v_add_f32_e32 v3, v3, v33
	v_add_f32_e32 v3, v3, v23
	s_delay_alu instid0(VALU_DEP_1) | instskip(NEXT) | instid1(VALU_DEP_1)
	v_add_f32_e32 v3, v3, v30
	v_add_f32_e32 v3, v3, v19
	s_delay_alu instid0(VALU_DEP_1) | instskip(NEXT) | instid1(VALU_DEP_1)
	v_add_f32_e32 v3, v3, v27
	v_add_f32_e32 v3, v3, v15
	s_delay_alu instid0(VALU_DEP_1) | instskip(NEXT) | instid1(VALU_DEP_1)
	v_add_f32_e32 v3, v3, v22
	v_add_f32_e32 v3, v3, v11
	s_delay_alu instid0(VALU_DEP_1) | instskip(NEXT) | instid1(VALU_DEP_1)
	v_add_f32_e32 v3, v3, v18
	v_add_f32_e32 v3, v3, v9
	s_delay_alu instid0(VALU_DEP_1) | instskip(NEXT) | instid1(VALU_DEP_1)
	v_add_f32_e32 v3, v3, v14
	v_add_f32_e32 v3, v3, v8
	s_delay_alu instid0(VALU_DEP_1) | instskip(NEXT) | instid1(VALU_DEP_1)
	v_add_f32_e32 v3, v3, v10
	v_add_f32_e32 v3, v3, v7
	ds_bpermute_b32 v5, v5, v3
	s_waitcnt lgkmcnt(0)
	v_add_f32_e32 v3, v3, v5
	ds_bpermute_b32 v5, v6, v3
	v_xor_b32_e32 v6, 4, v4
	s_delay_alu instid0(VALU_DEP_1) | instskip(NEXT) | instid1(VALU_DEP_1)
	v_cmp_gt_i32_e64 s15, 32, v6
	v_cndmask_b32_e64 v6, v4, v6, s15
	s_waitcnt lgkmcnt(0)
	s_delay_alu instid0(VALU_DEP_1) | instskip(SKIP_2) | instid1(VALU_DEP_1)
	v_dual_add_f32 v3, v3, v5 :: v_dual_lshlrev_b32 v6, 2, v6
	ds_bpermute_b32 v5, v6, v3
	v_xor_b32_e32 v6, 2, v4
	v_cmp_gt_i32_e64 s15, 32, v6
	s_delay_alu instid0(VALU_DEP_1) | instskip(SKIP_1) | instid1(VALU_DEP_1)
	v_cndmask_b32_e64 v6, v4, v6, s15
	s_waitcnt lgkmcnt(0)
	v_dual_add_f32 v3, v3, v5 :: v_dual_lshlrev_b32 v6, 2, v6
	ds_bpermute_b32 v5, v6, v3
	v_xor_b32_e32 v6, 1, v4
	s_delay_alu instid0(VALU_DEP_1) | instskip(NEXT) | instid1(VALU_DEP_1)
	v_cmp_gt_i32_e64 s15, 32, v6
	v_cndmask_b32_e64 v4, v4, v6, s15
	s_waitcnt lgkmcnt(0)
	s_delay_alu instid0(VALU_DEP_1)
	v_dual_add_f32 v3, v3, v5 :: v_dual_lshlrev_b32 v4, 2, v4
	ds_bpermute_b32 v4, v4, v3
	v_cmpx_lt_i32_e32 0, v38
	s_cbranch_execz .LBB319_50
; %bb.33:
	v_add_co_u32 v0, s15, s16, v0
	s_delay_alu instid0(VALU_DEP_1)
	v_add_co_ci_u32_e64 v1, s15, s17, v1, s15
	s_waitcnt lgkmcnt(0)
	v_add_f32_e32 v3, v3, v4
	s_and_saveexec_b32 s15, s14
	s_cbranch_execnz .LBB319_51
; %bb.34:
	s_or_b32 exec_lo, exec_lo, s15
	s_and_saveexec_b32 s14, s13
	s_cbranch_execnz .LBB319_52
.LBB319_35:
	s_or_b32 exec_lo, exec_lo, s14
	s_and_saveexec_b32 s13, s12
	s_cbranch_execnz .LBB319_53
.LBB319_36:
	s_or_b32 exec_lo, exec_lo, s13
	s_and_saveexec_b32 s12, s11
	s_cbranch_execnz .LBB319_54
.LBB319_37:
	s_or_b32 exec_lo, exec_lo, s12
	s_and_saveexec_b32 s11, s10
	s_cbranch_execnz .LBB319_55
.LBB319_38:
	s_or_b32 exec_lo, exec_lo, s11
	s_and_saveexec_b32 s10, s9
	s_cbranch_execnz .LBB319_56
.LBB319_39:
	s_or_b32 exec_lo, exec_lo, s10
	s_and_saveexec_b32 s9, s8
	s_cbranch_execnz .LBB319_57
.LBB319_40:
	s_or_b32 exec_lo, exec_lo, s9
	s_and_saveexec_b32 s8, s7
	s_cbranch_execnz .LBB319_58
.LBB319_41:
	s_or_b32 exec_lo, exec_lo, s8
	s_and_saveexec_b32 s7, s6
	s_cbranch_execnz .LBB319_59
.LBB319_42:
	s_or_b32 exec_lo, exec_lo, s7
	s_and_saveexec_b32 s6, s5
	s_cbranch_execnz .LBB319_60
.LBB319_43:
	s_or_b32 exec_lo, exec_lo, s6
	s_and_saveexec_b32 s5, s4
	s_cbranch_execnz .LBB319_61
.LBB319_44:
	s_or_b32 exec_lo, exec_lo, s5
	s_and_saveexec_b32 s4, s3
	s_cbranch_execnz .LBB319_62
.LBB319_45:
	s_or_b32 exec_lo, exec_lo, s4
	s_and_saveexec_b32 s3, s2
	s_cbranch_execnz .LBB319_63
.LBB319_46:
	s_or_b32 exec_lo, exec_lo, s3
	s_and_saveexec_b32 s2, s1
	s_cbranch_execnz .LBB319_64
.LBB319_47:
	s_or_b32 exec_lo, exec_lo, s2
	s_and_saveexec_b32 s1, s0
	s_cbranch_execnz .LBB319_65
.LBB319_48:
	s_or_b32 exec_lo, exec_lo, s1
	s_delay_alu instid0(SALU_CYCLE_1)
	s_and_b32 exec_lo, exec_lo, vcc_lo
	s_cbranch_execz .LBB319_50
.LBB319_49:
	v_mul_f32_e32 v4, 0x3fb8aa3b, v2
	v_cmp_ngt_f32_e32 vcc_lo, 0xc2ce8ed0, v2
	s_delay_alu instid0(VALU_DEP_2) | instskip(SKIP_1) | instid1(VALU_DEP_2)
	v_rndne_f32_e32 v5, v4
	v_fma_f32 v6, 0x3fb8aa3b, v2, -v4
	v_sub_f32_e32 v4, v4, v5
	s_delay_alu instid0(VALU_DEP_2) | instskip(SKIP_1) | instid1(VALU_DEP_2)
	v_fmamk_f32 v6, v2, 0x32a5705f, v6
	v_cvt_i32_f32_e32 v5, v5
	v_add_f32_e32 v4, v4, v6
	s_delay_alu instid0(VALU_DEP_1) | instskip(SKIP_2) | instid1(VALU_DEP_1)
	v_exp_f32_e32 v4, v4
	s_waitcnt_depctr 0xfff
	v_ldexp_f32 v4, v4, v5
	v_cndmask_b32_e32 v4, 0, v4, vcc_lo
	v_cmp_nlt_f32_e32 vcc_lo, 0x42b17218, v2
	s_delay_alu instid0(VALU_DEP_2) | instskip(NEXT) | instid1(VALU_DEP_1)
	v_cndmask_b32_e32 v2, 0x7f800000, v4, vcc_lo
	v_fma_f32 v2, -v3, v2, v7
	s_delay_alu instid0(VALU_DEP_1) | instskip(SKIP_1) | instid1(VALU_DEP_2)
	v_bfe_u32 v3, v2, 16, 1
	v_cmp_o_f32_e32 vcc_lo, v2, v2
	v_add3_u32 v3, v2, v3, 0x7fff
	s_delay_alu instid0(VALU_DEP_1) | instskip(NEXT) | instid1(VALU_DEP_1)
	v_lshrrev_b32_e32 v3, 16, v3
	v_cndmask_b32_e32 v2, 0x7fc0, v3, vcc_lo
	global_store_b16 v[0:1], v2, off offset:960
.LBB319_50:
	s_nop 0
	s_sendmsg sendmsg(MSG_DEALLOC_VGPRS)
	s_endpgm
.LBB319_51:
	v_mul_f32_e32 v4, 0x3fb8aa3b, v37
	v_cmp_ngt_f32_e64 s14, 0xc2ce8ed0, v37
	s_delay_alu instid0(VALU_DEP_2) | instskip(SKIP_1) | instid1(VALU_DEP_2)
	v_rndne_f32_e32 v5, v4
	v_fma_f32 v6, 0x3fb8aa3b, v37, -v4
	v_sub_f32_e32 v4, v4, v5
	s_delay_alu instid0(VALU_DEP_2) | instskip(SKIP_1) | instid1(VALU_DEP_2)
	v_fmamk_f32 v6, v37, 0x32a5705f, v6
	v_cvt_i32_f32_e32 v5, v5
	v_add_f32_e32 v4, v4, v6
	s_delay_alu instid0(VALU_DEP_1) | instskip(SKIP_2) | instid1(VALU_DEP_1)
	v_exp_f32_e32 v4, v4
	s_waitcnt_depctr 0xfff
	v_ldexp_f32 v4, v4, v5
	v_cndmask_b32_e64 v4, 0, v4, s14
	v_cmp_nlt_f32_e64 s14, 0x42b17218, v37
	s_delay_alu instid0(VALU_DEP_1) | instskip(NEXT) | instid1(VALU_DEP_1)
	v_cndmask_b32_e64 v4, 0x7f800000, v4, s14
	v_fma_f32 v4, -v3, v4, v35
	s_delay_alu instid0(VALU_DEP_1) | instskip(SKIP_1) | instid1(VALU_DEP_2)
	v_bfe_u32 v5, v4, 16, 1
	v_cmp_o_f32_e64 s14, v4, v4
	v_add3_u32 v5, v4, v5, 0x7fff
	s_delay_alu instid0(VALU_DEP_1) | instskip(NEXT) | instid1(VALU_DEP_1)
	v_lshrrev_b32_e32 v5, 16, v5
	v_cndmask_b32_e64 v4, 0x7fc0, v5, s14
	global_store_b16 v[0:1], v4, off
	s_or_b32 exec_lo, exec_lo, s15
	s_and_saveexec_b32 s14, s13
	s_cbranch_execz .LBB319_35
.LBB319_52:
	v_mul_f32_e32 v4, 0x3fb8aa3b, v36
	v_cmp_ngt_f32_e64 s13, 0xc2ce8ed0, v36
	s_delay_alu instid0(VALU_DEP_2) | instskip(SKIP_1) | instid1(VALU_DEP_2)
	v_rndne_f32_e32 v5, v4
	v_fma_f32 v6, 0x3fb8aa3b, v36, -v4
	v_sub_f32_e32 v4, v4, v5
	s_delay_alu instid0(VALU_DEP_2) | instskip(SKIP_1) | instid1(VALU_DEP_2)
	v_fmamk_f32 v6, v36, 0x32a5705f, v6
	v_cvt_i32_f32_e32 v5, v5
	v_add_f32_e32 v4, v4, v6
	s_delay_alu instid0(VALU_DEP_1) | instskip(SKIP_2) | instid1(VALU_DEP_1)
	v_exp_f32_e32 v4, v4
	s_waitcnt_depctr 0xfff
	v_ldexp_f32 v4, v4, v5
	v_cndmask_b32_e64 v4, 0, v4, s13
	v_cmp_nlt_f32_e64 s13, 0x42b17218, v36
	s_delay_alu instid0(VALU_DEP_1) | instskip(NEXT) | instid1(VALU_DEP_1)
	v_cndmask_b32_e64 v4, 0x7f800000, v4, s13
	v_fma_f32 v4, -v3, v4, v25
	s_delay_alu instid0(VALU_DEP_1) | instskip(SKIP_1) | instid1(VALU_DEP_2)
	v_bfe_u32 v5, v4, 16, 1
	v_cmp_o_f32_e64 s13, v4, v4
	v_add3_u32 v5, v4, v5, 0x7fff
	s_delay_alu instid0(VALU_DEP_1) | instskip(NEXT) | instid1(VALU_DEP_1)
	v_lshrrev_b32_e32 v5, 16, v5
	v_cndmask_b32_e64 v4, 0x7fc0, v5, s13
	global_store_b16 v[0:1], v4, off offset:64
	s_or_b32 exec_lo, exec_lo, s14
	s_and_saveexec_b32 s13, s12
	s_cbranch_execz .LBB319_36
.LBB319_53:
	v_mul_f32_e32 v4, 0x3fb8aa3b, v34
	v_cmp_ngt_f32_e64 s12, 0xc2ce8ed0, v34
	s_delay_alu instid0(VALU_DEP_2) | instskip(SKIP_1) | instid1(VALU_DEP_2)
	v_rndne_f32_e32 v5, v4
	v_fma_f32 v6, 0x3fb8aa3b, v34, -v4
	v_sub_f32_e32 v4, v4, v5
	s_delay_alu instid0(VALU_DEP_2) | instskip(SKIP_1) | instid1(VALU_DEP_2)
	v_fmamk_f32 v6, v34, 0x32a5705f, v6
	v_cvt_i32_f32_e32 v5, v5
	v_add_f32_e32 v4, v4, v6
	s_delay_alu instid0(VALU_DEP_1) | instskip(SKIP_2) | instid1(VALU_DEP_1)
	v_exp_f32_e32 v4, v4
	s_waitcnt_depctr 0xfff
	v_ldexp_f32 v4, v4, v5
	v_cndmask_b32_e64 v4, 0, v4, s12
	v_cmp_nlt_f32_e64 s12, 0x42b17218, v34
	s_delay_alu instid0(VALU_DEP_1) | instskip(NEXT) | instid1(VALU_DEP_1)
	v_cndmask_b32_e64 v4, 0x7f800000, v4, s12
	v_fma_f32 v4, -v3, v4, v33
	s_delay_alu instid0(VALU_DEP_1) | instskip(SKIP_1) | instid1(VALU_DEP_2)
	v_bfe_u32 v5, v4, 16, 1
	v_cmp_o_f32_e64 s12, v4, v4
	v_add3_u32 v5, v4, v5, 0x7fff
	s_delay_alu instid0(VALU_DEP_1) | instskip(NEXT) | instid1(VALU_DEP_1)
	v_lshrrev_b32_e32 v5, 16, v5
	v_cndmask_b32_e64 v4, 0x7fc0, v5, s12
	global_store_b16 v[0:1], v4, off offset:128
	s_or_b32 exec_lo, exec_lo, s13
	s_and_saveexec_b32 s12, s11
	s_cbranch_execz .LBB319_37
.LBB319_54:
	v_mul_f32_e32 v4, 0x3fb8aa3b, v32
	v_cmp_ngt_f32_e64 s11, 0xc2ce8ed0, v32
	s_delay_alu instid0(VALU_DEP_2) | instskip(SKIP_1) | instid1(VALU_DEP_2)
	v_rndne_f32_e32 v5, v4
	v_fma_f32 v6, 0x3fb8aa3b, v32, -v4
	v_sub_f32_e32 v4, v4, v5
	s_delay_alu instid0(VALU_DEP_2) | instskip(SKIP_1) | instid1(VALU_DEP_2)
	v_fmamk_f32 v6, v32, 0x32a5705f, v6
	v_cvt_i32_f32_e32 v5, v5
	v_add_f32_e32 v4, v4, v6
	s_delay_alu instid0(VALU_DEP_1) | instskip(SKIP_2) | instid1(VALU_DEP_1)
	v_exp_f32_e32 v4, v4
	s_waitcnt_depctr 0xfff
	v_ldexp_f32 v4, v4, v5
	v_cndmask_b32_e64 v4, 0, v4, s11
	v_cmp_nlt_f32_e64 s11, 0x42b17218, v32
	s_delay_alu instid0(VALU_DEP_1) | instskip(NEXT) | instid1(VALU_DEP_1)
	v_cndmask_b32_e64 v4, 0x7f800000, v4, s11
	v_fma_f32 v4, -v3, v4, v23
	s_delay_alu instid0(VALU_DEP_1) | instskip(SKIP_1) | instid1(VALU_DEP_2)
	v_bfe_u32 v5, v4, 16, 1
	v_cmp_o_f32_e64 s11, v4, v4
	v_add3_u32 v5, v4, v5, 0x7fff
	s_delay_alu instid0(VALU_DEP_1) | instskip(NEXT) | instid1(VALU_DEP_1)
	v_lshrrev_b32_e32 v5, 16, v5
	v_cndmask_b32_e64 v4, 0x7fc0, v5, s11
	global_store_b16 v[0:1], v4, off offset:192
	s_or_b32 exec_lo, exec_lo, s12
	s_and_saveexec_b32 s11, s10
	s_cbranch_execz .LBB319_38
.LBB319_55:
	v_mul_f32_e32 v4, 0x3fb8aa3b, v31
	v_cmp_ngt_f32_e64 s10, 0xc2ce8ed0, v31
	s_delay_alu instid0(VALU_DEP_2) | instskip(SKIP_1) | instid1(VALU_DEP_2)
	v_rndne_f32_e32 v5, v4
	v_fma_f32 v6, 0x3fb8aa3b, v31, -v4
	v_sub_f32_e32 v4, v4, v5
	s_delay_alu instid0(VALU_DEP_2) | instskip(SKIP_1) | instid1(VALU_DEP_2)
	v_fmamk_f32 v6, v31, 0x32a5705f, v6
	v_cvt_i32_f32_e32 v5, v5
	v_add_f32_e32 v4, v4, v6
	s_delay_alu instid0(VALU_DEP_1) | instskip(SKIP_2) | instid1(VALU_DEP_1)
	v_exp_f32_e32 v4, v4
	s_waitcnt_depctr 0xfff
	v_ldexp_f32 v4, v4, v5
	v_cndmask_b32_e64 v4, 0, v4, s10
	v_cmp_nlt_f32_e64 s10, 0x42b17218, v31
	s_delay_alu instid0(VALU_DEP_1) | instskip(NEXT) | instid1(VALU_DEP_1)
	v_cndmask_b32_e64 v4, 0x7f800000, v4, s10
	v_fma_f32 v4, -v3, v4, v30
	s_delay_alu instid0(VALU_DEP_1) | instskip(SKIP_1) | instid1(VALU_DEP_2)
	v_bfe_u32 v5, v4, 16, 1
	v_cmp_o_f32_e64 s10, v4, v4
	v_add3_u32 v5, v4, v5, 0x7fff
	s_delay_alu instid0(VALU_DEP_1) | instskip(NEXT) | instid1(VALU_DEP_1)
	v_lshrrev_b32_e32 v5, 16, v5
	v_cndmask_b32_e64 v4, 0x7fc0, v5, s10
	global_store_b16 v[0:1], v4, off offset:256
	s_or_b32 exec_lo, exec_lo, s11
	s_and_saveexec_b32 s10, s9
	s_cbranch_execz .LBB319_39
.LBB319_56:
	v_mul_f32_e32 v4, 0x3fb8aa3b, v29
	v_cmp_ngt_f32_e64 s9, 0xc2ce8ed0, v29
	s_delay_alu instid0(VALU_DEP_2) | instskip(SKIP_1) | instid1(VALU_DEP_2)
	v_rndne_f32_e32 v5, v4
	v_fma_f32 v6, 0x3fb8aa3b, v29, -v4
	v_sub_f32_e32 v4, v4, v5
	s_delay_alu instid0(VALU_DEP_2) | instskip(SKIP_1) | instid1(VALU_DEP_2)
	v_fmamk_f32 v6, v29, 0x32a5705f, v6
	v_cvt_i32_f32_e32 v5, v5
	v_add_f32_e32 v4, v4, v6
	s_delay_alu instid0(VALU_DEP_1) | instskip(SKIP_2) | instid1(VALU_DEP_1)
	v_exp_f32_e32 v4, v4
	s_waitcnt_depctr 0xfff
	v_ldexp_f32 v4, v4, v5
	v_cndmask_b32_e64 v4, 0, v4, s9
	v_cmp_nlt_f32_e64 s9, 0x42b17218, v29
	s_delay_alu instid0(VALU_DEP_1) | instskip(NEXT) | instid1(VALU_DEP_1)
	v_cndmask_b32_e64 v4, 0x7f800000, v4, s9
	v_fma_f32 v4, -v3, v4, v19
	s_delay_alu instid0(VALU_DEP_1) | instskip(SKIP_1) | instid1(VALU_DEP_2)
	v_bfe_u32 v5, v4, 16, 1
	v_cmp_o_f32_e64 s9, v4, v4
	v_add3_u32 v5, v4, v5, 0x7fff
	s_delay_alu instid0(VALU_DEP_1) | instskip(NEXT) | instid1(VALU_DEP_1)
	v_lshrrev_b32_e32 v5, 16, v5
	v_cndmask_b32_e64 v4, 0x7fc0, v5, s9
	global_store_b16 v[0:1], v4, off offset:320
	s_or_b32 exec_lo, exec_lo, s10
	s_and_saveexec_b32 s9, s8
	s_cbranch_execz .LBB319_40
.LBB319_57:
	v_mul_f32_e32 v4, 0x3fb8aa3b, v28
	v_cmp_ngt_f32_e64 s8, 0xc2ce8ed0, v28
	s_delay_alu instid0(VALU_DEP_2) | instskip(SKIP_1) | instid1(VALU_DEP_2)
	v_rndne_f32_e32 v5, v4
	v_fma_f32 v6, 0x3fb8aa3b, v28, -v4
	v_sub_f32_e32 v4, v4, v5
	s_delay_alu instid0(VALU_DEP_2) | instskip(SKIP_1) | instid1(VALU_DEP_2)
	v_fmamk_f32 v6, v28, 0x32a5705f, v6
	v_cvt_i32_f32_e32 v5, v5
	v_add_f32_e32 v4, v4, v6
	s_delay_alu instid0(VALU_DEP_1) | instskip(SKIP_2) | instid1(VALU_DEP_1)
	v_exp_f32_e32 v4, v4
	s_waitcnt_depctr 0xfff
	v_ldexp_f32 v4, v4, v5
	v_cndmask_b32_e64 v4, 0, v4, s8
	v_cmp_nlt_f32_e64 s8, 0x42b17218, v28
	s_delay_alu instid0(VALU_DEP_1) | instskip(NEXT) | instid1(VALU_DEP_1)
	v_cndmask_b32_e64 v4, 0x7f800000, v4, s8
	v_fma_f32 v4, -v3, v4, v27
	s_delay_alu instid0(VALU_DEP_1) | instskip(SKIP_1) | instid1(VALU_DEP_2)
	v_bfe_u32 v5, v4, 16, 1
	v_cmp_o_f32_e64 s8, v4, v4
	v_add3_u32 v5, v4, v5, 0x7fff
	s_delay_alu instid0(VALU_DEP_1) | instskip(NEXT) | instid1(VALU_DEP_1)
	v_lshrrev_b32_e32 v5, 16, v5
	v_cndmask_b32_e64 v4, 0x7fc0, v5, s8
	global_store_b16 v[0:1], v4, off offset:384
	s_or_b32 exec_lo, exec_lo, s9
	s_and_saveexec_b32 s8, s7
	s_cbranch_execz .LBB319_41
.LBB319_58:
	v_mul_f32_e32 v4, 0x3fb8aa3b, v26
	v_cmp_ngt_f32_e64 s7, 0xc2ce8ed0, v26
	s_delay_alu instid0(VALU_DEP_2) | instskip(SKIP_1) | instid1(VALU_DEP_2)
	v_rndne_f32_e32 v5, v4
	v_fma_f32 v6, 0x3fb8aa3b, v26, -v4
	v_sub_f32_e32 v4, v4, v5
	s_delay_alu instid0(VALU_DEP_2) | instskip(SKIP_1) | instid1(VALU_DEP_2)
	v_fmamk_f32 v6, v26, 0x32a5705f, v6
	v_cvt_i32_f32_e32 v5, v5
	v_add_f32_e32 v4, v4, v6
	s_delay_alu instid0(VALU_DEP_1) | instskip(SKIP_2) | instid1(VALU_DEP_1)
	v_exp_f32_e32 v4, v4
	s_waitcnt_depctr 0xfff
	v_ldexp_f32 v4, v4, v5
	v_cndmask_b32_e64 v4, 0, v4, s7
	v_cmp_nlt_f32_e64 s7, 0x42b17218, v26
	s_delay_alu instid0(VALU_DEP_1) | instskip(NEXT) | instid1(VALU_DEP_1)
	v_cndmask_b32_e64 v4, 0x7f800000, v4, s7
	v_fma_f32 v4, -v3, v4, v15
	s_delay_alu instid0(VALU_DEP_1) | instskip(SKIP_1) | instid1(VALU_DEP_2)
	v_bfe_u32 v5, v4, 16, 1
	v_cmp_o_f32_e64 s7, v4, v4
	v_add3_u32 v5, v4, v5, 0x7fff
	s_delay_alu instid0(VALU_DEP_1) | instskip(NEXT) | instid1(VALU_DEP_1)
	v_lshrrev_b32_e32 v5, 16, v5
	v_cndmask_b32_e64 v4, 0x7fc0, v5, s7
	global_store_b16 v[0:1], v4, off offset:448
	s_or_b32 exec_lo, exec_lo, s8
	s_and_saveexec_b32 s7, s6
	s_cbranch_execz .LBB319_42
.LBB319_59:
	v_mul_f32_e32 v4, 0x3fb8aa3b, v24
	v_cmp_ngt_f32_e64 s6, 0xc2ce8ed0, v24
	s_delay_alu instid0(VALU_DEP_2) | instskip(SKIP_1) | instid1(VALU_DEP_2)
	v_rndne_f32_e32 v5, v4
	v_fma_f32 v6, 0x3fb8aa3b, v24, -v4
	v_sub_f32_e32 v4, v4, v5
	s_delay_alu instid0(VALU_DEP_2) | instskip(SKIP_1) | instid1(VALU_DEP_2)
	v_fmamk_f32 v6, v24, 0x32a5705f, v6
	v_cvt_i32_f32_e32 v5, v5
	v_add_f32_e32 v4, v4, v6
	s_delay_alu instid0(VALU_DEP_1) | instskip(SKIP_2) | instid1(VALU_DEP_1)
	v_exp_f32_e32 v4, v4
	s_waitcnt_depctr 0xfff
	v_ldexp_f32 v4, v4, v5
	v_cndmask_b32_e64 v4, 0, v4, s6
	v_cmp_nlt_f32_e64 s6, 0x42b17218, v24
	s_delay_alu instid0(VALU_DEP_1) | instskip(NEXT) | instid1(VALU_DEP_1)
	v_cndmask_b32_e64 v4, 0x7f800000, v4, s6
	v_fma_f32 v4, -v3, v4, v22
	s_delay_alu instid0(VALU_DEP_1) | instskip(SKIP_1) | instid1(VALU_DEP_2)
	v_bfe_u32 v5, v4, 16, 1
	v_cmp_o_f32_e64 s6, v4, v4
	v_add3_u32 v5, v4, v5, 0x7fff
	s_delay_alu instid0(VALU_DEP_1) | instskip(NEXT) | instid1(VALU_DEP_1)
	v_lshrrev_b32_e32 v5, 16, v5
	v_cndmask_b32_e64 v4, 0x7fc0, v5, s6
	global_store_b16 v[0:1], v4, off offset:512
	s_or_b32 exec_lo, exec_lo, s7
	s_and_saveexec_b32 s6, s5
	s_cbranch_execz .LBB319_43
.LBB319_60:
	v_mul_f32_e32 v4, 0x3fb8aa3b, v21
	v_cmp_ngt_f32_e64 s5, 0xc2ce8ed0, v21
	s_delay_alu instid0(VALU_DEP_2) | instskip(SKIP_1) | instid1(VALU_DEP_2)
	v_rndne_f32_e32 v5, v4
	v_fma_f32 v6, 0x3fb8aa3b, v21, -v4
	v_sub_f32_e32 v4, v4, v5
	s_delay_alu instid0(VALU_DEP_2) | instskip(SKIP_1) | instid1(VALU_DEP_2)
	v_fmamk_f32 v6, v21, 0x32a5705f, v6
	v_cvt_i32_f32_e32 v5, v5
	v_add_f32_e32 v4, v4, v6
	s_delay_alu instid0(VALU_DEP_1) | instskip(SKIP_2) | instid1(VALU_DEP_1)
	v_exp_f32_e32 v4, v4
	s_waitcnt_depctr 0xfff
	v_ldexp_f32 v4, v4, v5
	v_cndmask_b32_e64 v4, 0, v4, s5
	v_cmp_nlt_f32_e64 s5, 0x42b17218, v21
	s_delay_alu instid0(VALU_DEP_1) | instskip(NEXT) | instid1(VALU_DEP_1)
	v_cndmask_b32_e64 v4, 0x7f800000, v4, s5
	v_fma_f32 v4, -v3, v4, v11
	s_delay_alu instid0(VALU_DEP_1) | instskip(SKIP_1) | instid1(VALU_DEP_2)
	v_bfe_u32 v5, v4, 16, 1
	v_cmp_o_f32_e64 s5, v4, v4
	v_add3_u32 v5, v4, v5, 0x7fff
	s_delay_alu instid0(VALU_DEP_1) | instskip(NEXT) | instid1(VALU_DEP_1)
	v_lshrrev_b32_e32 v5, 16, v5
	v_cndmask_b32_e64 v4, 0x7fc0, v5, s5
	global_store_b16 v[0:1], v4, off offset:576
	s_or_b32 exec_lo, exec_lo, s6
	s_and_saveexec_b32 s5, s4
	s_cbranch_execz .LBB319_44
.LBB319_61:
	v_mul_f32_e32 v4, 0x3fb8aa3b, v20
	v_cmp_ngt_f32_e64 s4, 0xc2ce8ed0, v20
	s_delay_alu instid0(VALU_DEP_2) | instskip(SKIP_1) | instid1(VALU_DEP_2)
	v_rndne_f32_e32 v5, v4
	v_fma_f32 v6, 0x3fb8aa3b, v20, -v4
	v_sub_f32_e32 v4, v4, v5
	s_delay_alu instid0(VALU_DEP_2) | instskip(SKIP_1) | instid1(VALU_DEP_2)
	v_fmamk_f32 v6, v20, 0x32a5705f, v6
	v_cvt_i32_f32_e32 v5, v5
	v_add_f32_e32 v4, v4, v6
	s_delay_alu instid0(VALU_DEP_1) | instskip(SKIP_2) | instid1(VALU_DEP_1)
	v_exp_f32_e32 v4, v4
	s_waitcnt_depctr 0xfff
	v_ldexp_f32 v4, v4, v5
	v_cndmask_b32_e64 v4, 0, v4, s4
	v_cmp_nlt_f32_e64 s4, 0x42b17218, v20
	s_delay_alu instid0(VALU_DEP_1) | instskip(NEXT) | instid1(VALU_DEP_1)
	v_cndmask_b32_e64 v4, 0x7f800000, v4, s4
	v_fma_f32 v4, -v3, v4, v18
	s_delay_alu instid0(VALU_DEP_1) | instskip(SKIP_1) | instid1(VALU_DEP_2)
	v_bfe_u32 v5, v4, 16, 1
	v_cmp_o_f32_e64 s4, v4, v4
	v_add3_u32 v5, v4, v5, 0x7fff
	s_delay_alu instid0(VALU_DEP_1) | instskip(NEXT) | instid1(VALU_DEP_1)
	v_lshrrev_b32_e32 v5, 16, v5
	v_cndmask_b32_e64 v4, 0x7fc0, v5, s4
	global_store_b16 v[0:1], v4, off offset:640
	s_or_b32 exec_lo, exec_lo, s5
	s_and_saveexec_b32 s4, s3
	s_cbranch_execz .LBB319_45
.LBB319_62:
	v_mul_f32_e32 v4, 0x3fb8aa3b, v17
	v_cmp_ngt_f32_e64 s3, 0xc2ce8ed0, v17
	s_delay_alu instid0(VALU_DEP_2) | instskip(SKIP_1) | instid1(VALU_DEP_2)
	v_rndne_f32_e32 v5, v4
	v_fma_f32 v6, 0x3fb8aa3b, v17, -v4
	v_sub_f32_e32 v4, v4, v5
	s_delay_alu instid0(VALU_DEP_2) | instskip(SKIP_1) | instid1(VALU_DEP_2)
	v_fmamk_f32 v6, v17, 0x32a5705f, v6
	v_cvt_i32_f32_e32 v5, v5
	v_add_f32_e32 v4, v4, v6
	s_delay_alu instid0(VALU_DEP_1) | instskip(SKIP_2) | instid1(VALU_DEP_1)
	v_exp_f32_e32 v4, v4
	s_waitcnt_depctr 0xfff
	v_ldexp_f32 v4, v4, v5
	v_cndmask_b32_e64 v4, 0, v4, s3
	v_cmp_nlt_f32_e64 s3, 0x42b17218, v17
	s_delay_alu instid0(VALU_DEP_1) | instskip(NEXT) | instid1(VALU_DEP_1)
	v_cndmask_b32_e64 v4, 0x7f800000, v4, s3
	v_fma_f32 v4, -v3, v4, v9
	s_delay_alu instid0(VALU_DEP_1) | instskip(SKIP_1) | instid1(VALU_DEP_2)
	v_bfe_u32 v5, v4, 16, 1
	v_cmp_o_f32_e64 s3, v4, v4
	v_add3_u32 v5, v4, v5, 0x7fff
	s_delay_alu instid0(VALU_DEP_1) | instskip(NEXT) | instid1(VALU_DEP_1)
	v_lshrrev_b32_e32 v5, 16, v5
	v_cndmask_b32_e64 v4, 0x7fc0, v5, s3
	global_store_b16 v[0:1], v4, off offset:704
	s_or_b32 exec_lo, exec_lo, s4
	s_and_saveexec_b32 s3, s2
	s_cbranch_execz .LBB319_46
.LBB319_63:
	v_mul_f32_e32 v4, 0x3fb8aa3b, v16
	v_cmp_ngt_f32_e64 s2, 0xc2ce8ed0, v16
	s_delay_alu instid0(VALU_DEP_2) | instskip(SKIP_1) | instid1(VALU_DEP_2)
	v_rndne_f32_e32 v5, v4
	v_fma_f32 v6, 0x3fb8aa3b, v16, -v4
	v_sub_f32_e32 v4, v4, v5
	s_delay_alu instid0(VALU_DEP_2) | instskip(SKIP_1) | instid1(VALU_DEP_2)
	v_fmamk_f32 v6, v16, 0x32a5705f, v6
	v_cvt_i32_f32_e32 v5, v5
	v_add_f32_e32 v4, v4, v6
	s_delay_alu instid0(VALU_DEP_1) | instskip(SKIP_2) | instid1(VALU_DEP_1)
	v_exp_f32_e32 v4, v4
	s_waitcnt_depctr 0xfff
	v_ldexp_f32 v4, v4, v5
	v_cndmask_b32_e64 v4, 0, v4, s2
	v_cmp_nlt_f32_e64 s2, 0x42b17218, v16
	s_delay_alu instid0(VALU_DEP_1) | instskip(NEXT) | instid1(VALU_DEP_1)
	v_cndmask_b32_e64 v4, 0x7f800000, v4, s2
	v_fma_f32 v4, -v3, v4, v14
	s_delay_alu instid0(VALU_DEP_1) | instskip(SKIP_1) | instid1(VALU_DEP_2)
	v_bfe_u32 v5, v4, 16, 1
	v_cmp_o_f32_e64 s2, v4, v4
	v_add3_u32 v5, v4, v5, 0x7fff
	s_delay_alu instid0(VALU_DEP_1) | instskip(NEXT) | instid1(VALU_DEP_1)
	v_lshrrev_b32_e32 v5, 16, v5
	v_cndmask_b32_e64 v4, 0x7fc0, v5, s2
	global_store_b16 v[0:1], v4, off offset:768
	s_or_b32 exec_lo, exec_lo, s3
	s_and_saveexec_b32 s2, s1
	s_cbranch_execz .LBB319_47
.LBB319_64:
	v_mul_f32_e32 v4, 0x3fb8aa3b, v13
	v_cmp_ngt_f32_e64 s1, 0xc2ce8ed0, v13
	s_delay_alu instid0(VALU_DEP_2) | instskip(SKIP_1) | instid1(VALU_DEP_2)
	v_rndne_f32_e32 v5, v4
	v_fma_f32 v6, 0x3fb8aa3b, v13, -v4
	v_sub_f32_e32 v4, v4, v5
	s_delay_alu instid0(VALU_DEP_2) | instskip(SKIP_1) | instid1(VALU_DEP_2)
	v_fmamk_f32 v6, v13, 0x32a5705f, v6
	v_cvt_i32_f32_e32 v5, v5
	v_add_f32_e32 v4, v4, v6
	s_delay_alu instid0(VALU_DEP_1) | instskip(SKIP_2) | instid1(VALU_DEP_1)
	v_exp_f32_e32 v4, v4
	s_waitcnt_depctr 0xfff
	v_ldexp_f32 v4, v4, v5
	v_cndmask_b32_e64 v4, 0, v4, s1
	v_cmp_nlt_f32_e64 s1, 0x42b17218, v13
	s_delay_alu instid0(VALU_DEP_1) | instskip(NEXT) | instid1(VALU_DEP_1)
	v_cndmask_b32_e64 v4, 0x7f800000, v4, s1
	v_fma_f32 v4, -v3, v4, v8
	s_delay_alu instid0(VALU_DEP_1) | instskip(SKIP_1) | instid1(VALU_DEP_2)
	v_bfe_u32 v5, v4, 16, 1
	v_cmp_o_f32_e64 s1, v4, v4
	v_add3_u32 v5, v4, v5, 0x7fff
	s_delay_alu instid0(VALU_DEP_1) | instskip(NEXT) | instid1(VALU_DEP_1)
	v_lshrrev_b32_e32 v5, 16, v5
	v_cndmask_b32_e64 v4, 0x7fc0, v5, s1
	global_store_b16 v[0:1], v4, off offset:832
	s_or_b32 exec_lo, exec_lo, s2
	s_and_saveexec_b32 s1, s0
	s_cbranch_execz .LBB319_48
.LBB319_65:
	v_mul_f32_e32 v4, 0x3fb8aa3b, v12
	v_cmp_ngt_f32_e64 s0, 0xc2ce8ed0, v12
	s_delay_alu instid0(VALU_DEP_2) | instskip(SKIP_1) | instid1(VALU_DEP_2)
	v_rndne_f32_e32 v5, v4
	v_fma_f32 v6, 0x3fb8aa3b, v12, -v4
	v_sub_f32_e32 v4, v4, v5
	s_delay_alu instid0(VALU_DEP_2) | instskip(SKIP_1) | instid1(VALU_DEP_2)
	v_fmamk_f32 v6, v12, 0x32a5705f, v6
	v_cvt_i32_f32_e32 v5, v5
	v_add_f32_e32 v4, v4, v6
	s_delay_alu instid0(VALU_DEP_1) | instskip(SKIP_2) | instid1(VALU_DEP_1)
	v_exp_f32_e32 v4, v4
	s_waitcnt_depctr 0xfff
	v_ldexp_f32 v4, v4, v5
	v_cndmask_b32_e64 v4, 0, v4, s0
	v_cmp_nlt_f32_e64 s0, 0x42b17218, v12
	s_delay_alu instid0(VALU_DEP_1) | instskip(NEXT) | instid1(VALU_DEP_1)
	v_cndmask_b32_e64 v4, 0x7f800000, v4, s0
	v_fma_f32 v4, -v3, v4, v10
	s_delay_alu instid0(VALU_DEP_1) | instskip(SKIP_1) | instid1(VALU_DEP_2)
	v_bfe_u32 v5, v4, 16, 1
	v_cmp_o_f32_e64 s0, v4, v4
	v_add3_u32 v5, v4, v5, 0x7fff
	s_delay_alu instid0(VALU_DEP_1) | instskip(NEXT) | instid1(VALU_DEP_1)
	v_lshrrev_b32_e32 v5, 16, v5
	v_cndmask_b32_e64 v4, 0x7fc0, v5, s0
	global_store_b16 v[0:1], v4, off offset:896
	s_or_b32 exec_lo, exec_lo, s1
	s_delay_alu instid0(SALU_CYCLE_1)
	s_and_b32 exec_lo, exec_lo, vcc_lo
	s_cbranch_execnz .LBB319_49
	s_branch .LBB319_50
	.section	.rodata,"a",@progbits
	.p2align	6, 0x0
	.amdhsa_kernel _ZN12_GLOBAL__N_121softmax_warp_backwardIN3c108BFloat16ES2_fLi9ELb1ELb0ELi32EEEvPT0_PKT_S7_iiiPKb
		.amdhsa_group_segment_fixed_size 0
		.amdhsa_private_segment_fixed_size 0
		.amdhsa_kernarg_size 304
		.amdhsa_user_sgpr_count 15
		.amdhsa_user_sgpr_dispatch_ptr 0
		.amdhsa_user_sgpr_queue_ptr 0
		.amdhsa_user_sgpr_kernarg_segment_ptr 1
		.amdhsa_user_sgpr_dispatch_id 0
		.amdhsa_user_sgpr_private_segment_size 0
		.amdhsa_wavefront_size32 1
		.amdhsa_uses_dynamic_stack 0
		.amdhsa_enable_private_segment 0
		.amdhsa_system_sgpr_workgroup_id_x 1
		.amdhsa_system_sgpr_workgroup_id_y 0
		.amdhsa_system_sgpr_workgroup_id_z 0
		.amdhsa_system_sgpr_workgroup_info 0
		.amdhsa_system_vgpr_workitem_id 1
		.amdhsa_next_free_vgpr 39
		.amdhsa_next_free_sgpr 24
		.amdhsa_reserve_vcc 1
		.amdhsa_float_round_mode_32 0
		.amdhsa_float_round_mode_16_64 0
		.amdhsa_float_denorm_mode_32 3
		.amdhsa_float_denorm_mode_16_64 3
		.amdhsa_dx10_clamp 1
		.amdhsa_ieee_mode 1
		.amdhsa_fp16_overflow 0
		.amdhsa_workgroup_processor_mode 1
		.amdhsa_memory_ordered 1
		.amdhsa_forward_progress 0
		.amdhsa_shared_vgpr_count 0
		.amdhsa_exception_fp_ieee_invalid_op 0
		.amdhsa_exception_fp_denorm_src 0
		.amdhsa_exception_fp_ieee_div_zero 0
		.amdhsa_exception_fp_ieee_overflow 0
		.amdhsa_exception_fp_ieee_underflow 0
		.amdhsa_exception_fp_ieee_inexact 0
		.amdhsa_exception_int_div_zero 0
	.end_amdhsa_kernel
	.section	.text._ZN12_GLOBAL__N_121softmax_warp_backwardIN3c108BFloat16ES2_fLi9ELb1ELb0ELi32EEEvPT0_PKT_S7_iiiPKb,"axG",@progbits,_ZN12_GLOBAL__N_121softmax_warp_backwardIN3c108BFloat16ES2_fLi9ELb1ELb0ELi32EEEvPT0_PKT_S7_iiiPKb,comdat
.Lfunc_end319:
	.size	_ZN12_GLOBAL__N_121softmax_warp_backwardIN3c108BFloat16ES2_fLi9ELb1ELb0ELi32EEEvPT0_PKT_S7_iiiPKb, .Lfunc_end319-_ZN12_GLOBAL__N_121softmax_warp_backwardIN3c108BFloat16ES2_fLi9ELb1ELb0ELi32EEEvPT0_PKT_S7_iiiPKb
                                        ; -- End function
	.section	.AMDGPU.csdata,"",@progbits
; Kernel info:
; codeLenInByte = 5136
; NumSgprs: 26
; NumVgprs: 39
; ScratchSize: 0
; MemoryBound: 0
; FloatMode: 240
; IeeeMode: 1
; LDSByteSize: 0 bytes/workgroup (compile time only)
; SGPRBlocks: 3
; VGPRBlocks: 4
; NumSGPRsForWavesPerEU: 26
; NumVGPRsForWavesPerEU: 39
; Occupancy: 16
; WaveLimiterHint : 0
; COMPUTE_PGM_RSRC2:SCRATCH_EN: 0
; COMPUTE_PGM_RSRC2:USER_SGPR: 15
; COMPUTE_PGM_RSRC2:TRAP_HANDLER: 0
; COMPUTE_PGM_RSRC2:TGID_X_EN: 1
; COMPUTE_PGM_RSRC2:TGID_Y_EN: 0
; COMPUTE_PGM_RSRC2:TGID_Z_EN: 0
; COMPUTE_PGM_RSRC2:TIDIG_COMP_CNT: 1
	.section	.text._ZN12_GLOBAL__N_121softmax_warp_backwardIN3c108BFloat16ES2_fLi10ELb1ELb0ELi64EEEvPT0_PKT_S7_iiiPKb,"axG",@progbits,_ZN12_GLOBAL__N_121softmax_warp_backwardIN3c108BFloat16ES2_fLi10ELb1ELb0ELi64EEEvPT0_PKT_S7_iiiPKb,comdat
	.globl	_ZN12_GLOBAL__N_121softmax_warp_backwardIN3c108BFloat16ES2_fLi10ELb1ELb0ELi64EEEvPT0_PKT_S7_iiiPKb ; -- Begin function _ZN12_GLOBAL__N_121softmax_warp_backwardIN3c108BFloat16ES2_fLi10ELb1ELb0ELi64EEEvPT0_PKT_S7_iiiPKb
	.p2align	8
	.type	_ZN12_GLOBAL__N_121softmax_warp_backwardIN3c108BFloat16ES2_fLi10ELb1ELb0ELi64EEEvPT0_PKT_S7_iiiPKb,@function
_ZN12_GLOBAL__N_121softmax_warp_backwardIN3c108BFloat16ES2_fLi10ELb1ELb0ELi64EEEvPT0_PKT_S7_iiiPKb: ; @_ZN12_GLOBAL__N_121softmax_warp_backwardIN3c108BFloat16ES2_fLi10ELb1ELb0ELi64EEEvPT0_PKT_S7_iiiPKb
; %bb.0:
	s_clause 0x1
	s_load_b32 s2, s[0:1], 0x3c
	s_load_b128 s[20:23], s[0:1], 0x18
	v_bfe_u32 v1, v0, 10, 10
	v_and_b32_e32 v9, 0x3ff, v0
	s_clause 0x1
	s_load_b128 s[16:19], s[0:1], 0x0
	s_load_b64 s[0:1], s[0:1], 0x10
	v_mov_b32_e32 v25, 0
	v_dual_mov_b32 v35, 0 :: v_dual_and_b32 v6, 63, v9
	v_mov_b32_e32 v37, 0
	s_waitcnt lgkmcnt(0)
	s_lshr_b32 s2, s2, 16
	s_delay_alu instid0(VALU_DEP_2) | instskip(SKIP_1) | instid1(VALU_DEP_1)
	v_cmp_gt_i32_e64 s14, s22, v6
	v_mad_u64_u32 v[2:3], null, s15, s2, v[1:2]
	v_mad_u64_u32 v[0:1], null, v2, s21, v[6:7]
	v_sub_nc_u32_e32 v38, s20, v2
	s_delay_alu instid0(VALU_DEP_1) | instskip(NEXT) | instid1(VALU_DEP_3)
	v_cmp_lt_i32_e64 s15, 0, v38
	v_ashrrev_i32_e32 v1, 31, v0
	s_delay_alu instid0(VALU_DEP_1) | instskip(NEXT) | instid1(VALU_DEP_1)
	v_lshlrev_b64 v[0:1], 1, v[0:1]
	v_add_co_u32 v2, vcc_lo, s18, v0
	s_delay_alu instid0(VALU_DEP_2) | instskip(SKIP_3) | instid1(SALU_CYCLE_1)
	v_add_co_ci_u32_e32 v3, vcc_lo, s19, v1, vcc_lo
	v_add_co_u32 v4, vcc_lo, s0, v0
	v_add_co_ci_u32_e32 v5, vcc_lo, s1, v1, vcc_lo
	s_and_b32 s1, s15, s14
	s_and_saveexec_b32 s0, s1
	s_cbranch_execz .LBB320_2
; %bb.1:
	global_load_u16 v7, v[2:3], off
	global_load_u16 v8, v[4:5], off
	s_waitcnt vmcnt(1)
	v_lshlrev_b32_e32 v35, 16, v7
	s_waitcnt vmcnt(0)
	v_lshlrev_b32_e32 v37, 16, v8
.LBB320_2:
	s_or_b32 exec_lo, exec_lo, s0
	v_or_b32_e32 v7, 64, v6
	v_mov_b32_e32 v36, 0
	s_delay_alu instid0(VALU_DEP_2) | instskip(NEXT) | instid1(VALU_DEP_1)
	v_cmp_gt_i32_e64 s13, s22, v7
	s_and_b32 s1, s15, s13
	s_delay_alu instid0(SALU_CYCLE_1)
	s_and_saveexec_b32 s0, s1
	s_cbranch_execz .LBB320_4
; %bb.3:
	global_load_u16 v7, v[2:3], off offset:128
	global_load_u16 v8, v[4:5], off offset:128
	s_waitcnt vmcnt(1)
	v_lshlrev_b32_e32 v25, 16, v7
	s_waitcnt vmcnt(0)
	v_lshlrev_b32_e32 v36, 16, v8
.LBB320_4:
	s_or_b32 exec_lo, exec_lo, s0
	v_or_b32_e32 v7, 0x80, v6
	v_dual_mov_b32 v23, 0 :: v_dual_mov_b32 v34, 0
	v_mov_b32_e32 v33, 0
	s_delay_alu instid0(VALU_DEP_3) | instskip(NEXT) | instid1(VALU_DEP_1)
	v_cmp_gt_i32_e64 s12, s22, v7
	s_and_b32 s1, s15, s12
	s_delay_alu instid0(SALU_CYCLE_1)
	s_and_saveexec_b32 s0, s1
	s_cbranch_execz .LBB320_6
; %bb.5:
	global_load_u16 v7, v[2:3], off offset:256
	global_load_u16 v8, v[4:5], off offset:256
	s_waitcnt vmcnt(1)
	v_lshlrev_b32_e32 v33, 16, v7
	s_waitcnt vmcnt(0)
	v_lshlrev_b32_e32 v34, 16, v8
.LBB320_6:
	s_or_b32 exec_lo, exec_lo, s0
	v_or_b32_e32 v7, 0xc0, v6
	v_mov_b32_e32 v32, 0
	s_delay_alu instid0(VALU_DEP_2) | instskip(NEXT) | instid1(VALU_DEP_1)
	v_cmp_gt_i32_e64 s11, s22, v7
	s_and_b32 s1, s15, s11
	s_delay_alu instid0(SALU_CYCLE_1)
	s_and_saveexec_b32 s0, s1
	s_cbranch_execz .LBB320_8
; %bb.7:
	global_load_u16 v7, v[2:3], off offset:384
	global_load_u16 v8, v[4:5], off offset:384
	s_waitcnt vmcnt(1)
	v_lshlrev_b32_e32 v23, 16, v7
	s_waitcnt vmcnt(0)
	v_lshlrev_b32_e32 v32, 16, v8
.LBB320_8:
	s_or_b32 exec_lo, exec_lo, s0
	v_or_b32_e32 v7, 0x100, v6
	v_dual_mov_b32 v19, 0 :: v_dual_mov_b32 v30, 0
	v_mov_b32_e32 v31, 0
	s_delay_alu instid0(VALU_DEP_3) | instskip(NEXT) | instid1(VALU_DEP_1)
	v_cmp_gt_i32_e64 s10, s22, v7
	s_and_b32 s1, s15, s10
	s_delay_alu instid0(SALU_CYCLE_1)
	s_and_saveexec_b32 s0, s1
	s_cbranch_execz .LBB320_10
; %bb.9:
	global_load_u16 v7, v[2:3], off offset:512
	global_load_u16 v8, v[4:5], off offset:512
	s_waitcnt vmcnt(1)
	v_lshlrev_b32_e32 v30, 16, v7
	s_waitcnt vmcnt(0)
	v_lshlrev_b32_e32 v31, 16, v8
.LBB320_10:
	;; [unrolled: 35-line block ×4, first 2 shown]
	s_or_b32 exec_lo, exec_lo, s0
	v_or_b32_e32 v7, 0x240, v6
	v_mov_b32_e32 v21, 0
	s_delay_alu instid0(VALU_DEP_2) | instskip(NEXT) | instid1(VALU_DEP_1)
	v_cmp_gt_i32_e64 s5, s22, v7
	s_and_b32 s1, s15, s5
	s_delay_alu instid0(SALU_CYCLE_1)
	s_and_saveexec_b32 s0, s1
	s_cbranch_execz .LBB320_20
; %bb.19:
	global_load_u16 v7, v[2:3], off offset:1152
	global_load_u16 v8, v[4:5], off offset:1152
	s_waitcnt vmcnt(1)
	v_lshlrev_b32_e32 v11, 16, v7
	s_waitcnt vmcnt(0)
	v_lshlrev_b32_e32 v21, 16, v8
.LBB320_20:
	s_or_b32 exec_lo, exec_lo, s0
	v_or_b32_e32 v7, 0x280, v6
	v_mov_b32_e32 v8, 0
	v_mov_b32_e32 v18, 0
	;; [unrolled: 1-line block ×3, first 2 shown]
	s_delay_alu instid0(VALU_DEP_4) | instskip(NEXT) | instid1(VALU_DEP_1)
	v_cmp_gt_i32_e64 s4, s22, v7
	s_and_b32 s1, s15, s4
	s_delay_alu instid0(SALU_CYCLE_1)
	s_and_saveexec_b32 s0, s1
	s_cbranch_execz .LBB320_22
; %bb.21:
	global_load_u16 v7, v[2:3], off offset:1280
	global_load_u16 v10, v[4:5], off offset:1280
	s_waitcnt vmcnt(1)
	v_lshlrev_b32_e32 v18, 16, v7
	s_waitcnt vmcnt(0)
	v_lshlrev_b32_e32 v20, 16, v10
.LBB320_22:
	s_or_b32 exec_lo, exec_lo, s0
	v_or_b32_e32 v7, 0x2c0, v6
	v_mov_b32_e32 v17, 0
	s_delay_alu instid0(VALU_DEP_2) | instskip(NEXT) | instid1(VALU_DEP_1)
	v_cmp_gt_i32_e64 s3, s22, v7
	s_and_b32 s1, s15, s3
	s_delay_alu instid0(SALU_CYCLE_1)
	s_and_saveexec_b32 s0, s1
	s_cbranch_execz .LBB320_24
; %bb.23:
	global_load_u16 v7, v[2:3], off offset:1408
	global_load_u16 v10, v[4:5], off offset:1408
	s_waitcnt vmcnt(1)
	v_lshlrev_b32_e32 v8, 16, v7
	s_waitcnt vmcnt(0)
	v_lshlrev_b32_e32 v17, 16, v10
.LBB320_24:
	s_or_b32 exec_lo, exec_lo, s0
	v_or_b32_e32 v7, 0x300, v6
	v_mov_b32_e32 v16, 0
	v_mov_b32_e32 v14, 0
	s_delay_alu instid0(VALU_DEP_3) | instskip(SKIP_1) | instid1(VALU_DEP_2)
	v_cmp_gt_i32_e64 s2, s22, v7
	v_mov_b32_e32 v7, 0
	s_and_b32 s1, s15, s2
	s_delay_alu instid0(SALU_CYCLE_1)
	s_and_saveexec_b32 s0, s1
	s_cbranch_execz .LBB320_26
; %bb.25:
	global_load_u16 v10, v[2:3], off offset:1536
	global_load_u16 v12, v[4:5], off offset:1536
	s_waitcnt vmcnt(1)
	v_lshlrev_b32_e32 v14, 16, v10
	s_waitcnt vmcnt(0)
	v_lshlrev_b32_e32 v16, 16, v12
.LBB320_26:
	s_or_b32 exec_lo, exec_lo, s0
	v_or_b32_e32 v10, 0x340, v6
	v_mov_b32_e32 v13, 0
	s_delay_alu instid0(VALU_DEP_2) | instskip(NEXT) | instid1(VALU_DEP_1)
	v_cmp_gt_i32_e64 s1, s22, v10
	s_and_b32 s18, s15, s1
	s_delay_alu instid0(SALU_CYCLE_1)
	s_and_saveexec_b32 s0, s18
	s_cbranch_execz .LBB320_28
; %bb.27:
	global_load_u16 v7, v[2:3], off offset:1664
	global_load_u16 v10, v[4:5], off offset:1664
	s_waitcnt vmcnt(1)
	v_lshlrev_b32_e32 v7, 16, v7
	s_waitcnt vmcnt(0)
	v_lshlrev_b32_e32 v13, 16, v10
.LBB320_28:
	s_or_b32 exec_lo, exec_lo, s0
	v_or_b32_e32 v6, 0x380, v6
	v_mov_b32_e32 v10, 0
	v_mov_b32_e32 v12, 0
	s_delay_alu instid0(VALU_DEP_3) | instskip(SKIP_1) | instid1(VALU_DEP_2)
	v_cmp_gt_i32_e64 s0, s22, v6
	v_mov_b32_e32 v6, 0
	s_and_b32 s19, s15, s0
	s_delay_alu instid0(SALU_CYCLE_1)
	s_and_saveexec_b32 s18, s19
	s_cbranch_execz .LBB320_30
; %bb.29:
	global_load_u16 v10, v[2:3], off offset:1792
	global_load_u16 v12, v[4:5], off offset:1792
	s_waitcnt vmcnt(1)
	v_lshlrev_b32_e32 v10, 16, v10
	s_waitcnt vmcnt(0)
	v_lshlrev_b32_e32 v12, 16, v12
.LBB320_30:
	s_or_b32 exec_lo, exec_lo, s18
	v_or_b32_e32 v9, 0x3c0, v9
	s_delay_alu instid0(VALU_DEP_1) | instskip(SKIP_2) | instid1(SALU_CYCLE_1)
	v_cmp_gt_i32_e32 vcc_lo, s22, v9
	v_mov_b32_e32 v9, 0
	s_and_b32 s18, s15, vcc_lo
	s_and_saveexec_b32 s15, s18
	s_cbranch_execz .LBB320_32
; %bb.31:
	global_load_u16 v2, v[2:3], off offset:1920
	global_load_u16 v3, v[4:5], off offset:1920
	s_waitcnt vmcnt(1)
	v_lshlrev_b32_e32 v6, 16, v2
	s_waitcnt vmcnt(0)
	v_lshlrev_b32_e32 v9, 16, v3
.LBB320_32:
	s_or_b32 exec_lo, exec_lo, s15
	v_mbcnt_lo_u32_b32 v3, -1, 0
	s_mov_b32 s18, exec_lo
	s_delay_alu instid0(VALU_DEP_1) | instskip(SKIP_1) | instid1(VALU_DEP_2)
	v_or_b32_e32 v4, 32, v3
	v_xor_b32_e32 v5, 16, v3
	v_cmp_gt_i32_e64 s15, 64, v4
	s_delay_alu instid0(VALU_DEP_1) | instskip(NEXT) | instid1(VALU_DEP_3)
	v_cndmask_b32_e64 v4, v3, v4, s15
	v_cmp_gt_i32_e64 s15, 64, v5
	s_delay_alu instid0(VALU_DEP_2) | instskip(NEXT) | instid1(VALU_DEP_2)
	v_lshlrev_b32_e32 v4, 2, v4
	v_cndmask_b32_e64 v5, v3, v5, s15
	s_delay_alu instid0(VALU_DEP_1) | instskip(NEXT) | instid1(VALU_DEP_1)
	v_dual_add_f32 v2, 0, v35 :: v_dual_lshlrev_b32 v5, 2, v5
	v_add_f32_e32 v2, v2, v25
	s_delay_alu instid0(VALU_DEP_1) | instskip(NEXT) | instid1(VALU_DEP_1)
	v_add_f32_e32 v2, v2, v33
	v_add_f32_e32 v2, v2, v23
	s_delay_alu instid0(VALU_DEP_1) | instskip(NEXT) | instid1(VALU_DEP_1)
	v_add_f32_e32 v2, v2, v30
	;; [unrolled: 3-line block ×7, first 2 shown]
	v_add_f32_e32 v2, v2, v6
	ds_bpermute_b32 v4, v4, v2
	s_waitcnt lgkmcnt(0)
	v_add_f32_e32 v2, v2, v4
	ds_bpermute_b32 v4, v5, v2
	v_xor_b32_e32 v5, 8, v3
	s_delay_alu instid0(VALU_DEP_1) | instskip(NEXT) | instid1(VALU_DEP_1)
	v_cmp_gt_i32_e64 s15, 64, v5
	v_cndmask_b32_e64 v5, v3, v5, s15
	s_waitcnt lgkmcnt(0)
	s_delay_alu instid0(VALU_DEP_1) | instskip(SKIP_2) | instid1(VALU_DEP_1)
	v_dual_add_f32 v2, v2, v4 :: v_dual_lshlrev_b32 v5, 2, v5
	ds_bpermute_b32 v4, v5, v2
	v_xor_b32_e32 v5, 4, v3
	v_cmp_gt_i32_e64 s15, 64, v5
	s_delay_alu instid0(VALU_DEP_1) | instskip(SKIP_1) | instid1(VALU_DEP_1)
	v_cndmask_b32_e64 v5, v3, v5, s15
	s_waitcnt lgkmcnt(0)
	v_dual_add_f32 v2, v2, v4 :: v_dual_lshlrev_b32 v5, 2, v5
	ds_bpermute_b32 v4, v5, v2
	v_xor_b32_e32 v5, 2, v3
	s_delay_alu instid0(VALU_DEP_1) | instskip(NEXT) | instid1(VALU_DEP_1)
	v_cmp_gt_i32_e64 s15, 64, v5
	v_cndmask_b32_e64 v5, v3, v5, s15
	s_waitcnt lgkmcnt(0)
	s_delay_alu instid0(VALU_DEP_1) | instskip(SKIP_2) | instid1(VALU_DEP_1)
	v_dual_add_f32 v2, v2, v4 :: v_dual_lshlrev_b32 v5, 2, v5
	ds_bpermute_b32 v4, v5, v2
	v_xor_b32_e32 v5, 1, v3
	v_cmp_gt_i32_e64 s15, 64, v5
	s_delay_alu instid0(VALU_DEP_1) | instskip(SKIP_1) | instid1(VALU_DEP_1)
	v_cndmask_b32_e64 v3, v3, v5, s15
	s_waitcnt lgkmcnt(0)
	v_dual_add_f32 v2, v2, v4 :: v_dual_lshlrev_b32 v3, 2, v3
	ds_bpermute_b32 v3, v3, v2
	v_cmpx_lt_i32_e32 0, v38
	s_cbranch_execz .LBB320_50
; %bb.33:
	v_add_co_u32 v0, s15, s16, v0
	s_delay_alu instid0(VALU_DEP_1)
	v_add_co_ci_u32_e64 v1, s15, s17, v1, s15
	s_waitcnt lgkmcnt(0)
	v_add_f32_e32 v2, v2, v3
	s_and_saveexec_b32 s15, s14
	s_cbranch_execnz .LBB320_51
; %bb.34:
	s_or_b32 exec_lo, exec_lo, s15
	s_and_saveexec_b32 s14, s13
	s_cbranch_execnz .LBB320_52
.LBB320_35:
	s_or_b32 exec_lo, exec_lo, s14
	s_and_saveexec_b32 s13, s12
	s_cbranch_execnz .LBB320_53
.LBB320_36:
	s_or_b32 exec_lo, exec_lo, s13
	s_and_saveexec_b32 s12, s11
	s_cbranch_execnz .LBB320_54
.LBB320_37:
	s_or_b32 exec_lo, exec_lo, s12
	s_and_saveexec_b32 s11, s10
	s_cbranch_execnz .LBB320_55
.LBB320_38:
	s_or_b32 exec_lo, exec_lo, s11
	s_and_saveexec_b32 s10, s9
	s_cbranch_execnz .LBB320_56
.LBB320_39:
	s_or_b32 exec_lo, exec_lo, s10
	s_and_saveexec_b32 s9, s8
	s_cbranch_execnz .LBB320_57
.LBB320_40:
	s_or_b32 exec_lo, exec_lo, s9
	s_and_saveexec_b32 s8, s7
	s_cbranch_execnz .LBB320_58
.LBB320_41:
	s_or_b32 exec_lo, exec_lo, s8
	s_and_saveexec_b32 s7, s6
	s_cbranch_execnz .LBB320_59
.LBB320_42:
	s_or_b32 exec_lo, exec_lo, s7
	s_and_saveexec_b32 s6, s5
	s_cbranch_execnz .LBB320_60
.LBB320_43:
	s_or_b32 exec_lo, exec_lo, s6
	s_and_saveexec_b32 s5, s4
	s_cbranch_execnz .LBB320_61
.LBB320_44:
	s_or_b32 exec_lo, exec_lo, s5
	s_and_saveexec_b32 s4, s3
	s_cbranch_execnz .LBB320_62
.LBB320_45:
	s_or_b32 exec_lo, exec_lo, s4
	s_and_saveexec_b32 s3, s2
	s_cbranch_execnz .LBB320_63
.LBB320_46:
	s_or_b32 exec_lo, exec_lo, s3
	s_and_saveexec_b32 s2, s1
	s_cbranch_execnz .LBB320_64
.LBB320_47:
	s_or_b32 exec_lo, exec_lo, s2
	s_and_saveexec_b32 s1, s0
	s_cbranch_execnz .LBB320_65
.LBB320_48:
	s_or_b32 exec_lo, exec_lo, s1
	s_delay_alu instid0(SALU_CYCLE_1)
	s_and_b32 exec_lo, exec_lo, vcc_lo
	s_cbranch_execz .LBB320_50
.LBB320_49:
	v_mul_f32_e32 v3, 0x3fb8aa3b, v9
	v_cmp_ngt_f32_e32 vcc_lo, 0xc2ce8ed0, v9
	s_delay_alu instid0(VALU_DEP_2) | instskip(SKIP_1) | instid1(VALU_DEP_2)
	v_rndne_f32_e32 v4, v3
	v_fma_f32 v5, 0x3fb8aa3b, v9, -v3
	v_sub_f32_e32 v3, v3, v4
	s_delay_alu instid0(VALU_DEP_2) | instskip(SKIP_1) | instid1(VALU_DEP_2)
	v_fmamk_f32 v5, v9, 0x32a5705f, v5
	v_cvt_i32_f32_e32 v4, v4
	v_add_f32_e32 v3, v3, v5
	s_delay_alu instid0(VALU_DEP_1) | instskip(SKIP_2) | instid1(VALU_DEP_1)
	v_exp_f32_e32 v3, v3
	s_waitcnt_depctr 0xfff
	v_ldexp_f32 v3, v3, v4
	v_cndmask_b32_e32 v3, 0, v3, vcc_lo
	v_cmp_nlt_f32_e32 vcc_lo, 0x42b17218, v9
	s_delay_alu instid0(VALU_DEP_2) | instskip(NEXT) | instid1(VALU_DEP_1)
	v_cndmask_b32_e32 v3, 0x7f800000, v3, vcc_lo
	v_fma_f32 v2, -v2, v3, v6
	s_delay_alu instid0(VALU_DEP_1) | instskip(SKIP_1) | instid1(VALU_DEP_2)
	v_bfe_u32 v3, v2, 16, 1
	v_cmp_o_f32_e32 vcc_lo, v2, v2
	v_add3_u32 v3, v2, v3, 0x7fff
	s_delay_alu instid0(VALU_DEP_1) | instskip(NEXT) | instid1(VALU_DEP_1)
	v_lshrrev_b32_e32 v3, 16, v3
	v_cndmask_b32_e32 v2, 0x7fc0, v3, vcc_lo
	global_store_b16 v[0:1], v2, off offset:1920
.LBB320_50:
	s_nop 0
	s_sendmsg sendmsg(MSG_DEALLOC_VGPRS)
	s_endpgm
.LBB320_51:
	v_mul_f32_e32 v3, 0x3fb8aa3b, v37
	v_cmp_ngt_f32_e64 s14, 0xc2ce8ed0, v37
	s_delay_alu instid0(VALU_DEP_2) | instskip(SKIP_1) | instid1(VALU_DEP_2)
	v_rndne_f32_e32 v4, v3
	v_fma_f32 v5, 0x3fb8aa3b, v37, -v3
	v_sub_f32_e32 v3, v3, v4
	s_delay_alu instid0(VALU_DEP_2) | instskip(SKIP_1) | instid1(VALU_DEP_2)
	v_fmamk_f32 v5, v37, 0x32a5705f, v5
	v_cvt_i32_f32_e32 v4, v4
	v_add_f32_e32 v3, v3, v5
	s_delay_alu instid0(VALU_DEP_1) | instskip(SKIP_2) | instid1(VALU_DEP_1)
	v_exp_f32_e32 v3, v3
	s_waitcnt_depctr 0xfff
	v_ldexp_f32 v3, v3, v4
	v_cndmask_b32_e64 v3, 0, v3, s14
	v_cmp_nlt_f32_e64 s14, 0x42b17218, v37
	s_delay_alu instid0(VALU_DEP_1) | instskip(NEXT) | instid1(VALU_DEP_1)
	v_cndmask_b32_e64 v3, 0x7f800000, v3, s14
	v_fma_f32 v3, -v2, v3, v35
	s_delay_alu instid0(VALU_DEP_1) | instskip(SKIP_1) | instid1(VALU_DEP_2)
	v_bfe_u32 v4, v3, 16, 1
	v_cmp_o_f32_e64 s14, v3, v3
	v_add3_u32 v4, v3, v4, 0x7fff
	s_delay_alu instid0(VALU_DEP_1) | instskip(NEXT) | instid1(VALU_DEP_1)
	v_lshrrev_b32_e32 v4, 16, v4
	v_cndmask_b32_e64 v3, 0x7fc0, v4, s14
	global_store_b16 v[0:1], v3, off
	s_or_b32 exec_lo, exec_lo, s15
	s_and_saveexec_b32 s14, s13
	s_cbranch_execz .LBB320_35
.LBB320_52:
	v_mul_f32_e32 v3, 0x3fb8aa3b, v36
	v_cmp_ngt_f32_e64 s13, 0xc2ce8ed0, v36
	s_delay_alu instid0(VALU_DEP_2) | instskip(SKIP_1) | instid1(VALU_DEP_2)
	v_rndne_f32_e32 v4, v3
	v_fma_f32 v5, 0x3fb8aa3b, v36, -v3
	v_sub_f32_e32 v3, v3, v4
	s_delay_alu instid0(VALU_DEP_2) | instskip(SKIP_1) | instid1(VALU_DEP_2)
	v_fmamk_f32 v5, v36, 0x32a5705f, v5
	v_cvt_i32_f32_e32 v4, v4
	v_add_f32_e32 v3, v3, v5
	s_delay_alu instid0(VALU_DEP_1) | instskip(SKIP_2) | instid1(VALU_DEP_1)
	v_exp_f32_e32 v3, v3
	s_waitcnt_depctr 0xfff
	v_ldexp_f32 v3, v3, v4
	v_cndmask_b32_e64 v3, 0, v3, s13
	v_cmp_nlt_f32_e64 s13, 0x42b17218, v36
	s_delay_alu instid0(VALU_DEP_1) | instskip(NEXT) | instid1(VALU_DEP_1)
	v_cndmask_b32_e64 v3, 0x7f800000, v3, s13
	v_fma_f32 v3, -v2, v3, v25
	s_delay_alu instid0(VALU_DEP_1) | instskip(SKIP_1) | instid1(VALU_DEP_2)
	v_bfe_u32 v4, v3, 16, 1
	v_cmp_o_f32_e64 s13, v3, v3
	v_add3_u32 v4, v3, v4, 0x7fff
	s_delay_alu instid0(VALU_DEP_1) | instskip(NEXT) | instid1(VALU_DEP_1)
	v_lshrrev_b32_e32 v4, 16, v4
	v_cndmask_b32_e64 v3, 0x7fc0, v4, s13
	global_store_b16 v[0:1], v3, off offset:128
	s_or_b32 exec_lo, exec_lo, s14
	s_and_saveexec_b32 s13, s12
	s_cbranch_execz .LBB320_36
.LBB320_53:
	v_mul_f32_e32 v3, 0x3fb8aa3b, v34
	v_cmp_ngt_f32_e64 s12, 0xc2ce8ed0, v34
	s_delay_alu instid0(VALU_DEP_2) | instskip(SKIP_1) | instid1(VALU_DEP_2)
	v_rndne_f32_e32 v4, v3
	v_fma_f32 v5, 0x3fb8aa3b, v34, -v3
	v_sub_f32_e32 v3, v3, v4
	s_delay_alu instid0(VALU_DEP_2) | instskip(SKIP_1) | instid1(VALU_DEP_2)
	v_fmamk_f32 v5, v34, 0x32a5705f, v5
	v_cvt_i32_f32_e32 v4, v4
	v_add_f32_e32 v3, v3, v5
	s_delay_alu instid0(VALU_DEP_1) | instskip(SKIP_2) | instid1(VALU_DEP_1)
	v_exp_f32_e32 v3, v3
	s_waitcnt_depctr 0xfff
	v_ldexp_f32 v3, v3, v4
	v_cndmask_b32_e64 v3, 0, v3, s12
	v_cmp_nlt_f32_e64 s12, 0x42b17218, v34
	s_delay_alu instid0(VALU_DEP_1) | instskip(NEXT) | instid1(VALU_DEP_1)
	v_cndmask_b32_e64 v3, 0x7f800000, v3, s12
	v_fma_f32 v3, -v2, v3, v33
	s_delay_alu instid0(VALU_DEP_1) | instskip(SKIP_1) | instid1(VALU_DEP_2)
	v_bfe_u32 v4, v3, 16, 1
	v_cmp_o_f32_e64 s12, v3, v3
	v_add3_u32 v4, v3, v4, 0x7fff
	s_delay_alu instid0(VALU_DEP_1) | instskip(NEXT) | instid1(VALU_DEP_1)
	v_lshrrev_b32_e32 v4, 16, v4
	v_cndmask_b32_e64 v3, 0x7fc0, v4, s12
	global_store_b16 v[0:1], v3, off offset:256
	s_or_b32 exec_lo, exec_lo, s13
	s_and_saveexec_b32 s12, s11
	s_cbranch_execz .LBB320_37
.LBB320_54:
	v_mul_f32_e32 v3, 0x3fb8aa3b, v32
	v_cmp_ngt_f32_e64 s11, 0xc2ce8ed0, v32
	s_delay_alu instid0(VALU_DEP_2) | instskip(SKIP_1) | instid1(VALU_DEP_2)
	v_rndne_f32_e32 v4, v3
	v_fma_f32 v5, 0x3fb8aa3b, v32, -v3
	v_sub_f32_e32 v3, v3, v4
	s_delay_alu instid0(VALU_DEP_2) | instskip(SKIP_1) | instid1(VALU_DEP_2)
	v_fmamk_f32 v5, v32, 0x32a5705f, v5
	v_cvt_i32_f32_e32 v4, v4
	v_add_f32_e32 v3, v3, v5
	s_delay_alu instid0(VALU_DEP_1) | instskip(SKIP_2) | instid1(VALU_DEP_1)
	v_exp_f32_e32 v3, v3
	s_waitcnt_depctr 0xfff
	v_ldexp_f32 v3, v3, v4
	v_cndmask_b32_e64 v3, 0, v3, s11
	v_cmp_nlt_f32_e64 s11, 0x42b17218, v32
	s_delay_alu instid0(VALU_DEP_1) | instskip(NEXT) | instid1(VALU_DEP_1)
	v_cndmask_b32_e64 v3, 0x7f800000, v3, s11
	v_fma_f32 v3, -v2, v3, v23
	s_delay_alu instid0(VALU_DEP_1) | instskip(SKIP_1) | instid1(VALU_DEP_2)
	v_bfe_u32 v4, v3, 16, 1
	v_cmp_o_f32_e64 s11, v3, v3
	v_add3_u32 v4, v3, v4, 0x7fff
	s_delay_alu instid0(VALU_DEP_1) | instskip(NEXT) | instid1(VALU_DEP_1)
	v_lshrrev_b32_e32 v4, 16, v4
	v_cndmask_b32_e64 v3, 0x7fc0, v4, s11
	global_store_b16 v[0:1], v3, off offset:384
	s_or_b32 exec_lo, exec_lo, s12
	s_and_saveexec_b32 s11, s10
	s_cbranch_execz .LBB320_38
.LBB320_55:
	v_mul_f32_e32 v3, 0x3fb8aa3b, v31
	v_cmp_ngt_f32_e64 s10, 0xc2ce8ed0, v31
	s_delay_alu instid0(VALU_DEP_2) | instskip(SKIP_1) | instid1(VALU_DEP_2)
	v_rndne_f32_e32 v4, v3
	v_fma_f32 v5, 0x3fb8aa3b, v31, -v3
	v_sub_f32_e32 v3, v3, v4
	s_delay_alu instid0(VALU_DEP_2) | instskip(SKIP_1) | instid1(VALU_DEP_2)
	v_fmamk_f32 v5, v31, 0x32a5705f, v5
	v_cvt_i32_f32_e32 v4, v4
	v_add_f32_e32 v3, v3, v5
	s_delay_alu instid0(VALU_DEP_1) | instskip(SKIP_2) | instid1(VALU_DEP_1)
	v_exp_f32_e32 v3, v3
	s_waitcnt_depctr 0xfff
	v_ldexp_f32 v3, v3, v4
	v_cndmask_b32_e64 v3, 0, v3, s10
	v_cmp_nlt_f32_e64 s10, 0x42b17218, v31
	s_delay_alu instid0(VALU_DEP_1) | instskip(NEXT) | instid1(VALU_DEP_1)
	v_cndmask_b32_e64 v3, 0x7f800000, v3, s10
	v_fma_f32 v3, -v2, v3, v30
	s_delay_alu instid0(VALU_DEP_1) | instskip(SKIP_1) | instid1(VALU_DEP_2)
	v_bfe_u32 v4, v3, 16, 1
	v_cmp_o_f32_e64 s10, v3, v3
	v_add3_u32 v4, v3, v4, 0x7fff
	s_delay_alu instid0(VALU_DEP_1) | instskip(NEXT) | instid1(VALU_DEP_1)
	v_lshrrev_b32_e32 v4, 16, v4
	v_cndmask_b32_e64 v3, 0x7fc0, v4, s10
	global_store_b16 v[0:1], v3, off offset:512
	s_or_b32 exec_lo, exec_lo, s11
	s_and_saveexec_b32 s10, s9
	s_cbranch_execz .LBB320_39
.LBB320_56:
	v_mul_f32_e32 v3, 0x3fb8aa3b, v29
	v_cmp_ngt_f32_e64 s9, 0xc2ce8ed0, v29
	s_delay_alu instid0(VALU_DEP_2) | instskip(SKIP_1) | instid1(VALU_DEP_2)
	v_rndne_f32_e32 v4, v3
	v_fma_f32 v5, 0x3fb8aa3b, v29, -v3
	v_sub_f32_e32 v3, v3, v4
	s_delay_alu instid0(VALU_DEP_2) | instskip(SKIP_1) | instid1(VALU_DEP_2)
	v_fmamk_f32 v5, v29, 0x32a5705f, v5
	v_cvt_i32_f32_e32 v4, v4
	v_add_f32_e32 v3, v3, v5
	s_delay_alu instid0(VALU_DEP_1) | instskip(SKIP_2) | instid1(VALU_DEP_1)
	v_exp_f32_e32 v3, v3
	s_waitcnt_depctr 0xfff
	v_ldexp_f32 v3, v3, v4
	v_cndmask_b32_e64 v3, 0, v3, s9
	v_cmp_nlt_f32_e64 s9, 0x42b17218, v29
	s_delay_alu instid0(VALU_DEP_1) | instskip(NEXT) | instid1(VALU_DEP_1)
	v_cndmask_b32_e64 v3, 0x7f800000, v3, s9
	v_fma_f32 v3, -v2, v3, v19
	s_delay_alu instid0(VALU_DEP_1) | instskip(SKIP_1) | instid1(VALU_DEP_2)
	v_bfe_u32 v4, v3, 16, 1
	v_cmp_o_f32_e64 s9, v3, v3
	v_add3_u32 v4, v3, v4, 0x7fff
	s_delay_alu instid0(VALU_DEP_1) | instskip(NEXT) | instid1(VALU_DEP_1)
	v_lshrrev_b32_e32 v4, 16, v4
	v_cndmask_b32_e64 v3, 0x7fc0, v4, s9
	global_store_b16 v[0:1], v3, off offset:640
	s_or_b32 exec_lo, exec_lo, s10
	s_and_saveexec_b32 s9, s8
	s_cbranch_execz .LBB320_40
.LBB320_57:
	v_mul_f32_e32 v3, 0x3fb8aa3b, v28
	v_cmp_ngt_f32_e64 s8, 0xc2ce8ed0, v28
	s_delay_alu instid0(VALU_DEP_2) | instskip(SKIP_1) | instid1(VALU_DEP_2)
	v_rndne_f32_e32 v4, v3
	v_fma_f32 v5, 0x3fb8aa3b, v28, -v3
	v_sub_f32_e32 v3, v3, v4
	s_delay_alu instid0(VALU_DEP_2) | instskip(SKIP_1) | instid1(VALU_DEP_2)
	v_fmamk_f32 v5, v28, 0x32a5705f, v5
	v_cvt_i32_f32_e32 v4, v4
	v_add_f32_e32 v3, v3, v5
	s_delay_alu instid0(VALU_DEP_1) | instskip(SKIP_2) | instid1(VALU_DEP_1)
	v_exp_f32_e32 v3, v3
	s_waitcnt_depctr 0xfff
	v_ldexp_f32 v3, v3, v4
	v_cndmask_b32_e64 v3, 0, v3, s8
	v_cmp_nlt_f32_e64 s8, 0x42b17218, v28
	s_delay_alu instid0(VALU_DEP_1) | instskip(NEXT) | instid1(VALU_DEP_1)
	v_cndmask_b32_e64 v3, 0x7f800000, v3, s8
	v_fma_f32 v3, -v2, v3, v27
	s_delay_alu instid0(VALU_DEP_1) | instskip(SKIP_1) | instid1(VALU_DEP_2)
	v_bfe_u32 v4, v3, 16, 1
	v_cmp_o_f32_e64 s8, v3, v3
	v_add3_u32 v4, v3, v4, 0x7fff
	s_delay_alu instid0(VALU_DEP_1) | instskip(NEXT) | instid1(VALU_DEP_1)
	v_lshrrev_b32_e32 v4, 16, v4
	v_cndmask_b32_e64 v3, 0x7fc0, v4, s8
	global_store_b16 v[0:1], v3, off offset:768
	s_or_b32 exec_lo, exec_lo, s9
	s_and_saveexec_b32 s8, s7
	s_cbranch_execz .LBB320_41
.LBB320_58:
	v_mul_f32_e32 v3, 0x3fb8aa3b, v26
	v_cmp_ngt_f32_e64 s7, 0xc2ce8ed0, v26
	s_delay_alu instid0(VALU_DEP_2) | instskip(SKIP_1) | instid1(VALU_DEP_2)
	v_rndne_f32_e32 v4, v3
	v_fma_f32 v5, 0x3fb8aa3b, v26, -v3
	v_sub_f32_e32 v3, v3, v4
	s_delay_alu instid0(VALU_DEP_2) | instskip(SKIP_1) | instid1(VALU_DEP_2)
	v_fmamk_f32 v5, v26, 0x32a5705f, v5
	v_cvt_i32_f32_e32 v4, v4
	v_add_f32_e32 v3, v3, v5
	s_delay_alu instid0(VALU_DEP_1) | instskip(SKIP_2) | instid1(VALU_DEP_1)
	v_exp_f32_e32 v3, v3
	s_waitcnt_depctr 0xfff
	v_ldexp_f32 v3, v3, v4
	v_cndmask_b32_e64 v3, 0, v3, s7
	v_cmp_nlt_f32_e64 s7, 0x42b17218, v26
	s_delay_alu instid0(VALU_DEP_1) | instskip(NEXT) | instid1(VALU_DEP_1)
	v_cndmask_b32_e64 v3, 0x7f800000, v3, s7
	v_fma_f32 v3, -v2, v3, v15
	s_delay_alu instid0(VALU_DEP_1) | instskip(SKIP_1) | instid1(VALU_DEP_2)
	v_bfe_u32 v4, v3, 16, 1
	v_cmp_o_f32_e64 s7, v3, v3
	v_add3_u32 v4, v3, v4, 0x7fff
	s_delay_alu instid0(VALU_DEP_1) | instskip(NEXT) | instid1(VALU_DEP_1)
	v_lshrrev_b32_e32 v4, 16, v4
	v_cndmask_b32_e64 v3, 0x7fc0, v4, s7
	global_store_b16 v[0:1], v3, off offset:896
	s_or_b32 exec_lo, exec_lo, s8
	s_and_saveexec_b32 s7, s6
	s_cbranch_execz .LBB320_42
.LBB320_59:
	v_mul_f32_e32 v3, 0x3fb8aa3b, v24
	v_cmp_ngt_f32_e64 s6, 0xc2ce8ed0, v24
	s_delay_alu instid0(VALU_DEP_2) | instskip(SKIP_1) | instid1(VALU_DEP_2)
	v_rndne_f32_e32 v4, v3
	v_fma_f32 v5, 0x3fb8aa3b, v24, -v3
	v_sub_f32_e32 v3, v3, v4
	s_delay_alu instid0(VALU_DEP_2) | instskip(SKIP_1) | instid1(VALU_DEP_2)
	v_fmamk_f32 v5, v24, 0x32a5705f, v5
	v_cvt_i32_f32_e32 v4, v4
	v_add_f32_e32 v3, v3, v5
	s_delay_alu instid0(VALU_DEP_1) | instskip(SKIP_2) | instid1(VALU_DEP_1)
	v_exp_f32_e32 v3, v3
	s_waitcnt_depctr 0xfff
	v_ldexp_f32 v3, v3, v4
	v_cndmask_b32_e64 v3, 0, v3, s6
	v_cmp_nlt_f32_e64 s6, 0x42b17218, v24
	s_delay_alu instid0(VALU_DEP_1) | instskip(NEXT) | instid1(VALU_DEP_1)
	v_cndmask_b32_e64 v3, 0x7f800000, v3, s6
	v_fma_f32 v3, -v2, v3, v22
	s_delay_alu instid0(VALU_DEP_1) | instskip(SKIP_1) | instid1(VALU_DEP_2)
	v_bfe_u32 v4, v3, 16, 1
	v_cmp_o_f32_e64 s6, v3, v3
	v_add3_u32 v4, v3, v4, 0x7fff
	s_delay_alu instid0(VALU_DEP_1) | instskip(NEXT) | instid1(VALU_DEP_1)
	v_lshrrev_b32_e32 v4, 16, v4
	v_cndmask_b32_e64 v3, 0x7fc0, v4, s6
	global_store_b16 v[0:1], v3, off offset:1024
	s_or_b32 exec_lo, exec_lo, s7
	s_and_saveexec_b32 s6, s5
	s_cbranch_execz .LBB320_43
.LBB320_60:
	v_mul_f32_e32 v3, 0x3fb8aa3b, v21
	v_cmp_ngt_f32_e64 s5, 0xc2ce8ed0, v21
	s_delay_alu instid0(VALU_DEP_2) | instskip(SKIP_1) | instid1(VALU_DEP_2)
	v_rndne_f32_e32 v4, v3
	v_fma_f32 v5, 0x3fb8aa3b, v21, -v3
	v_sub_f32_e32 v3, v3, v4
	s_delay_alu instid0(VALU_DEP_2) | instskip(SKIP_1) | instid1(VALU_DEP_2)
	v_fmamk_f32 v5, v21, 0x32a5705f, v5
	v_cvt_i32_f32_e32 v4, v4
	v_add_f32_e32 v3, v3, v5
	s_delay_alu instid0(VALU_DEP_1) | instskip(SKIP_2) | instid1(VALU_DEP_1)
	v_exp_f32_e32 v3, v3
	s_waitcnt_depctr 0xfff
	v_ldexp_f32 v3, v3, v4
	v_cndmask_b32_e64 v3, 0, v3, s5
	v_cmp_nlt_f32_e64 s5, 0x42b17218, v21
	s_delay_alu instid0(VALU_DEP_1) | instskip(NEXT) | instid1(VALU_DEP_1)
	v_cndmask_b32_e64 v3, 0x7f800000, v3, s5
	v_fma_f32 v3, -v2, v3, v11
	s_delay_alu instid0(VALU_DEP_1) | instskip(SKIP_1) | instid1(VALU_DEP_2)
	v_bfe_u32 v4, v3, 16, 1
	v_cmp_o_f32_e64 s5, v3, v3
	v_add3_u32 v4, v3, v4, 0x7fff
	s_delay_alu instid0(VALU_DEP_1) | instskip(NEXT) | instid1(VALU_DEP_1)
	v_lshrrev_b32_e32 v4, 16, v4
	v_cndmask_b32_e64 v3, 0x7fc0, v4, s5
	global_store_b16 v[0:1], v3, off offset:1152
	s_or_b32 exec_lo, exec_lo, s6
	s_and_saveexec_b32 s5, s4
	s_cbranch_execz .LBB320_44
.LBB320_61:
	v_mul_f32_e32 v3, 0x3fb8aa3b, v20
	v_cmp_ngt_f32_e64 s4, 0xc2ce8ed0, v20
	s_delay_alu instid0(VALU_DEP_2) | instskip(SKIP_1) | instid1(VALU_DEP_2)
	v_rndne_f32_e32 v4, v3
	v_fma_f32 v5, 0x3fb8aa3b, v20, -v3
	v_sub_f32_e32 v3, v3, v4
	s_delay_alu instid0(VALU_DEP_2) | instskip(SKIP_1) | instid1(VALU_DEP_2)
	v_fmamk_f32 v5, v20, 0x32a5705f, v5
	v_cvt_i32_f32_e32 v4, v4
	v_add_f32_e32 v3, v3, v5
	s_delay_alu instid0(VALU_DEP_1) | instskip(SKIP_2) | instid1(VALU_DEP_1)
	v_exp_f32_e32 v3, v3
	s_waitcnt_depctr 0xfff
	v_ldexp_f32 v3, v3, v4
	v_cndmask_b32_e64 v3, 0, v3, s4
	v_cmp_nlt_f32_e64 s4, 0x42b17218, v20
	s_delay_alu instid0(VALU_DEP_1) | instskip(NEXT) | instid1(VALU_DEP_1)
	v_cndmask_b32_e64 v3, 0x7f800000, v3, s4
	v_fma_f32 v3, -v2, v3, v18
	s_delay_alu instid0(VALU_DEP_1) | instskip(SKIP_1) | instid1(VALU_DEP_2)
	v_bfe_u32 v4, v3, 16, 1
	v_cmp_o_f32_e64 s4, v3, v3
	v_add3_u32 v4, v3, v4, 0x7fff
	s_delay_alu instid0(VALU_DEP_1) | instskip(NEXT) | instid1(VALU_DEP_1)
	v_lshrrev_b32_e32 v4, 16, v4
	v_cndmask_b32_e64 v3, 0x7fc0, v4, s4
	global_store_b16 v[0:1], v3, off offset:1280
	s_or_b32 exec_lo, exec_lo, s5
	s_and_saveexec_b32 s4, s3
	s_cbranch_execz .LBB320_45
.LBB320_62:
	v_mul_f32_e32 v3, 0x3fb8aa3b, v17
	v_cmp_ngt_f32_e64 s3, 0xc2ce8ed0, v17
	s_delay_alu instid0(VALU_DEP_2) | instskip(SKIP_1) | instid1(VALU_DEP_2)
	v_rndne_f32_e32 v4, v3
	v_fma_f32 v5, 0x3fb8aa3b, v17, -v3
	v_sub_f32_e32 v3, v3, v4
	s_delay_alu instid0(VALU_DEP_2) | instskip(SKIP_1) | instid1(VALU_DEP_2)
	v_fmamk_f32 v5, v17, 0x32a5705f, v5
	v_cvt_i32_f32_e32 v4, v4
	v_add_f32_e32 v3, v3, v5
	s_delay_alu instid0(VALU_DEP_1) | instskip(SKIP_2) | instid1(VALU_DEP_1)
	v_exp_f32_e32 v3, v3
	s_waitcnt_depctr 0xfff
	v_ldexp_f32 v3, v3, v4
	v_cndmask_b32_e64 v3, 0, v3, s3
	v_cmp_nlt_f32_e64 s3, 0x42b17218, v17
	s_delay_alu instid0(VALU_DEP_1) | instskip(NEXT) | instid1(VALU_DEP_1)
	v_cndmask_b32_e64 v3, 0x7f800000, v3, s3
	v_fma_f32 v3, -v2, v3, v8
	s_delay_alu instid0(VALU_DEP_1) | instskip(SKIP_1) | instid1(VALU_DEP_2)
	v_bfe_u32 v4, v3, 16, 1
	v_cmp_o_f32_e64 s3, v3, v3
	v_add3_u32 v4, v3, v4, 0x7fff
	s_delay_alu instid0(VALU_DEP_1) | instskip(NEXT) | instid1(VALU_DEP_1)
	v_lshrrev_b32_e32 v4, 16, v4
	v_cndmask_b32_e64 v3, 0x7fc0, v4, s3
	global_store_b16 v[0:1], v3, off offset:1408
	s_or_b32 exec_lo, exec_lo, s4
	s_and_saveexec_b32 s3, s2
	s_cbranch_execz .LBB320_46
.LBB320_63:
	v_mul_f32_e32 v3, 0x3fb8aa3b, v16
	v_cmp_ngt_f32_e64 s2, 0xc2ce8ed0, v16
	s_delay_alu instid0(VALU_DEP_2) | instskip(SKIP_1) | instid1(VALU_DEP_2)
	v_rndne_f32_e32 v4, v3
	v_fma_f32 v5, 0x3fb8aa3b, v16, -v3
	v_sub_f32_e32 v3, v3, v4
	s_delay_alu instid0(VALU_DEP_2) | instskip(SKIP_1) | instid1(VALU_DEP_2)
	v_fmamk_f32 v5, v16, 0x32a5705f, v5
	v_cvt_i32_f32_e32 v4, v4
	v_add_f32_e32 v3, v3, v5
	s_delay_alu instid0(VALU_DEP_1) | instskip(SKIP_2) | instid1(VALU_DEP_1)
	v_exp_f32_e32 v3, v3
	s_waitcnt_depctr 0xfff
	v_ldexp_f32 v3, v3, v4
	v_cndmask_b32_e64 v3, 0, v3, s2
	v_cmp_nlt_f32_e64 s2, 0x42b17218, v16
	s_delay_alu instid0(VALU_DEP_1) | instskip(NEXT) | instid1(VALU_DEP_1)
	v_cndmask_b32_e64 v3, 0x7f800000, v3, s2
	v_fma_f32 v3, -v2, v3, v14
	s_delay_alu instid0(VALU_DEP_1) | instskip(SKIP_1) | instid1(VALU_DEP_2)
	v_bfe_u32 v4, v3, 16, 1
	v_cmp_o_f32_e64 s2, v3, v3
	v_add3_u32 v4, v3, v4, 0x7fff
	s_delay_alu instid0(VALU_DEP_1) | instskip(NEXT) | instid1(VALU_DEP_1)
	v_lshrrev_b32_e32 v4, 16, v4
	v_cndmask_b32_e64 v3, 0x7fc0, v4, s2
	global_store_b16 v[0:1], v3, off offset:1536
	s_or_b32 exec_lo, exec_lo, s3
	s_and_saveexec_b32 s2, s1
	s_cbranch_execz .LBB320_47
.LBB320_64:
	v_mul_f32_e32 v3, 0x3fb8aa3b, v13
	v_cmp_ngt_f32_e64 s1, 0xc2ce8ed0, v13
	s_delay_alu instid0(VALU_DEP_2) | instskip(SKIP_1) | instid1(VALU_DEP_2)
	v_rndne_f32_e32 v4, v3
	v_fma_f32 v5, 0x3fb8aa3b, v13, -v3
	v_sub_f32_e32 v3, v3, v4
	s_delay_alu instid0(VALU_DEP_2) | instskip(SKIP_1) | instid1(VALU_DEP_2)
	v_fmamk_f32 v5, v13, 0x32a5705f, v5
	v_cvt_i32_f32_e32 v4, v4
	v_add_f32_e32 v3, v3, v5
	s_delay_alu instid0(VALU_DEP_1) | instskip(SKIP_2) | instid1(VALU_DEP_1)
	v_exp_f32_e32 v3, v3
	s_waitcnt_depctr 0xfff
	v_ldexp_f32 v3, v3, v4
	v_cndmask_b32_e64 v3, 0, v3, s1
	v_cmp_nlt_f32_e64 s1, 0x42b17218, v13
	s_delay_alu instid0(VALU_DEP_1) | instskip(NEXT) | instid1(VALU_DEP_1)
	v_cndmask_b32_e64 v3, 0x7f800000, v3, s1
	v_fma_f32 v3, -v2, v3, v7
	s_delay_alu instid0(VALU_DEP_1) | instskip(SKIP_1) | instid1(VALU_DEP_2)
	v_bfe_u32 v4, v3, 16, 1
	v_cmp_o_f32_e64 s1, v3, v3
	v_add3_u32 v4, v3, v4, 0x7fff
	s_delay_alu instid0(VALU_DEP_1) | instskip(NEXT) | instid1(VALU_DEP_1)
	v_lshrrev_b32_e32 v4, 16, v4
	v_cndmask_b32_e64 v3, 0x7fc0, v4, s1
	global_store_b16 v[0:1], v3, off offset:1664
	s_or_b32 exec_lo, exec_lo, s2
	s_and_saveexec_b32 s1, s0
	s_cbranch_execz .LBB320_48
.LBB320_65:
	v_mul_f32_e32 v3, 0x3fb8aa3b, v12
	v_cmp_ngt_f32_e64 s0, 0xc2ce8ed0, v12
	s_delay_alu instid0(VALU_DEP_2) | instskip(SKIP_1) | instid1(VALU_DEP_2)
	v_rndne_f32_e32 v4, v3
	v_fma_f32 v5, 0x3fb8aa3b, v12, -v3
	v_sub_f32_e32 v3, v3, v4
	s_delay_alu instid0(VALU_DEP_2) | instskip(SKIP_1) | instid1(VALU_DEP_2)
	v_fmamk_f32 v5, v12, 0x32a5705f, v5
	v_cvt_i32_f32_e32 v4, v4
	v_add_f32_e32 v3, v3, v5
	s_delay_alu instid0(VALU_DEP_1) | instskip(SKIP_2) | instid1(VALU_DEP_1)
	v_exp_f32_e32 v3, v3
	s_waitcnt_depctr 0xfff
	v_ldexp_f32 v3, v3, v4
	v_cndmask_b32_e64 v3, 0, v3, s0
	v_cmp_nlt_f32_e64 s0, 0x42b17218, v12
	s_delay_alu instid0(VALU_DEP_1) | instskip(NEXT) | instid1(VALU_DEP_1)
	v_cndmask_b32_e64 v3, 0x7f800000, v3, s0
	v_fma_f32 v3, -v2, v3, v10
	s_delay_alu instid0(VALU_DEP_1) | instskip(SKIP_1) | instid1(VALU_DEP_2)
	v_bfe_u32 v4, v3, 16, 1
	v_cmp_o_f32_e64 s0, v3, v3
	v_add3_u32 v4, v3, v4, 0x7fff
	s_delay_alu instid0(VALU_DEP_1) | instskip(NEXT) | instid1(VALU_DEP_1)
	v_lshrrev_b32_e32 v4, 16, v4
	v_cndmask_b32_e64 v3, 0x7fc0, v4, s0
	global_store_b16 v[0:1], v3, off offset:1792
	s_or_b32 exec_lo, exec_lo, s1
	s_delay_alu instid0(SALU_CYCLE_1)
	s_and_b32 exec_lo, exec_lo, vcc_lo
	s_cbranch_execnz .LBB320_49
	s_branch .LBB320_50
	.section	.rodata,"a",@progbits
	.p2align	6, 0x0
	.amdhsa_kernel _ZN12_GLOBAL__N_121softmax_warp_backwardIN3c108BFloat16ES2_fLi10ELb1ELb0ELi64EEEvPT0_PKT_S7_iiiPKb
		.amdhsa_group_segment_fixed_size 0
		.amdhsa_private_segment_fixed_size 0
		.amdhsa_kernarg_size 304
		.amdhsa_user_sgpr_count 15
		.amdhsa_user_sgpr_dispatch_ptr 0
		.amdhsa_user_sgpr_queue_ptr 0
		.amdhsa_user_sgpr_kernarg_segment_ptr 1
		.amdhsa_user_sgpr_dispatch_id 0
		.amdhsa_user_sgpr_private_segment_size 0
		.amdhsa_wavefront_size32 1
		.amdhsa_uses_dynamic_stack 0
		.amdhsa_enable_private_segment 0
		.amdhsa_system_sgpr_workgroup_id_x 1
		.amdhsa_system_sgpr_workgroup_id_y 0
		.amdhsa_system_sgpr_workgroup_id_z 0
		.amdhsa_system_sgpr_workgroup_info 0
		.amdhsa_system_vgpr_workitem_id 1
		.amdhsa_next_free_vgpr 39
		.amdhsa_next_free_sgpr 24
		.amdhsa_reserve_vcc 1
		.amdhsa_float_round_mode_32 0
		.amdhsa_float_round_mode_16_64 0
		.amdhsa_float_denorm_mode_32 3
		.amdhsa_float_denorm_mode_16_64 3
		.amdhsa_dx10_clamp 1
		.amdhsa_ieee_mode 1
		.amdhsa_fp16_overflow 0
		.amdhsa_workgroup_processor_mode 1
		.amdhsa_memory_ordered 1
		.amdhsa_forward_progress 0
		.amdhsa_shared_vgpr_count 0
		.amdhsa_exception_fp_ieee_invalid_op 0
		.amdhsa_exception_fp_denorm_src 0
		.amdhsa_exception_fp_ieee_div_zero 0
		.amdhsa_exception_fp_ieee_overflow 0
		.amdhsa_exception_fp_ieee_underflow 0
		.amdhsa_exception_fp_ieee_inexact 0
		.amdhsa_exception_int_div_zero 0
	.end_amdhsa_kernel
	.section	.text._ZN12_GLOBAL__N_121softmax_warp_backwardIN3c108BFloat16ES2_fLi10ELb1ELb0ELi64EEEvPT0_PKT_S7_iiiPKb,"axG",@progbits,_ZN12_GLOBAL__N_121softmax_warp_backwardIN3c108BFloat16ES2_fLi10ELb1ELb0ELi64EEEvPT0_PKT_S7_iiiPKb,comdat
.Lfunc_end320:
	.size	_ZN12_GLOBAL__N_121softmax_warp_backwardIN3c108BFloat16ES2_fLi10ELb1ELb0ELi64EEEvPT0_PKT_S7_iiiPKb, .Lfunc_end320-_ZN12_GLOBAL__N_121softmax_warp_backwardIN3c108BFloat16ES2_fLi10ELb1ELb0ELi64EEEvPT0_PKT_S7_iiiPKb
                                        ; -- End function
	.section	.AMDGPU.csdata,"",@progbits
; Kernel info:
; codeLenInByte = 5188
; NumSgprs: 26
; NumVgprs: 39
; ScratchSize: 0
; MemoryBound: 0
; FloatMode: 240
; IeeeMode: 1
; LDSByteSize: 0 bytes/workgroup (compile time only)
; SGPRBlocks: 3
; VGPRBlocks: 4
; NumSGPRsForWavesPerEU: 26
; NumVGPRsForWavesPerEU: 39
; Occupancy: 16
; WaveLimiterHint : 0
; COMPUTE_PGM_RSRC2:SCRATCH_EN: 0
; COMPUTE_PGM_RSRC2:USER_SGPR: 15
; COMPUTE_PGM_RSRC2:TRAP_HANDLER: 0
; COMPUTE_PGM_RSRC2:TGID_X_EN: 1
; COMPUTE_PGM_RSRC2:TGID_Y_EN: 0
; COMPUTE_PGM_RSRC2:TGID_Z_EN: 0
; COMPUTE_PGM_RSRC2:TIDIG_COMP_CNT: 1
	.section	.text._ZN12_GLOBAL__N_121softmax_warp_backwardIN3c108BFloat16ES2_fLi10ELb1ELb0ELi32EEEvPT0_PKT_S7_iiiPKb,"axG",@progbits,_ZN12_GLOBAL__N_121softmax_warp_backwardIN3c108BFloat16ES2_fLi10ELb1ELb0ELi32EEEvPT0_PKT_S7_iiiPKb,comdat
	.globl	_ZN12_GLOBAL__N_121softmax_warp_backwardIN3c108BFloat16ES2_fLi10ELb1ELb0ELi32EEEvPT0_PKT_S7_iiiPKb ; -- Begin function _ZN12_GLOBAL__N_121softmax_warp_backwardIN3c108BFloat16ES2_fLi10ELb1ELb0ELi32EEEvPT0_PKT_S7_iiiPKb
	.p2align	8
	.type	_ZN12_GLOBAL__N_121softmax_warp_backwardIN3c108BFloat16ES2_fLi10ELb1ELb0ELi32EEEvPT0_PKT_S7_iiiPKb,@function
_ZN12_GLOBAL__N_121softmax_warp_backwardIN3c108BFloat16ES2_fLi10ELb1ELb0ELi32EEEvPT0_PKT_S7_iiiPKb: ; @_ZN12_GLOBAL__N_121softmax_warp_backwardIN3c108BFloat16ES2_fLi10ELb1ELb0ELi32EEEvPT0_PKT_S7_iiiPKb
; %bb.0:
	s_clause 0x1
	s_load_b32 s2, s[0:1], 0x3c
	s_load_b128 s[40:43], s[0:1], 0x18
	v_bfe_u32 v1, v0, 10, 10
	v_and_b32_e32 v9, 0x3ff, v0
	s_clause 0x1
	s_load_b128 s[36:39], s[0:1], 0x0
	s_load_b64 s[0:1], s[0:1], 0x10
	v_mov_b32_e32 v57, 0
	v_dual_mov_b32 v67, 0 :: v_dual_and_b32 v6, 31, v9
	v_mov_b32_e32 v69, 0
	s_waitcnt lgkmcnt(0)
	s_lshr_b32 s2, s2, 16
	s_delay_alu instid0(VALU_DEP_2) | instskip(SKIP_1) | instid1(VALU_DEP_1)
	v_cmp_gt_i32_e64 s30, s42, v6
	v_mad_u64_u32 v[2:3], null, s15, s2, v[1:2]
	v_mad_u64_u32 v[0:1], null, v2, s41, v[6:7]
	v_sub_nc_u32_e32 v70, s40, v2
	s_delay_alu instid0(VALU_DEP_1) | instskip(NEXT) | instid1(VALU_DEP_3)
	v_cmp_lt_i32_e64 s31, 0, v70
	v_ashrrev_i32_e32 v1, 31, v0
	s_delay_alu instid0(VALU_DEP_1) | instskip(NEXT) | instid1(VALU_DEP_1)
	v_lshlrev_b64 v[0:1], 1, v[0:1]
	v_add_co_u32 v2, vcc_lo, s38, v0
	s_delay_alu instid0(VALU_DEP_2) | instskip(SKIP_3) | instid1(SALU_CYCLE_1)
	v_add_co_ci_u32_e32 v3, vcc_lo, s39, v1, vcc_lo
	v_add_co_u32 v4, vcc_lo, s0, v0
	v_add_co_ci_u32_e32 v5, vcc_lo, s1, v1, vcc_lo
	s_and_b32 s1, s31, s30
	s_and_saveexec_b32 s0, s1
	s_cbranch_execz .LBB321_2
; %bb.1:
	global_load_u16 v7, v[2:3], off
	global_load_u16 v8, v[4:5], off
	s_waitcnt vmcnt(1)
	v_lshlrev_b32_e32 v67, 16, v7
	s_waitcnt vmcnt(0)
	v_lshlrev_b32_e32 v69, 16, v8
.LBB321_2:
	s_or_b32 exec_lo, exec_lo, s0
	v_or_b32_e32 v7, 32, v6
	v_mov_b32_e32 v68, 0
	s_delay_alu instid0(VALU_DEP_2) | instskip(NEXT) | instid1(VALU_DEP_1)
	v_cmp_gt_i32_e64 s29, s42, v7
	s_and_b32 s1, s31, s29
	s_delay_alu instid0(SALU_CYCLE_1)
	s_and_saveexec_b32 s0, s1
	s_cbranch_execz .LBB321_4
; %bb.3:
	global_load_u16 v7, v[2:3], off offset:64
	global_load_u16 v8, v[4:5], off offset:64
	s_waitcnt vmcnt(1)
	v_lshlrev_b32_e32 v57, 16, v7
	s_waitcnt vmcnt(0)
	v_lshlrev_b32_e32 v68, 16, v8
.LBB321_4:
	s_or_b32 exec_lo, exec_lo, s0
	v_or_b32_e32 v7, 64, v6
	v_dual_mov_b32 v55, 0 :: v_dual_mov_b32 v66, 0
	v_mov_b32_e32 v65, 0
	s_delay_alu instid0(VALU_DEP_3) | instskip(NEXT) | instid1(VALU_DEP_1)
	v_cmp_gt_i32_e64 s28, s42, v7
	s_and_b32 s1, s31, s28
	s_delay_alu instid0(SALU_CYCLE_1)
	s_and_saveexec_b32 s0, s1
	s_cbranch_execz .LBB321_6
; %bb.5:
	global_load_u16 v7, v[2:3], off offset:128
	global_load_u16 v8, v[4:5], off offset:128
	s_waitcnt vmcnt(1)
	v_lshlrev_b32_e32 v65, 16, v7
	s_waitcnt vmcnt(0)
	v_lshlrev_b32_e32 v66, 16, v8
.LBB321_6:
	s_or_b32 exec_lo, exec_lo, s0
	v_or_b32_e32 v7, 0x60, v6
	v_mov_b32_e32 v64, 0
	s_delay_alu instid0(VALU_DEP_2) | instskip(NEXT) | instid1(VALU_DEP_1)
	v_cmp_gt_i32_e64 s27, s42, v7
	s_and_b32 s1, s31, s27
	s_delay_alu instid0(SALU_CYCLE_1)
	s_and_saveexec_b32 s0, s1
	s_cbranch_execz .LBB321_8
; %bb.7:
	global_load_u16 v7, v[2:3], off offset:192
	global_load_u16 v8, v[4:5], off offset:192
	s_waitcnt vmcnt(1)
	v_lshlrev_b32_e32 v55, 16, v7
	s_waitcnt vmcnt(0)
	v_lshlrev_b32_e32 v64, 16, v8
.LBB321_8:
	s_or_b32 exec_lo, exec_lo, s0
	v_or_b32_e32 v7, 0x80, v6
	v_dual_mov_b32 v51, 0 :: v_dual_mov_b32 v62, 0
	v_mov_b32_e32 v63, 0
	s_delay_alu instid0(VALU_DEP_3) | instskip(NEXT) | instid1(VALU_DEP_1)
	v_cmp_gt_i32_e64 s26, s42, v7
	s_and_b32 s1, s31, s26
	s_delay_alu instid0(SALU_CYCLE_1)
	s_and_saveexec_b32 s0, s1
	s_cbranch_execz .LBB321_10
; %bb.9:
	global_load_u16 v7, v[2:3], off offset:256
	global_load_u16 v8, v[4:5], off offset:256
	s_waitcnt vmcnt(1)
	v_lshlrev_b32_e32 v62, 16, v7
	s_waitcnt vmcnt(0)
	v_lshlrev_b32_e32 v63, 16, v8
.LBB321_10:
	;; [unrolled: 35-line block ×12, first 2 shown]
	s_or_b32 exec_lo, exec_lo, s0
	v_or_b32_e32 v7, 0x320, v6
	v_mov_b32_e32 v21, 0
	s_delay_alu instid0(VALU_DEP_2) | instskip(NEXT) | instid1(VALU_DEP_1)
	v_cmp_gt_i32_e64 s5, s42, v7
	s_and_b32 s1, s31, s5
	s_delay_alu instid0(SALU_CYCLE_1)
	s_and_saveexec_b32 s0, s1
	s_cbranch_execz .LBB321_52
; %bb.51:
	global_load_u16 v7, v[2:3], off offset:1600
	global_load_u16 v8, v[4:5], off offset:1600
	s_waitcnt vmcnt(1)
	v_lshlrev_b32_e32 v11, 16, v7
	s_waitcnt vmcnt(0)
	v_lshlrev_b32_e32 v21, 16, v8
.LBB321_52:
	s_or_b32 exec_lo, exec_lo, s0
	v_or_b32_e32 v7, 0x340, v6
	v_mov_b32_e32 v8, 0
	v_mov_b32_e32 v18, 0
	;; [unrolled: 1-line block ×3, first 2 shown]
	s_delay_alu instid0(VALU_DEP_4) | instskip(NEXT) | instid1(VALU_DEP_1)
	v_cmp_gt_i32_e64 s4, s42, v7
	s_and_b32 s1, s31, s4
	s_delay_alu instid0(SALU_CYCLE_1)
	s_and_saveexec_b32 s0, s1
	s_cbranch_execz .LBB321_54
; %bb.53:
	global_load_u16 v7, v[2:3], off offset:1664
	global_load_u16 v10, v[4:5], off offset:1664
	s_waitcnt vmcnt(1)
	v_lshlrev_b32_e32 v18, 16, v7
	s_waitcnt vmcnt(0)
	v_lshlrev_b32_e32 v20, 16, v10
.LBB321_54:
	s_or_b32 exec_lo, exec_lo, s0
	v_or_b32_e32 v7, 0x360, v6
	v_mov_b32_e32 v17, 0
	s_delay_alu instid0(VALU_DEP_2) | instskip(NEXT) | instid1(VALU_DEP_1)
	v_cmp_gt_i32_e64 s3, s42, v7
	s_and_b32 s1, s31, s3
	s_delay_alu instid0(SALU_CYCLE_1)
	s_and_saveexec_b32 s0, s1
	s_cbranch_execz .LBB321_56
; %bb.55:
	global_load_u16 v7, v[2:3], off offset:1728
	global_load_u16 v10, v[4:5], off offset:1728
	s_waitcnt vmcnt(1)
	v_lshlrev_b32_e32 v8, 16, v7
	s_waitcnt vmcnt(0)
	v_lshlrev_b32_e32 v17, 16, v10
.LBB321_56:
	s_or_b32 exec_lo, exec_lo, s0
	v_or_b32_e32 v7, 0x380, v6
	v_mov_b32_e32 v16, 0
	v_mov_b32_e32 v14, 0
	s_delay_alu instid0(VALU_DEP_3) | instskip(SKIP_1) | instid1(VALU_DEP_2)
	v_cmp_gt_i32_e64 s2, s42, v7
	v_mov_b32_e32 v7, 0
	s_and_b32 s1, s31, s2
	s_delay_alu instid0(SALU_CYCLE_1)
	s_and_saveexec_b32 s0, s1
	s_cbranch_execz .LBB321_58
; %bb.57:
	global_load_u16 v10, v[2:3], off offset:1792
	global_load_u16 v12, v[4:5], off offset:1792
	s_waitcnt vmcnt(1)
	v_lshlrev_b32_e32 v14, 16, v10
	s_waitcnt vmcnt(0)
	v_lshlrev_b32_e32 v16, 16, v12
.LBB321_58:
	s_or_b32 exec_lo, exec_lo, s0
	v_or_b32_e32 v10, 0x3a0, v6
	v_mov_b32_e32 v13, 0
	s_delay_alu instid0(VALU_DEP_2) | instskip(NEXT) | instid1(VALU_DEP_1)
	v_cmp_gt_i32_e64 s1, s42, v10
	s_and_b32 s33, s31, s1
	s_delay_alu instid0(SALU_CYCLE_1)
	s_and_saveexec_b32 s0, s33
	s_cbranch_execz .LBB321_60
; %bb.59:
	global_load_u16 v7, v[2:3], off offset:1856
	global_load_u16 v10, v[4:5], off offset:1856
	s_waitcnt vmcnt(1)
	v_lshlrev_b32_e32 v7, 16, v7
	s_waitcnt vmcnt(0)
	v_lshlrev_b32_e32 v13, 16, v10
.LBB321_60:
	s_or_b32 exec_lo, exec_lo, s0
	v_or_b32_e32 v6, 0x3c0, v6
	v_mov_b32_e32 v10, 0
	v_mov_b32_e32 v12, 0
	s_delay_alu instid0(VALU_DEP_3) | instskip(SKIP_1) | instid1(VALU_DEP_2)
	v_cmp_gt_i32_e64 s0, s42, v6
	v_mov_b32_e32 v6, 0
	s_and_b32 s34, s31, s0
	s_delay_alu instid0(SALU_CYCLE_1)
	s_and_saveexec_b32 s33, s34
	s_cbranch_execz .LBB321_62
; %bb.61:
	global_load_u16 v10, v[2:3], off offset:1920
	global_load_u16 v12, v[4:5], off offset:1920
	s_waitcnt vmcnt(1)
	v_lshlrev_b32_e32 v10, 16, v10
	s_waitcnt vmcnt(0)
	v_lshlrev_b32_e32 v12, 16, v12
.LBB321_62:
	s_or_b32 exec_lo, exec_lo, s33
	v_or_b32_e32 v9, 0x3e0, v9
	s_delay_alu instid0(VALU_DEP_1) | instskip(SKIP_2) | instid1(SALU_CYCLE_1)
	v_cmp_gt_i32_e32 vcc_lo, s42, v9
	v_mov_b32_e32 v9, 0
	s_and_b32 s33, s31, vcc_lo
	s_and_saveexec_b32 s31, s33
	s_cbranch_execz .LBB321_64
; %bb.63:
	global_load_u16 v2, v[2:3], off offset:1984
	global_load_u16 v3, v[4:5], off offset:1984
	s_waitcnt vmcnt(1)
	v_lshlrev_b32_e32 v6, 16, v2
	s_waitcnt vmcnt(0)
	v_lshlrev_b32_e32 v9, 16, v3
.LBB321_64:
	s_or_b32 exec_lo, exec_lo, s31
	v_mbcnt_lo_u32_b32 v3, -1, 0
	s_mov_b32 s33, exec_lo
	s_delay_alu instid0(VALU_DEP_1) | instskip(SKIP_1) | instid1(VALU_DEP_2)
	v_xor_b32_e32 v4, 16, v3
	v_xor_b32_e32 v5, 8, v3
	v_cmp_gt_i32_e64 s31, 32, v4
	s_delay_alu instid0(VALU_DEP_1) | instskip(NEXT) | instid1(VALU_DEP_3)
	v_cndmask_b32_e64 v4, v3, v4, s31
	v_cmp_gt_i32_e64 s31, 32, v5
	s_delay_alu instid0(VALU_DEP_2) | instskip(NEXT) | instid1(VALU_DEP_2)
	v_lshlrev_b32_e32 v4, 2, v4
	v_cndmask_b32_e64 v5, v3, v5, s31
	s_delay_alu instid0(VALU_DEP_1) | instskip(NEXT) | instid1(VALU_DEP_1)
	v_dual_add_f32 v2, 0, v67 :: v_dual_lshlrev_b32 v5, 2, v5
	v_add_f32_e32 v2, v2, v57
	s_delay_alu instid0(VALU_DEP_1) | instskip(NEXT) | instid1(VALU_DEP_1)
	v_add_f32_e32 v2, v2, v65
	v_add_f32_e32 v2, v2, v55
	s_delay_alu instid0(VALU_DEP_1) | instskip(NEXT) | instid1(VALU_DEP_1)
	v_add_f32_e32 v2, v2, v62
	;; [unrolled: 3-line block ×15, first 2 shown]
	v_add_f32_e32 v2, v2, v6
	ds_bpermute_b32 v4, v4, v2
	s_waitcnt lgkmcnt(0)
	v_add_f32_e32 v2, v2, v4
	ds_bpermute_b32 v4, v5, v2
	v_xor_b32_e32 v5, 4, v3
	s_delay_alu instid0(VALU_DEP_1) | instskip(NEXT) | instid1(VALU_DEP_1)
	v_cmp_gt_i32_e64 s31, 32, v5
	v_cndmask_b32_e64 v5, v3, v5, s31
	s_waitcnt lgkmcnt(0)
	s_delay_alu instid0(VALU_DEP_1) | instskip(SKIP_2) | instid1(VALU_DEP_1)
	v_dual_add_f32 v2, v2, v4 :: v_dual_lshlrev_b32 v5, 2, v5
	ds_bpermute_b32 v4, v5, v2
	v_xor_b32_e32 v5, 2, v3
	v_cmp_gt_i32_e64 s31, 32, v5
	s_delay_alu instid0(VALU_DEP_1) | instskip(SKIP_1) | instid1(VALU_DEP_1)
	v_cndmask_b32_e64 v5, v3, v5, s31
	s_waitcnt lgkmcnt(0)
	v_dual_add_f32 v2, v2, v4 :: v_dual_lshlrev_b32 v5, 2, v5
	ds_bpermute_b32 v4, v5, v2
	v_xor_b32_e32 v5, 1, v3
	s_delay_alu instid0(VALU_DEP_1) | instskip(NEXT) | instid1(VALU_DEP_1)
	v_cmp_gt_i32_e64 s31, 32, v5
	v_cndmask_b32_e64 v3, v3, v5, s31
	s_waitcnt lgkmcnt(0)
	s_delay_alu instid0(VALU_DEP_1)
	v_dual_add_f32 v2, v2, v4 :: v_dual_lshlrev_b32 v3, 2, v3
	ds_bpermute_b32 v3, v3, v2
	v_cmpx_lt_i32_e32 0, v70
	s_cbranch_execz .LBB321_98
; %bb.65:
	v_add_co_u32 v0, s31, s36, v0
	s_delay_alu instid0(VALU_DEP_1)
	v_add_co_ci_u32_e64 v1, s31, s37, v1, s31
	s_waitcnt lgkmcnt(0)
	v_add_f32_e32 v2, v2, v3
	s_and_saveexec_b32 s31, s30
	s_cbranch_execnz .LBB321_99
; %bb.66:
	s_or_b32 exec_lo, exec_lo, s31
	s_and_saveexec_b32 s30, s29
	s_cbranch_execnz .LBB321_100
.LBB321_67:
	s_or_b32 exec_lo, exec_lo, s30
	s_and_saveexec_b32 s29, s28
	s_cbranch_execnz .LBB321_101
.LBB321_68:
	s_or_b32 exec_lo, exec_lo, s29
	s_and_saveexec_b32 s28, s27
	s_cbranch_execnz .LBB321_102
.LBB321_69:
	s_or_b32 exec_lo, exec_lo, s28
	s_and_saveexec_b32 s27, s26
	s_cbranch_execnz .LBB321_103
.LBB321_70:
	s_or_b32 exec_lo, exec_lo, s27
	s_and_saveexec_b32 s26, s25
	s_cbranch_execnz .LBB321_104
.LBB321_71:
	s_or_b32 exec_lo, exec_lo, s26
	s_and_saveexec_b32 s25, s24
	s_cbranch_execnz .LBB321_105
.LBB321_72:
	s_or_b32 exec_lo, exec_lo, s25
	s_and_saveexec_b32 s24, s23
	s_cbranch_execnz .LBB321_106
.LBB321_73:
	s_or_b32 exec_lo, exec_lo, s24
	s_and_saveexec_b32 s23, s22
	s_cbranch_execnz .LBB321_107
.LBB321_74:
	s_or_b32 exec_lo, exec_lo, s23
	s_and_saveexec_b32 s22, s21
	s_cbranch_execnz .LBB321_108
.LBB321_75:
	s_or_b32 exec_lo, exec_lo, s22
	s_and_saveexec_b32 s21, s20
	s_cbranch_execnz .LBB321_109
.LBB321_76:
	s_or_b32 exec_lo, exec_lo, s21
	s_and_saveexec_b32 s20, s19
	s_cbranch_execnz .LBB321_110
.LBB321_77:
	s_or_b32 exec_lo, exec_lo, s20
	s_and_saveexec_b32 s19, s18
	s_cbranch_execnz .LBB321_111
.LBB321_78:
	s_or_b32 exec_lo, exec_lo, s19
	s_and_saveexec_b32 s18, s17
	s_cbranch_execnz .LBB321_112
.LBB321_79:
	s_or_b32 exec_lo, exec_lo, s18
	s_and_saveexec_b32 s17, s16
	s_cbranch_execnz .LBB321_113
.LBB321_80:
	s_or_b32 exec_lo, exec_lo, s17
	s_and_saveexec_b32 s16, s15
	s_cbranch_execnz .LBB321_114
.LBB321_81:
	s_or_b32 exec_lo, exec_lo, s16
	s_and_saveexec_b32 s15, s14
	s_cbranch_execnz .LBB321_115
.LBB321_82:
	s_or_b32 exec_lo, exec_lo, s15
	s_and_saveexec_b32 s14, s13
	s_cbranch_execnz .LBB321_116
.LBB321_83:
	s_or_b32 exec_lo, exec_lo, s14
	s_and_saveexec_b32 s13, s12
	s_cbranch_execnz .LBB321_117
.LBB321_84:
	s_or_b32 exec_lo, exec_lo, s13
	s_and_saveexec_b32 s12, s11
	s_cbranch_execnz .LBB321_118
.LBB321_85:
	s_or_b32 exec_lo, exec_lo, s12
	s_and_saveexec_b32 s11, s10
	s_cbranch_execnz .LBB321_119
.LBB321_86:
	s_or_b32 exec_lo, exec_lo, s11
	s_and_saveexec_b32 s10, s9
	s_cbranch_execnz .LBB321_120
.LBB321_87:
	s_or_b32 exec_lo, exec_lo, s10
	s_and_saveexec_b32 s9, s8
	s_cbranch_execnz .LBB321_121
.LBB321_88:
	s_or_b32 exec_lo, exec_lo, s9
	s_and_saveexec_b32 s8, s7
	s_cbranch_execnz .LBB321_122
.LBB321_89:
	s_or_b32 exec_lo, exec_lo, s8
	s_and_saveexec_b32 s7, s6
	s_cbranch_execnz .LBB321_123
.LBB321_90:
	s_or_b32 exec_lo, exec_lo, s7
	s_and_saveexec_b32 s6, s5
	s_cbranch_execnz .LBB321_124
.LBB321_91:
	s_or_b32 exec_lo, exec_lo, s6
	s_and_saveexec_b32 s5, s4
	s_cbranch_execnz .LBB321_125
.LBB321_92:
	s_or_b32 exec_lo, exec_lo, s5
	s_and_saveexec_b32 s4, s3
	s_cbranch_execnz .LBB321_126
.LBB321_93:
	s_or_b32 exec_lo, exec_lo, s4
	s_and_saveexec_b32 s3, s2
	s_cbranch_execnz .LBB321_127
.LBB321_94:
	s_or_b32 exec_lo, exec_lo, s3
	s_and_saveexec_b32 s2, s1
	s_cbranch_execnz .LBB321_128
.LBB321_95:
	s_or_b32 exec_lo, exec_lo, s2
	s_and_saveexec_b32 s1, s0
	s_cbranch_execnz .LBB321_129
.LBB321_96:
	s_or_b32 exec_lo, exec_lo, s1
	s_delay_alu instid0(SALU_CYCLE_1)
	s_and_b32 exec_lo, exec_lo, vcc_lo
	s_cbranch_execz .LBB321_98
.LBB321_97:
	v_mul_f32_e32 v3, 0x3fb8aa3b, v9
	v_cmp_ngt_f32_e32 vcc_lo, 0xc2ce8ed0, v9
	s_delay_alu instid0(VALU_DEP_2) | instskip(SKIP_1) | instid1(VALU_DEP_2)
	v_rndne_f32_e32 v4, v3
	v_fma_f32 v5, 0x3fb8aa3b, v9, -v3
	v_sub_f32_e32 v3, v3, v4
	s_delay_alu instid0(VALU_DEP_2) | instskip(SKIP_1) | instid1(VALU_DEP_2)
	v_fmamk_f32 v5, v9, 0x32a5705f, v5
	v_cvt_i32_f32_e32 v4, v4
	v_add_f32_e32 v3, v3, v5
	s_delay_alu instid0(VALU_DEP_1) | instskip(SKIP_2) | instid1(VALU_DEP_1)
	v_exp_f32_e32 v3, v3
	s_waitcnt_depctr 0xfff
	v_ldexp_f32 v3, v3, v4
	v_cndmask_b32_e32 v3, 0, v3, vcc_lo
	v_cmp_nlt_f32_e32 vcc_lo, 0x42b17218, v9
	s_delay_alu instid0(VALU_DEP_2) | instskip(NEXT) | instid1(VALU_DEP_1)
	v_cndmask_b32_e32 v3, 0x7f800000, v3, vcc_lo
	v_fma_f32 v2, -v2, v3, v6
	s_delay_alu instid0(VALU_DEP_1) | instskip(SKIP_1) | instid1(VALU_DEP_2)
	v_bfe_u32 v3, v2, 16, 1
	v_cmp_o_f32_e32 vcc_lo, v2, v2
	v_add3_u32 v3, v2, v3, 0x7fff
	s_delay_alu instid0(VALU_DEP_1) | instskip(NEXT) | instid1(VALU_DEP_1)
	v_lshrrev_b32_e32 v3, 16, v3
	v_cndmask_b32_e32 v2, 0x7fc0, v3, vcc_lo
	global_store_b16 v[0:1], v2, off offset:1984
.LBB321_98:
	s_nop 0
	s_sendmsg sendmsg(MSG_DEALLOC_VGPRS)
	s_endpgm
.LBB321_99:
	v_mul_f32_e32 v3, 0x3fb8aa3b, v69
	v_cmp_ngt_f32_e64 s30, 0xc2ce8ed0, v69
	s_delay_alu instid0(VALU_DEP_2) | instskip(SKIP_1) | instid1(VALU_DEP_2)
	v_rndne_f32_e32 v4, v3
	v_fma_f32 v5, 0x3fb8aa3b, v69, -v3
	v_sub_f32_e32 v3, v3, v4
	s_delay_alu instid0(VALU_DEP_2) | instskip(SKIP_1) | instid1(VALU_DEP_2)
	v_fmamk_f32 v5, v69, 0x32a5705f, v5
	v_cvt_i32_f32_e32 v4, v4
	v_add_f32_e32 v3, v3, v5
	s_delay_alu instid0(VALU_DEP_1) | instskip(SKIP_2) | instid1(VALU_DEP_1)
	v_exp_f32_e32 v3, v3
	s_waitcnt_depctr 0xfff
	v_ldexp_f32 v3, v3, v4
	v_cndmask_b32_e64 v3, 0, v3, s30
	v_cmp_nlt_f32_e64 s30, 0x42b17218, v69
	s_delay_alu instid0(VALU_DEP_1) | instskip(NEXT) | instid1(VALU_DEP_1)
	v_cndmask_b32_e64 v3, 0x7f800000, v3, s30
	v_fma_f32 v3, -v2, v3, v67
	s_delay_alu instid0(VALU_DEP_1) | instskip(SKIP_1) | instid1(VALU_DEP_2)
	v_bfe_u32 v4, v3, 16, 1
	v_cmp_o_f32_e64 s30, v3, v3
	v_add3_u32 v4, v3, v4, 0x7fff
	s_delay_alu instid0(VALU_DEP_1) | instskip(NEXT) | instid1(VALU_DEP_1)
	v_lshrrev_b32_e32 v4, 16, v4
	v_cndmask_b32_e64 v3, 0x7fc0, v4, s30
	global_store_b16 v[0:1], v3, off
	s_or_b32 exec_lo, exec_lo, s31
	s_and_saveexec_b32 s30, s29
	s_cbranch_execz .LBB321_67
.LBB321_100:
	v_mul_f32_e32 v3, 0x3fb8aa3b, v68
	v_cmp_ngt_f32_e64 s29, 0xc2ce8ed0, v68
	s_delay_alu instid0(VALU_DEP_2) | instskip(SKIP_1) | instid1(VALU_DEP_2)
	v_rndne_f32_e32 v4, v3
	v_fma_f32 v5, 0x3fb8aa3b, v68, -v3
	v_sub_f32_e32 v3, v3, v4
	s_delay_alu instid0(VALU_DEP_2) | instskip(SKIP_1) | instid1(VALU_DEP_2)
	v_fmamk_f32 v5, v68, 0x32a5705f, v5
	v_cvt_i32_f32_e32 v4, v4
	v_add_f32_e32 v3, v3, v5
	s_delay_alu instid0(VALU_DEP_1) | instskip(SKIP_2) | instid1(VALU_DEP_1)
	v_exp_f32_e32 v3, v3
	s_waitcnt_depctr 0xfff
	v_ldexp_f32 v3, v3, v4
	v_cndmask_b32_e64 v3, 0, v3, s29
	v_cmp_nlt_f32_e64 s29, 0x42b17218, v68
	s_delay_alu instid0(VALU_DEP_1) | instskip(NEXT) | instid1(VALU_DEP_1)
	v_cndmask_b32_e64 v3, 0x7f800000, v3, s29
	v_fma_f32 v3, -v2, v3, v57
	s_delay_alu instid0(VALU_DEP_1) | instskip(SKIP_1) | instid1(VALU_DEP_2)
	v_bfe_u32 v4, v3, 16, 1
	v_cmp_o_f32_e64 s29, v3, v3
	v_add3_u32 v4, v3, v4, 0x7fff
	s_delay_alu instid0(VALU_DEP_1) | instskip(NEXT) | instid1(VALU_DEP_1)
	v_lshrrev_b32_e32 v4, 16, v4
	v_cndmask_b32_e64 v3, 0x7fc0, v4, s29
	global_store_b16 v[0:1], v3, off offset:64
	s_or_b32 exec_lo, exec_lo, s30
	s_and_saveexec_b32 s29, s28
	s_cbranch_execz .LBB321_68
.LBB321_101:
	v_mul_f32_e32 v3, 0x3fb8aa3b, v66
	v_cmp_ngt_f32_e64 s28, 0xc2ce8ed0, v66
	s_delay_alu instid0(VALU_DEP_2) | instskip(SKIP_1) | instid1(VALU_DEP_2)
	v_rndne_f32_e32 v4, v3
	v_fma_f32 v5, 0x3fb8aa3b, v66, -v3
	v_sub_f32_e32 v3, v3, v4
	s_delay_alu instid0(VALU_DEP_2) | instskip(SKIP_1) | instid1(VALU_DEP_2)
	v_fmamk_f32 v5, v66, 0x32a5705f, v5
	v_cvt_i32_f32_e32 v4, v4
	v_add_f32_e32 v3, v3, v5
	s_delay_alu instid0(VALU_DEP_1) | instskip(SKIP_2) | instid1(VALU_DEP_1)
	v_exp_f32_e32 v3, v3
	s_waitcnt_depctr 0xfff
	v_ldexp_f32 v3, v3, v4
	v_cndmask_b32_e64 v3, 0, v3, s28
	v_cmp_nlt_f32_e64 s28, 0x42b17218, v66
	s_delay_alu instid0(VALU_DEP_1) | instskip(NEXT) | instid1(VALU_DEP_1)
	v_cndmask_b32_e64 v3, 0x7f800000, v3, s28
	v_fma_f32 v3, -v2, v3, v65
	s_delay_alu instid0(VALU_DEP_1) | instskip(SKIP_1) | instid1(VALU_DEP_2)
	v_bfe_u32 v4, v3, 16, 1
	v_cmp_o_f32_e64 s28, v3, v3
	v_add3_u32 v4, v3, v4, 0x7fff
	s_delay_alu instid0(VALU_DEP_1) | instskip(NEXT) | instid1(VALU_DEP_1)
	v_lshrrev_b32_e32 v4, 16, v4
	v_cndmask_b32_e64 v3, 0x7fc0, v4, s28
	global_store_b16 v[0:1], v3, off offset:128
	s_or_b32 exec_lo, exec_lo, s29
	s_and_saveexec_b32 s28, s27
	s_cbranch_execz .LBB321_69
.LBB321_102:
	v_mul_f32_e32 v3, 0x3fb8aa3b, v64
	v_cmp_ngt_f32_e64 s27, 0xc2ce8ed0, v64
	s_delay_alu instid0(VALU_DEP_2) | instskip(SKIP_1) | instid1(VALU_DEP_2)
	v_rndne_f32_e32 v4, v3
	v_fma_f32 v5, 0x3fb8aa3b, v64, -v3
	v_sub_f32_e32 v3, v3, v4
	s_delay_alu instid0(VALU_DEP_2) | instskip(SKIP_1) | instid1(VALU_DEP_2)
	v_fmamk_f32 v5, v64, 0x32a5705f, v5
	v_cvt_i32_f32_e32 v4, v4
	v_add_f32_e32 v3, v3, v5
	s_delay_alu instid0(VALU_DEP_1) | instskip(SKIP_2) | instid1(VALU_DEP_1)
	v_exp_f32_e32 v3, v3
	s_waitcnt_depctr 0xfff
	v_ldexp_f32 v3, v3, v4
	v_cndmask_b32_e64 v3, 0, v3, s27
	v_cmp_nlt_f32_e64 s27, 0x42b17218, v64
	s_delay_alu instid0(VALU_DEP_1) | instskip(NEXT) | instid1(VALU_DEP_1)
	v_cndmask_b32_e64 v3, 0x7f800000, v3, s27
	v_fma_f32 v3, -v2, v3, v55
	s_delay_alu instid0(VALU_DEP_1) | instskip(SKIP_1) | instid1(VALU_DEP_2)
	v_bfe_u32 v4, v3, 16, 1
	v_cmp_o_f32_e64 s27, v3, v3
	v_add3_u32 v4, v3, v4, 0x7fff
	s_delay_alu instid0(VALU_DEP_1) | instskip(NEXT) | instid1(VALU_DEP_1)
	v_lshrrev_b32_e32 v4, 16, v4
	v_cndmask_b32_e64 v3, 0x7fc0, v4, s27
	global_store_b16 v[0:1], v3, off offset:192
	s_or_b32 exec_lo, exec_lo, s28
	s_and_saveexec_b32 s27, s26
	s_cbranch_execz .LBB321_70
.LBB321_103:
	v_mul_f32_e32 v3, 0x3fb8aa3b, v63
	v_cmp_ngt_f32_e64 s26, 0xc2ce8ed0, v63
	s_delay_alu instid0(VALU_DEP_2) | instskip(SKIP_1) | instid1(VALU_DEP_2)
	v_rndne_f32_e32 v4, v3
	v_fma_f32 v5, 0x3fb8aa3b, v63, -v3
	v_sub_f32_e32 v3, v3, v4
	s_delay_alu instid0(VALU_DEP_2) | instskip(SKIP_1) | instid1(VALU_DEP_2)
	v_fmamk_f32 v5, v63, 0x32a5705f, v5
	v_cvt_i32_f32_e32 v4, v4
	v_add_f32_e32 v3, v3, v5
	s_delay_alu instid0(VALU_DEP_1) | instskip(SKIP_2) | instid1(VALU_DEP_1)
	v_exp_f32_e32 v3, v3
	s_waitcnt_depctr 0xfff
	v_ldexp_f32 v3, v3, v4
	v_cndmask_b32_e64 v3, 0, v3, s26
	v_cmp_nlt_f32_e64 s26, 0x42b17218, v63
	s_delay_alu instid0(VALU_DEP_1) | instskip(NEXT) | instid1(VALU_DEP_1)
	v_cndmask_b32_e64 v3, 0x7f800000, v3, s26
	v_fma_f32 v3, -v2, v3, v62
	s_delay_alu instid0(VALU_DEP_1) | instskip(SKIP_1) | instid1(VALU_DEP_2)
	v_bfe_u32 v4, v3, 16, 1
	v_cmp_o_f32_e64 s26, v3, v3
	v_add3_u32 v4, v3, v4, 0x7fff
	s_delay_alu instid0(VALU_DEP_1) | instskip(NEXT) | instid1(VALU_DEP_1)
	v_lshrrev_b32_e32 v4, 16, v4
	v_cndmask_b32_e64 v3, 0x7fc0, v4, s26
	global_store_b16 v[0:1], v3, off offset:256
	s_or_b32 exec_lo, exec_lo, s27
	s_and_saveexec_b32 s26, s25
	s_cbranch_execz .LBB321_71
.LBB321_104:
	v_mul_f32_e32 v3, 0x3fb8aa3b, v61
	v_cmp_ngt_f32_e64 s25, 0xc2ce8ed0, v61
	s_delay_alu instid0(VALU_DEP_2) | instskip(SKIP_1) | instid1(VALU_DEP_2)
	v_rndne_f32_e32 v4, v3
	v_fma_f32 v5, 0x3fb8aa3b, v61, -v3
	v_sub_f32_e32 v3, v3, v4
	s_delay_alu instid0(VALU_DEP_2) | instskip(SKIP_1) | instid1(VALU_DEP_2)
	v_fmamk_f32 v5, v61, 0x32a5705f, v5
	v_cvt_i32_f32_e32 v4, v4
	v_add_f32_e32 v3, v3, v5
	s_delay_alu instid0(VALU_DEP_1) | instskip(SKIP_2) | instid1(VALU_DEP_1)
	v_exp_f32_e32 v3, v3
	s_waitcnt_depctr 0xfff
	v_ldexp_f32 v3, v3, v4
	v_cndmask_b32_e64 v3, 0, v3, s25
	v_cmp_nlt_f32_e64 s25, 0x42b17218, v61
	s_delay_alu instid0(VALU_DEP_1) | instskip(NEXT) | instid1(VALU_DEP_1)
	v_cndmask_b32_e64 v3, 0x7f800000, v3, s25
	v_fma_f32 v3, -v2, v3, v51
	s_delay_alu instid0(VALU_DEP_1) | instskip(SKIP_1) | instid1(VALU_DEP_2)
	v_bfe_u32 v4, v3, 16, 1
	v_cmp_o_f32_e64 s25, v3, v3
	v_add3_u32 v4, v3, v4, 0x7fff
	s_delay_alu instid0(VALU_DEP_1) | instskip(NEXT) | instid1(VALU_DEP_1)
	v_lshrrev_b32_e32 v4, 16, v4
	v_cndmask_b32_e64 v3, 0x7fc0, v4, s25
	global_store_b16 v[0:1], v3, off offset:320
	s_or_b32 exec_lo, exec_lo, s26
	s_and_saveexec_b32 s25, s24
	s_cbranch_execz .LBB321_72
.LBB321_105:
	v_mul_f32_e32 v3, 0x3fb8aa3b, v60
	v_cmp_ngt_f32_e64 s24, 0xc2ce8ed0, v60
	s_delay_alu instid0(VALU_DEP_2) | instskip(SKIP_1) | instid1(VALU_DEP_2)
	v_rndne_f32_e32 v4, v3
	v_fma_f32 v5, 0x3fb8aa3b, v60, -v3
	v_sub_f32_e32 v3, v3, v4
	s_delay_alu instid0(VALU_DEP_2) | instskip(SKIP_1) | instid1(VALU_DEP_2)
	v_fmamk_f32 v5, v60, 0x32a5705f, v5
	v_cvt_i32_f32_e32 v4, v4
	v_add_f32_e32 v3, v3, v5
	s_delay_alu instid0(VALU_DEP_1) | instskip(SKIP_2) | instid1(VALU_DEP_1)
	v_exp_f32_e32 v3, v3
	s_waitcnt_depctr 0xfff
	v_ldexp_f32 v3, v3, v4
	v_cndmask_b32_e64 v3, 0, v3, s24
	v_cmp_nlt_f32_e64 s24, 0x42b17218, v60
	s_delay_alu instid0(VALU_DEP_1) | instskip(NEXT) | instid1(VALU_DEP_1)
	v_cndmask_b32_e64 v3, 0x7f800000, v3, s24
	v_fma_f32 v3, -v2, v3, v59
	s_delay_alu instid0(VALU_DEP_1) | instskip(SKIP_1) | instid1(VALU_DEP_2)
	v_bfe_u32 v4, v3, 16, 1
	v_cmp_o_f32_e64 s24, v3, v3
	v_add3_u32 v4, v3, v4, 0x7fff
	s_delay_alu instid0(VALU_DEP_1) | instskip(NEXT) | instid1(VALU_DEP_1)
	v_lshrrev_b32_e32 v4, 16, v4
	v_cndmask_b32_e64 v3, 0x7fc0, v4, s24
	global_store_b16 v[0:1], v3, off offset:384
	s_or_b32 exec_lo, exec_lo, s25
	s_and_saveexec_b32 s24, s23
	s_cbranch_execz .LBB321_73
.LBB321_106:
	v_mul_f32_e32 v3, 0x3fb8aa3b, v58
	v_cmp_ngt_f32_e64 s23, 0xc2ce8ed0, v58
	s_delay_alu instid0(VALU_DEP_2) | instskip(SKIP_1) | instid1(VALU_DEP_2)
	v_rndne_f32_e32 v4, v3
	v_fma_f32 v5, 0x3fb8aa3b, v58, -v3
	v_sub_f32_e32 v3, v3, v4
	s_delay_alu instid0(VALU_DEP_2) | instskip(SKIP_1) | instid1(VALU_DEP_2)
	v_fmamk_f32 v5, v58, 0x32a5705f, v5
	v_cvt_i32_f32_e32 v4, v4
	v_add_f32_e32 v3, v3, v5
	s_delay_alu instid0(VALU_DEP_1) | instskip(SKIP_2) | instid1(VALU_DEP_1)
	v_exp_f32_e32 v3, v3
	s_waitcnt_depctr 0xfff
	v_ldexp_f32 v3, v3, v4
	v_cndmask_b32_e64 v3, 0, v3, s23
	v_cmp_nlt_f32_e64 s23, 0x42b17218, v58
	s_delay_alu instid0(VALU_DEP_1) | instskip(NEXT) | instid1(VALU_DEP_1)
	v_cndmask_b32_e64 v3, 0x7f800000, v3, s23
	v_fma_f32 v3, -v2, v3, v47
	s_delay_alu instid0(VALU_DEP_1) | instskip(SKIP_1) | instid1(VALU_DEP_2)
	v_bfe_u32 v4, v3, 16, 1
	v_cmp_o_f32_e64 s23, v3, v3
	v_add3_u32 v4, v3, v4, 0x7fff
	s_delay_alu instid0(VALU_DEP_1) | instskip(NEXT) | instid1(VALU_DEP_1)
	v_lshrrev_b32_e32 v4, 16, v4
	v_cndmask_b32_e64 v3, 0x7fc0, v4, s23
	global_store_b16 v[0:1], v3, off offset:448
	s_or_b32 exec_lo, exec_lo, s24
	s_and_saveexec_b32 s23, s22
	s_cbranch_execz .LBB321_74
.LBB321_107:
	v_mul_f32_e32 v3, 0x3fb8aa3b, v56
	v_cmp_ngt_f32_e64 s22, 0xc2ce8ed0, v56
	s_delay_alu instid0(VALU_DEP_2) | instskip(SKIP_1) | instid1(VALU_DEP_2)
	v_rndne_f32_e32 v4, v3
	v_fma_f32 v5, 0x3fb8aa3b, v56, -v3
	v_sub_f32_e32 v3, v3, v4
	s_delay_alu instid0(VALU_DEP_2) | instskip(SKIP_1) | instid1(VALU_DEP_2)
	v_fmamk_f32 v5, v56, 0x32a5705f, v5
	v_cvt_i32_f32_e32 v4, v4
	v_add_f32_e32 v3, v3, v5
	s_delay_alu instid0(VALU_DEP_1) | instskip(SKIP_2) | instid1(VALU_DEP_1)
	v_exp_f32_e32 v3, v3
	s_waitcnt_depctr 0xfff
	v_ldexp_f32 v3, v3, v4
	v_cndmask_b32_e64 v3, 0, v3, s22
	v_cmp_nlt_f32_e64 s22, 0x42b17218, v56
	s_delay_alu instid0(VALU_DEP_1) | instskip(NEXT) | instid1(VALU_DEP_1)
	v_cndmask_b32_e64 v3, 0x7f800000, v3, s22
	v_fma_f32 v3, -v2, v3, v54
	s_delay_alu instid0(VALU_DEP_1) | instskip(SKIP_1) | instid1(VALU_DEP_2)
	v_bfe_u32 v4, v3, 16, 1
	v_cmp_o_f32_e64 s22, v3, v3
	v_add3_u32 v4, v3, v4, 0x7fff
	s_delay_alu instid0(VALU_DEP_1) | instskip(NEXT) | instid1(VALU_DEP_1)
	v_lshrrev_b32_e32 v4, 16, v4
	v_cndmask_b32_e64 v3, 0x7fc0, v4, s22
	global_store_b16 v[0:1], v3, off offset:512
	s_or_b32 exec_lo, exec_lo, s23
	s_and_saveexec_b32 s22, s21
	s_cbranch_execz .LBB321_75
.LBB321_108:
	v_mul_f32_e32 v3, 0x3fb8aa3b, v53
	v_cmp_ngt_f32_e64 s21, 0xc2ce8ed0, v53
	s_delay_alu instid0(VALU_DEP_2) | instskip(SKIP_1) | instid1(VALU_DEP_2)
	v_rndne_f32_e32 v4, v3
	v_fma_f32 v5, 0x3fb8aa3b, v53, -v3
	v_sub_f32_e32 v3, v3, v4
	s_delay_alu instid0(VALU_DEP_2) | instskip(SKIP_1) | instid1(VALU_DEP_2)
	v_fmamk_f32 v5, v53, 0x32a5705f, v5
	v_cvt_i32_f32_e32 v4, v4
	v_add_f32_e32 v3, v3, v5
	s_delay_alu instid0(VALU_DEP_1) | instskip(SKIP_2) | instid1(VALU_DEP_1)
	v_exp_f32_e32 v3, v3
	s_waitcnt_depctr 0xfff
	v_ldexp_f32 v3, v3, v4
	v_cndmask_b32_e64 v3, 0, v3, s21
	v_cmp_nlt_f32_e64 s21, 0x42b17218, v53
	s_delay_alu instid0(VALU_DEP_1) | instskip(NEXT) | instid1(VALU_DEP_1)
	v_cndmask_b32_e64 v3, 0x7f800000, v3, s21
	v_fma_f32 v3, -v2, v3, v43
	s_delay_alu instid0(VALU_DEP_1) | instskip(SKIP_1) | instid1(VALU_DEP_2)
	v_bfe_u32 v4, v3, 16, 1
	v_cmp_o_f32_e64 s21, v3, v3
	v_add3_u32 v4, v3, v4, 0x7fff
	s_delay_alu instid0(VALU_DEP_1) | instskip(NEXT) | instid1(VALU_DEP_1)
	v_lshrrev_b32_e32 v4, 16, v4
	v_cndmask_b32_e64 v3, 0x7fc0, v4, s21
	global_store_b16 v[0:1], v3, off offset:576
	s_or_b32 exec_lo, exec_lo, s22
	s_and_saveexec_b32 s21, s20
	s_cbranch_execz .LBB321_76
.LBB321_109:
	v_mul_f32_e32 v3, 0x3fb8aa3b, v52
	v_cmp_ngt_f32_e64 s20, 0xc2ce8ed0, v52
	s_delay_alu instid0(VALU_DEP_2) | instskip(SKIP_1) | instid1(VALU_DEP_2)
	v_rndne_f32_e32 v4, v3
	v_fma_f32 v5, 0x3fb8aa3b, v52, -v3
	v_sub_f32_e32 v3, v3, v4
	s_delay_alu instid0(VALU_DEP_2) | instskip(SKIP_1) | instid1(VALU_DEP_2)
	v_fmamk_f32 v5, v52, 0x32a5705f, v5
	v_cvt_i32_f32_e32 v4, v4
	v_add_f32_e32 v3, v3, v5
	s_delay_alu instid0(VALU_DEP_1) | instskip(SKIP_2) | instid1(VALU_DEP_1)
	v_exp_f32_e32 v3, v3
	s_waitcnt_depctr 0xfff
	v_ldexp_f32 v3, v3, v4
	v_cndmask_b32_e64 v3, 0, v3, s20
	v_cmp_nlt_f32_e64 s20, 0x42b17218, v52
	s_delay_alu instid0(VALU_DEP_1) | instskip(NEXT) | instid1(VALU_DEP_1)
	v_cndmask_b32_e64 v3, 0x7f800000, v3, s20
	v_fma_f32 v3, -v2, v3, v50
	s_delay_alu instid0(VALU_DEP_1) | instskip(SKIP_1) | instid1(VALU_DEP_2)
	v_bfe_u32 v4, v3, 16, 1
	v_cmp_o_f32_e64 s20, v3, v3
	v_add3_u32 v4, v3, v4, 0x7fff
	s_delay_alu instid0(VALU_DEP_1) | instskip(NEXT) | instid1(VALU_DEP_1)
	v_lshrrev_b32_e32 v4, 16, v4
	v_cndmask_b32_e64 v3, 0x7fc0, v4, s20
	global_store_b16 v[0:1], v3, off offset:640
	s_or_b32 exec_lo, exec_lo, s21
	s_and_saveexec_b32 s20, s19
	s_cbranch_execz .LBB321_77
.LBB321_110:
	v_mul_f32_e32 v3, 0x3fb8aa3b, v49
	v_cmp_ngt_f32_e64 s19, 0xc2ce8ed0, v49
	s_delay_alu instid0(VALU_DEP_2) | instskip(SKIP_1) | instid1(VALU_DEP_2)
	v_rndne_f32_e32 v4, v3
	v_fma_f32 v5, 0x3fb8aa3b, v49, -v3
	v_sub_f32_e32 v3, v3, v4
	s_delay_alu instid0(VALU_DEP_2) | instskip(SKIP_1) | instid1(VALU_DEP_2)
	v_fmamk_f32 v5, v49, 0x32a5705f, v5
	v_cvt_i32_f32_e32 v4, v4
	v_add_f32_e32 v3, v3, v5
	s_delay_alu instid0(VALU_DEP_1) | instskip(SKIP_2) | instid1(VALU_DEP_1)
	v_exp_f32_e32 v3, v3
	s_waitcnt_depctr 0xfff
	v_ldexp_f32 v3, v3, v4
	v_cndmask_b32_e64 v3, 0, v3, s19
	v_cmp_nlt_f32_e64 s19, 0x42b17218, v49
	s_delay_alu instid0(VALU_DEP_1) | instskip(NEXT) | instid1(VALU_DEP_1)
	v_cndmask_b32_e64 v3, 0x7f800000, v3, s19
	v_fma_f32 v3, -v2, v3, v39
	s_delay_alu instid0(VALU_DEP_1) | instskip(SKIP_1) | instid1(VALU_DEP_2)
	v_bfe_u32 v4, v3, 16, 1
	v_cmp_o_f32_e64 s19, v3, v3
	v_add3_u32 v4, v3, v4, 0x7fff
	s_delay_alu instid0(VALU_DEP_1) | instskip(NEXT) | instid1(VALU_DEP_1)
	v_lshrrev_b32_e32 v4, 16, v4
	v_cndmask_b32_e64 v3, 0x7fc0, v4, s19
	global_store_b16 v[0:1], v3, off offset:704
	s_or_b32 exec_lo, exec_lo, s20
	s_and_saveexec_b32 s19, s18
	s_cbranch_execz .LBB321_78
.LBB321_111:
	v_mul_f32_e32 v3, 0x3fb8aa3b, v48
	v_cmp_ngt_f32_e64 s18, 0xc2ce8ed0, v48
	s_delay_alu instid0(VALU_DEP_2) | instskip(SKIP_1) | instid1(VALU_DEP_2)
	v_rndne_f32_e32 v4, v3
	v_fma_f32 v5, 0x3fb8aa3b, v48, -v3
	v_sub_f32_e32 v3, v3, v4
	s_delay_alu instid0(VALU_DEP_2) | instskip(SKIP_1) | instid1(VALU_DEP_2)
	v_fmamk_f32 v5, v48, 0x32a5705f, v5
	v_cvt_i32_f32_e32 v4, v4
	v_add_f32_e32 v3, v3, v5
	s_delay_alu instid0(VALU_DEP_1) | instskip(SKIP_2) | instid1(VALU_DEP_1)
	v_exp_f32_e32 v3, v3
	s_waitcnt_depctr 0xfff
	v_ldexp_f32 v3, v3, v4
	v_cndmask_b32_e64 v3, 0, v3, s18
	v_cmp_nlt_f32_e64 s18, 0x42b17218, v48
	s_delay_alu instid0(VALU_DEP_1) | instskip(NEXT) | instid1(VALU_DEP_1)
	v_cndmask_b32_e64 v3, 0x7f800000, v3, s18
	v_fma_f32 v3, -v2, v3, v46
	s_delay_alu instid0(VALU_DEP_1) | instskip(SKIP_1) | instid1(VALU_DEP_2)
	v_bfe_u32 v4, v3, 16, 1
	v_cmp_o_f32_e64 s18, v3, v3
	v_add3_u32 v4, v3, v4, 0x7fff
	s_delay_alu instid0(VALU_DEP_1) | instskip(NEXT) | instid1(VALU_DEP_1)
	v_lshrrev_b32_e32 v4, 16, v4
	v_cndmask_b32_e64 v3, 0x7fc0, v4, s18
	global_store_b16 v[0:1], v3, off offset:768
	s_or_b32 exec_lo, exec_lo, s19
	s_and_saveexec_b32 s18, s17
	s_cbranch_execz .LBB321_79
.LBB321_112:
	v_mul_f32_e32 v3, 0x3fb8aa3b, v45
	v_cmp_ngt_f32_e64 s17, 0xc2ce8ed0, v45
	s_delay_alu instid0(VALU_DEP_2) | instskip(SKIP_1) | instid1(VALU_DEP_2)
	v_rndne_f32_e32 v4, v3
	v_fma_f32 v5, 0x3fb8aa3b, v45, -v3
	v_sub_f32_e32 v3, v3, v4
	s_delay_alu instid0(VALU_DEP_2) | instskip(SKIP_1) | instid1(VALU_DEP_2)
	v_fmamk_f32 v5, v45, 0x32a5705f, v5
	v_cvt_i32_f32_e32 v4, v4
	v_add_f32_e32 v3, v3, v5
	s_delay_alu instid0(VALU_DEP_1) | instskip(SKIP_2) | instid1(VALU_DEP_1)
	v_exp_f32_e32 v3, v3
	s_waitcnt_depctr 0xfff
	v_ldexp_f32 v3, v3, v4
	v_cndmask_b32_e64 v3, 0, v3, s17
	v_cmp_nlt_f32_e64 s17, 0x42b17218, v45
	s_delay_alu instid0(VALU_DEP_1) | instskip(NEXT) | instid1(VALU_DEP_1)
	v_cndmask_b32_e64 v3, 0x7f800000, v3, s17
	v_fma_f32 v3, -v2, v3, v35
	s_delay_alu instid0(VALU_DEP_1) | instskip(SKIP_1) | instid1(VALU_DEP_2)
	v_bfe_u32 v4, v3, 16, 1
	v_cmp_o_f32_e64 s17, v3, v3
	v_add3_u32 v4, v3, v4, 0x7fff
	s_delay_alu instid0(VALU_DEP_1) | instskip(NEXT) | instid1(VALU_DEP_1)
	v_lshrrev_b32_e32 v4, 16, v4
	v_cndmask_b32_e64 v3, 0x7fc0, v4, s17
	global_store_b16 v[0:1], v3, off offset:832
	s_or_b32 exec_lo, exec_lo, s18
	s_and_saveexec_b32 s17, s16
	s_cbranch_execz .LBB321_80
.LBB321_113:
	v_mul_f32_e32 v3, 0x3fb8aa3b, v44
	v_cmp_ngt_f32_e64 s16, 0xc2ce8ed0, v44
	s_delay_alu instid0(VALU_DEP_2) | instskip(SKIP_1) | instid1(VALU_DEP_2)
	v_rndne_f32_e32 v4, v3
	v_fma_f32 v5, 0x3fb8aa3b, v44, -v3
	v_sub_f32_e32 v3, v3, v4
	s_delay_alu instid0(VALU_DEP_2) | instskip(SKIP_1) | instid1(VALU_DEP_2)
	v_fmamk_f32 v5, v44, 0x32a5705f, v5
	v_cvt_i32_f32_e32 v4, v4
	v_add_f32_e32 v3, v3, v5
	s_delay_alu instid0(VALU_DEP_1) | instskip(SKIP_2) | instid1(VALU_DEP_1)
	v_exp_f32_e32 v3, v3
	s_waitcnt_depctr 0xfff
	v_ldexp_f32 v3, v3, v4
	v_cndmask_b32_e64 v3, 0, v3, s16
	v_cmp_nlt_f32_e64 s16, 0x42b17218, v44
	s_delay_alu instid0(VALU_DEP_1) | instskip(NEXT) | instid1(VALU_DEP_1)
	v_cndmask_b32_e64 v3, 0x7f800000, v3, s16
	v_fma_f32 v3, -v2, v3, v42
	s_delay_alu instid0(VALU_DEP_1) | instskip(SKIP_1) | instid1(VALU_DEP_2)
	v_bfe_u32 v4, v3, 16, 1
	v_cmp_o_f32_e64 s16, v3, v3
	v_add3_u32 v4, v3, v4, 0x7fff
	s_delay_alu instid0(VALU_DEP_1) | instskip(NEXT) | instid1(VALU_DEP_1)
	v_lshrrev_b32_e32 v4, 16, v4
	v_cndmask_b32_e64 v3, 0x7fc0, v4, s16
	global_store_b16 v[0:1], v3, off offset:896
	s_or_b32 exec_lo, exec_lo, s17
	s_and_saveexec_b32 s16, s15
	s_cbranch_execz .LBB321_81
.LBB321_114:
	v_mul_f32_e32 v3, 0x3fb8aa3b, v41
	v_cmp_ngt_f32_e64 s15, 0xc2ce8ed0, v41
	s_delay_alu instid0(VALU_DEP_2) | instskip(SKIP_1) | instid1(VALU_DEP_2)
	v_rndne_f32_e32 v4, v3
	v_fma_f32 v5, 0x3fb8aa3b, v41, -v3
	v_sub_f32_e32 v3, v3, v4
	s_delay_alu instid0(VALU_DEP_2) | instskip(SKIP_1) | instid1(VALU_DEP_2)
	v_fmamk_f32 v5, v41, 0x32a5705f, v5
	v_cvt_i32_f32_e32 v4, v4
	v_add_f32_e32 v3, v3, v5
	s_delay_alu instid0(VALU_DEP_1) | instskip(SKIP_2) | instid1(VALU_DEP_1)
	v_exp_f32_e32 v3, v3
	s_waitcnt_depctr 0xfff
	v_ldexp_f32 v3, v3, v4
	v_cndmask_b32_e64 v3, 0, v3, s15
	v_cmp_nlt_f32_e64 s15, 0x42b17218, v41
	s_delay_alu instid0(VALU_DEP_1) | instskip(NEXT) | instid1(VALU_DEP_1)
	v_cndmask_b32_e64 v3, 0x7f800000, v3, s15
	v_fma_f32 v3, -v2, v3, v31
	s_delay_alu instid0(VALU_DEP_1) | instskip(SKIP_1) | instid1(VALU_DEP_2)
	v_bfe_u32 v4, v3, 16, 1
	v_cmp_o_f32_e64 s15, v3, v3
	v_add3_u32 v4, v3, v4, 0x7fff
	s_delay_alu instid0(VALU_DEP_1) | instskip(NEXT) | instid1(VALU_DEP_1)
	v_lshrrev_b32_e32 v4, 16, v4
	v_cndmask_b32_e64 v3, 0x7fc0, v4, s15
	global_store_b16 v[0:1], v3, off offset:960
	s_or_b32 exec_lo, exec_lo, s16
	s_and_saveexec_b32 s15, s14
	s_cbranch_execz .LBB321_82
.LBB321_115:
	v_mul_f32_e32 v3, 0x3fb8aa3b, v40
	v_cmp_ngt_f32_e64 s14, 0xc2ce8ed0, v40
	s_delay_alu instid0(VALU_DEP_2) | instskip(SKIP_1) | instid1(VALU_DEP_2)
	v_rndne_f32_e32 v4, v3
	v_fma_f32 v5, 0x3fb8aa3b, v40, -v3
	v_sub_f32_e32 v3, v3, v4
	s_delay_alu instid0(VALU_DEP_2) | instskip(SKIP_1) | instid1(VALU_DEP_2)
	v_fmamk_f32 v5, v40, 0x32a5705f, v5
	v_cvt_i32_f32_e32 v4, v4
	v_add_f32_e32 v3, v3, v5
	s_delay_alu instid0(VALU_DEP_1) | instskip(SKIP_2) | instid1(VALU_DEP_1)
	v_exp_f32_e32 v3, v3
	s_waitcnt_depctr 0xfff
	v_ldexp_f32 v3, v3, v4
	v_cndmask_b32_e64 v3, 0, v3, s14
	v_cmp_nlt_f32_e64 s14, 0x42b17218, v40
	s_delay_alu instid0(VALU_DEP_1) | instskip(NEXT) | instid1(VALU_DEP_1)
	v_cndmask_b32_e64 v3, 0x7f800000, v3, s14
	v_fma_f32 v3, -v2, v3, v38
	s_delay_alu instid0(VALU_DEP_1) | instskip(SKIP_1) | instid1(VALU_DEP_2)
	v_bfe_u32 v4, v3, 16, 1
	v_cmp_o_f32_e64 s14, v3, v3
	v_add3_u32 v4, v3, v4, 0x7fff
	s_delay_alu instid0(VALU_DEP_1) | instskip(NEXT) | instid1(VALU_DEP_1)
	v_lshrrev_b32_e32 v4, 16, v4
	v_cndmask_b32_e64 v3, 0x7fc0, v4, s14
	global_store_b16 v[0:1], v3, off offset:1024
	s_or_b32 exec_lo, exec_lo, s15
	s_and_saveexec_b32 s14, s13
	s_cbranch_execz .LBB321_83
.LBB321_116:
	v_mul_f32_e32 v3, 0x3fb8aa3b, v37
	v_cmp_ngt_f32_e64 s13, 0xc2ce8ed0, v37
	s_delay_alu instid0(VALU_DEP_2) | instskip(SKIP_1) | instid1(VALU_DEP_2)
	v_rndne_f32_e32 v4, v3
	v_fma_f32 v5, 0x3fb8aa3b, v37, -v3
	v_sub_f32_e32 v3, v3, v4
	s_delay_alu instid0(VALU_DEP_2) | instskip(SKIP_1) | instid1(VALU_DEP_2)
	v_fmamk_f32 v5, v37, 0x32a5705f, v5
	v_cvt_i32_f32_e32 v4, v4
	v_add_f32_e32 v3, v3, v5
	s_delay_alu instid0(VALU_DEP_1) | instskip(SKIP_2) | instid1(VALU_DEP_1)
	v_exp_f32_e32 v3, v3
	s_waitcnt_depctr 0xfff
	v_ldexp_f32 v3, v3, v4
	v_cndmask_b32_e64 v3, 0, v3, s13
	v_cmp_nlt_f32_e64 s13, 0x42b17218, v37
	s_delay_alu instid0(VALU_DEP_1) | instskip(NEXT) | instid1(VALU_DEP_1)
	v_cndmask_b32_e64 v3, 0x7f800000, v3, s13
	v_fma_f32 v3, -v2, v3, v27
	s_delay_alu instid0(VALU_DEP_1) | instskip(SKIP_1) | instid1(VALU_DEP_2)
	v_bfe_u32 v4, v3, 16, 1
	v_cmp_o_f32_e64 s13, v3, v3
	v_add3_u32 v4, v3, v4, 0x7fff
	s_delay_alu instid0(VALU_DEP_1) | instskip(NEXT) | instid1(VALU_DEP_1)
	v_lshrrev_b32_e32 v4, 16, v4
	v_cndmask_b32_e64 v3, 0x7fc0, v4, s13
	global_store_b16 v[0:1], v3, off offset:1088
	s_or_b32 exec_lo, exec_lo, s14
	s_and_saveexec_b32 s13, s12
	s_cbranch_execz .LBB321_84
.LBB321_117:
	v_mul_f32_e32 v3, 0x3fb8aa3b, v36
	v_cmp_ngt_f32_e64 s12, 0xc2ce8ed0, v36
	s_delay_alu instid0(VALU_DEP_2) | instskip(SKIP_1) | instid1(VALU_DEP_2)
	v_rndne_f32_e32 v4, v3
	v_fma_f32 v5, 0x3fb8aa3b, v36, -v3
	v_sub_f32_e32 v3, v3, v4
	s_delay_alu instid0(VALU_DEP_2) | instskip(SKIP_1) | instid1(VALU_DEP_2)
	v_fmamk_f32 v5, v36, 0x32a5705f, v5
	v_cvt_i32_f32_e32 v4, v4
	v_add_f32_e32 v3, v3, v5
	s_delay_alu instid0(VALU_DEP_1) | instskip(SKIP_2) | instid1(VALU_DEP_1)
	v_exp_f32_e32 v3, v3
	s_waitcnt_depctr 0xfff
	v_ldexp_f32 v3, v3, v4
	v_cndmask_b32_e64 v3, 0, v3, s12
	v_cmp_nlt_f32_e64 s12, 0x42b17218, v36
	s_delay_alu instid0(VALU_DEP_1) | instskip(NEXT) | instid1(VALU_DEP_1)
	v_cndmask_b32_e64 v3, 0x7f800000, v3, s12
	v_fma_f32 v3, -v2, v3, v34
	s_delay_alu instid0(VALU_DEP_1) | instskip(SKIP_1) | instid1(VALU_DEP_2)
	v_bfe_u32 v4, v3, 16, 1
	v_cmp_o_f32_e64 s12, v3, v3
	v_add3_u32 v4, v3, v4, 0x7fff
	s_delay_alu instid0(VALU_DEP_1) | instskip(NEXT) | instid1(VALU_DEP_1)
	v_lshrrev_b32_e32 v4, 16, v4
	v_cndmask_b32_e64 v3, 0x7fc0, v4, s12
	global_store_b16 v[0:1], v3, off offset:1152
	s_or_b32 exec_lo, exec_lo, s13
	s_and_saveexec_b32 s12, s11
	s_cbranch_execz .LBB321_85
.LBB321_118:
	v_mul_f32_e32 v3, 0x3fb8aa3b, v33
	v_cmp_ngt_f32_e64 s11, 0xc2ce8ed0, v33
	s_delay_alu instid0(VALU_DEP_2) | instskip(SKIP_1) | instid1(VALU_DEP_2)
	v_rndne_f32_e32 v4, v3
	v_fma_f32 v5, 0x3fb8aa3b, v33, -v3
	v_sub_f32_e32 v3, v3, v4
	s_delay_alu instid0(VALU_DEP_2) | instskip(SKIP_1) | instid1(VALU_DEP_2)
	v_fmamk_f32 v5, v33, 0x32a5705f, v5
	v_cvt_i32_f32_e32 v4, v4
	v_add_f32_e32 v3, v3, v5
	s_delay_alu instid0(VALU_DEP_1) | instskip(SKIP_2) | instid1(VALU_DEP_1)
	v_exp_f32_e32 v3, v3
	s_waitcnt_depctr 0xfff
	v_ldexp_f32 v3, v3, v4
	v_cndmask_b32_e64 v3, 0, v3, s11
	v_cmp_nlt_f32_e64 s11, 0x42b17218, v33
	s_delay_alu instid0(VALU_DEP_1) | instskip(NEXT) | instid1(VALU_DEP_1)
	v_cndmask_b32_e64 v3, 0x7f800000, v3, s11
	v_fma_f32 v3, -v2, v3, v23
	s_delay_alu instid0(VALU_DEP_1) | instskip(SKIP_1) | instid1(VALU_DEP_2)
	v_bfe_u32 v4, v3, 16, 1
	v_cmp_o_f32_e64 s11, v3, v3
	v_add3_u32 v4, v3, v4, 0x7fff
	s_delay_alu instid0(VALU_DEP_1) | instskip(NEXT) | instid1(VALU_DEP_1)
	v_lshrrev_b32_e32 v4, 16, v4
	v_cndmask_b32_e64 v3, 0x7fc0, v4, s11
	global_store_b16 v[0:1], v3, off offset:1216
	s_or_b32 exec_lo, exec_lo, s12
	s_and_saveexec_b32 s11, s10
	s_cbranch_execz .LBB321_86
.LBB321_119:
	v_mul_f32_e32 v3, 0x3fb8aa3b, v32
	v_cmp_ngt_f32_e64 s10, 0xc2ce8ed0, v32
	s_delay_alu instid0(VALU_DEP_2) | instskip(SKIP_1) | instid1(VALU_DEP_2)
	v_rndne_f32_e32 v4, v3
	v_fma_f32 v5, 0x3fb8aa3b, v32, -v3
	v_sub_f32_e32 v3, v3, v4
	s_delay_alu instid0(VALU_DEP_2) | instskip(SKIP_1) | instid1(VALU_DEP_2)
	v_fmamk_f32 v5, v32, 0x32a5705f, v5
	v_cvt_i32_f32_e32 v4, v4
	v_add_f32_e32 v3, v3, v5
	s_delay_alu instid0(VALU_DEP_1) | instskip(SKIP_2) | instid1(VALU_DEP_1)
	v_exp_f32_e32 v3, v3
	s_waitcnt_depctr 0xfff
	v_ldexp_f32 v3, v3, v4
	v_cndmask_b32_e64 v3, 0, v3, s10
	v_cmp_nlt_f32_e64 s10, 0x42b17218, v32
	s_delay_alu instid0(VALU_DEP_1) | instskip(NEXT) | instid1(VALU_DEP_1)
	v_cndmask_b32_e64 v3, 0x7f800000, v3, s10
	v_fma_f32 v3, -v2, v3, v30
	s_delay_alu instid0(VALU_DEP_1) | instskip(SKIP_1) | instid1(VALU_DEP_2)
	v_bfe_u32 v4, v3, 16, 1
	v_cmp_o_f32_e64 s10, v3, v3
	v_add3_u32 v4, v3, v4, 0x7fff
	s_delay_alu instid0(VALU_DEP_1) | instskip(NEXT) | instid1(VALU_DEP_1)
	v_lshrrev_b32_e32 v4, 16, v4
	v_cndmask_b32_e64 v3, 0x7fc0, v4, s10
	global_store_b16 v[0:1], v3, off offset:1280
	s_or_b32 exec_lo, exec_lo, s11
	s_and_saveexec_b32 s10, s9
	s_cbranch_execz .LBB321_87
.LBB321_120:
	v_mul_f32_e32 v3, 0x3fb8aa3b, v29
	v_cmp_ngt_f32_e64 s9, 0xc2ce8ed0, v29
	s_delay_alu instid0(VALU_DEP_2) | instskip(SKIP_1) | instid1(VALU_DEP_2)
	v_rndne_f32_e32 v4, v3
	v_fma_f32 v5, 0x3fb8aa3b, v29, -v3
	v_sub_f32_e32 v3, v3, v4
	s_delay_alu instid0(VALU_DEP_2) | instskip(SKIP_1) | instid1(VALU_DEP_2)
	v_fmamk_f32 v5, v29, 0x32a5705f, v5
	v_cvt_i32_f32_e32 v4, v4
	v_add_f32_e32 v3, v3, v5
	s_delay_alu instid0(VALU_DEP_1) | instskip(SKIP_2) | instid1(VALU_DEP_1)
	v_exp_f32_e32 v3, v3
	s_waitcnt_depctr 0xfff
	v_ldexp_f32 v3, v3, v4
	v_cndmask_b32_e64 v3, 0, v3, s9
	v_cmp_nlt_f32_e64 s9, 0x42b17218, v29
	s_delay_alu instid0(VALU_DEP_1) | instskip(NEXT) | instid1(VALU_DEP_1)
	v_cndmask_b32_e64 v3, 0x7f800000, v3, s9
	v_fma_f32 v3, -v2, v3, v19
	s_delay_alu instid0(VALU_DEP_1) | instskip(SKIP_1) | instid1(VALU_DEP_2)
	v_bfe_u32 v4, v3, 16, 1
	v_cmp_o_f32_e64 s9, v3, v3
	v_add3_u32 v4, v3, v4, 0x7fff
	s_delay_alu instid0(VALU_DEP_1) | instskip(NEXT) | instid1(VALU_DEP_1)
	v_lshrrev_b32_e32 v4, 16, v4
	v_cndmask_b32_e64 v3, 0x7fc0, v4, s9
	global_store_b16 v[0:1], v3, off offset:1344
	s_or_b32 exec_lo, exec_lo, s10
	s_and_saveexec_b32 s9, s8
	s_cbranch_execz .LBB321_88
.LBB321_121:
	v_mul_f32_e32 v3, 0x3fb8aa3b, v28
	v_cmp_ngt_f32_e64 s8, 0xc2ce8ed0, v28
	s_delay_alu instid0(VALU_DEP_2) | instskip(SKIP_1) | instid1(VALU_DEP_2)
	v_rndne_f32_e32 v4, v3
	v_fma_f32 v5, 0x3fb8aa3b, v28, -v3
	v_sub_f32_e32 v3, v3, v4
	s_delay_alu instid0(VALU_DEP_2) | instskip(SKIP_1) | instid1(VALU_DEP_2)
	v_fmamk_f32 v5, v28, 0x32a5705f, v5
	v_cvt_i32_f32_e32 v4, v4
	v_add_f32_e32 v3, v3, v5
	s_delay_alu instid0(VALU_DEP_1) | instskip(SKIP_2) | instid1(VALU_DEP_1)
	v_exp_f32_e32 v3, v3
	s_waitcnt_depctr 0xfff
	v_ldexp_f32 v3, v3, v4
	v_cndmask_b32_e64 v3, 0, v3, s8
	v_cmp_nlt_f32_e64 s8, 0x42b17218, v28
	s_delay_alu instid0(VALU_DEP_1) | instskip(NEXT) | instid1(VALU_DEP_1)
	v_cndmask_b32_e64 v3, 0x7f800000, v3, s8
	v_fma_f32 v3, -v2, v3, v26
	s_delay_alu instid0(VALU_DEP_1) | instskip(SKIP_1) | instid1(VALU_DEP_2)
	v_bfe_u32 v4, v3, 16, 1
	v_cmp_o_f32_e64 s8, v3, v3
	v_add3_u32 v4, v3, v4, 0x7fff
	s_delay_alu instid0(VALU_DEP_1) | instskip(NEXT) | instid1(VALU_DEP_1)
	v_lshrrev_b32_e32 v4, 16, v4
	v_cndmask_b32_e64 v3, 0x7fc0, v4, s8
	global_store_b16 v[0:1], v3, off offset:1408
	s_or_b32 exec_lo, exec_lo, s9
	s_and_saveexec_b32 s8, s7
	s_cbranch_execz .LBB321_89
.LBB321_122:
	v_mul_f32_e32 v3, 0x3fb8aa3b, v25
	v_cmp_ngt_f32_e64 s7, 0xc2ce8ed0, v25
	s_delay_alu instid0(VALU_DEP_2) | instskip(SKIP_1) | instid1(VALU_DEP_2)
	v_rndne_f32_e32 v4, v3
	v_fma_f32 v5, 0x3fb8aa3b, v25, -v3
	v_sub_f32_e32 v3, v3, v4
	s_delay_alu instid0(VALU_DEP_2) | instskip(SKIP_1) | instid1(VALU_DEP_2)
	v_fmamk_f32 v5, v25, 0x32a5705f, v5
	v_cvt_i32_f32_e32 v4, v4
	v_add_f32_e32 v3, v3, v5
	s_delay_alu instid0(VALU_DEP_1) | instskip(SKIP_2) | instid1(VALU_DEP_1)
	v_exp_f32_e32 v3, v3
	s_waitcnt_depctr 0xfff
	v_ldexp_f32 v3, v3, v4
	v_cndmask_b32_e64 v3, 0, v3, s7
	v_cmp_nlt_f32_e64 s7, 0x42b17218, v25
	s_delay_alu instid0(VALU_DEP_1) | instskip(NEXT) | instid1(VALU_DEP_1)
	v_cndmask_b32_e64 v3, 0x7f800000, v3, s7
	v_fma_f32 v3, -v2, v3, v15
	s_delay_alu instid0(VALU_DEP_1) | instskip(SKIP_1) | instid1(VALU_DEP_2)
	v_bfe_u32 v4, v3, 16, 1
	v_cmp_o_f32_e64 s7, v3, v3
	v_add3_u32 v4, v3, v4, 0x7fff
	s_delay_alu instid0(VALU_DEP_1) | instskip(NEXT) | instid1(VALU_DEP_1)
	v_lshrrev_b32_e32 v4, 16, v4
	v_cndmask_b32_e64 v3, 0x7fc0, v4, s7
	global_store_b16 v[0:1], v3, off offset:1472
	s_or_b32 exec_lo, exec_lo, s8
	s_and_saveexec_b32 s7, s6
	s_cbranch_execz .LBB321_90
.LBB321_123:
	v_mul_f32_e32 v3, 0x3fb8aa3b, v24
	v_cmp_ngt_f32_e64 s6, 0xc2ce8ed0, v24
	s_delay_alu instid0(VALU_DEP_2) | instskip(SKIP_1) | instid1(VALU_DEP_2)
	v_rndne_f32_e32 v4, v3
	v_fma_f32 v5, 0x3fb8aa3b, v24, -v3
	v_sub_f32_e32 v3, v3, v4
	s_delay_alu instid0(VALU_DEP_2) | instskip(SKIP_1) | instid1(VALU_DEP_2)
	v_fmamk_f32 v5, v24, 0x32a5705f, v5
	v_cvt_i32_f32_e32 v4, v4
	v_add_f32_e32 v3, v3, v5
	s_delay_alu instid0(VALU_DEP_1) | instskip(SKIP_2) | instid1(VALU_DEP_1)
	v_exp_f32_e32 v3, v3
	s_waitcnt_depctr 0xfff
	v_ldexp_f32 v3, v3, v4
	v_cndmask_b32_e64 v3, 0, v3, s6
	v_cmp_nlt_f32_e64 s6, 0x42b17218, v24
	s_delay_alu instid0(VALU_DEP_1) | instskip(NEXT) | instid1(VALU_DEP_1)
	v_cndmask_b32_e64 v3, 0x7f800000, v3, s6
	v_fma_f32 v3, -v2, v3, v22
	s_delay_alu instid0(VALU_DEP_1) | instskip(SKIP_1) | instid1(VALU_DEP_2)
	v_bfe_u32 v4, v3, 16, 1
	v_cmp_o_f32_e64 s6, v3, v3
	v_add3_u32 v4, v3, v4, 0x7fff
	s_delay_alu instid0(VALU_DEP_1) | instskip(NEXT) | instid1(VALU_DEP_1)
	v_lshrrev_b32_e32 v4, 16, v4
	v_cndmask_b32_e64 v3, 0x7fc0, v4, s6
	global_store_b16 v[0:1], v3, off offset:1536
	s_or_b32 exec_lo, exec_lo, s7
	s_and_saveexec_b32 s6, s5
	s_cbranch_execz .LBB321_91
.LBB321_124:
	v_mul_f32_e32 v3, 0x3fb8aa3b, v21
	v_cmp_ngt_f32_e64 s5, 0xc2ce8ed0, v21
	s_delay_alu instid0(VALU_DEP_2) | instskip(SKIP_1) | instid1(VALU_DEP_2)
	v_rndne_f32_e32 v4, v3
	v_fma_f32 v5, 0x3fb8aa3b, v21, -v3
	v_sub_f32_e32 v3, v3, v4
	s_delay_alu instid0(VALU_DEP_2) | instskip(SKIP_1) | instid1(VALU_DEP_2)
	v_fmamk_f32 v5, v21, 0x32a5705f, v5
	v_cvt_i32_f32_e32 v4, v4
	v_add_f32_e32 v3, v3, v5
	s_delay_alu instid0(VALU_DEP_1) | instskip(SKIP_2) | instid1(VALU_DEP_1)
	v_exp_f32_e32 v3, v3
	s_waitcnt_depctr 0xfff
	v_ldexp_f32 v3, v3, v4
	v_cndmask_b32_e64 v3, 0, v3, s5
	v_cmp_nlt_f32_e64 s5, 0x42b17218, v21
	s_delay_alu instid0(VALU_DEP_1) | instskip(NEXT) | instid1(VALU_DEP_1)
	v_cndmask_b32_e64 v3, 0x7f800000, v3, s5
	v_fma_f32 v3, -v2, v3, v11
	s_delay_alu instid0(VALU_DEP_1) | instskip(SKIP_1) | instid1(VALU_DEP_2)
	v_bfe_u32 v4, v3, 16, 1
	v_cmp_o_f32_e64 s5, v3, v3
	v_add3_u32 v4, v3, v4, 0x7fff
	s_delay_alu instid0(VALU_DEP_1) | instskip(NEXT) | instid1(VALU_DEP_1)
	v_lshrrev_b32_e32 v4, 16, v4
	v_cndmask_b32_e64 v3, 0x7fc0, v4, s5
	global_store_b16 v[0:1], v3, off offset:1600
	s_or_b32 exec_lo, exec_lo, s6
	s_and_saveexec_b32 s5, s4
	s_cbranch_execz .LBB321_92
.LBB321_125:
	v_mul_f32_e32 v3, 0x3fb8aa3b, v20
	v_cmp_ngt_f32_e64 s4, 0xc2ce8ed0, v20
	s_delay_alu instid0(VALU_DEP_2) | instskip(SKIP_1) | instid1(VALU_DEP_2)
	v_rndne_f32_e32 v4, v3
	v_fma_f32 v5, 0x3fb8aa3b, v20, -v3
	v_sub_f32_e32 v3, v3, v4
	s_delay_alu instid0(VALU_DEP_2) | instskip(SKIP_1) | instid1(VALU_DEP_2)
	v_fmamk_f32 v5, v20, 0x32a5705f, v5
	v_cvt_i32_f32_e32 v4, v4
	v_add_f32_e32 v3, v3, v5
	s_delay_alu instid0(VALU_DEP_1) | instskip(SKIP_2) | instid1(VALU_DEP_1)
	v_exp_f32_e32 v3, v3
	s_waitcnt_depctr 0xfff
	v_ldexp_f32 v3, v3, v4
	v_cndmask_b32_e64 v3, 0, v3, s4
	v_cmp_nlt_f32_e64 s4, 0x42b17218, v20
	s_delay_alu instid0(VALU_DEP_1) | instskip(NEXT) | instid1(VALU_DEP_1)
	v_cndmask_b32_e64 v3, 0x7f800000, v3, s4
	v_fma_f32 v3, -v2, v3, v18
	s_delay_alu instid0(VALU_DEP_1) | instskip(SKIP_1) | instid1(VALU_DEP_2)
	v_bfe_u32 v4, v3, 16, 1
	v_cmp_o_f32_e64 s4, v3, v3
	v_add3_u32 v4, v3, v4, 0x7fff
	s_delay_alu instid0(VALU_DEP_1) | instskip(NEXT) | instid1(VALU_DEP_1)
	v_lshrrev_b32_e32 v4, 16, v4
	v_cndmask_b32_e64 v3, 0x7fc0, v4, s4
	global_store_b16 v[0:1], v3, off offset:1664
	s_or_b32 exec_lo, exec_lo, s5
	s_and_saveexec_b32 s4, s3
	s_cbranch_execz .LBB321_93
.LBB321_126:
	v_mul_f32_e32 v3, 0x3fb8aa3b, v17
	v_cmp_ngt_f32_e64 s3, 0xc2ce8ed0, v17
	s_delay_alu instid0(VALU_DEP_2) | instskip(SKIP_1) | instid1(VALU_DEP_2)
	v_rndne_f32_e32 v4, v3
	v_fma_f32 v5, 0x3fb8aa3b, v17, -v3
	v_sub_f32_e32 v3, v3, v4
	s_delay_alu instid0(VALU_DEP_2) | instskip(SKIP_1) | instid1(VALU_DEP_2)
	v_fmamk_f32 v5, v17, 0x32a5705f, v5
	v_cvt_i32_f32_e32 v4, v4
	v_add_f32_e32 v3, v3, v5
	s_delay_alu instid0(VALU_DEP_1) | instskip(SKIP_2) | instid1(VALU_DEP_1)
	v_exp_f32_e32 v3, v3
	s_waitcnt_depctr 0xfff
	v_ldexp_f32 v3, v3, v4
	v_cndmask_b32_e64 v3, 0, v3, s3
	v_cmp_nlt_f32_e64 s3, 0x42b17218, v17
	s_delay_alu instid0(VALU_DEP_1) | instskip(NEXT) | instid1(VALU_DEP_1)
	v_cndmask_b32_e64 v3, 0x7f800000, v3, s3
	v_fma_f32 v3, -v2, v3, v8
	s_delay_alu instid0(VALU_DEP_1) | instskip(SKIP_1) | instid1(VALU_DEP_2)
	v_bfe_u32 v4, v3, 16, 1
	v_cmp_o_f32_e64 s3, v3, v3
	v_add3_u32 v4, v3, v4, 0x7fff
	s_delay_alu instid0(VALU_DEP_1) | instskip(NEXT) | instid1(VALU_DEP_1)
	v_lshrrev_b32_e32 v4, 16, v4
	v_cndmask_b32_e64 v3, 0x7fc0, v4, s3
	global_store_b16 v[0:1], v3, off offset:1728
	s_or_b32 exec_lo, exec_lo, s4
	s_and_saveexec_b32 s3, s2
	s_cbranch_execz .LBB321_94
.LBB321_127:
	v_mul_f32_e32 v3, 0x3fb8aa3b, v16
	v_cmp_ngt_f32_e64 s2, 0xc2ce8ed0, v16
	s_delay_alu instid0(VALU_DEP_2) | instskip(SKIP_1) | instid1(VALU_DEP_2)
	v_rndne_f32_e32 v4, v3
	v_fma_f32 v5, 0x3fb8aa3b, v16, -v3
	v_sub_f32_e32 v3, v3, v4
	s_delay_alu instid0(VALU_DEP_2) | instskip(SKIP_1) | instid1(VALU_DEP_2)
	v_fmamk_f32 v5, v16, 0x32a5705f, v5
	v_cvt_i32_f32_e32 v4, v4
	v_add_f32_e32 v3, v3, v5
	s_delay_alu instid0(VALU_DEP_1) | instskip(SKIP_2) | instid1(VALU_DEP_1)
	v_exp_f32_e32 v3, v3
	s_waitcnt_depctr 0xfff
	v_ldexp_f32 v3, v3, v4
	v_cndmask_b32_e64 v3, 0, v3, s2
	v_cmp_nlt_f32_e64 s2, 0x42b17218, v16
	s_delay_alu instid0(VALU_DEP_1) | instskip(NEXT) | instid1(VALU_DEP_1)
	v_cndmask_b32_e64 v3, 0x7f800000, v3, s2
	v_fma_f32 v3, -v2, v3, v14
	s_delay_alu instid0(VALU_DEP_1) | instskip(SKIP_1) | instid1(VALU_DEP_2)
	v_bfe_u32 v4, v3, 16, 1
	v_cmp_o_f32_e64 s2, v3, v3
	v_add3_u32 v4, v3, v4, 0x7fff
	s_delay_alu instid0(VALU_DEP_1) | instskip(NEXT) | instid1(VALU_DEP_1)
	v_lshrrev_b32_e32 v4, 16, v4
	v_cndmask_b32_e64 v3, 0x7fc0, v4, s2
	global_store_b16 v[0:1], v3, off offset:1792
	s_or_b32 exec_lo, exec_lo, s3
	s_and_saveexec_b32 s2, s1
	s_cbranch_execz .LBB321_95
.LBB321_128:
	v_mul_f32_e32 v3, 0x3fb8aa3b, v13
	v_cmp_ngt_f32_e64 s1, 0xc2ce8ed0, v13
	s_delay_alu instid0(VALU_DEP_2) | instskip(SKIP_1) | instid1(VALU_DEP_2)
	v_rndne_f32_e32 v4, v3
	v_fma_f32 v5, 0x3fb8aa3b, v13, -v3
	v_sub_f32_e32 v3, v3, v4
	s_delay_alu instid0(VALU_DEP_2) | instskip(SKIP_1) | instid1(VALU_DEP_2)
	v_fmamk_f32 v5, v13, 0x32a5705f, v5
	v_cvt_i32_f32_e32 v4, v4
	v_add_f32_e32 v3, v3, v5
	s_delay_alu instid0(VALU_DEP_1) | instskip(SKIP_2) | instid1(VALU_DEP_1)
	v_exp_f32_e32 v3, v3
	s_waitcnt_depctr 0xfff
	v_ldexp_f32 v3, v3, v4
	v_cndmask_b32_e64 v3, 0, v3, s1
	v_cmp_nlt_f32_e64 s1, 0x42b17218, v13
	s_delay_alu instid0(VALU_DEP_1) | instskip(NEXT) | instid1(VALU_DEP_1)
	v_cndmask_b32_e64 v3, 0x7f800000, v3, s1
	v_fma_f32 v3, -v2, v3, v7
	s_delay_alu instid0(VALU_DEP_1) | instskip(SKIP_1) | instid1(VALU_DEP_2)
	v_bfe_u32 v4, v3, 16, 1
	v_cmp_o_f32_e64 s1, v3, v3
	v_add3_u32 v4, v3, v4, 0x7fff
	s_delay_alu instid0(VALU_DEP_1) | instskip(NEXT) | instid1(VALU_DEP_1)
	v_lshrrev_b32_e32 v4, 16, v4
	v_cndmask_b32_e64 v3, 0x7fc0, v4, s1
	global_store_b16 v[0:1], v3, off offset:1856
	s_or_b32 exec_lo, exec_lo, s2
	s_and_saveexec_b32 s1, s0
	s_cbranch_execz .LBB321_96
.LBB321_129:
	v_mul_f32_e32 v3, 0x3fb8aa3b, v12
	v_cmp_ngt_f32_e64 s0, 0xc2ce8ed0, v12
	s_delay_alu instid0(VALU_DEP_2) | instskip(SKIP_1) | instid1(VALU_DEP_2)
	v_rndne_f32_e32 v4, v3
	v_fma_f32 v5, 0x3fb8aa3b, v12, -v3
	v_sub_f32_e32 v3, v3, v4
	s_delay_alu instid0(VALU_DEP_2) | instskip(SKIP_1) | instid1(VALU_DEP_2)
	v_fmamk_f32 v5, v12, 0x32a5705f, v5
	v_cvt_i32_f32_e32 v4, v4
	v_add_f32_e32 v3, v3, v5
	s_delay_alu instid0(VALU_DEP_1) | instskip(SKIP_2) | instid1(VALU_DEP_1)
	v_exp_f32_e32 v3, v3
	s_waitcnt_depctr 0xfff
	v_ldexp_f32 v3, v3, v4
	v_cndmask_b32_e64 v3, 0, v3, s0
	v_cmp_nlt_f32_e64 s0, 0x42b17218, v12
	s_delay_alu instid0(VALU_DEP_1) | instskip(NEXT) | instid1(VALU_DEP_1)
	v_cndmask_b32_e64 v3, 0x7f800000, v3, s0
	v_fma_f32 v3, -v2, v3, v10
	s_delay_alu instid0(VALU_DEP_1) | instskip(SKIP_1) | instid1(VALU_DEP_2)
	v_bfe_u32 v4, v3, 16, 1
	v_cmp_o_f32_e64 s0, v3, v3
	v_add3_u32 v4, v3, v4, 0x7fff
	s_delay_alu instid0(VALU_DEP_1) | instskip(NEXT) | instid1(VALU_DEP_1)
	v_lshrrev_b32_e32 v4, 16, v4
	v_cndmask_b32_e64 v3, 0x7fc0, v4, s0
	global_store_b16 v[0:1], v3, off offset:1920
	s_or_b32 exec_lo, exec_lo, s1
	s_delay_alu instid0(SALU_CYCLE_1)
	s_and_b32 exec_lo, exec_lo, vcc_lo
	s_cbranch_execnz .LBB321_97
	s_branch .LBB321_98
	.section	.rodata,"a",@progbits
	.p2align	6, 0x0
	.amdhsa_kernel _ZN12_GLOBAL__N_121softmax_warp_backwardIN3c108BFloat16ES2_fLi10ELb1ELb0ELi32EEEvPT0_PKT_S7_iiiPKb
		.amdhsa_group_segment_fixed_size 0
		.amdhsa_private_segment_fixed_size 0
		.amdhsa_kernarg_size 304
		.amdhsa_user_sgpr_count 15
		.amdhsa_user_sgpr_dispatch_ptr 0
		.amdhsa_user_sgpr_queue_ptr 0
		.amdhsa_user_sgpr_kernarg_segment_ptr 1
		.amdhsa_user_sgpr_dispatch_id 0
		.amdhsa_user_sgpr_private_segment_size 0
		.amdhsa_wavefront_size32 1
		.amdhsa_uses_dynamic_stack 0
		.amdhsa_enable_private_segment 0
		.amdhsa_system_sgpr_workgroup_id_x 1
		.amdhsa_system_sgpr_workgroup_id_y 0
		.amdhsa_system_sgpr_workgroup_id_z 0
		.amdhsa_system_sgpr_workgroup_info 0
		.amdhsa_system_vgpr_workitem_id 1
		.amdhsa_next_free_vgpr 71
		.amdhsa_next_free_sgpr 44
		.amdhsa_reserve_vcc 1
		.amdhsa_float_round_mode_32 0
		.amdhsa_float_round_mode_16_64 0
		.amdhsa_float_denorm_mode_32 3
		.amdhsa_float_denorm_mode_16_64 3
		.amdhsa_dx10_clamp 1
		.amdhsa_ieee_mode 1
		.amdhsa_fp16_overflow 0
		.amdhsa_workgroup_processor_mode 1
		.amdhsa_memory_ordered 1
		.amdhsa_forward_progress 0
		.amdhsa_shared_vgpr_count 0
		.amdhsa_exception_fp_ieee_invalid_op 0
		.amdhsa_exception_fp_denorm_src 0
		.amdhsa_exception_fp_ieee_div_zero 0
		.amdhsa_exception_fp_ieee_overflow 0
		.amdhsa_exception_fp_ieee_underflow 0
		.amdhsa_exception_fp_ieee_inexact 0
		.amdhsa_exception_int_div_zero 0
	.end_amdhsa_kernel
	.section	.text._ZN12_GLOBAL__N_121softmax_warp_backwardIN3c108BFloat16ES2_fLi10ELb1ELb0ELi32EEEvPT0_PKT_S7_iiiPKb,"axG",@progbits,_ZN12_GLOBAL__N_121softmax_warp_backwardIN3c108BFloat16ES2_fLi10ELb1ELb0ELi32EEEvPT0_PKT_S7_iiiPKb,comdat
.Lfunc_end321:
	.size	_ZN12_GLOBAL__N_121softmax_warp_backwardIN3c108BFloat16ES2_fLi10ELb1ELb0ELi32EEEvPT0_PKT_S7_iiiPKb, .Lfunc_end321-_ZN12_GLOBAL__N_121softmax_warp_backwardIN3c108BFloat16ES2_fLi10ELb1ELb0ELi32EEEvPT0_PKT_S7_iiiPKb
                                        ; -- End function
	.section	.AMDGPU.csdata,"",@progbits
; Kernel info:
; codeLenInByte = 9908
; NumSgprs: 46
; NumVgprs: 71
; ScratchSize: 0
; MemoryBound: 0
; FloatMode: 240
; IeeeMode: 1
; LDSByteSize: 0 bytes/workgroup (compile time only)
; SGPRBlocks: 5
; VGPRBlocks: 8
; NumSGPRsForWavesPerEU: 46
; NumVGPRsForWavesPerEU: 71
; Occupancy: 16
; WaveLimiterHint : 0
; COMPUTE_PGM_RSRC2:SCRATCH_EN: 0
; COMPUTE_PGM_RSRC2:USER_SGPR: 15
; COMPUTE_PGM_RSRC2:TRAP_HANDLER: 0
; COMPUTE_PGM_RSRC2:TGID_X_EN: 1
; COMPUTE_PGM_RSRC2:TGID_Y_EN: 0
; COMPUTE_PGM_RSRC2:TGID_Z_EN: 0
; COMPUTE_PGM_RSRC2:TIDIG_COMP_CNT: 1
	.section	.text._ZN2at6native12_GLOBAL__N_124cunn_SoftMaxBackwardSmemILi8EN3c108BFloat16EfS4_NS1_26LogSoftMaxBackwardEpilogueEEEvPT0_PKT2_SA_l,"axG",@progbits,_ZN2at6native12_GLOBAL__N_124cunn_SoftMaxBackwardSmemILi8EN3c108BFloat16EfS4_NS1_26LogSoftMaxBackwardEpilogueEEEvPT0_PKT2_SA_l,comdat
	.globl	_ZN2at6native12_GLOBAL__N_124cunn_SoftMaxBackwardSmemILi8EN3c108BFloat16EfS4_NS1_26LogSoftMaxBackwardEpilogueEEEvPT0_PKT2_SA_l ; -- Begin function _ZN2at6native12_GLOBAL__N_124cunn_SoftMaxBackwardSmemILi8EN3c108BFloat16EfS4_NS1_26LogSoftMaxBackwardEpilogueEEEvPT0_PKT2_SA_l
	.p2align	8
	.type	_ZN2at6native12_GLOBAL__N_124cunn_SoftMaxBackwardSmemILi8EN3c108BFloat16EfS4_NS1_26LogSoftMaxBackwardEpilogueEEEvPT0_PKT2_SA_l,@function
_ZN2at6native12_GLOBAL__N_124cunn_SoftMaxBackwardSmemILi8EN3c108BFloat16EfS4_NS1_26LogSoftMaxBackwardEpilogueEEEvPT0_PKT2_SA_l: ; @_ZN2at6native12_GLOBAL__N_124cunn_SoftMaxBackwardSmemILi8EN3c108BFloat16EfS4_NS1_26LogSoftMaxBackwardEpilogueEEEvPT0_PKT2_SA_l
; %bb.0:
	s_load_b256 s[4:11], s[0:1], 0x0
	v_dual_mov_b32 v2, 0 :: v_dual_lshlrev_b32 v1, 3, v0
	v_lshl_add_u32 v5, v0, 4, 0
	s_waitcnt lgkmcnt(0)
	s_delay_alu instid0(VALU_DEP_2)
	v_cmp_gt_i64_e32 vcc_lo, s[10:11], v[1:2]
	s_mul_i32 s2, s15, s11
	s_mul_hi_u32 s3, s15, s10
	s_mul_i32 s12, s15, s10
	s_add_i32 s13, s3, s2
	s_and_saveexec_b32 s3, vcc_lo
	s_cbranch_execz .LBB322_4
; %bb.1:
	s_load_b32 s2, s[0:1], 0x2c
	s_lshl_b64 s[14:15], s[12:13], 1
	v_lshl_add_u32 v6, v0, 4, 0
	s_add_u32 s8, s8, s14
	s_addc_u32 s9, s9, s15
	v_dual_mov_b32 v2, 0 :: v_dual_mov_b32 v3, v0
	s_mov_b32 s15, 0
	s_waitcnt lgkmcnt(0)
	s_and_b32 s14, s2, 0xffff
	s_delay_alu instid0(SALU_CYCLE_1)
	v_add_lshl_u32 v1, v0, s14, 3
	s_lshl_b32 s16, s14, 3
	s_lshl_b32 s17, s14, 4
	s_set_inst_prefetch_distance 0x1
	.p2align	6
.LBB322_2:                              ; =>This Inner Loop Header: Depth=1
	v_ashrrev_i32_e32 v4, 31, v3
	s_delay_alu instid0(VALU_DEP_1) | instskip(SKIP_1) | instid1(VALU_DEP_2)
	v_lshlrev_b64 v[7:8], 4, v[3:4]
	v_add_nc_u32_e32 v3, s14, v3
	v_add_co_u32 v7, s2, s8, v7
	s_delay_alu instid0(VALU_DEP_1)
	v_add_co_ci_u32_e64 v8, s2, s9, v8, s2
	global_load_b128 v[7:10], v[7:8], off
	s_waitcnt vmcnt(0)
	v_lshlrev_b32_e32 v4, 16, v7
	v_and_b32_e32 v11, 0xffff0000, v7
	v_and_b32_e32 v12, 0xffff0000, v10
	ds_store_b128 v6, v[7:10]
	v_add_nc_u32_e32 v6, s17, v6
	v_add_f32_e32 v2, v2, v4
	v_lshlrev_b32_e32 v4, 16, v8
	s_delay_alu instid0(VALU_DEP_2) | instskip(NEXT) | instid1(VALU_DEP_1)
	v_dual_add_f32 v2, v2, v11 :: v_dual_and_b32 v11, 0xffff0000, v8
	v_add_f32_e32 v2, v2, v4
	v_lshlrev_b32_e32 v4, 16, v9
	s_delay_alu instid0(VALU_DEP_2) | instskip(NEXT) | instid1(VALU_DEP_1)
	v_dual_add_f32 v2, v2, v11 :: v_dual_and_b32 v11, 0xffff0000, v9
	v_add_f32_e32 v2, v2, v4
	s_delay_alu instid0(VALU_DEP_1) | instskip(SKIP_1) | instid1(VALU_DEP_2)
	v_dual_add_f32 v11, v2, v11 :: v_dual_lshlrev_b32 v4, 16, v10
	v_ashrrev_i32_e32 v2, 31, v1
	v_add_f32_e32 v4, v11, v4
	s_delay_alu instid0(VALU_DEP_2) | instskip(NEXT) | instid1(VALU_DEP_2)
	v_cmp_le_i64_e64 s2, s[10:11], v[1:2]
	v_dual_add_f32 v2, v4, v12 :: v_dual_add_nc_u32 v1, s16, v1
	s_delay_alu instid0(VALU_DEP_2) | instskip(NEXT) | instid1(SALU_CYCLE_1)
	s_or_b32 s15, s2, s15
	s_and_not1_b32 exec_lo, exec_lo, s15
	s_cbranch_execnz .LBB322_2
; %bb.3:
	s_set_inst_prefetch_distance 0x2
	s_or_b32 exec_lo, exec_lo, s15
.LBB322_4:
	s_delay_alu instid0(SALU_CYCLE_1)
	s_or_b32 exec_lo, exec_lo, s3
	v_mbcnt_lo_u32_b32 v6, -1, 0
	s_lshl_b32 s3, s10, 1
	s_mov_b32 s8, exec_lo
	s_add_i32 s3, s3, 0
	s_waitcnt lgkmcnt(0)
	v_cmp_gt_u32_e64 s2, 16, v6
	s_barrier
	buffer_gl0_inv
	v_cndmask_b32_e64 v1, 0, 1, s2
	v_cmp_gt_u32_e64 s2, 24, v6
	s_delay_alu instid0(VALU_DEP_2) | instskip(NEXT) | instid1(VALU_DEP_2)
	v_lshlrev_b32_e32 v1, 4, v1
	v_cndmask_b32_e64 v3, 0, 1, s2
	v_cmp_gt_u32_e64 s2, 28, v6
	s_delay_alu instid0(VALU_DEP_3) | instskip(NEXT) | instid1(VALU_DEP_3)
	v_add_lshl_u32 v1, v1, v6, 2
	v_lshlrev_b32_e32 v3, 3, v3
	ds_bpermute_b32 v4, v1, v2
	v_add_lshl_u32 v3, v3, v6, 2
	s_waitcnt lgkmcnt(0)
	v_add_f32_e32 v4, v2, v4
	v_cndmask_b32_e64 v2, 0, 1, s2
	v_cmp_gt_u32_e64 s2, 30, v6
	ds_bpermute_b32 v7, v3, v4
	s_waitcnt lgkmcnt(0)
	v_dual_add_f32 v7, v4, v7 :: v_dual_lshlrev_b32 v2, 2, v2
	s_delay_alu instid0(VALU_DEP_1) | instskip(SKIP_4) | instid1(VALU_DEP_1)
	v_add_lshl_u32 v2, v2, v6, 2
	v_cndmask_b32_e64 v4, 0, 1, s2
	v_cmp_ne_u32_e64 s2, 31, v6
	ds_bpermute_b32 v8, v2, v7
	v_lshlrev_b32_e32 v4, 1, v4
	v_add_lshl_u32 v4, v4, v6, 2
	v_add_co_ci_u32_e64 v6, s2, 0, v6, s2
	s_waitcnt lgkmcnt(0)
	s_delay_alu instid0(VALU_DEP_1)
	v_dual_add_f32 v7, v7, v8 :: v_dual_lshlrev_b32 v6, 2, v6
	ds_bpermute_b32 v8, v4, v7
	s_waitcnt lgkmcnt(0)
	v_add_f32_e32 v8, v7, v8
	v_and_b32_e32 v7, 31, v0
	ds_bpermute_b32 v9, v6, v8
	v_cmpx_eq_u32_e32 0, v7
	s_cbranch_execz .LBB322_6
; %bb.5:
	v_lshrrev_b32_e32 v10, 3, v0
	s_waitcnt lgkmcnt(0)
	v_add_f32_e32 v8, v8, v9
	s_delay_alu instid0(VALU_DEP_2)
	v_add_nc_u32_e32 v10, s3, v10
	ds_store_b32 v10, v8
.LBB322_6:
	s_or_b32 exec_lo, exec_lo, s8
	s_waitcnt lgkmcnt(0)
	s_barrier
	buffer_gl0_inv
	s_load_b32 s1, s[0:1], 0x2c
	v_mov_b32_e32 v8, 0
	s_mov_b32 s2, exec_lo
	s_waitcnt lgkmcnt(0)
	s_bfe_u32 s0, s1, 0xb0005
	s_delay_alu instid0(SALU_CYCLE_1)
	v_cmpx_gt_u32_e64 s0, v0
	s_cbranch_execz .LBB322_8
; %bb.7:
	v_lshl_add_u32 v7, v7, 2, s3
	ds_load_b32 v8, v7
.LBB322_8:
	s_or_b32 exec_lo, exec_lo, s2
	s_delay_alu instid0(SALU_CYCLE_1)
	s_mov_b32 s2, exec_lo
	v_cmpx_gt_u32_e32 32, v0
	s_cbranch_execz .LBB322_10
; %bb.9:
	s_waitcnt lgkmcnt(0)
	ds_bpermute_b32 v1, v1, v8
	s_waitcnt lgkmcnt(0)
	v_add_f32_e32 v1, v8, v1
	ds_bpermute_b32 v3, v3, v1
	s_waitcnt lgkmcnt(0)
	v_add_f32_e32 v1, v1, v3
	;; [unrolled: 3-line block ×5, first 2 shown]
.LBB322_10:
	s_or_b32 exec_lo, exec_lo, s2
	s_delay_alu instid0(SALU_CYCLE_1)
	s_mov_b32 s2, exec_lo
	v_cmpx_eq_u32_e32 0, v0
	s_cbranch_execz .LBB322_12
; %bb.11:
	v_mov_b32_e32 v1, s3
	s_waitcnt lgkmcnt(0)
	ds_store_b32 v1, v8
.LBB322_12:
	s_or_b32 exec_lo, exec_lo, s2
	s_waitcnt lgkmcnt(0)
	s_barrier
	buffer_gl0_inv
	s_and_saveexec_b32 s0, vcc_lo
	s_cbranch_execz .LBB322_15
; %bb.13:
	v_mov_b32_e32 v1, s3
	s_lshl_b64 s[2:3], s[12:13], 1
	s_and_b32 s9, s1, 0xffff
	s_add_u32 s12, s4, s2
	v_add_lshl_u32 v2, v0, s9, 3
	ds_load_b32 v4, v1
	s_addc_u32 s13, s5, s3
	s_add_u32 s14, s6, s2
	s_addc_u32 s15, s7, s3
	s_lshl_b32 s16, s9, 3
	s_mov_b32 s17, 0
	s_lshl_b32 s18, s9, 4
.LBB322_14:                             ; =>This Inner Loop Header: Depth=1
	v_ashrrev_i32_e32 v1, 31, v0
	ds_load_b128 v[10:13], v5
	v_ashrrev_i32_e32 v3, 31, v2
	v_lshlrev_b64 v[14:15], 4, v[0:1]
	s_delay_alu instid0(VALU_DEP_1) | instskip(NEXT) | instid1(VALU_DEP_2)
	v_add_co_u32 v6, vcc_lo, s14, v14
	v_add_co_ci_u32_e32 v7, vcc_lo, s15, v15, vcc_lo
	s_delay_alu instid0(VALU_DEP_4)
	v_cmp_le_i64_e32 vcc_lo, s[10:11], v[2:3]
	v_add_co_u32 v14, s0, s12, v14
	global_load_b128 v[6:9], v[6:7], off
	v_add_co_ci_u32_e64 v15, s0, s13, v15, s0
	v_add_nc_u32_e32 v2, s16, v2
	s_or_b32 s17, vcc_lo, s17
	s_waitcnt vmcnt(0)
	v_lshlrev_b32_e32 v21, 16, v9
	v_and_b32_e32 v9, 0xffff0000, v9
	s_delay_alu instid0(VALU_DEP_1) | instskip(NEXT) | instid1(VALU_DEP_1)
	v_dual_mul_f32 v28, 0x3fb8aa3b, v9 :: v_dual_lshlrev_b32 v19, 16, v7
	v_dual_mul_f32 v25, 0x3fb8aa3b, v19 :: v_dual_lshlrev_b32 v18, 16, v6
	v_add_nc_u32_e32 v0, s9, v0
	v_cmp_ngt_f32_e64 s3, 0xc2ce8ed0, v19
	s_delay_alu instid0(VALU_DEP_4) | instskip(NEXT) | instid1(VALU_DEP_4)
	v_rndne_f32_e32 v43, v28
	v_mul_f32_e32 v23, 0x3fb8aa3b, v18
	v_rndne_f32_e32 v37, v25
	s_waitcnt lgkmcnt(0)
	v_and_b32_e32 v16, 0xffff0000, v12
	v_fma_f32 v36, 0x3fb8aa3b, v19, -v25
	v_cmp_ngt_f32_e64 s1, 0xc2ce8ed0, v18
	v_fma_f32 v32, 0x3fb8aa3b, v18, -v23
	v_sub_f32_e32 v25, v25, v37
	v_rndne_f32_e32 v33, v23
	v_cvt_i32_f32_e32 v37, v37
	s_delay_alu instid0(VALU_DEP_4) | instskip(SKIP_4) | instid1(VALU_DEP_4)
	v_fmac_f32_e32 v32, 0x32a5705f, v18
	v_dual_mul_f32 v29, 0x3fb8aa3b, v21 :: v_dual_lshlrev_b32 v12, 16, v12
	v_cmp_ngt_f32_e64 s7, 0xc2ce8ed0, v21
	v_sub_f32_e32 v23, v23, v33
	v_cvt_i32_f32_e32 v33, v33
	v_rndne_f32_e32 v45, v29
	v_lshlrev_b32_e32 v20, 16, v8
	v_fma_f32 v44, 0x3fb8aa3b, v21, -v29
	v_and_b32_e32 v8, 0xffff0000, v8
	v_add_f32_e32 v23, v23, v32
	v_sub_f32_e32 v29, v29, v45
	v_mul_f32_e32 v27, 0x3fb8aa3b, v20
	v_fmac_f32_e32 v44, 0x32a5705f, v21
	v_mul_f32_e32 v26, 0x3fb8aa3b, v8
	v_cvt_i32_f32_e32 v45, v45
	v_cmp_ngt_f32_e64 s4, 0xc2ce8ed0, v8
	v_rndne_f32_e32 v41, v27
	v_and_b32_e32 v6, 0xffff0000, v6
	v_fma_f32 v40, 0x3fb8aa3b, v20, -v27
	v_rndne_f32_e32 v39, v26
	v_fma_f32 v38, 0x3fb8aa3b, v8, -v26
	v_sub_f32_e32 v27, v27, v41
	v_dual_mul_f32 v22, 0x3fb8aa3b, v6 :: v_dual_add_nc_u32 v5, s18, v5
	s_delay_alu instid0(VALU_DEP_4)
	v_sub_f32_e32 v26, v26, v39
	v_fma_f32 v42, 0x3fb8aa3b, v9, -v28
	v_fmac_f32_e32 v40, 0x32a5705f, v20
	v_fmac_f32_e32 v36, 0x32a5705f, v19
	v_rndne_f32_e32 v31, v22
	v_and_b32_e32 v1, 0xffff0000, v10
	v_fma_f32 v30, 0x3fb8aa3b, v6, -v22
	v_fmac_f32_e32 v38, 0x32a5705f, v8
	v_sub_f32_e32 v28, v28, v43
	v_sub_f32_e32 v22, v22, v31
	v_and_b32_e32 v7, 0xffff0000, v7
	v_lshlrev_b32_e32 v3, 16, v10
	v_and_b32_e32 v10, 0xffff0000, v11
	v_dual_fmac_f32 v30, 0x32a5705f, v6 :: v_dual_lshlrev_b32 v11, 16, v11
	s_delay_alu instid0(VALU_DEP_4) | instskip(SKIP_1) | instid1(VALU_DEP_3)
	v_dual_mul_f32 v24, 0x3fb8aa3b, v7 :: v_dual_add_f32 v27, v27, v40
	v_dual_fmac_f32 v42, 0x32a5705f, v9 :: v_dual_add_f32 v25, v25, v36
	v_add_f32_e32 v22, v22, v30
	s_delay_alu instid0(VALU_DEP_3)
	v_rndne_f32_e32 v35, v24
	v_and_b32_e32 v17, 0xffff0000, v13
	v_lshlrev_b32_e32 v13, 16, v13
	v_fma_f32 v34, 0x3fb8aa3b, v7, -v24
	v_add_f32_e32 v26, v26, v38
	v_sub_f32_e32 v24, v24, v35
	v_dual_add_f32 v28, v28, v42 :: v_dual_add_f32 v29, v29, v44
	s_delay_alu instid0(VALU_DEP_4)
	v_fmac_f32_e32 v34, 0x32a5705f, v7
	v_exp_f32_e32 v22, v22
	v_exp_f32_e32 v23, v23
	;; [unrolled: 1-line block ×4, first 2 shown]
	v_add_f32_e32 v24, v24, v34
	v_exp_f32_e32 v27, v27
	v_exp_f32_e32 v28, v28
	;; [unrolled: 1-line block ×3, first 2 shown]
	v_cvt_i32_f32_e32 v31, v31
	v_exp_f32_e32 v24, v24
	v_cvt_i32_f32_e32 v35, v35
	v_cvt_i32_f32_e32 v39, v39
	;; [unrolled: 1-line block ×4, first 2 shown]
	v_ldexp_f32 v22, v22, v31
	v_ldexp_f32 v23, v23, v33
	v_cmp_ngt_f32_e64 s2, 0xc2ce8ed0, v7
	v_ldexp_f32 v25, v25, v37
	v_ldexp_f32 v26, v26, v39
	;; [unrolled: 1-line block ×4, first 2 shown]
	v_cmp_ngt_f32_e64 s5, 0xc2ce8ed0, v20
	v_ldexp_f32 v28, v28, v43
	v_cmp_ngt_f32_e64 s6, 0xc2ce8ed0, v9
	v_ldexp_f32 v29, v29, v45
	v_cmp_ngt_f32_e64 s8, 0xc2ce8ed0, v6
	v_cndmask_b32_e64 v23, 0, v23, s1
	v_cmp_nlt_f32_e64 s1, 0x42b17218, v18
	v_cndmask_b32_e64 v18, 0, v24, s2
	v_cmp_nlt_f32_e64 s2, 0x42b17218, v7
	v_cndmask_b32_e64 v22, 0, v22, s8
	v_cndmask_b32_e64 v7, 0, v25, s3
	v_cmp_nlt_f32_e64 s3, 0x42b17218, v19
	v_cndmask_b32_e64 v19, 0, v26, s4
	v_cmp_nlt_f32_e64 s4, 0x42b17218, v8
	;; [unrolled: 2-line block ×5, first 2 shown]
	v_cmp_nlt_f32_e64 s8, 0x42b17218, v6
	v_cndmask_b32_e64 v21, 0x7f800000, v23, s1
	v_cndmask_b32_e64 v18, 0x7f800000, v18, s2
	;; [unrolled: 1-line block ×8, first 2 shown]
	v_fma_f32 v3, -v4, v21, v3
	v_fma_f32 v1, -v4, v6, v1
	;; [unrolled: 1-line block ×8, first 2 shown]
	v_bfe_u32 v12, v1, 16, 1
	v_bfe_u32 v13, v3, 16, 1
	;; [unrolled: 1-line block ×8, first 2 shown]
	v_add3_u32 v13, v3, v13, 0x7fff
	v_add3_u32 v12, v1, v12, 0x7fff
	;; [unrolled: 1-line block ×8, first 2 shown]
	v_lshrrev_b32_e32 v12, 16, v12
	v_lshrrev_b32_e32 v13, 16, v13
	v_cmp_o_f32_e64 s1, v3, v3
	v_lshrrev_b32_e32 v3, 16, v16
	v_lshrrev_b32_e32 v16, 16, v17
	v_cmp_o_f32_e64 s2, v7, v7
	v_cmp_o_f32_e64 s3, v6, v6
	v_lshrrev_b32_e32 v6, 16, v18
	v_lshrrev_b32_e32 v7, 16, v19
	v_cmp_o_f32_e64 s4, v10, v10
	;; [unrolled: 4-line block ×3, first 2 shown]
	v_cmp_o_f32_e64 s7, v9, v9
	v_cmp_o_f32_e64 s8, v1, v1
	v_cndmask_b32_e64 v11, 0x7fc0, v13, s1
	v_cndmask_b32_e64 v3, 0x7fc0, v3, s2
	;; [unrolled: 1-line block ×8, first 2 shown]
	s_delay_alu instid0(VALU_DEP_3) | instskip(NEXT) | instid1(VALU_DEP_3)
	v_perm_b32 v9, v8, v9, 0x5040100
	v_perm_b32 v8, v6, v7, 0x5040100
	s_delay_alu instid0(VALU_DEP_3)
	v_perm_b32 v7, v3, v10, 0x5040100
	v_perm_b32 v6, v1, v11, 0x5040100
	global_store_b128 v[14:15], v[6:9], off
	s_and_not1_b32 exec_lo, exec_lo, s17
	s_cbranch_execnz .LBB322_14
.LBB322_15:
	s_nop 0
	s_sendmsg sendmsg(MSG_DEALLOC_VGPRS)
	s_endpgm
	.section	.rodata,"a",@progbits
	.p2align	6, 0x0
	.amdhsa_kernel _ZN2at6native12_GLOBAL__N_124cunn_SoftMaxBackwardSmemILi8EN3c108BFloat16EfS4_NS1_26LogSoftMaxBackwardEpilogueEEEvPT0_PKT2_SA_l
		.amdhsa_group_segment_fixed_size 0
		.amdhsa_private_segment_fixed_size 0
		.amdhsa_kernarg_size 288
		.amdhsa_user_sgpr_count 15
		.amdhsa_user_sgpr_dispatch_ptr 0
		.amdhsa_user_sgpr_queue_ptr 0
		.amdhsa_user_sgpr_kernarg_segment_ptr 1
		.amdhsa_user_sgpr_dispatch_id 0
		.amdhsa_user_sgpr_private_segment_size 0
		.amdhsa_wavefront_size32 1
		.amdhsa_uses_dynamic_stack 0
		.amdhsa_enable_private_segment 0
		.amdhsa_system_sgpr_workgroup_id_x 1
		.amdhsa_system_sgpr_workgroup_id_y 0
		.amdhsa_system_sgpr_workgroup_id_z 0
		.amdhsa_system_sgpr_workgroup_info 0
		.amdhsa_system_vgpr_workitem_id 0
		.amdhsa_next_free_vgpr 46
		.amdhsa_next_free_sgpr 19
		.amdhsa_reserve_vcc 1
		.amdhsa_float_round_mode_32 0
		.amdhsa_float_round_mode_16_64 0
		.amdhsa_float_denorm_mode_32 3
		.amdhsa_float_denorm_mode_16_64 3
		.amdhsa_dx10_clamp 1
		.amdhsa_ieee_mode 1
		.amdhsa_fp16_overflow 0
		.amdhsa_workgroup_processor_mode 1
		.amdhsa_memory_ordered 1
		.amdhsa_forward_progress 0
		.amdhsa_shared_vgpr_count 0
		.amdhsa_exception_fp_ieee_invalid_op 0
		.amdhsa_exception_fp_denorm_src 0
		.amdhsa_exception_fp_ieee_div_zero 0
		.amdhsa_exception_fp_ieee_overflow 0
		.amdhsa_exception_fp_ieee_underflow 0
		.amdhsa_exception_fp_ieee_inexact 0
		.amdhsa_exception_int_div_zero 0
	.end_amdhsa_kernel
	.section	.text._ZN2at6native12_GLOBAL__N_124cunn_SoftMaxBackwardSmemILi8EN3c108BFloat16EfS4_NS1_26LogSoftMaxBackwardEpilogueEEEvPT0_PKT2_SA_l,"axG",@progbits,_ZN2at6native12_GLOBAL__N_124cunn_SoftMaxBackwardSmemILi8EN3c108BFloat16EfS4_NS1_26LogSoftMaxBackwardEpilogueEEEvPT0_PKT2_SA_l,comdat
.Lfunc_end322:
	.size	_ZN2at6native12_GLOBAL__N_124cunn_SoftMaxBackwardSmemILi8EN3c108BFloat16EfS4_NS1_26LogSoftMaxBackwardEpilogueEEEvPT0_PKT2_SA_l, .Lfunc_end322-_ZN2at6native12_GLOBAL__N_124cunn_SoftMaxBackwardSmemILi8EN3c108BFloat16EfS4_NS1_26LogSoftMaxBackwardEpilogueEEEvPT0_PKT2_SA_l
                                        ; -- End function
	.section	.AMDGPU.csdata,"",@progbits
; Kernel info:
; codeLenInByte = 2468
; NumSgprs: 21
; NumVgprs: 46
; ScratchSize: 0
; MemoryBound: 0
; FloatMode: 240
; IeeeMode: 1
; LDSByteSize: 0 bytes/workgroup (compile time only)
; SGPRBlocks: 2
; VGPRBlocks: 5
; NumSGPRsForWavesPerEU: 21
; NumVGPRsForWavesPerEU: 46
; Occupancy: 16
; WaveLimiterHint : 0
; COMPUTE_PGM_RSRC2:SCRATCH_EN: 0
; COMPUTE_PGM_RSRC2:USER_SGPR: 15
; COMPUTE_PGM_RSRC2:TRAP_HANDLER: 0
; COMPUTE_PGM_RSRC2:TGID_X_EN: 1
; COMPUTE_PGM_RSRC2:TGID_Y_EN: 0
; COMPUTE_PGM_RSRC2:TGID_Z_EN: 0
; COMPUTE_PGM_RSRC2:TIDIG_COMP_CNT: 0
	.section	.text._ZN2at6native12_GLOBAL__N_120cunn_SoftMaxBackwardILi8EN3c108BFloat16EfS4_NS1_26LogSoftMaxBackwardEpilogueEEEvPT0_PKT2_SA_l,"axG",@progbits,_ZN2at6native12_GLOBAL__N_120cunn_SoftMaxBackwardILi8EN3c108BFloat16EfS4_NS1_26LogSoftMaxBackwardEpilogueEEEvPT0_PKT2_SA_l,comdat
	.globl	_ZN2at6native12_GLOBAL__N_120cunn_SoftMaxBackwardILi8EN3c108BFloat16EfS4_NS1_26LogSoftMaxBackwardEpilogueEEEvPT0_PKT2_SA_l ; -- Begin function _ZN2at6native12_GLOBAL__N_120cunn_SoftMaxBackwardILi8EN3c108BFloat16EfS4_NS1_26LogSoftMaxBackwardEpilogueEEEvPT0_PKT2_SA_l
	.p2align	8
	.type	_ZN2at6native12_GLOBAL__N_120cunn_SoftMaxBackwardILi8EN3c108BFloat16EfS4_NS1_26LogSoftMaxBackwardEpilogueEEEvPT0_PKT2_SA_l,@function
_ZN2at6native12_GLOBAL__N_120cunn_SoftMaxBackwardILi8EN3c108BFloat16EfS4_NS1_26LogSoftMaxBackwardEpilogueEEEvPT0_PKT2_SA_l: ; @_ZN2at6native12_GLOBAL__N_120cunn_SoftMaxBackwardILi8EN3c108BFloat16EfS4_NS1_26LogSoftMaxBackwardEpilogueEEEvPT0_PKT2_SA_l
; %bb.0:
	s_load_b256 s[4:11], s[0:1], 0x0
	s_mov_b32 s29, 0
	s_waitcnt lgkmcnt(0)
	s_mul_i32 s3, s15, s11
	s_mul_hi_u32 s12, s15, s10
	s_mul_i32 s2, s15, s10
	s_add_i32 s3, s12, s3
	v_cmp_lt_i64_e64 s14, 0x7ffffffe, s[10:11]
	s_lshl_b64 s[26:27], s[2:3], 1
	s_delay_alu instid0(SALU_CYCLE_1) | instskip(SKIP_2) | instid1(SALU_CYCLE_1)
	s_add_u32 s12, s8, s26
	s_addc_u32 s13, s9, s27
	s_bfe_u32 s28, s12, 0x30001
	s_cmp_lg_u32 s28, 0
	s_cselect_b32 s22, -1, 0
	s_and_b32 vcc_lo, exec_lo, s14
	s_cbranch_vccz .LBB323_16
; %bb.1:
	v_mov_b32_e32 v1, 0
	s_and_b32 vcc_lo, exec_lo, s22
	s_cbranch_vccz .LBB323_39
; %bb.2:
	s_lshl_b32 s2, s28, 1
	s_delay_alu instid0(VALU_DEP_1)
	v_mov_b32_e32 v8, v1
	s_sub_u32 s18, s12, s2
	s_mov_b32 s20, 0
	s_subb_u32 s19, s13, 0
	s_mov_b32 s2, exec_lo
	v_cmpx_le_u64_e64 s[28:29], v[0:1]
	s_cbranch_execz .LBB323_4
; %bb.3:
	v_lshlrev_b32_e32 v2, 1, v0
	global_load_u16 v2, v2, s[18:19]
	s_waitcnt vmcnt(0)
	v_lshlrev_b32_e32 v2, 16, v2
	s_delay_alu instid0(VALU_DEP_1)
	v_add_f32_e32 v8, 0, v2
.LBB323_4:
	s_or_b32 exec_lo, exec_lo, s2
	s_load_b32 s16, s[0:1], 0x2c
	s_add_u32 s17, s28, s10
	s_addc_u32 s21, 0, s11
	s_add_u32 s2, s0, 32
	s_addc_u32 s3, s1, 0
	s_waitcnt lgkmcnt(0)
	s_and_b32 s23, s16, 0xffff
	s_delay_alu instid0(SALU_CYCLE_1) | instskip(SKIP_2) | instid1(SALU_CYCLE_1)
	s_sub_u32 s16, s17, s23
	s_subb_u32 s17, s21, 0
	s_lshl_b32 s21, s23, 1
	s_add_u32 s18, s18, s21
	s_addc_u32 s19, s19, 0
	s_and_b32 vcc_lo, exec_lo, s20
	s_cbranch_vccz .LBB323_6
.LBB323_5:
	v_mov_b32_e32 v8, 0
	s_add_u32 s2, s0, 32
	s_addc_u32 s3, s1, 0
	s_mov_b64 s[16:17], s[10:11]
	s_mov_b64 s[18:19], s[12:13]
.LBB323_6:
	s_load_b32 s20, s[2:3], 0x0
	v_mov_b32_e32 v2, 0
	s_mov_b32 s21, s17
	s_waitcnt lgkmcnt(0)
	s_cmp_lt_u32 s15, s20
	s_cselect_b32 s20, 12, 18
	s_delay_alu instid0(SALU_CYCLE_1)
	s_add_u32 s2, s2, s20
	s_addc_u32 s3, s3, 0
	s_mov_b32 s20, 0
	global_load_u16 v2, v2, s[2:3]
	s_waitcnt vmcnt(0)
	v_readfirstlane_b32 s2, v2
	v_and_b32_e32 v9, 0xffff, v2
	s_delay_alu instid0(VALU_DEP_2) | instskip(NEXT) | instid1(SALU_CYCLE_1)
	s_and_b32 s2, 0xffff, s2
	s_lshl_b32 s3, s2, 3
	s_cmp_lg_u64 s[20:21], 0
	s_cbranch_scc0 .LBB323_40
; %bb.7:
	v_cvt_f32_u32_e32 v2, s3
	s_sub_u32 s23, 0, s3
	s_subb_u32 s24, 0, 0
	s_delay_alu instid0(VALU_DEP_1) | instskip(NEXT) | instid1(VALU_DEP_1)
	v_fmamk_f32 v2, 0, 0x4f800000, v2
	v_rcp_f32_e32 v2, v2
	s_waitcnt_depctr 0xfff
	v_mul_f32_e32 v2, 0x5f7ffffc, v2
	s_delay_alu instid0(VALU_DEP_1) | instskip(NEXT) | instid1(VALU_DEP_1)
	v_mul_f32_e32 v3, 0x2f800000, v2
	v_trunc_f32_e32 v3, v3
	s_delay_alu instid0(VALU_DEP_1) | instskip(SKIP_1) | instid1(VALU_DEP_2)
	v_fmamk_f32 v2, v3, 0xcf800000, v2
	v_cvt_u32_f32_e32 v3, v3
	v_cvt_u32_f32_e32 v2, v2
	s_delay_alu instid0(VALU_DEP_2) | instskip(NEXT) | instid1(VALU_DEP_2)
	v_readfirstlane_b32 s2, v3
	v_readfirstlane_b32 s21, v2
	s_delay_alu instid0(VALU_DEP_2) | instskip(NEXT) | instid1(VALU_DEP_1)
	s_mul_i32 s25, s23, s2
	s_mul_hi_u32 s31, s23, s21
	s_mul_i32 s30, s24, s21
	s_add_i32 s25, s31, s25
	s_mul_i32 s33, s23, s21
	s_add_i32 s25, s25, s30
	s_mul_hi_u32 s31, s21, s33
	s_mul_hi_u32 s34, s2, s33
	s_mul_i32 s30, s2, s33
	s_mul_hi_u32 s33, s21, s25
	s_mul_i32 s21, s21, s25
	s_mul_hi_u32 s35, s2, s25
	s_add_u32 s21, s31, s21
	s_addc_u32 s31, 0, s33
	s_add_u32 s21, s21, s30
	s_mul_i32 s25, s2, s25
	s_addc_u32 s21, s31, s34
	s_addc_u32 s30, s35, 0
	s_add_u32 s21, s21, s25
	s_addc_u32 s25, 0, s30
	v_add_co_u32 v2, s21, v2, s21
	s_delay_alu instid0(VALU_DEP_1) | instskip(SKIP_1) | instid1(VALU_DEP_1)
	s_cmp_lg_u32 s21, 0
	s_addc_u32 s2, s2, s25
	v_readfirstlane_b32 s21, v2
	s_mul_i32 s25, s23, s2
	s_delay_alu instid0(VALU_DEP_1)
	s_mul_hi_u32 s30, s23, s21
	s_mul_i32 s24, s24, s21
	s_add_i32 s25, s30, s25
	s_mul_i32 s23, s23, s21
	s_add_i32 s25, s25, s24
	s_mul_hi_u32 s30, s2, s23
	s_mul_i32 s31, s2, s23
	s_mul_hi_u32 s23, s21, s23
	s_mul_hi_u32 s33, s21, s25
	s_mul_i32 s21, s21, s25
	s_mul_hi_u32 s24, s2, s25
	s_add_u32 s21, s23, s21
	s_addc_u32 s23, 0, s33
	s_add_u32 s21, s21, s31
	s_mul_i32 s25, s2, s25
	s_addc_u32 s21, s23, s30
	s_addc_u32 s23, s24, 0
	s_add_u32 s21, s21, s25
	s_addc_u32 s23, 0, s23
	v_add_co_u32 v2, s21, v2, s21
	s_delay_alu instid0(VALU_DEP_1) | instskip(SKIP_1) | instid1(VALU_DEP_1)
	s_cmp_lg_u32 s21, 0
	s_addc_u32 s2, s2, s23
	v_readfirstlane_b32 s21, v2
	s_mul_i32 s24, s16, s2
	s_mul_hi_u32 s23, s16, s2
	s_mul_hi_u32 s25, s17, s2
	s_mul_i32 s2, s17, s2
	s_mul_hi_u32 s30, s16, s21
	s_mul_hi_u32 s31, s17, s21
	s_mul_i32 s21, s17, s21
	s_add_u32 s24, s30, s24
	s_addc_u32 s23, 0, s23
	s_add_u32 s21, s24, s21
	s_addc_u32 s21, s23, s31
	s_addc_u32 s23, s25, 0
	s_add_u32 s2, s21, s2
	s_addc_u32 s21, 0, s23
	s_mul_hi_u32 s23, s3, s2
	s_mul_i32 s2, s3, s2
	s_mul_i32 s21, s3, s21
	v_sub_co_u32 v2, s2, s16, s2
	s_add_i32 s23, s23, s21
	s_cmp_lg_u32 s2, 0
	s_delay_alu instid0(VALU_DEP_1) | instskip(SKIP_2) | instid1(VALU_DEP_1)
	v_sub_co_u32 v3, s2, v2, s3
	s_subb_u32 s21, s17, s23
	s_cmp_lg_u32 s2, 0
	v_cmp_le_u32_e32 vcc_lo, s3, v3
	v_sub_co_u32 v4, s2, v3, s3
	s_subb_u32 s23, s21, 0
	s_cmp_lg_u32 s2, 0
	v_cndmask_b32_e64 v5, 0, -1, vcc_lo
	s_subb_u32 s2, s23, 0
	s_cmp_eq_u32 s23, 0
	v_mov_b32_e32 v7, s2
	s_cselect_b32 vcc_lo, -1, 0
	s_cmp_eq_u32 s21, 0
	v_cndmask_b32_e32 v5, -1, v5, vcc_lo
	v_cmp_le_u32_e32 vcc_lo, s3, v2
	s_cselect_b32 s2, -1, 0
	v_cndmask_b32_e64 v6, 0, -1, vcc_lo
	s_delay_alu instid0(VALU_DEP_3) | instskip(NEXT) | instid1(VALU_DEP_2)
	v_cmp_ne_u32_e32 vcc_lo, 0, v5
	v_cndmask_b32_e64 v5, -1, v6, s2
	v_cndmask_b32_e32 v6, s23, v7, vcc_lo
	v_cndmask_b32_e32 v4, v3, v4, vcc_lo
	s_delay_alu instid0(VALU_DEP_3) | instskip(NEXT) | instid1(VALU_DEP_2)
	v_cmp_ne_u32_e32 vcc_lo, 0, v5
	v_cndmask_b32_e32 v2, v2, v4, vcc_lo
	s_delay_alu instid0(VALU_DEP_4)
	v_cndmask_b32_e32 v3, s21, v6, vcc_lo
	s_and_not1_b32 vcc_lo, exec_lo, s20
	s_cbranch_vccnz .LBB323_9
.LBB323_8:
	v_cvt_f32_u32_e32 v2, s3
	s_sub_i32 s2, 0, s3
	s_delay_alu instid0(VALU_DEP_1) | instskip(SKIP_2) | instid1(VALU_DEP_1)
	v_rcp_iflag_f32_e32 v2, v2
	s_waitcnt_depctr 0xfff
	v_mul_f32_e32 v2, 0x4f7ffffe, v2
	v_cvt_u32_f32_e32 v2, v2
	s_delay_alu instid0(VALU_DEP_1) | instskip(NEXT) | instid1(VALU_DEP_1)
	v_mul_lo_u32 v3, s2, v2
	v_mul_hi_u32 v3, v2, v3
	s_delay_alu instid0(VALU_DEP_1) | instskip(NEXT) | instid1(VALU_DEP_1)
	v_add_nc_u32_e32 v2, v2, v3
	v_mul_hi_u32 v2, s16, v2
	s_delay_alu instid0(VALU_DEP_1) | instskip(NEXT) | instid1(VALU_DEP_1)
	v_mul_lo_u32 v2, v2, s3
	v_sub_nc_u32_e32 v2, s16, v2
	s_delay_alu instid0(VALU_DEP_1) | instskip(SKIP_1) | instid1(VALU_DEP_2)
	v_subrev_nc_u32_e32 v3, s3, v2
	v_cmp_le_u32_e32 vcc_lo, s3, v2
	v_cndmask_b32_e32 v2, v2, v3, vcc_lo
	s_delay_alu instid0(VALU_DEP_1) | instskip(SKIP_1) | instid1(VALU_DEP_2)
	v_subrev_nc_u32_e32 v3, s3, v2
	v_cmp_le_u32_e32 vcc_lo, s3, v2
	v_dual_cndmask_b32 v2, v2, v3 :: v_dual_mov_b32 v3, 0
.LBB323_9:
	v_dual_mov_b32 v7, v1 :: v_dual_lshlrev_b32 v4, 4, v0
	s_delay_alu instid0(VALU_DEP_2) | instskip(NEXT) | instid1(VALU_DEP_3)
	v_sub_co_u32 v2, vcc_lo, s16, v2
	v_sub_co_ci_u32_e32 v3, vcc_lo, s17, v3, vcc_lo
	s_delay_alu instid0(VALU_DEP_3) | instskip(NEXT) | instid1(VALU_DEP_1)
	v_add_co_u32 v4, s2, s18, v4
	v_add_co_ci_u32_e64 v5, null, s19, 0, s2
	v_lshlrev_b32_e32 v10, 4, v9
	v_mov_b32_e32 v6, v0
	s_mov_b32 s3, 0
	s_set_inst_prefetch_distance 0x1
	.p2align	6
.LBB323_10:                             ; =>This Inner Loop Header: Depth=1
	global_load_b128 v[11:14], v[4:5], off
	v_add_co_u32 v6, vcc_lo, v6, v9
	v_add_co_ci_u32_e32 v7, vcc_lo, 0, v7, vcc_lo
	v_add_co_u32 v4, s2, v4, v10
	s_delay_alu instid0(VALU_DEP_1) | instskip(SKIP_3) | instid1(VALU_DEP_2)
	v_add_co_ci_u32_e64 v5, s2, 0, v5, s2
	s_waitcnt vmcnt(0)
	v_lshlrev_b32_e32 v1, 16, v11
	v_and_b32_e32 v11, 0xffff0000, v11
	v_dual_add_f32 v1, v8, v1 :: v_dual_lshlrev_b32 v8, 16, v12
	s_delay_alu instid0(VALU_DEP_1) | instskip(SKIP_1) | instid1(VALU_DEP_2)
	v_add_f32_e32 v1, v1, v11
	v_and_b32_e32 v11, 0xffff0000, v12
	v_dual_add_f32 v1, v1, v8 :: v_dual_lshlrev_b32 v8, 16, v13
	s_delay_alu instid0(VALU_DEP_1) | instskip(SKIP_1) | instid1(VALU_DEP_2)
	v_add_f32_e32 v1, v1, v11
	v_lshlrev_b64 v[11:12], 3, v[6:7]
	v_dual_add_f32 v1, v1, v8 :: v_dual_lshlrev_b32 v8, 16, v14
	s_delay_alu instid0(VALU_DEP_2) | instskip(SKIP_3) | instid1(VALU_DEP_1)
	v_cmp_ge_i64_e32 vcc_lo, v[11:12], v[2:3]
	v_and_b32_e32 v11, 0xffff0000, v14
	v_and_b32_e32 v13, 0xffff0000, v13
	s_or_b32 s3, vcc_lo, s3
	v_add_f32_e32 v1, v1, v13
	s_delay_alu instid0(VALU_DEP_1) | instskip(NEXT) | instid1(VALU_DEP_1)
	v_add_f32_e32 v1, v1, v8
	v_add_f32_e32 v8, v1, v11
	s_and_not1_b32 exec_lo, exec_lo, s3
	s_cbranch_execnz .LBB323_10
; %bb.11:
	s_set_inst_prefetch_distance 0x2
	s_or_b32 exec_lo, exec_lo, s3
	v_add_co_u32 v1, vcc_lo, v2, v0
	v_add_co_ci_u32_e32 v2, vcc_lo, 0, v3, vcc_lo
	s_mov_b32 s2, exec_lo
	s_delay_alu instid0(VALU_DEP_1)
	v_cmpx_gt_i64_e64 s[16:17], v[1:2]
	s_cbranch_execz .LBB323_15
; %bb.12:
	s_mov_b32 s3, 0
.LBB323_13:                             ; =>This Inner Loop Header: Depth=1
	v_lshlrev_b64 v[3:4], 1, v[1:2]
	s_delay_alu instid0(VALU_DEP_1) | instskip(NEXT) | instid1(VALU_DEP_2)
	v_add_co_u32 v3, vcc_lo, s18, v3
	v_add_co_ci_u32_e32 v4, vcc_lo, s19, v4, vcc_lo
	v_add_co_u32 v1, vcc_lo, v1, v9
	v_add_co_ci_u32_e32 v2, vcc_lo, 0, v2, vcc_lo
	global_load_u16 v3, v[3:4], off
	v_cmp_le_i64_e32 vcc_lo, s[16:17], v[1:2]
	s_or_b32 s3, vcc_lo, s3
	s_waitcnt vmcnt(0)
	v_lshlrev_b32_e32 v3, 16, v3
	s_delay_alu instid0(VALU_DEP_1)
	v_add_f32_e32 v8, v8, v3
	s_and_not1_b32 exec_lo, exec_lo, s3
	s_cbranch_execnz .LBB323_13
; %bb.14:
	s_or_b32 exec_lo, exec_lo, s3
.LBB323_15:
	s_delay_alu instid0(SALU_CYCLE_1)
	s_or_b32 exec_lo, exec_lo, s2
	s_branch .LBB323_31
.LBB323_16:
                                        ; implicit-def: $vgpr8
	s_cbranch_execz .LBB323_31
; %bb.17:
	s_and_b32 vcc_lo, exec_lo, s22
	s_cbranch_vccz .LBB323_41
; %bb.18:
	s_lshl_b64 s[2:3], s[28:29], 1
	v_cmp_le_u32_e32 vcc_lo, s28, v0
	s_sub_u32 s18, s12, s2
	s_subb_u32 s19, s13, s3
	s_add_i32 s3, s28, s10
	v_mov_b32_e32 v8, 0
	v_cmp_gt_i32_e64 s2, s3, v0
	s_delay_alu instid0(VALU_DEP_1) | instskip(NEXT) | instid1(SALU_CYCLE_1)
	s_and_b32 s16, vcc_lo, s2
	s_and_saveexec_b32 s2, s16
	s_cbranch_execz .LBB323_20
; %bb.19:
	v_lshlrev_b32_e32 v1, 1, v0
	global_load_u16 v1, v1, s[18:19]
	s_waitcnt vmcnt(0)
	v_lshlrev_b32_e32 v1, 16, v1
	s_delay_alu instid0(VALU_DEP_1)
	v_add_f32_e32 v8, 0, v1
.LBB323_20:
	s_or_b32 exec_lo, exec_lo, s2
	s_load_b32 s2, s[0:1], 0x2c
	s_add_u32 s16, s0, 32
	s_addc_u32 s17, s1, 0
	s_waitcnt lgkmcnt(0)
	s_and_b32 s2, s2, 0xffff
	s_delay_alu instid0(SALU_CYCLE_1) | instskip(SKIP_1) | instid1(SALU_CYCLE_1)
	v_sub_nc_u32_e64 v1, s3, s2 clamp
	s_lshl_b32 s2, s2, 1
	s_add_u32 s2, s18, s2
	s_addc_u32 s3, s19, 0
	s_delay_alu instid0(VALU_DEP_1)
	v_readfirstlane_b32 s20, v1
	s_branch .LBB323_22
.LBB323_21:
	v_mov_b32_e32 v8, 0
	s_add_u32 s16, s0, 32
	s_addc_u32 s17, s1, 0
	s_mov_b32 s20, s10
	s_mov_b64 s[2:3], s[12:13]
.LBB323_22:
	s_load_b32 s18, s[16:17], 0x0
	v_mov_b32_e32 v1, 0
	s_waitcnt lgkmcnt(0)
	s_cmp_lt_u32 s15, s18
	s_cselect_b32 s18, 12, 18
	s_delay_alu instid0(SALU_CYCLE_1) | instskip(SKIP_4) | instid1(VALU_DEP_1)
	s_add_u32 s16, s16, s18
	s_addc_u32 s17, s17, 0
	global_load_u16 v3, v1, s[16:17]
	s_waitcnt vmcnt(0)
	v_readfirstlane_b32 s16, v3
	s_lshl_b32 s16, s16, 3
	s_delay_alu instid0(SALU_CYCLE_1) | instskip(SKIP_1) | instid1(VALU_DEP_1)
	v_cvt_f32_u32_e32 v1, s16
	s_sub_i32 s18, 0, s16
	v_rcp_iflag_f32_e32 v1, v1
	s_waitcnt_depctr 0xfff
	v_mul_f32_e32 v1, 0x4f7ffffe, v1
	s_delay_alu instid0(VALU_DEP_1) | instskip(NEXT) | instid1(VALU_DEP_1)
	v_cvt_u32_f32_e32 v1, v1
	v_readfirstlane_b32 s17, v1
	v_lshlrev_b32_e32 v1, 3, v0
	s_delay_alu instid0(VALU_DEP_2) | instskip(NEXT) | instid1(SALU_CYCLE_1)
	s_mul_i32 s18, s18, s17
	s_mul_hi_u32 s18, s17, s18
	s_delay_alu instid0(SALU_CYCLE_1) | instskip(NEXT) | instid1(SALU_CYCLE_1)
	s_add_i32 s17, s17, s18
	s_mul_hi_u32 s17, s20, s17
	s_delay_alu instid0(SALU_CYCLE_1) | instskip(NEXT) | instid1(SALU_CYCLE_1)
	s_mul_i32 s17, s17, s16
	s_sub_i32 s17, s20, s17
	s_delay_alu instid0(SALU_CYCLE_1) | instskip(SKIP_2) | instid1(SALU_CYCLE_1)
	s_sub_i32 s18, s17, s16
	s_cmp_ge_u32 s17, s16
	s_cselect_b32 s17, s18, s17
	s_sub_i32 s18, s17, s16
	s_cmp_ge_u32 s17, s16
	s_cselect_b32 s16, s18, s17
	s_mov_b32 s18, 0
	s_sub_i32 s16, s20, s16
	s_mov_b32 s17, exec_lo
	v_cmpx_gt_i32_e64 s16, v1
	s_cbranch_execz .LBB323_26
; %bb.23:
	v_mov_b32_e32 v1, v0
	s_set_inst_prefetch_distance 0x1
	.p2align	6
.LBB323_24:                             ; =>This Inner Loop Header: Depth=1
	s_delay_alu instid0(VALU_DEP_1) | instskip(NEXT) | instid1(VALU_DEP_1)
	v_ashrrev_i32_e32 v2, 31, v1
	v_lshlrev_b64 v[4:5], 4, v[1:2]
	v_add_nc_u32_e32 v1, v1, v3
	s_delay_alu instid0(VALU_DEP_2) | instskip(NEXT) | instid1(VALU_DEP_3)
	v_add_co_u32 v4, vcc_lo, s2, v4
	v_add_co_ci_u32_e32 v5, vcc_lo, s3, v5, vcc_lo
	global_load_b128 v[4:7], v[4:5], off
	s_waitcnt vmcnt(0)
	v_lshlrev_b32_e32 v2, 16, v4
	v_and_b32_e32 v4, 0xffff0000, v4
	s_delay_alu instid0(VALU_DEP_2) | instskip(SKIP_1) | instid1(VALU_DEP_2)
	v_add_f32_e32 v2, v8, v2
	v_lshlrev_b32_e32 v8, 16, v5
	v_add_f32_e32 v2, v2, v4
	v_and_b32_e32 v4, 0xffff0000, v5
	s_delay_alu instid0(VALU_DEP_2) | instskip(NEXT) | instid1(VALU_DEP_1)
	v_dual_add_f32 v2, v2, v8 :: v_dual_lshlrev_b32 v5, 16, v6
	v_add_f32_e32 v2, v2, v4
	v_and_b32_e32 v4, 0xffff0000, v6
	v_and_b32_e32 v6, 0xffff0000, v7
	s_delay_alu instid0(VALU_DEP_3) | instskip(NEXT) | instid1(VALU_DEP_1)
	v_dual_add_f32 v2, v2, v5 :: v_dual_lshlrev_b32 v5, 16, v7
	v_add_f32_e32 v2, v2, v4
	v_lshlrev_b32_e32 v4, 3, v1
	s_delay_alu instid0(VALU_DEP_2) | instskip(NEXT) | instid1(VALU_DEP_2)
	v_add_f32_e32 v2, v2, v5
	v_cmp_le_i32_e32 vcc_lo, s16, v4
	s_delay_alu instid0(VALU_DEP_2) | instskip(SKIP_1) | instid1(SALU_CYCLE_1)
	v_add_f32_e32 v8, v2, v6
	s_or_b32 s18, vcc_lo, s18
	s_and_not1_b32 exec_lo, exec_lo, s18
	s_cbranch_execnz .LBB323_24
; %bb.25:
	s_set_inst_prefetch_distance 0x2
	s_or_b32 exec_lo, exec_lo, s18
.LBB323_26:
	s_delay_alu instid0(SALU_CYCLE_1) | instskip(SKIP_2) | instid1(VALU_DEP_1)
	s_or_b32 exec_lo, exec_lo, s17
	v_add_nc_u32_e32 v1, s16, v0
	s_mov_b32 s16, exec_lo
	v_cmpx_gt_i32_e64 s20, v1
	s_cbranch_execz .LBB323_30
; %bb.27:
	s_mov_b32 s17, 0
.LBB323_28:                             ; =>This Inner Loop Header: Depth=1
	v_ashrrev_i32_e32 v2, 31, v1
	s_delay_alu instid0(VALU_DEP_1) | instskip(NEXT) | instid1(VALU_DEP_1)
	v_lshlrev_b64 v[4:5], 1, v[1:2]
	v_add_co_u32 v4, vcc_lo, s2, v4
	s_delay_alu instid0(VALU_DEP_2) | instskip(SKIP_3) | instid1(VALU_DEP_1)
	v_add_co_ci_u32_e32 v5, vcc_lo, s3, v5, vcc_lo
	global_load_u16 v2, v[4:5], off
	s_waitcnt vmcnt(0)
	v_lshlrev_b32_e32 v2, 16, v2
	v_dual_add_f32 v8, v8, v2 :: v_dual_add_nc_u32 v1, v1, v3
	s_delay_alu instid0(VALU_DEP_1) | instskip(SKIP_1) | instid1(SALU_CYCLE_1)
	v_cmp_le_i32_e32 vcc_lo, s20, v1
	s_or_b32 s17, vcc_lo, s17
	s_and_not1_b32 exec_lo, exec_lo, s17
	s_cbranch_execnz .LBB323_28
; %bb.29:
	s_or_b32 exec_lo, exec_lo, s17
.LBB323_30:
	s_delay_alu instid0(SALU_CYCLE_1)
	s_or_b32 exec_lo, exec_lo, s16
.LBB323_31:
	v_lshl_add_u32 v1, v0, 2, 0
	s_barrier
	buffer_gl0_inv
	s_add_u32 s20, s0, 32
	ds_store_b32 v1, v8
	s_waitcnt lgkmcnt(0)
	s_barrier
	buffer_gl0_inv
	s_load_b32 s2, s[0:1], 0x2c
	s_addc_u32 s21, s1, 0
	s_waitcnt lgkmcnt(0)
	s_bfe_u32 s0, s2, 0xb0005
	s_delay_alu instid0(SALU_CYCLE_1) | instskip(NEXT) | instid1(SALU_CYCLE_1)
	s_min_u32 s1, s0, 32
	v_cmp_gt_u32_e32 vcc_lo, s1, v0
	s_and_saveexec_b32 s1, vcc_lo
	s_cbranch_execz .LBB323_33
; %bb.32:
	v_mad_u32_u24 v10, 0x7c, v0, v1
	ds_load_2addr_b32 v[2:3], v10 offset1:1
	ds_load_2addr_b32 v[4:5], v10 offset0:2 offset1:3
	ds_load_2addr_b32 v[6:7], v10 offset0:4 offset1:5
	;; [unrolled: 1-line block ×3, first 2 shown]
	s_waitcnt lgkmcnt(3)
	v_add_f32_e32 v2, 0, v2
	s_delay_alu instid0(VALU_DEP_1) | instskip(SKIP_1) | instid1(VALU_DEP_1)
	v_add_f32_e32 v2, v2, v3
	s_waitcnt lgkmcnt(2)
	v_add_f32_e32 v2, v2, v4
	s_delay_alu instid0(VALU_DEP_1) | instskip(SKIP_1) | instid1(VALU_DEP_1)
	v_add_f32_e32 v2, v2, v5
	s_waitcnt lgkmcnt(1)
	v_add_f32_e32 v4, v2, v6
	ds_load_2addr_b32 v[2:3], v10 offset0:8 offset1:9
	v_add_f32_e32 v4, v4, v7
	s_waitcnt lgkmcnt(1)
	s_delay_alu instid0(VALU_DEP_1)
	v_add_f32_e32 v6, v4, v8
	ds_load_2addr_b32 v[4:5], v10 offset0:10 offset1:11
	v_add_f32_e32 v11, v6, v9
	ds_load_2addr_b32 v[6:7], v10 offset0:12 offset1:13
	ds_load_2addr_b32 v[8:9], v10 offset0:14 offset1:15
	s_waitcnt lgkmcnt(3)
	v_add_f32_e32 v2, v11, v2
	s_delay_alu instid0(VALU_DEP_1) | instskip(SKIP_1) | instid1(VALU_DEP_1)
	v_add_f32_e32 v2, v2, v3
	s_waitcnt lgkmcnt(2)
	v_add_f32_e32 v2, v2, v4
	s_delay_alu instid0(VALU_DEP_1) | instskip(SKIP_1) | instid1(VALU_DEP_1)
	v_add_f32_e32 v2, v2, v5
	s_waitcnt lgkmcnt(1)
	v_add_f32_e32 v4, v2, v6
	ds_load_2addr_b32 v[2:3], v10 offset0:16 offset1:17
	v_add_f32_e32 v4, v4, v7
	s_waitcnt lgkmcnt(1)
	s_delay_alu instid0(VALU_DEP_1)
	v_add_f32_e32 v6, v4, v8
	ds_load_2addr_b32 v[4:5], v10 offset0:18 offset1:19
	v_add_f32_e32 v11, v6, v9
	ds_load_2addr_b32 v[6:7], v10 offset0:20 offset1:21
	ds_load_2addr_b32 v[8:9], v10 offset0:22 offset1:23
	;; [unrolled: 19-line block ×3, first 2 shown]
	s_waitcnt lgkmcnt(3)
	v_add_f32_e32 v2, v11, v2
	s_delay_alu instid0(VALU_DEP_1) | instskip(SKIP_1) | instid1(VALU_DEP_1)
	v_add_f32_e32 v2, v2, v3
	s_waitcnt lgkmcnt(2)
	v_add_f32_e32 v2, v2, v4
	s_delay_alu instid0(VALU_DEP_1) | instskip(SKIP_1) | instid1(VALU_DEP_1)
	v_add_f32_e32 v2, v2, v5
	;; [unrolled: 4-line block ×3, first 2 shown]
	s_waitcnt lgkmcnt(0)
	v_add_f32_e32 v2, v2, v8
	s_delay_alu instid0(VALU_DEP_1)
	v_add_f32_e32 v2, v2, v9
	ds_store_b32 v1, v2
.LBB323_33:
	s_or_b32 exec_lo, exec_lo, s1
	s_and_b32 s22, s2, 0xffff
	s_mov_b32 s1, exec_lo
	s_waitcnt lgkmcnt(0)
	s_barrier
	buffer_gl0_inv
	v_cmpx_eq_u32_e32 0, v0
	s_cbranch_execz .LBB323_46
; %bb.34:
	v_mov_b32_e32 v1, 0
	s_cmp_lt_u32 s22, 32
	s_cbranch_scc1 .LBB323_45
; %bb.35:
	v_mov_b32_e32 v1, 0
	s_add_i32 s2, s0, -1
	s_delay_alu instid0(SALU_CYCLE_1)
	s_cmp_lt_u32 s2, 7
	s_cbranch_scc1 .LBB323_42
; %bb.36:
	s_and_b32 s2, s0, 0x7f8
	s_mov_b32 s3, 0
	s_mov_b32 s16, 0
	.p2align	6
.LBB323_37:                             ; =>This Inner Loop Header: Depth=1
	s_delay_alu instid0(SALU_CYCLE_1)
	v_mov_b32_e32 v8, s16
	s_add_i32 s3, s3, 8
	s_add_i32 s16, s16, 32
	s_cmp_eq_u32 s2, s3
	ds_load_2addr_b32 v[2:3], v8 offset1:1
	ds_load_2addr_b32 v[4:5], v8 offset0:2 offset1:3
	ds_load_2addr_b32 v[6:7], v8 offset0:4 offset1:5
	;; [unrolled: 1-line block ×3, first 2 shown]
	s_waitcnt lgkmcnt(3)
	v_add_f32_e32 v1, v1, v2
	s_delay_alu instid0(VALU_DEP_1) | instskip(SKIP_1) | instid1(VALU_DEP_1)
	v_add_f32_e32 v1, v1, v3
	s_waitcnt lgkmcnt(2)
	v_add_f32_e32 v1, v1, v4
	s_delay_alu instid0(VALU_DEP_1) | instskip(SKIP_1) | instid1(VALU_DEP_1)
	v_add_f32_e32 v1, v1, v5
	;; [unrolled: 4-line block ×3, first 2 shown]
	s_waitcnt lgkmcnt(0)
	v_add_f32_e32 v1, v1, v8
	s_delay_alu instid0(VALU_DEP_1)
	v_add_f32_e32 v1, v1, v9
	s_cbranch_scc0 .LBB323_37
; %bb.38:
	s_and_b32 s0, s0, 7
	s_delay_alu instid0(SALU_CYCLE_1)
	s_cmp_eq_u32 s0, 0
	s_cbranch_scc0 .LBB323_43
	s_branch .LBB323_45
.LBB323_39:
                                        ; implicit-def: $sgpr18_sgpr19
                                        ; implicit-def: $sgpr16_sgpr17
                                        ; implicit-def: $vgpr8
                                        ; implicit-def: $sgpr2_sgpr3
	s_cbranch_execnz .LBB323_5
	s_branch .LBB323_6
.LBB323_40:
                                        ; implicit-def: $vgpr2_vgpr3
	s_branch .LBB323_8
.LBB323_41:
                                        ; implicit-def: $sgpr2_sgpr3
                                        ; implicit-def: $sgpr20
                                        ; implicit-def: $vgpr8
                                        ; implicit-def: $sgpr16_sgpr17
	s_cbranch_execnz .LBB323_21
	s_branch .LBB323_22
.LBB323_42:
	s_mov_b32 s2, 0
	s_and_b32 s0, s0, 7
	s_delay_alu instid0(SALU_CYCLE_1)
	s_cmp_eq_u32 s0, 0
	s_cbranch_scc1 .LBB323_45
.LBB323_43:
	s_lshl_b32 s2, s2, 2
	s_delay_alu instid0(SALU_CYCLE_1)
	s_add_i32 s2, s2, 0
.LBB323_44:                             ; =>This Inner Loop Header: Depth=1
	s_delay_alu instid0(SALU_CYCLE_1)
	v_mov_b32_e32 v2, s2
	s_add_i32 s0, s0, -1
	s_add_i32 s2, s2, 4
	s_cmp_lg_u32 s0, 0
	ds_load_b32 v2, v2
	s_waitcnt lgkmcnt(0)
	v_add_f32_e32 v1, v1, v2
	s_cbranch_scc1 .LBB323_44
.LBB323_45:
	v_mov_b32_e32 v2, 0
	ds_store_b32 v2, v1
.LBB323_46:
	s_or_b32 exec_lo, exec_lo, s1
	v_mov_b32_e32 v1, 0
	s_waitcnt lgkmcnt(0)
	s_barrier
	buffer_gl0_inv
	s_add_u32 s16, s4, s26
	ds_load_b32 v8, v1
	s_addc_u32 s17, s5, s27
	s_add_u32 s18, s6, s26
	s_mov_b32 s25, 0
	s_addc_u32 s19, s7, s27
	s_bfe_u32 s24, s16, 0x30001
	s_bfe_u32 s0, s18, 0x30001
	s_mov_b32 s1, s25
	s_delay_alu instid0(SALU_CYCLE_1) | instskip(SKIP_3) | instid1(SALU_CYCLE_1)
	s_cmp_eq_u64 s[24:25], s[0:1]
	s_cselect_b32 s0, -1, 0
	s_cmp_eq_u64 s[24:25], s[28:29]
	s_cselect_b32 s1, -1, 0
	s_and_b32 s0, s0, s1
	s_delay_alu instid0(SALU_CYCLE_1)
	s_and_not1_b32 vcc_lo, exec_lo, s0
	s_mov_b32 s0, -1
	s_cbranch_vccz .LBB323_65
; %bb.47:
	s_and_b32 vcc_lo, exec_lo, s14
	s_cbranch_vccz .LBB323_56
; %bb.48:
	s_lshl_b32 s23, s22, 3
	s_mov_b32 s31, 0
	v_cvt_f32_u32_e32 v1, s23
	s_sub_i32 s1, 0, s23
	s_mov_b32 s30, exec_lo
	s_delay_alu instid0(VALU_DEP_1) | instskip(SKIP_2) | instid1(VALU_DEP_1)
	v_rcp_iflag_f32_e32 v1, v1
	s_waitcnt_depctr 0xfff
	v_mul_f32_e32 v1, 0x4f7ffffe, v1
	v_cvt_u32_f32_e32 v1, v1
	s_delay_alu instid0(VALU_DEP_1) | instskip(SKIP_1) | instid1(VALU_DEP_2)
	v_readfirstlane_b32 s0, v1
	v_mov_b32_e32 v1, 0
	s_mul_i32 s1, s1, s0
	s_delay_alu instid0(VALU_DEP_1) | instskip(SKIP_1) | instid1(SALU_CYCLE_1)
	v_dual_mov_b32 v3, v1 :: v_dual_mov_b32 v2, v0
	s_mul_hi_u32 s1, s0, s1
	s_add_i32 s0, s0, s1
	s_delay_alu instid0(SALU_CYCLE_1) | instskip(NEXT) | instid1(SALU_CYCLE_1)
	s_mul_hi_u32 s0, s10, s0
	s_mul_i32 s0, s0, s23
	s_delay_alu instid0(SALU_CYCLE_1) | instskip(NEXT) | instid1(SALU_CYCLE_1)
	s_sub_i32 s0, s10, s0
	s_sub_i32 s1, s0, s23
	s_cmp_ge_u32 s0, s23
	s_cselect_b32 s0, s1, s0
	s_delay_alu instid0(SALU_CYCLE_1) | instskip(SKIP_3) | instid1(SALU_CYCLE_1)
	s_sub_i32 s1, s0, s23
	s_cmp_ge_u32 s0, s23
	s_cselect_b32 s0, s1, s0
	s_bfe_i64 s[2:3], s[10:11], 0x200000
	s_sub_u32 s28, s2, s0
	s_subb_u32 s29, s3, 0
	s_delay_alu instid0(SALU_CYCLE_1)
	v_cmpx_gt_i64_e64 s[28:29], v[0:1]
	s_cbranch_execz .LBB323_52
; %bb.49:
	v_lshlrev_b64 v[2:3], 1, v[0:1]
	s_lshl_b32 s33, s22, 1
	s_lshl_b32 s34, s22, 4
	s_delay_alu instid0(VALU_DEP_1) | instskip(NEXT) | instid1(VALU_DEP_2)
	v_add_co_u32 v4, vcc_lo, s26, v2
	v_add_co_ci_u32_e32 v5, vcc_lo, s27, v3, vcc_lo
	v_dual_mov_b32 v3, v1 :: v_dual_mov_b32 v2, v0
.LBB323_50:                             ; =>This Inner Loop Header: Depth=1
	s_delay_alu instid0(VALU_DEP_3) | instskip(NEXT) | instid1(VALU_DEP_3)
	v_add_co_u32 v6, vcc_lo, s6, v4
	v_add_co_ci_u32_e32 v7, vcc_lo, s7, v5, vcc_lo
	v_add_co_u32 v9, vcc_lo, s8, v4
	v_add_co_ci_u32_e32 v10, vcc_lo, s9, v5, vcc_lo
	s_delay_alu instid0(VALU_DEP_4)
	v_add_co_u32 v11, vcc_lo, v6, s33
	global_load_u16 v1, v[6:7], off
	global_load_u16 v23, v[9:10], off
	v_add_co_ci_u32_e32 v12, vcc_lo, 0, v7, vcc_lo
	v_add_co_u32 v13, vcc_lo, v9, s33
	v_add_co_ci_u32_e32 v14, vcc_lo, 0, v10, vcc_lo
	v_add_co_u32 v6, vcc_lo, v11, s33
	s_delay_alu instid0(VALU_DEP_4) | instskip(NEXT) | instid1(VALU_DEP_4)
	v_add_co_ci_u32_e32 v7, vcc_lo, 0, v12, vcc_lo
	v_add_co_u32 v9, vcc_lo, v13, s33
	s_delay_alu instid0(VALU_DEP_4)
	v_add_co_ci_u32_e32 v10, vcc_lo, 0, v14, vcc_lo
	global_load_u16 v24, v[11:12], off
	global_load_u16 v25, v[13:14], off
	v_add_co_u32 v11, vcc_lo, v6, s33
	v_add_co_ci_u32_e32 v12, vcc_lo, 0, v7, vcc_lo
	v_add_co_u32 v13, vcc_lo, v9, s33
	global_load_u16 v26, v[6:7], off
	global_load_u16 v27, v[9:10], off
	v_add_co_ci_u32_e32 v14, vcc_lo, 0, v10, vcc_lo
	v_add_co_u32 v6, vcc_lo, v11, s33
	global_load_u16 v28, v[11:12], off
	global_load_u16 v29, v[13:14], off
	v_add_co_ci_u32_e32 v7, vcc_lo, 0, v12, vcc_lo
	v_add_co_u32 v9, vcc_lo, v13, s33
	v_add_co_ci_u32_e32 v10, vcc_lo, 0, v14, vcc_lo
	v_add_co_u32 v11, vcc_lo, v6, s33
	s_delay_alu instid0(VALU_DEP_4)
	v_add_co_ci_u32_e32 v12, vcc_lo, 0, v7, vcc_lo
	global_load_u16 v30, v[6:7], off
	global_load_u16 v31, v[9:10], off
	v_add_co_u32 v6, vcc_lo, v9, s33
	v_add_co_ci_u32_e32 v7, vcc_lo, 0, v10, vcc_lo
	v_add_co_u32 v9, vcc_lo, v11, s33
	v_add_co_ci_u32_e32 v10, vcc_lo, 0, v12, vcc_lo
	global_load_u16 v32, v[11:12], off
	global_load_u16 v33, v[6:7], off
	v_add_co_u32 v6, vcc_lo, v6, s33
	v_add_co_ci_u32_e32 v7, vcc_lo, 0, v7, vcc_lo
	global_load_u16 v34, v[9:10], off
	global_load_u16 v35, v[6:7], off
	v_add_co_u32 v9, vcc_lo, v9, s33
	v_add_co_ci_u32_e32 v10, vcc_lo, 0, v10, vcc_lo
	v_add_co_u32 v6, vcc_lo, v6, s33
	v_add_co_ci_u32_e32 v7, vcc_lo, 0, v7, vcc_lo
	global_load_u16 v36, v[9:10], off
	global_load_u16 v37, v[6:7], off
	v_add_co_u32 v6, vcc_lo, s4, v4
	v_add_co_ci_u32_e32 v7, vcc_lo, s5, v5, vcc_lo
	v_add_co_u32 v2, vcc_lo, v2, s23
	v_add_co_ci_u32_e32 v3, vcc_lo, 0, v3, vcc_lo
	;; [unrolled: 2-line block ×4, first 2 shown]
	v_cmp_le_i64_e32 vcc_lo, s[28:29], v[2:3]
	s_delay_alu instid0(VALU_DEP_3) | instskip(NEXT) | instid1(VALU_DEP_1)
	v_add_co_u32 v11, s0, v9, s33
	v_add_co_ci_u32_e64 v12, s0, 0, v10, s0
	s_or_b32 s31, vcc_lo, s31
	s_delay_alu instid0(VALU_DEP_2) | instskip(NEXT) | instid1(VALU_DEP_2)
	v_add_co_u32 v13, vcc_lo, v11, s33
	v_add_co_ci_u32_e32 v14, vcc_lo, 0, v12, vcc_lo
	s_delay_alu instid0(VALU_DEP_2) | instskip(NEXT) | instid1(VALU_DEP_2)
	v_add_co_u32 v15, vcc_lo, v13, s33
	v_add_co_ci_u32_e32 v16, vcc_lo, 0, v14, vcc_lo
	;; [unrolled: 3-line block ×5, first 2 shown]
	s_waitcnt vmcnt(15)
	v_lshlrev_b32_e32 v1, 16, v1
	s_waitcnt vmcnt(14)
	s_delay_alu instid0(VALU_DEP_1) | instskip(NEXT) | instid1(VALU_DEP_1)
	v_dual_mul_f32 v38, 0x3fb8aa3b, v1 :: v_dual_lshlrev_b32 v23, 16, v23
	v_rndne_f32_e32 v40, v38
	v_fma_f32 v39, 0x3fb8aa3b, v1, -v38
	s_delay_alu instid0(VALU_DEP_2) | instskip(SKIP_1) | instid1(VALU_DEP_2)
	v_sub_f32_e32 v38, v38, v40
	s_waitcnt vmcnt(13)
	v_dual_fmac_f32 v39, 0x32a5705f, v1 :: v_dual_lshlrev_b32 v24, 16, v24
	v_cvt_i32_f32_e32 v40, v40
	v_cmp_ngt_f32_e32 vcc_lo, 0xc2ce8ed0, v1
	v_cmp_nlt_f32_e64 s0, 0x42b17218, v1
	s_waitcnt vmcnt(11)
	v_dual_mul_f32 v41, 0x3fb8aa3b, v24 :: v_dual_lshlrev_b32 v26, 16, v26
	v_dual_add_f32 v38, v38, v39 :: v_dual_lshlrev_b32 v25, 16, v25
	s_delay_alu instid0(VALU_DEP_2) | instskip(NEXT) | instid1(VALU_DEP_3)
	v_fma_f32 v42, 0x3fb8aa3b, v24, -v41
	v_mul_f32_e32 v44, 0x3fb8aa3b, v26
	v_rndne_f32_e32 v43, v41
	s_waitcnt vmcnt(9)
	v_lshlrev_b32_e32 v28, 16, v28
	v_dual_fmac_f32 v42, 0x32a5705f, v24 :: v_dual_lshlrev_b32 v27, 16, v27
	s_waitcnt vmcnt(8)
	v_lshlrev_b32_e32 v29, 16, v29
	v_sub_f32_e32 v39, v41, v43
	v_rndne_f32_e32 v45, v44
	v_mul_f32_e32 v46, 0x3fb8aa3b, v28
	v_cvt_i32_f32_e32 v41, v43
	v_fma_f32 v43, 0x3fb8aa3b, v26, -v44
	s_delay_alu instid0(VALU_DEP_4)
	v_dual_add_f32 v39, v39, v42 :: v_dual_sub_f32 v42, v44, v45
	s_waitcnt vmcnt(6)
	v_lshlrev_b32_e32 v31, 16, v31
	v_cvt_i32_f32_e32 v44, v45
	v_fma_f32 v45, 0x3fb8aa3b, v28, -v46
	v_lshlrev_b32_e32 v30, 16, v30
	v_exp_f32_e32 v38, v38
	v_fmac_f32_e32 v43, 0x32a5705f, v26
	v_rndne_f32_e32 v47, v46
	s_waitcnt vmcnt(5)
	v_lshlrev_b32_e32 v32, 16, v32
	v_fmac_f32_e32 v45, 0x32a5705f, v28
	s_waitcnt vmcnt(4)
	v_dual_mul_f32 v48, 0x3fb8aa3b, v30 :: v_dual_lshlrev_b32 v33, 16, v33
	v_exp_f32_e32 v39, v39
	v_add_f32_e32 v42, v42, v43
	v_dual_sub_f32 v43, v46, v47 :: v_dual_mul_f32 v50, 0x3fb8aa3b, v32
	v_cvt_i32_f32_e32 v46, v47
	v_fma_f32 v47, 0x3fb8aa3b, v30, -v48
	v_rndne_f32_e32 v49, v48
	s_waitcnt vmcnt(3)
	v_lshlrev_b32_e32 v34, 16, v34
	s_waitcnt vmcnt(2)
	v_lshlrev_b32_e32 v35, 16, v35
	v_ldexp_f32 v38, v38, v40
	v_fmac_f32_e32 v47, 0x32a5705f, v30
	v_exp_f32_e32 v40, v42
	v_add_f32_e32 v42, v43, v45
	v_sub_f32_e32 v43, v48, v49
	v_cvt_i32_f32_e32 v45, v49
	v_rndne_f32_e32 v49, v50
	s_waitcnt vmcnt(1)
	v_dual_mul_f32 v51, 0x3fb8aa3b, v34 :: v_dual_lshlrev_b32 v36, 16, v36
	v_fma_f32 v48, 0x3fb8aa3b, v32, -v50
	s_waitcnt vmcnt(0)
	v_dual_cndmask_b32 v38, 0, v38 :: v_dual_lshlrev_b32 v37, 16, v37
	v_ldexp_f32 v39, v39, v41
	v_cmp_ngt_f32_e32 vcc_lo, 0xc2ce8ed0, v24
	v_exp_f32_e32 v41, v42
	v_dual_add_f32 v42, v43, v47 :: v_dual_sub_f32 v43, v50, v49
	v_cvt_i32_f32_e32 v47, v49
	v_fma_f32 v49, 0x3fb8aa3b, v34, -v51
	v_fmac_f32_e32 v48, 0x32a5705f, v32
	v_rndne_f32_e32 v50, v51
	v_mul_f32_e32 v52, 0x3fb8aa3b, v36
	v_cndmask_b32_e64 v1, 0x7f800000, v38, s0
	v_dual_fmac_f32 v49, 0x32a5705f, v34 :: v_dual_cndmask_b32 v38, 0, v39
	v_ldexp_f32 v39, v40, v44
	v_cmp_ngt_f32_e32 vcc_lo, 0xc2ce8ed0, v26
	v_exp_f32_e32 v40, v42
	v_cmp_nlt_f32_e64 s0, 0x42b17218, v24
	v_cvt_i32_f32_e32 v44, v50
	s_waitcnt lgkmcnt(0)
	v_fma_f32 v1, -v8, v1, v23
	v_cndmask_b32_e32 v24, 0, v39, vcc_lo
	v_cmp_ngt_f32_e32 vcc_lo, 0xc2ce8ed0, v28
	v_cndmask_b32_e64 v23, 0x7f800000, v38, s0
	v_ldexp_f32 v38, v41, v46
	v_add_f32_e32 v42, v43, v48
	v_sub_f32_e32 v43, v51, v50
	v_fma_f32 v48, 0x3fb8aa3b, v36, -v52
	v_rndne_f32_e32 v50, v52
	v_cmp_nlt_f32_e64 s0, 0x42b17218, v26
	v_fma_f32 v23, -v8, v23, v25
	v_cndmask_b32_e32 v25, 0, v38, vcc_lo
	v_exp_f32_e32 v39, v42
	v_dual_add_f32 v41, v43, v49 :: v_dual_sub_f32 v42, v52, v50
	v_ldexp_f32 v38, v40, v45
	v_cmp_ngt_f32_e32 vcc_lo, 0xc2ce8ed0, v30
	v_fmac_f32_e32 v48, 0x32a5705f, v36
	v_bfe_u32 v26, v1, 16, 1
	v_exp_f32_e32 v40, v41
	v_cvt_i32_f32_e32 v43, v50
	v_cmp_o_f32_e64 s1, v1, v1
	v_add_f32_e32 v41, v42, v48
	v_cndmask_b32_e64 v24, 0x7f800000, v24, s0
	v_cmp_nlt_f32_e64 s0, 0x42b17218, v28
	v_add3_u32 v26, v1, v26, 0x7fff
	v_bfe_u32 v28, v23, 16, 1
	s_delay_alu instid0(VALU_DEP_4)
	v_fma_f32 v24, -v8, v24, v27
	v_cndmask_b32_e32 v27, 0, v38, vcc_lo
	v_cndmask_b32_e64 v25, 0x7f800000, v25, s0
	v_ldexp_f32 v38, v39, v47
	v_cmp_ngt_f32_e32 vcc_lo, 0xc2ce8ed0, v32
	v_exp_f32_e32 v39, v41
	v_cmp_nlt_f32_e64 s0, 0x42b17218, v30
	v_lshrrev_b32_e32 v26, 16, v26
	v_add3_u32 v28, v23, v28, 0x7fff
	v_bfe_u32 v30, v24, 16, 1
	v_fma_f32 v25, -v8, v25, v29
	v_cndmask_b32_e64 v27, 0x7f800000, v27, s0
	v_cndmask_b32_e32 v29, 0, v38, vcc_lo
	v_cmp_nlt_f32_e32 vcc_lo, 0x42b17218, v32
	v_ldexp_f32 v32, v40, v44
	v_cmp_ngt_f32_e64 s0, 0xc2ce8ed0, v34
	v_cndmask_b32_e64 v1, 0x7fc0, v26, s1
	v_lshrrev_b32_e32 v26, 16, v28
	v_add3_u32 v28, v24, v30, 0x7fff
	v_bfe_u32 v30, v25, 16, 1
	v_fma_f32 v27, -v8, v27, v31
	v_cndmask_b32_e32 v29, 0x7f800000, v29, vcc_lo
	v_cndmask_b32_e64 v31, 0, v32, s0
	v_cmp_nlt_f32_e32 vcc_lo, 0x42b17218, v34
	v_ldexp_f32 v32, v39, v43
	v_cmp_ngt_f32_e64 s0, 0xc2ce8ed0, v36
	v_cmp_o_f32_e64 s1, v23, v23
	global_store_b16 v[6:7], v1, off
	v_lshrrev_b32_e32 v6, 16, v28
	v_add3_u32 v7, v25, v30, 0x7fff
	v_bfe_u32 v23, v27, 16, 1
	v_cndmask_b32_e64 v1, 0x7fc0, v26, s1
	v_fma_f32 v26, -v8, v29, v33
	v_cndmask_b32_e32 v28, 0x7f800000, v31, vcc_lo
	v_cndmask_b32_e64 v29, 0, v32, s0
	v_cmp_nlt_f32_e32 vcc_lo, 0x42b17218, v36
	v_cmp_o_f32_e64 s0, v24, v24
	global_store_b16 v[9:10], v1, off
	v_add3_u32 v9, v27, v23, 0x7fff
	v_bfe_u32 v10, v26, 16, 1
	v_fma_f32 v23, -v8, v28, v35
	v_cndmask_b32_e64 v1, 0x7fc0, v6, s0
	v_lshrrev_b32_e32 v6, 16, v7
	v_cndmask_b32_e32 v7, 0x7f800000, v29, vcc_lo
	v_cmp_o_f32_e32 vcc_lo, v25, v25
	v_lshrrev_b32_e32 v9, 16, v9
	global_store_b16 v[11:12], v1, off
	v_add3_u32 v10, v26, v10, 0x7fff
	v_fma_f32 v7, -v8, v7, v37
	v_cndmask_b32_e32 v1, 0x7fc0, v6, vcc_lo
	v_bfe_u32 v6, v23, 16, 1
	v_cmp_o_f32_e32 vcc_lo, v27, v27
	v_lshrrev_b32_e32 v10, 16, v10
	v_bfe_u32 v11, v7, 16, 1
	s_delay_alu instid0(VALU_DEP_4) | instskip(SKIP_2) | instid1(VALU_DEP_4)
	v_add3_u32 v6, v23, v6, 0x7fff
	v_cndmask_b32_e32 v9, 0x7fc0, v9, vcc_lo
	v_cmp_o_f32_e32 vcc_lo, v26, v26
	v_add3_u32 v11, v7, v11, 0x7fff
	s_delay_alu instid0(VALU_DEP_4) | instskip(SKIP_2) | instid1(VALU_DEP_4)
	v_lshrrev_b32_e32 v6, 16, v6
	v_cndmask_b32_e32 v10, 0x7fc0, v10, vcc_lo
	v_cmp_o_f32_e32 vcc_lo, v23, v23
	v_lshrrev_b32_e32 v11, 16, v11
	s_delay_alu instid0(VALU_DEP_4) | instskip(SKIP_1) | instid1(VALU_DEP_3)
	v_cndmask_b32_e32 v6, 0x7fc0, v6, vcc_lo
	v_cmp_o_f32_e32 vcc_lo, v7, v7
	v_cndmask_b32_e32 v7, 0x7fc0, v11, vcc_lo
	s_clause 0x2
	global_store_b16 v[13:14], v1, off
	global_store_b16 v[15:16], v9, off
	;; [unrolled: 1-line block ×5, first 2 shown]
	s_and_not1_b32 exec_lo, exec_lo, s31
	s_cbranch_execnz .LBB323_50
; %bb.51:
	s_or_b32 exec_lo, exec_lo, s31
.LBB323_52:
	s_delay_alu instid0(SALU_CYCLE_1) | instskip(NEXT) | instid1(SALU_CYCLE_1)
	s_or_b32 exec_lo, exec_lo, s30
	s_mov_b32 s23, exec_lo
	v_cmpx_gt_i64_e64 s[2:3], v[2:3]
	s_cbranch_execz .LBB323_55
; %bb.53:
	v_lshlrev_b64 v[4:5], 1, v[2:3]
	s_delay_alu instid0(VALU_DEP_1) | instskip(NEXT) | instid1(VALU_DEP_2)
	v_add_co_u32 v1, vcc_lo, s26, v4
	v_add_co_ci_u32_e32 v4, vcc_lo, s27, v5, vcc_lo
	s_mov_b32 s26, 0
	s_lshl_b32 s27, s22, 1
.LBB323_54:                             ; =>This Inner Loop Header: Depth=1
	s_delay_alu instid0(VALU_DEP_2) | instskip(NEXT) | instid1(VALU_DEP_2)
	v_add_co_u32 v5, vcc_lo, s6, v1
	v_add_co_ci_u32_e32 v6, vcc_lo, s7, v4, vcc_lo
	global_load_u16 v7, v[5:6], off
	v_add_co_u32 v5, vcc_lo, s8, v1
	v_add_co_ci_u32_e32 v6, vcc_lo, s9, v4, vcc_lo
	global_load_u16 v5, v[5:6], off
	s_waitcnt vmcnt(1)
	v_lshlrev_b32_e32 v6, 16, v7
	s_delay_alu instid0(VALU_DEP_1) | instskip(NEXT) | instid1(VALU_DEP_1)
	v_mul_f32_e32 v7, 0x3fb8aa3b, v6
	v_fma_f32 v9, 0x3fb8aa3b, v6, -v7
	v_rndne_f32_e32 v10, v7
	s_delay_alu instid0(VALU_DEP_1) | instskip(NEXT) | instid1(VALU_DEP_3)
	v_sub_f32_e32 v7, v7, v10
	v_fmac_f32_e32 v9, 0x32a5705f, v6
	v_cmp_ngt_f32_e32 vcc_lo, 0xc2ce8ed0, v6
	s_delay_alu instid0(VALU_DEP_2) | instskip(SKIP_1) | instid1(VALU_DEP_2)
	v_add_f32_e32 v7, v7, v9
	v_cvt_i32_f32_e32 v9, v10
	v_exp_f32_e32 v7, v7
	s_waitcnt_depctr 0xfff
	v_ldexp_f32 v7, v7, v9
	s_delay_alu instid0(VALU_DEP_1) | instskip(SKIP_2) | instid1(VALU_DEP_2)
	v_cndmask_b32_e32 v7, 0, v7, vcc_lo
	v_cmp_nlt_f32_e32 vcc_lo, 0x42b17218, v6
	s_waitcnt vmcnt(0)
	v_dual_cndmask_b32 v6, 0x7f800000, v7 :: v_dual_lshlrev_b32 v5, 16, v5
	v_add_co_u32 v2, vcc_lo, v2, s22
	v_add_co_ci_u32_e32 v3, vcc_lo, 0, v3, vcc_lo
	s_waitcnt lgkmcnt(0)
	s_delay_alu instid0(VALU_DEP_3) | instskip(NEXT) | instid1(VALU_DEP_2)
	v_fma_f32 v7, -v8, v6, v5
	v_cmp_le_i64_e64 s0, s[2:3], v[2:3]
	s_delay_alu instid0(VALU_DEP_2) | instskip(SKIP_1) | instid1(VALU_DEP_3)
	v_bfe_u32 v5, v7, 16, 1
	v_cmp_o_f32_e64 s1, v7, v7
	s_or_b32 s26, s0, s26
	s_delay_alu instid0(VALU_DEP_2) | instskip(SKIP_2) | instid1(VALU_DEP_3)
	v_add3_u32 v9, v7, v5, 0x7fff
	v_add_co_u32 v5, vcc_lo, s4, v1
	v_add_co_ci_u32_e32 v6, vcc_lo, s5, v4, vcc_lo
	v_lshrrev_b32_e32 v9, 16, v9
	v_add_co_u32 v1, vcc_lo, v1, s27
	v_add_co_ci_u32_e32 v4, vcc_lo, 0, v4, vcc_lo
	s_delay_alu instid0(VALU_DEP_3)
	v_cndmask_b32_e64 v7, 0x7fc0, v9, s1
	global_store_b16 v[5:6], v7, off
	s_and_not1_b32 exec_lo, exec_lo, s26
	s_cbranch_execnz .LBB323_54
.LBB323_55:
	s_or_b32 exec_lo, exec_lo, s23
	s_mov_b32 s0, 0
.LBB323_56:
	s_delay_alu instid0(SALU_CYCLE_1)
	s_and_b32 vcc_lo, exec_lo, s0
	s_cbranch_vccz .LBB323_92
; %bb.57:
	s_lshl_b32 s0, s22, 3
	s_mov_b32 s9, 0
	v_cvt_f32_u32_e32 v1, s0
	s_sub_i32 s2, 0, s0
	s_mov_b32 s7, exec_lo
	s_delay_alu instid0(VALU_DEP_1) | instskip(SKIP_2) | instid1(VALU_DEP_1)
	v_rcp_iflag_f32_e32 v1, v1
	s_waitcnt_depctr 0xfff
	v_mul_f32_e32 v1, 0x4f7ffffe, v1
	v_cvt_u32_f32_e32 v1, v1
	s_delay_alu instid0(VALU_DEP_1) | instskip(SKIP_1) | instid1(VALU_DEP_2)
	v_readfirstlane_b32 s1, v1
	v_mov_b32_e32 v1, v0
	s_mul_i32 s2, s2, s1
	s_delay_alu instid0(SALU_CYCLE_1) | instskip(NEXT) | instid1(SALU_CYCLE_1)
	s_mul_hi_u32 s2, s1, s2
	s_add_i32 s1, s1, s2
	s_delay_alu instid0(SALU_CYCLE_1) | instskip(NEXT) | instid1(SALU_CYCLE_1)
	s_mul_hi_u32 s1, s10, s1
	s_mul_i32 s1, s1, s0
	s_delay_alu instid0(SALU_CYCLE_1) | instskip(NEXT) | instid1(SALU_CYCLE_1)
	s_sub_i32 s1, s10, s1
	s_sub_i32 s2, s1, s0
	s_cmp_ge_u32 s1, s0
	s_cselect_b32 s1, s2, s1
	s_delay_alu instid0(SALU_CYCLE_1) | instskip(SKIP_2) | instid1(SALU_CYCLE_1)
	s_sub_i32 s2, s1, s0
	s_cmp_ge_u32 s1, s0
	s_cselect_b32 s0, s2, s1
	s_sub_i32 s8, s10, s0
	s_delay_alu instid0(SALU_CYCLE_1)
	v_cmpx_gt_i32_e64 s8, v0
	s_cbranch_execz .LBB323_61
; %bb.58:
	s_add_i32 s30, s22, s22
	v_dual_mov_b32 v2, 0 :: v_dual_mov_b32 v1, v0
	s_add_i32 s0, s30, s22
	s_lshl_b32 s23, s22, 1
	s_mul_i32 s26, s22, 3
	s_lshl_b32 s27, s22, 2
	s_mul_i32 s28, s22, 5
	s_mul_i32 s29, s22, 6
	;; [unrolled: 1-line block ×3, first 2 shown]
	s_add_i32 s33, s30, s0
.LBB323_59:                             ; =>This Inner Loop Header: Depth=1
	v_lshlrev_b64 v[3:4], 1, v[1:2]
	v_dual_mov_b32 v6, v2 :: v_dual_add_nc_u32 v5, s22, v1
	v_dual_mov_b32 v10, v2 :: v_dual_add_nc_u32 v9, s23, v1
	;; [unrolled: 1-line block ×3, first 2 shown]
	s_delay_alu instid0(VALU_DEP_3)
	v_lshlrev_b64 v[6:7], 1, v[5:6]
	v_add_co_u32 v21, vcc_lo, s18, v3
	v_add_co_ci_u32_e32 v22, vcc_lo, s19, v4, vcc_lo
	v_add_co_u32 v23, vcc_lo, s12, v3
	v_add_co_ci_u32_e32 v24, vcc_lo, s13, v4, vcc_lo
	v_lshlrev_b64 v[9:10], 1, v[9:10]
	v_add_co_u32 v25, vcc_lo, s18, v6
	v_add_co_ci_u32_e32 v26, vcc_lo, s19, v7, vcc_lo
	v_add_co_u32 v27, vcc_lo, s12, v6
	v_add_co_ci_u32_e32 v28, vcc_lo, s13, v7, vcc_lo
	v_lshlrev_b64 v[11:12], 1, v[11:12]
	v_add_co_u32 v29, vcc_lo, s18, v9
	v_dual_mov_b32 v14, v2 :: v_dual_add_nc_u32 v13, s27, v1
	v_add_co_ci_u32_e32 v30, vcc_lo, s19, v10, vcc_lo
	v_add_co_u32 v31, vcc_lo, s12, v9
	v_add_co_ci_u32_e32 v32, vcc_lo, s13, v10, vcc_lo
	s_delay_alu instid0(VALU_DEP_4)
	v_lshlrev_b64 v[13:14], 1, v[13:14]
	v_add_co_u32 v33, vcc_lo, s18, v11
	v_dual_mov_b32 v16, v2 :: v_dual_add_nc_u32 v15, s28, v1
	v_add_co_ci_u32_e32 v34, vcc_lo, s19, v12, vcc_lo
	v_add_co_u32 v35, vcc_lo, s12, v11
	v_add_co_ci_u32_e32 v36, vcc_lo, s13, v12, vcc_lo
	s_delay_alu instid0(VALU_DEP_4)
	;; [unrolled: 7-line block ×3, first 2 shown]
	v_lshlrev_b64 v[17:18], 1, v[17:18]
	v_add_co_u32 v41, vcc_lo, s18, v15
	v_add_nc_u32_e32 v1, s31, v1
	v_add_co_ci_u32_e32 v42, vcc_lo, s19, v16, vcc_lo
	v_add_co_u32 v43, vcc_lo, s12, v15
	v_add_co_ci_u32_e32 v44, vcc_lo, s13, v16, vcc_lo
	s_delay_alu instid0(VALU_DEP_4)
	v_lshlrev_b64 v[19:20], 1, v[1:2]
	v_add_co_u32 v45, vcc_lo, s18, v17
	v_add_co_ci_u32_e32 v46, vcc_lo, s19, v18, vcc_lo
	v_add_co_u32 v47, vcc_lo, s12, v17
	v_add_co_ci_u32_e32 v48, vcc_lo, s13, v18, vcc_lo
	global_load_u16 v51, v[21:22], off
	global_load_u16 v23, v[23:24], off
	v_add_co_u32 v49, vcc_lo, s18, v19
	v_add_co_ci_u32_e32 v50, vcc_lo, s19, v20, vcc_lo
	v_add_co_u32 v21, vcc_lo, s12, v19
	v_add_co_ci_u32_e32 v22, vcc_lo, s13, v20, vcc_lo
	global_load_u16 v24, v[25:26], off
	global_load_u16 v25, v[27:28], off
	;; [unrolled: 1-line block ×14, first 2 shown]
	v_add3_u32 v1, s30, s33, v5
	v_add_co_u32 v5, s0, s16, v6
	s_delay_alu instid0(VALU_DEP_1) | instskip(SKIP_1) | instid1(VALU_DEP_1)
	v_add_co_ci_u32_e64 v6, s0, s17, v7, s0
	v_add_co_u32 v9, s0, s16, v9
	v_add_co_ci_u32_e64 v10, s0, s17, v10, s0
	v_add_co_u32 v11, s0, s16, v11
	v_add_co_u32 v3, vcc_lo, s16, v3
	v_add_co_ci_u32_e64 v12, s0, s17, v12, s0
	v_add_co_ci_u32_e32 v4, vcc_lo, s17, v4, vcc_lo
	v_add_co_u32 v13, s0, s16, v13
	v_cmp_le_i32_e32 vcc_lo, s8, v1
	v_add_co_ci_u32_e64 v14, s0, s17, v14, s0
	v_add_co_u32 v15, s0, s16, v15
	s_delay_alu instid0(VALU_DEP_1) | instskip(SKIP_4) | instid1(VALU_DEP_1)
	v_add_co_ci_u32_e64 v16, s0, s17, v16, s0
	v_add_co_u32 v17, s0, s16, v17
	s_or_b32 s9, vcc_lo, s9
	v_add_co_ci_u32_e64 v18, s0, s17, v18, s0
	v_add_co_u32 v19, s0, s16, v19
	v_add_co_ci_u32_e64 v20, s0, s17, v20, s0
	s_waitcnt vmcnt(11)
	v_lshlrev_b32_e32 v26, 16, v26
	s_waitcnt vmcnt(7)
	v_lshlrev_b32_e32 v30, 16, v30
	s_delay_alu instid0(VALU_DEP_2) | instskip(SKIP_1) | instid1(VALU_DEP_3)
	v_dual_mul_f32 v40, 0x3fb8aa3b, v26 :: v_dual_lshlrev_b32 v7, 16, v51
	v_cmp_ngt_f32_e64 s0, 0xc2ce8ed0, v26
	v_mul_f32_e32 v42, 0x3fb8aa3b, v30
	v_lshlrev_b32_e32 v24, 16, v24
	v_lshlrev_b32_e32 v22, 16, v23
	v_mul_f32_e32 v23, 0x3fb8aa3b, v7
	v_fma_f32 v48, 0x3fb8aa3b, v26, -v40
	v_rndne_f32_e32 v53, v42
	v_rndne_f32_e32 v49, v40
	v_lshlrev_b32_e32 v29, 16, v29
	v_fma_f32 v37, 0x3fb8aa3b, v7, -v23
	v_fmac_f32_e32 v48, 0x32a5705f, v26
	v_rndne_f32_e32 v38, v23
	v_lshlrev_b32_e32 v28, 16, v28
	s_waitcnt vmcnt(6)
	v_dual_sub_f32 v40, v40, v49 :: v_dual_lshlrev_b32 v31, 16, v31
	v_fmac_f32_e32 v37, 0x32a5705f, v7
	v_mul_f32_e32 v39, 0x3fb8aa3b, v24
	s_waitcnt vmcnt(5)
	v_dual_sub_f32 v23, v23, v38 :: v_dual_lshlrev_b32 v32, 16, v32
	v_mul_f32_e32 v41, 0x3fb8aa3b, v28
	v_fma_f32 v52, 0x3fb8aa3b, v30, -v42
	v_rndne_f32_e32 v47, v39
	s_waitcnt vmcnt(1)
	v_dual_add_f32 v23, v23, v37 :: v_dual_lshlrev_b32 v36, 16, v36
	v_dual_mul_f32 v43, 0x3fb8aa3b, v32 :: v_dual_lshlrev_b32 v34, 16, v34
	s_delay_alu instid0(VALU_DEP_3) | instskip(SKIP_1) | instid1(VALU_DEP_4)
	v_sub_f32_e32 v37, v39, v47
	v_lshlrev_b32_e32 v25, 16, v25
	v_dual_mul_f32 v45, 0x3fb8aa3b, v36 :: v_dual_sub_f32 v42, v42, v53
	s_delay_alu instid0(VALU_DEP_4)
	v_mul_f32_e32 v44, 0x3fb8aa3b, v34
	v_fma_f32 v46, 0x3fb8aa3b, v24, -v39
	v_fma_f32 v50, 0x3fb8aa3b, v28, -v41
	v_rndne_f32_e32 v51, v41
	v_fma_f32 v54, 0x3fb8aa3b, v32, -v43
	v_rndne_f32_e32 v55, v43
	;; [unrolled: 2-line block ×3, first 2 shown]
	v_dual_fmac_f32 v46, 0x32a5705f, v24 :: v_dual_lshlrev_b32 v27, 16, v27
	v_dual_fmac_f32 v50, 0x32a5705f, v28 :: v_dual_lshlrev_b32 v33, 16, v33
	s_waitcnt vmcnt(0)
	v_dual_fmac_f32 v54, 0x32a5705f, v32 :: v_dual_lshlrev_b32 v21, 16, v21
	v_fma_f32 v56, 0x3fb8aa3b, v34, -v44
	v_rndne_f32_e32 v57, v44
	v_sub_f32_e32 v41, v41, v51
	v_dual_sub_f32 v43, v43, v55 :: v_dual_fmac_f32 v58, 0x32a5705f, v36
	v_sub_f32_e32 v45, v45, v59
	v_dual_fmac_f32 v52, 0x32a5705f, v30 :: v_dual_lshlrev_b32 v35, 16, v35
	v_fmac_f32_e32 v56, 0x32a5705f, v34
	v_sub_f32_e32 v44, v44, v57
	v_exp_f32_e32 v23, v23
	v_dual_add_f32 v37, v37, v46 :: v_dual_add_f32 v40, v40, v48
	v_dual_add_f32 v41, v41, v50 :: v_dual_add_f32 v42, v42, v52
	s_delay_alu instid0(VALU_DEP_3)
	v_dual_add_f32 v43, v43, v54 :: v_dual_add_f32 v44, v44, v56
	v_add_f32_e32 v45, v45, v58
	v_cvt_i32_f32_e32 v38, v38
	v_exp_f32_e32 v37, v37
	v_exp_f32_e32 v41, v41
	;; [unrolled: 1-line block ×6, first 2 shown]
	v_cvt_i32_f32_e32 v39, v47
	v_cvt_i32_f32_e32 v47, v49
	;; [unrolled: 1-line block ×7, first 2 shown]
	v_exp_f32_e32 v44, v44
	v_ldexp_f32 v23, v23, v38
	v_cmp_ngt_f32_e32 vcc_lo, 0xc2ce8ed0, v7
	v_ldexp_f32 v37, v37, v39
	v_ldexp_f32 v39, v41, v49
	v_cmp_ngt_f32_e64 s1, 0xc2ce8ed0, v28
	v_ldexp_f32 v41, v43, v53
	v_cndmask_b32_e32 v23, 0, v23, vcc_lo
	v_cmp_ngt_f32_e32 vcc_lo, 0xc2ce8ed0, v24
	v_cmp_ngt_f32_e64 s3, 0xc2ce8ed0, v32
	v_ldexp_f32 v43, v45, v57
	v_cmp_ngt_f32_e64 s5, 0xc2ce8ed0, v36
	v_cmp_nlt_f32_e64 s6, 0x42b17218, v7
	v_ldexp_f32 v38, v40, v47
	v_ldexp_f32 v40, v42, v51
	v_cmp_ngt_f32_e64 s2, 0xc2ce8ed0, v30
	v_ldexp_f32 v42, v44, v55
	v_cmp_ngt_f32_e64 s4, 0xc2ce8ed0, v34
	v_cndmask_b32_e64 v7, 0x7f800000, v23, s6
	v_cndmask_b32_e32 v23, 0, v37, vcc_lo
	v_cmp_nlt_f32_e32 vcc_lo, 0x42b17218, v26
	v_cndmask_b32_e64 v26, 0, v39, s1
	v_cmp_nlt_f32_e64 s1, 0x42b17218, v30
	v_cndmask_b32_e64 v30, 0, v41, s3
	v_cmp_nlt_f32_e64 s3, 0x42b17218, v34
	;; [unrolled: 2-line block ×6, first 2 shown]
	s_waitcnt lgkmcnt(0)
	v_fma_f32 v7, -v8, v7, v22
	v_cndmask_b32_e64 v22, 0x7f800000, v23, s5
	v_cndmask_b32_e32 v23, 0x7f800000, v37, vcc_lo
	v_cndmask_b32_e64 v24, 0x7f800000, v26, s0
	v_cndmask_b32_e64 v26, 0x7f800000, v28, s1
	;; [unrolled: 1-line block ×5, first 2 shown]
	v_bfe_u32 v34, v7, 16, 1
	v_fma_f32 v22, -v8, v22, v25
	v_fma_f32 v23, -v8, v23, v27
	v_fma_f32 v24, -v8, v24, v29
	v_fma_f32 v25, -v8, v26, v31
	v_fma_f32 v26, -v8, v28, v33
	v_fma_f32 v27, -v8, v30, v35
	v_fma_f32 v21, -v8, v32, v21
	v_add3_u32 v28, v7, v34, 0x7fff
	v_bfe_u32 v29, v22, 16, 1
	v_bfe_u32 v30, v23, 16, 1
	v_bfe_u32 v31, v24, 16, 1
	v_bfe_u32 v32, v25, 16, 1
	v_bfe_u32 v33, v26, 16, 1
	v_bfe_u32 v34, v27, 16, 1
	v_bfe_u32 v35, v21, 16, 1
	v_lshrrev_b32_e32 v28, 16, v28
	v_add3_u32 v29, v22, v29, 0x7fff
	v_cmp_o_f32_e32 vcc_lo, v7, v7
	v_add3_u32 v30, v23, v30, 0x7fff
	v_add3_u32 v31, v24, v31, 0x7fff
	;; [unrolled: 1-line block ×6, first 2 shown]
	v_cndmask_b32_e32 v7, 0x7fc0, v28, vcc_lo
	v_lshrrev_b32_e32 v28, 16, v29
	v_cmp_o_f32_e64 s5, v22, v22
	v_lshrrev_b32_e32 v29, 16, v30
	v_cmp_o_f32_e32 vcc_lo, v23, v23
	v_lshrrev_b32_e32 v23, 16, v31
	v_cmp_o_f32_e64 s0, v24, v24
	v_lshrrev_b32_e32 v24, 16, v32
	v_cmp_o_f32_e64 s1, v25, v25
	;; [unrolled: 2-line block ×5, first 2 shown]
	global_store_b16 v[3:4], v7, off
	v_cndmask_b32_e32 v4, 0x7fc0, v29, vcc_lo
	v_cndmask_b32_e64 v3, 0x7fc0, v28, s5
	v_cndmask_b32_e64 v7, 0x7fc0, v23, s0
	;; [unrolled: 1-line block ×6, first 2 shown]
	s_clause 0x6
	global_store_b16 v[5:6], v3, off
	global_store_b16 v[9:10], v4, off
	;; [unrolled: 1-line block ×7, first 2 shown]
	s_and_not1_b32 exec_lo, exec_lo, s9
	s_cbranch_execnz .LBB323_59
; %bb.60:
	s_or_b32 exec_lo, exec_lo, s9
.LBB323_61:
	s_delay_alu instid0(SALU_CYCLE_1) | instskip(NEXT) | instid1(SALU_CYCLE_1)
	s_or_b32 exec_lo, exec_lo, s7
	s_mov_b32 s1, exec_lo
	v_cmpx_gt_i32_e64 s10, v1
	s_cbranch_execz .LBB323_64
; %bb.62:
	s_mov_b32 s2, 0
.LBB323_63:                             ; =>This Inner Loop Header: Depth=1
	v_ashrrev_i32_e32 v2, 31, v1
	s_delay_alu instid0(VALU_DEP_1) | instskip(SKIP_1) | instid1(VALU_DEP_2)
	v_lshlrev_b64 v[2:3], 1, v[1:2]
	v_add_nc_u32_e32 v1, s22, v1
	v_add_co_u32 v4, vcc_lo, s18, v2
	s_delay_alu instid0(VALU_DEP_3)
	v_add_co_ci_u32_e32 v5, vcc_lo, s19, v3, vcc_lo
	global_load_u16 v6, v[4:5], off
	v_add_co_u32 v4, vcc_lo, s12, v2
	v_add_co_ci_u32_e32 v5, vcc_lo, s13, v3, vcc_lo
	global_load_u16 v4, v[4:5], off
	s_waitcnt vmcnt(1)
	v_lshlrev_b32_e32 v5, 16, v6
	s_delay_alu instid0(VALU_DEP_1) | instskip(NEXT) | instid1(VALU_DEP_1)
	v_mul_f32_e32 v6, 0x3fb8aa3b, v5
	v_fma_f32 v7, 0x3fb8aa3b, v5, -v6
	v_rndne_f32_e32 v9, v6
	s_delay_alu instid0(VALU_DEP_1) | instskip(SKIP_1) | instid1(VALU_DEP_4)
	v_sub_f32_e32 v6, v6, v9
	v_cmp_ngt_f32_e32 vcc_lo, 0xc2ce8ed0, v5
	v_fmac_f32_e32 v7, 0x32a5705f, v5
	s_delay_alu instid0(VALU_DEP_1) | instskip(SKIP_1) | instid1(VALU_DEP_2)
	v_add_f32_e32 v6, v6, v7
	v_cvt_i32_f32_e32 v7, v9
	v_exp_f32_e32 v6, v6
	s_waitcnt_depctr 0xfff
	v_ldexp_f32 v6, v6, v7
	s_delay_alu instid0(VALU_DEP_1) | instskip(SKIP_2) | instid1(VALU_DEP_2)
	v_cndmask_b32_e32 v6, 0, v6, vcc_lo
	v_cmp_nlt_f32_e32 vcc_lo, 0x42b17218, v5
	s_waitcnt vmcnt(0)
	v_dual_cndmask_b32 v5, 0x7f800000, v6 :: v_dual_lshlrev_b32 v4, 16, v4
	v_cmp_le_i32_e32 vcc_lo, s10, v1
	s_waitcnt lgkmcnt(0)
	s_delay_alu instid0(VALU_DEP_2) | instskip(SKIP_1) | instid1(VALU_DEP_1)
	v_fma_f32 v4, -v8, v5, v4
	s_or_b32 s2, vcc_lo, s2
	v_bfe_u32 v5, v4, 16, 1
	v_cmp_o_f32_e64 s0, v4, v4
	s_delay_alu instid0(VALU_DEP_2) | instskip(NEXT) | instid1(VALU_DEP_1)
	v_add3_u32 v5, v4, v5, 0x7fff
	v_lshrrev_b32_e32 v5, 16, v5
	s_delay_alu instid0(VALU_DEP_1) | instskip(SKIP_1) | instid1(VALU_DEP_1)
	v_cndmask_b32_e64 v4, 0x7fc0, v5, s0
	v_add_co_u32 v2, s0, s16, v2
	v_add_co_ci_u32_e64 v3, s0, s17, v3, s0
	global_store_b16 v[2:3], v4, off
	s_and_not1_b32 exec_lo, exec_lo, s2
	s_cbranch_execnz .LBB323_63
.LBB323_64:
	s_or_b32 exec_lo, exec_lo, s1
	s_mov_b32 s0, 0
.LBB323_65:
	s_delay_alu instid0(SALU_CYCLE_1)
	s_and_not1_b32 vcc_lo, exec_lo, s0
	s_cbranch_vccnz .LBB323_93
.LBB323_66:
	s_cmp_lg_u64 s[24:25], 0
	s_mov_b32 s1, -1
	s_cselect_b32 s7, -1, 0
	s_and_b32 vcc_lo, exec_lo, s14
	v_cndmask_b32_e64 v1, 0, 1, s7
	s_delay_alu instid0(VALU_DEP_1)
	v_cmp_ne_u32_e64 s0, 1, v1
	s_cbranch_vccz .LBB323_81
; %bb.67:
	v_mov_b32_e32 v1, 0
	s_delay_alu instid0(VALU_DEP_2)
	s_and_b32 vcc_lo, exec_lo, s0
	s_mov_b64 s[8:9], s[10:11]
	s_mov_b64 s[26:27], s[16:17]
	;; [unrolled: 1-line block ×4, first 2 shown]
	s_cbranch_vccnz .LBB323_71
; %bb.68:
	s_lshl_b32 s2, s24, 1
	s_mov_b32 s23, 0
	s_sub_u32 s0, s16, s2
	s_subb_u32 s1, s17, 0
	s_sub_u32 s4, s18, s2
	s_subb_u32 s5, s19, 0
	;; [unrolled: 2-line block ×3, first 2 shown]
	s_mov_b32 s6, exec_lo
	v_cmpx_le_u64_e64 s[24:25], v[0:1]
	s_cbranch_execz .LBB323_70
; %bb.69:
	v_lshlrev_b64 v[2:3], 1, v[0:1]
	s_delay_alu instid0(VALU_DEP_1) | instskip(NEXT) | instid1(VALU_DEP_2)
	v_add_co_u32 v4, vcc_lo, s4, v2
	v_add_co_ci_u32_e32 v5, vcc_lo, s5, v3, vcc_lo
	global_load_u16 v6, v[4:5], off
	v_add_co_u32 v4, vcc_lo, s2, v2
	v_add_co_ci_u32_e32 v5, vcc_lo, s3, v3, vcc_lo
	global_load_u16 v4, v[4:5], off
	s_waitcnt vmcnt(1)
	v_lshlrev_b32_e32 v5, 16, v6
	s_delay_alu instid0(VALU_DEP_1) | instskip(NEXT) | instid1(VALU_DEP_1)
	v_mul_f32_e32 v6, 0x3fb8aa3b, v5
	v_fma_f32 v7, 0x3fb8aa3b, v5, -v6
	v_rndne_f32_e32 v9, v6
	s_delay_alu instid0(VALU_DEP_1) | instskip(SKIP_1) | instid1(VALU_DEP_4)
	v_sub_f32_e32 v6, v6, v9
	v_cmp_ngt_f32_e32 vcc_lo, 0xc2ce8ed0, v5
	v_fmamk_f32 v7, v5, 0x32a5705f, v7
	s_delay_alu instid0(VALU_DEP_1) | instskip(SKIP_1) | instid1(VALU_DEP_2)
	v_add_f32_e32 v6, v6, v7
	v_cvt_i32_f32_e32 v7, v9
	v_exp_f32_e32 v6, v6
	s_waitcnt_depctr 0xfff
	v_ldexp_f32 v6, v6, v7
	s_delay_alu instid0(VALU_DEP_1) | instskip(SKIP_2) | instid1(VALU_DEP_2)
	v_cndmask_b32_e32 v6, 0, v6, vcc_lo
	v_cmp_nlt_f32_e32 vcc_lo, 0x42b17218, v5
	s_waitcnt vmcnt(0)
	v_dual_cndmask_b32 v5, 0x7f800000, v6 :: v_dual_lshlrev_b32 v4, 16, v4
	s_waitcnt lgkmcnt(0)
	s_delay_alu instid0(VALU_DEP_1) | instskip(NEXT) | instid1(VALU_DEP_1)
	v_fma_f32 v4, -v8, v5, v4
	v_bfe_u32 v5, v4, 16, 1
	v_cmp_o_f32_e32 vcc_lo, v4, v4
	s_delay_alu instid0(VALU_DEP_2) | instskip(NEXT) | instid1(VALU_DEP_1)
	v_add3_u32 v5, v4, v5, 0x7fff
	v_lshrrev_b32_e32 v5, 16, v5
	s_delay_alu instid0(VALU_DEP_1)
	v_cndmask_b32_e32 v4, 0x7fc0, v5, vcc_lo
	v_add_co_u32 v2, vcc_lo, s0, v2
	v_add_co_ci_u32_e32 v3, vcc_lo, s1, v3, vcc_lo
	global_store_b16 v[2:3], v4, off
.LBB323_70:
	s_or_b32 exec_lo, exec_lo, s6
	s_add_u32 s8, s24, s10
	s_addc_u32 s9, 0, s11
	s_delay_alu instid0(SALU_CYCLE_1) | instskip(NEXT) | instid1(VALU_DEP_1)
	v_cmp_lt_i64_e64 s6, s[8:9], s[22:23]
	s_and_b32 s6, s6, exec_lo
	s_cselect_b32 s6, s8, s22
	s_cselect_b32 s11, s9, 0
	s_sub_u32 s8, s8, s6
	s_subb_u32 s9, s9, s11
	s_lshl_b32 s6, s22, 1
	s_delay_alu instid0(SALU_CYCLE_1)
	s_add_u32 s26, s0, s6
	s_addc_u32 s27, s1, 0
	s_add_u32 s28, s4, s6
	s_addc_u32 s29, s5, 0
	;; [unrolled: 2-line block ×3, first 2 shown]
.LBB323_71:
	s_load_b32 s0, s[20:21], 0x0
	v_mov_b32_e32 v2, 0
	s_mov_b32 s2, 0
	s_mov_b32 s3, s9
	s_waitcnt lgkmcnt(0)
	s_cmp_lt_u32 s15, s0
	s_cselect_b32 s0, 12, 18
	s_delay_alu instid0(SALU_CYCLE_1) | instskip(SKIP_4) | instid1(VALU_DEP_1)
	s_add_u32 s0, s20, s0
	s_addc_u32 s1, s21, 0
	global_load_u16 v2, v2, s[0:1]
	s_waitcnt vmcnt(0)
	v_readfirstlane_b32 s0, v2
	s_and_b32 s11, s0, 0xffff
	s_delay_alu instid0(SALU_CYCLE_1)
	s_lshl_b32 s1, s11, 3
	s_cmp_lg_u64 s[2:3], 0
	s_cbranch_scc0 .LBB323_94
; %bb.72:
	v_cvt_f32_ubyte0_e32 v2, 0
	v_cvt_f32_u32_e32 v3, s1
	s_sub_u32 s4, 0, s1
	s_subb_u32 s5, 0, 0
	s_delay_alu instid0(VALU_DEP_1) | instskip(NEXT) | instid1(VALU_DEP_1)
	v_fmamk_f32 v2, v2, 0x4f800000, v3
	v_rcp_f32_e32 v2, v2
	s_waitcnt_depctr 0xfff
	v_mul_f32_e32 v2, 0x5f7ffffc, v2
	s_delay_alu instid0(VALU_DEP_1) | instskip(NEXT) | instid1(VALU_DEP_1)
	v_mul_f32_e32 v3, 0x2f800000, v2
	v_trunc_f32_e32 v3, v3
	s_delay_alu instid0(VALU_DEP_1) | instskip(SKIP_1) | instid1(VALU_DEP_2)
	v_fmamk_f32 v2, v3, 0xcf800000, v2
	v_cvt_u32_f32_e32 v3, v3
	v_cvt_u32_f32_e32 v2, v2
	s_delay_alu instid0(VALU_DEP_2) | instskip(NEXT) | instid1(VALU_DEP_2)
	v_readfirstlane_b32 s0, v3
	v_readfirstlane_b32 s3, v2
	s_delay_alu instid0(VALU_DEP_2) | instskip(NEXT) | instid1(VALU_DEP_1)
	s_mul_i32 s6, s4, s0
	s_mul_hi_u32 s23, s4, s3
	s_mul_i32 s14, s5, s3
	s_add_i32 s6, s23, s6
	s_mul_i32 s25, s4, s3
	s_add_i32 s6, s6, s14
	s_mul_hi_u32 s23, s3, s25
	s_mul_hi_u32 s33, s0, s25
	s_mul_i32 s14, s0, s25
	s_mul_hi_u32 s25, s3, s6
	s_mul_i32 s3, s3, s6
	s_mul_hi_u32 s34, s0, s6
	s_add_u32 s3, s23, s3
	s_addc_u32 s23, 0, s25
	s_add_u32 s3, s3, s14
	s_mul_i32 s6, s0, s6
	s_addc_u32 s3, s23, s33
	s_addc_u32 s14, s34, 0
	s_add_u32 s3, s3, s6
	s_addc_u32 s6, 0, s14
	v_add_co_u32 v2, s3, v2, s3
	s_delay_alu instid0(VALU_DEP_1) | instskip(SKIP_1) | instid1(VALU_DEP_1)
	s_cmp_lg_u32 s3, 0
	s_addc_u32 s0, s0, s6
	v_readfirstlane_b32 s3, v2
	s_mul_i32 s6, s4, s0
	s_delay_alu instid0(VALU_DEP_1)
	s_mul_hi_u32 s14, s4, s3
	s_mul_i32 s5, s5, s3
	s_add_i32 s6, s14, s6
	s_mul_i32 s4, s4, s3
	s_add_i32 s6, s6, s5
	s_mul_hi_u32 s14, s0, s4
	s_mul_i32 s23, s0, s4
	s_mul_hi_u32 s4, s3, s4
	s_mul_hi_u32 s25, s3, s6
	s_mul_i32 s3, s3, s6
	s_mul_hi_u32 s5, s0, s6
	s_add_u32 s3, s4, s3
	s_addc_u32 s4, 0, s25
	s_add_u32 s3, s3, s23
	s_mul_i32 s6, s0, s6
	s_addc_u32 s3, s4, s14
	s_addc_u32 s4, s5, 0
	s_add_u32 s3, s3, s6
	s_addc_u32 s4, 0, s4
	v_add_co_u32 v2, s3, v2, s3
	s_delay_alu instid0(VALU_DEP_1) | instskip(SKIP_2) | instid1(VALU_DEP_1)
	s_cmp_lg_u32 s3, 0
	s_addc_u32 s0, s0, s4
	s_ashr_i32 s4, s9, 31
	v_readfirstlane_b32 s3, v2
	s_add_u32 s34, s8, s4
	s_mov_b32 s5, s4
	s_addc_u32 s35, s9, s4
	s_delay_alu instid0(SALU_CYCLE_1) | instskip(NEXT) | instid1(SALU_CYCLE_1)
	s_xor_b64 s[34:35], s[34:35], s[4:5]
	s_mul_i32 s6, s34, s0
	s_mul_hi_u32 s14, s34, s3
	s_mul_hi_u32 s5, s34, s0
	;; [unrolled: 1-line block ×3, first 2 shown]
	s_mul_i32 s3, s35, s3
	s_add_u32 s6, s14, s6
	s_addc_u32 s5, 0, s5
	s_mul_hi_u32 s23, s35, s0
	s_add_u32 s3, s6, s3
	s_mul_i32 s0, s35, s0
	s_addc_u32 s3, s5, s25
	s_addc_u32 s5, s23, 0
	s_add_u32 s0, s3, s0
	s_addc_u32 s3, 0, s5
	s_mul_hi_u32 s5, s1, s0
	s_mul_i32 s0, s1, s0
	s_mul_i32 s3, s1, s3
	v_sub_co_u32 v2, s0, s34, s0
	s_add_i32 s5, s5, s3
	s_cmp_lg_u32 s0, 0
	s_delay_alu instid0(VALU_DEP_1) | instskip(SKIP_2) | instid1(VALU_DEP_1)
	v_sub_co_u32 v3, s0, v2, s1
	s_subb_u32 s3, s35, s5
	s_cmp_lg_u32 s0, 0
	v_cmp_le_u32_e32 vcc_lo, s1, v3
	v_sub_co_u32 v4, s0, v3, s1
	s_subb_u32 s5, s3, 0
	s_cmp_lg_u32 s0, 0
	v_cndmask_b32_e64 v5, 0, -1, vcc_lo
	s_subb_u32 s0, s5, 0
	s_cmp_eq_u32 s5, 0
	v_mov_b32_e32 v7, s0
	s_cselect_b32 vcc_lo, -1, 0
	s_cmp_eq_u32 s3, 0
	v_cndmask_b32_e32 v5, -1, v5, vcc_lo
	v_cmp_le_u32_e32 vcc_lo, s1, v2
	s_cselect_b32 s0, -1, 0
	v_cndmask_b32_e64 v6, 0, -1, vcc_lo
	s_delay_alu instid0(VALU_DEP_3) | instskip(NEXT) | instid1(VALU_DEP_2)
	v_cmp_ne_u32_e32 vcc_lo, 0, v5
	v_cndmask_b32_e64 v5, -1, v6, s0
	v_cndmask_b32_e32 v6, s5, v7, vcc_lo
	v_cndmask_b32_e32 v3, v3, v4, vcc_lo
	s_delay_alu instid0(VALU_DEP_3) | instskip(NEXT) | instid1(VALU_DEP_2)
	v_cmp_ne_u32_e32 vcc_lo, 0, v5
	v_cndmask_b32_e32 v2, v2, v3, vcc_lo
	s_delay_alu instid0(VALU_DEP_4) | instskip(NEXT) | instid1(VALU_DEP_2)
	v_cndmask_b32_e32 v4, s3, v6, vcc_lo
	v_xor_b32_e32 v2, s4, v2
	s_delay_alu instid0(VALU_DEP_2) | instskip(NEXT) | instid1(VALU_DEP_2)
	v_xor_b32_e32 v3, s4, v4
	v_sub_co_u32 v2, vcc_lo, v2, s4
	s_delay_alu instid0(VALU_DEP_2)
	v_subrev_co_ci_u32_e32 v3, vcc_lo, s4, v3, vcc_lo
	s_and_not1_b32 vcc_lo, exec_lo, s2
	s_cbranch_vccnz .LBB323_74
.LBB323_73:
	v_cvt_f32_u32_e32 v2, s1
	s_sub_i32 s0, 0, s1
	s_delay_alu instid0(VALU_DEP_1) | instskip(SKIP_2) | instid1(VALU_DEP_1)
	v_rcp_iflag_f32_e32 v2, v2
	s_waitcnt_depctr 0xfff
	v_mul_f32_e32 v2, 0x4f7ffffe, v2
	v_cvt_u32_f32_e32 v2, v2
	s_delay_alu instid0(VALU_DEP_1) | instskip(NEXT) | instid1(VALU_DEP_1)
	v_mul_lo_u32 v3, s0, v2
	v_mul_hi_u32 v3, v2, v3
	s_delay_alu instid0(VALU_DEP_1) | instskip(NEXT) | instid1(VALU_DEP_1)
	v_add_nc_u32_e32 v2, v2, v3
	v_mul_hi_u32 v2, s8, v2
	s_delay_alu instid0(VALU_DEP_1) | instskip(NEXT) | instid1(VALU_DEP_1)
	v_mul_lo_u32 v2, v2, s1
	v_sub_nc_u32_e32 v2, s8, v2
	s_delay_alu instid0(VALU_DEP_1) | instskip(SKIP_1) | instid1(VALU_DEP_2)
	v_subrev_nc_u32_e32 v3, s1, v2
	v_cmp_le_u32_e32 vcc_lo, s1, v2
	v_cndmask_b32_e32 v2, v2, v3, vcc_lo
	s_delay_alu instid0(VALU_DEP_1) | instskip(SKIP_1) | instid1(VALU_DEP_2)
	v_subrev_nc_u32_e32 v3, s1, v2
	v_cmp_le_u32_e32 vcc_lo, s1, v2
	v_dual_cndmask_b32 v2, v2, v3 :: v_dual_mov_b32 v3, 0
.LBB323_74:
	s_delay_alu instid0(VALU_DEP_1) | instskip(SKIP_1) | instid1(VALU_DEP_3)
	v_sub_co_u32 v2, vcc_lo, s8, v2
	v_lshlrev_b64 v[4:5], 3, v[0:1]
	v_sub_co_ci_u32_e32 v3, vcc_lo, s9, v3, vcc_lo
	s_mov_b32 s14, exec_lo
	s_delay_alu instid0(VALU_DEP_1)
	v_cmpx_lt_i64_e64 v[4:5], v[2:3]
	s_cbranch_execz .LBB323_77
; %bb.75:
	v_lshlrev_b64 v[4:5], 4, v[0:1]
	v_dual_mov_b32 v7, v1 :: v_dual_mov_b32 v6, v0
	s_lshl_b32 s23, s11, 4
	s_mov_b32 s25, 0
	s_mov_b64 s[34:35], s[30:31]
	s_mov_b64 s[36:37], s[28:29]
	;; [unrolled: 1-line block ×3, first 2 shown]
.LBB323_76:                             ; =>This Inner Loop Header: Depth=1
	v_add_co_u32 v9, vcc_lo, s36, v4
	v_add_co_ci_u32_e32 v10, vcc_lo, s37, v5, vcc_lo
	v_add_co_u32 v13, vcc_lo, s34, v4
	v_add_co_ci_u32_e32 v14, vcc_lo, s35, v5, vcc_lo
	v_add_co_u32 v17, vcc_lo, s38, v4
	global_load_b128 v[9:12], v[9:10], off
	global_load_b128 v[13:16], v[13:14], off
	v_add_co_ci_u32_e32 v18, vcc_lo, s39, v5, vcc_lo
	v_add_co_u32 v6, vcc_lo, v6, s11
	v_add_co_ci_u32_e32 v7, vcc_lo, 0, v7, vcc_lo
	s_add_u32 s38, s38, s23
	s_addc_u32 s39, s39, 0
	s_add_u32 s36, s36, s23
	s_delay_alu instid0(VALU_DEP_1)
	v_lshlrev_b64 v[19:20], 3, v[6:7]
	s_addc_u32 s37, s37, 0
	s_add_u32 s34, s34, s23
	s_addc_u32 s35, s35, 0
	s_waitcnt vmcnt(1)
	v_lshlrev_b32_e32 v22, 16, v10
	v_and_b32_e32 v10, 0xffff0000, v10
	v_lshlrev_b32_e32 v1, 16, v9
	v_and_b32_e32 v9, 0xffff0000, v9
	s_delay_alu instid0(VALU_DEP_2) | instskip(SKIP_2) | instid1(VALU_DEP_3)
	v_dual_mul_f32 v30, 0x3fb8aa3b, v10 :: v_dual_mul_f32 v29, 0x3fb8aa3b, v1
	v_dual_mul_f32 v31, 0x3fb8aa3b, v22 :: v_dual_lshlrev_b32 v24, 16, v11
	v_cmp_ngt_f32_e32 vcc_lo, 0xc2ce8ed0, v1
	v_rndne_f32_e32 v41, v30
	s_delay_alu instid0(VALU_DEP_4)
	v_rndne_f32_e32 v39, v29
	v_and_b32_e32 v11, 0xffff0000, v11
	v_fma_f32 v38, 0x3fb8aa3b, v1, -v29
	v_fma_f32 v42, 0x3fb8aa3b, v22, -v31
	v_rndne_f32_e32 v43, v31
	v_sub_f32_e32 v29, v29, v39
	v_fma_f32 v40, 0x3fb8aa3b, v10, -v30
	v_sub_f32_e32 v30, v30, v41
	v_mul_f32_e32 v32, 0x3fb8aa3b, v11
	v_dual_sub_f32 v31, v31, v43 :: v_dual_lshlrev_b32 v26, 16, v12
	s_delay_alu instid0(VALU_DEP_4)
	v_fmac_f32_e32 v40, 0x32a5705f, v10
	s_waitcnt vmcnt(0)
	v_and_b32_e32 v21, 0xffff0000, v13
	v_lshlrev_b32_e32 v13, 16, v13
	v_mul_f32_e32 v28, 0x3fb8aa3b, v9
	v_rndne_f32_e32 v45, v32
	v_and_b32_e32 v25, 0xffff0000, v15
	v_lshlrev_b32_e32 v15, 16, v15
	v_mul_f32_e32 v33, 0x3fb8aa3b, v24
	v_rndne_f32_e32 v37, v28
	v_and_b32_e32 v23, 0xffff0000, v14
	v_lshlrev_b32_e32 v14, 16, v14
	v_fma_f32 v36, 0x3fb8aa3b, v9, -v28
	v_rndne_f32_e32 v47, v33
	v_and_b32_e32 v12, 0xffff0000, v12
	v_fma_f32 v46, 0x3fb8aa3b, v24, -v33
	v_fmac_f32_e32 v42, 0x32a5705f, v22
	s_delay_alu instid0(VALU_DEP_4) | instskip(NEXT) | instid1(VALU_DEP_4)
	v_dual_fmac_f32 v38, 0x32a5705f, v1 :: v_dual_sub_f32 v33, v33, v47
	v_mul_f32_e32 v34, 0x3fb8aa3b, v12
	v_fma_f32 v44, 0x3fb8aa3b, v11, -v32
	s_delay_alu instid0(VALU_DEP_4)
	v_add_f32_e32 v31, v31, v42
	v_mul_f32_e32 v35, 0x3fb8aa3b, v26
	v_dual_fmac_f32 v36, 0x32a5705f, v9 :: v_dual_add_f32 v29, v29, v38
	v_rndne_f32_e32 v49, v34
	v_and_b32_e32 v27, 0xffff0000, v16
	v_lshlrev_b32_e32 v16, 16, v16
	v_fma_f32 v50, 0x3fb8aa3b, v26, -v35
	v_rndne_f32_e32 v51, v35
	v_exp_f32_e32 v29, v29
	v_cvt_i32_f32_e32 v39, v39
	v_sub_f32_e32 v28, v28, v37
	s_delay_alu instid0(VALU_DEP_3) | instskip(SKIP_3) | instid1(VALU_DEP_4)
	v_dual_fmac_f32 v50, 0x32a5705f, v26 :: v_dual_sub_f32 v35, v35, v51
	v_fma_f32 v48, 0x3fb8aa3b, v12, -v34
	v_sub_f32_e32 v32, v32, v45
	v_fmac_f32_e32 v46, 0x32a5705f, v24
	v_dual_sub_f32 v34, v34, v49 :: v_dual_add_f32 v35, v35, v50
	v_fmac_f32_e32 v44, 0x32a5705f, v11
	s_delay_alu instid0(VALU_DEP_3) | instskip(SKIP_2) | instid1(VALU_DEP_4)
	v_dual_fmac_f32 v48, 0x32a5705f, v12 :: v_dual_add_f32 v33, v33, v46
	v_ldexp_f32 v29, v29, v39
	v_add_f32_e32 v28, v28, v36
	v_add_f32_e32 v32, v32, v44
	s_delay_alu instid0(VALU_DEP_4)
	v_add_f32_e32 v34, v34, v48
	v_exp_f32_e32 v31, v31
	v_dual_cndmask_b32 v29, 0, v29 :: v_dual_add_f32 v30, v30, v40
	v_exp_f32_e32 v28, v28
	v_exp_f32_e32 v32, v32
	;; [unrolled: 1-line block ×6, first 2 shown]
	v_cvt_i32_f32_e32 v37, v37
	v_cvt_i32_f32_e32 v41, v41
	;; [unrolled: 1-line block ×7, first 2 shown]
	v_ldexp_f32 v28, v28, v37
	v_ldexp_f32 v30, v30, v41
	v_cmp_ngt_f32_e64 s0, 0xc2ce8ed0, v10
	v_ldexp_f32 v31, v31, v43
	v_cmp_ngt_f32_e64 s1, 0xc2ce8ed0, v22
	;; [unrolled: 2-line block ×6, first 2 shown]
	v_cmp_ngt_f32_e64 s6, 0xc2ce8ed0, v9
	v_cmp_nlt_f32_e32 vcc_lo, 0x42b17218, v1
	v_cndmask_b32_e64 v1, 0, v30, s0
	v_cmp_nlt_f32_e64 s0, 0x42b17218, v10
	v_cndmask_b32_e64 v10, 0, v31, s1
	v_cndmask_b32_e64 v28, 0, v28, s6
	v_cmp_nlt_f32_e64 s1, 0x42b17218, v22
	v_cndmask_b32_e64 v22, 0, v32, s2
	v_cmp_nlt_f32_e64 s2, 0x42b17218, v11
	;; [unrolled: 2-line block ×5, first 2 shown]
	v_cmp_nlt_f32_e64 s6, 0x42b17218, v9
	v_cndmask_b32_e32 v26, 0x7f800000, v29, vcc_lo
	v_cndmask_b32_e64 v1, 0x7f800000, v1, s0
	v_cndmask_b32_e64 v10, 0x7f800000, v10, s1
	;; [unrolled: 1-line block ×7, first 2 shown]
	v_fma_f32 v13, -v8, v26, v13
	v_fma_f32 v9, -v8, v9, v21
	;; [unrolled: 1-line block ×8, first 2 shown]
	v_bfe_u32 v16, v9, 16, 1
	v_bfe_u32 v21, v13, 16, 1
	;; [unrolled: 1-line block ×8, first 2 shown]
	v_add3_u32 v21, v13, v21, 0x7fff
	v_add3_u32 v16, v9, v16, 0x7fff
	;; [unrolled: 1-line block ×8, first 2 shown]
	v_lshrrev_b32_e32 v16, 16, v16
	v_lshrrev_b32_e32 v21, 16, v21
	v_cmp_o_f32_e32 vcc_lo, v13, v13
	v_lshrrev_b32_e32 v13, 16, v22
	v_lshrrev_b32_e32 v22, 16, v23
	v_cmp_o_f32_e64 s0, v1, v1
	v_cmp_o_f32_e64 s1, v10, v10
	v_lshrrev_b32_e32 v1, 16, v24
	v_lshrrev_b32_e32 v10, 16, v25
	v_cmp_o_f32_e64 s2, v14, v14
	v_cmp_o_f32_e64 s3, v11, v11
	v_lshrrev_b32_e32 v11, 16, v26
	v_lshrrev_b32_e32 v14, 16, v27
	v_cmp_o_f32_e64 s4, v15, v15
	v_cndmask_b32_e32 v15, 0x7fc0, v21, vcc_lo
	v_cmp_o_f32_e64 s5, v12, v12
	v_cmp_o_f32_e64 s6, v9, v9
	v_cndmask_b32_e64 v13, 0x7fc0, v13, s0
	v_cndmask_b32_e64 v1, 0x7fc0, v1, s2
	;; [unrolled: 1-line block ×7, first 2 shown]
	v_cmp_ge_i64_e32 vcc_lo, v[19:20], v[2:3]
	v_perm_b32 v12, v11, v12, 0x5040100
	v_perm_b32 v9, v9, v15, 0x5040100
	;; [unrolled: 1-line block ×4, first 2 shown]
	s_or_b32 s25, vcc_lo, s25
	global_store_b128 v[17:18], v[9:12], off
	s_and_not1_b32 exec_lo, exec_lo, s25
	s_cbranch_execnz .LBB323_76
.LBB323_77:
	s_or_b32 exec_lo, exec_lo, s14
	v_add_co_u32 v1, vcc_lo, v2, v0
	v_add_co_ci_u32_e32 v2, vcc_lo, 0, v3, vcc_lo
	s_mov_b32 s2, exec_lo
	s_delay_alu instid0(VALU_DEP_1)
	v_cmpx_gt_i64_e64 s[8:9], v[1:2]
	s_cbranch_execz .LBB323_80
; %bb.78:
	v_lshlrev_b64 v[3:4], 1, v[1:2]
	s_lshl_b32 s3, s11, 1
	s_mov_b32 s4, 0
.LBB323_79:                             ; =>This Inner Loop Header: Depth=1
	s_delay_alu instid0(VALU_DEP_1) | instskip(NEXT) | instid1(VALU_DEP_2)
	v_add_co_u32 v5, vcc_lo, s28, v3
	v_add_co_ci_u32_e32 v6, vcc_lo, s29, v4, vcc_lo
	global_load_u16 v7, v[5:6], off
	v_add_co_u32 v5, vcc_lo, s30, v3
	v_add_co_ci_u32_e32 v6, vcc_lo, s31, v4, vcc_lo
	global_load_u16 v5, v[5:6], off
	s_waitcnt vmcnt(1)
	v_lshlrev_b32_e32 v6, 16, v7
	s_delay_alu instid0(VALU_DEP_1) | instskip(NEXT) | instid1(VALU_DEP_1)
	v_mul_f32_e32 v7, 0x3fb8aa3b, v6
	v_fma_f32 v9, 0x3fb8aa3b, v6, -v7
	v_rndne_f32_e32 v10, v7
	s_delay_alu instid0(VALU_DEP_1) | instskip(NEXT) | instid1(VALU_DEP_3)
	v_sub_f32_e32 v7, v7, v10
	v_fmac_f32_e32 v9, 0x32a5705f, v6
	v_cmp_ngt_f32_e32 vcc_lo, 0xc2ce8ed0, v6
	s_delay_alu instid0(VALU_DEP_2) | instskip(SKIP_1) | instid1(VALU_DEP_2)
	v_add_f32_e32 v7, v7, v9
	v_cvt_i32_f32_e32 v9, v10
	v_exp_f32_e32 v7, v7
	s_waitcnt_depctr 0xfff
	v_ldexp_f32 v7, v7, v9
	s_delay_alu instid0(VALU_DEP_1) | instskip(SKIP_2) | instid1(VALU_DEP_2)
	v_cndmask_b32_e32 v7, 0, v7, vcc_lo
	v_cmp_nlt_f32_e32 vcc_lo, 0x42b17218, v6
	s_waitcnt vmcnt(0)
	v_dual_cndmask_b32 v6, 0x7f800000, v7 :: v_dual_lshlrev_b32 v5, 16, v5
	v_add_co_u32 v1, vcc_lo, v1, s11
	v_add_co_ci_u32_e32 v2, vcc_lo, 0, v2, vcc_lo
	s_delay_alu instid0(VALU_DEP_3) | instskip(NEXT) | instid1(VALU_DEP_2)
	v_fma_f32 v7, -v8, v6, v5
	v_cmp_le_i64_e64 s0, s[8:9], v[1:2]
	s_delay_alu instid0(VALU_DEP_2) | instskip(SKIP_1) | instid1(VALU_DEP_3)
	v_bfe_u32 v5, v7, 16, 1
	v_cmp_o_f32_e64 s1, v7, v7
	s_or_b32 s4, s0, s4
	s_delay_alu instid0(VALU_DEP_2) | instskip(SKIP_2) | instid1(VALU_DEP_3)
	v_add3_u32 v9, v7, v5, 0x7fff
	v_add_co_u32 v5, vcc_lo, s26, v3
	v_add_co_ci_u32_e32 v6, vcc_lo, s27, v4, vcc_lo
	v_lshrrev_b32_e32 v9, 16, v9
	v_add_co_u32 v3, vcc_lo, v3, s3
	v_add_co_ci_u32_e32 v4, vcc_lo, 0, v4, vcc_lo
	s_delay_alu instid0(VALU_DEP_3)
	v_cndmask_b32_e64 v7, 0x7fc0, v9, s1
	global_store_b16 v[5:6], v7, off
	s_and_not1_b32 exec_lo, exec_lo, s4
	s_cbranch_execnz .LBB323_79
.LBB323_80:
	s_or_b32 exec_lo, exec_lo, s2
	s_mov_b32 s1, 0
.LBB323_81:
	s_delay_alu instid0(SALU_CYCLE_1)
	s_and_b32 vcc_lo, exec_lo, s1
	s_cbranch_vccz .LBB323_93
; %bb.82:
	s_and_not1_b32 vcc_lo, exec_lo, s7
	s_cbranch_vccnz .LBB323_86
; %bb.83:
	s_lshl_b32 s1, s24, 1
	s_mov_b32 s6, exec_lo
	s_sub_u32 s3, s16, s1
	s_subb_u32 s4, s17, 0
	s_sub_u32 s0, s18, s1
	s_subb_u32 s5, s19, 0
	;; [unrolled: 2-line block ×3, first 2 shown]
	v_cmpx_le_u32_e64 s24, v0
	s_cbranch_execz .LBB323_85
; %bb.84:
	v_mov_b32_e32 v1, 0
	s_delay_alu instid0(VALU_DEP_1) | instskip(NEXT) | instid1(VALU_DEP_1)
	v_lshlrev_b64 v[1:2], 1, v[0:1]
	v_add_co_u32 v3, vcc_lo, s0, v1
	s_delay_alu instid0(VALU_DEP_2)
	v_add_co_ci_u32_e32 v4, vcc_lo, s5, v2, vcc_lo
	global_load_u16 v5, v[3:4], off
	v_add_co_u32 v3, vcc_lo, s1, v1
	v_add_co_ci_u32_e32 v4, vcc_lo, s2, v2, vcc_lo
	global_load_u16 v3, v[3:4], off
	s_waitcnt vmcnt(1)
	v_lshlrev_b32_e32 v4, 16, v5
	s_delay_alu instid0(VALU_DEP_1) | instskip(SKIP_1) | instid1(VALU_DEP_2)
	v_mul_f32_e32 v5, 0x3fb8aa3b, v4
	v_cmp_ngt_f32_e32 vcc_lo, 0xc2ce8ed0, v4
	v_fma_f32 v6, 0x3fb8aa3b, v4, -v5
	v_rndne_f32_e32 v7, v5
	s_delay_alu instid0(VALU_DEP_1) | instskip(NEXT) | instid1(VALU_DEP_1)
	v_dual_fmamk_f32 v6, v4, 0x32a5705f, v6 :: v_dual_sub_f32 v5, v5, v7
	v_add_f32_e32 v5, v5, v6
	v_cvt_i32_f32_e32 v6, v7
	s_delay_alu instid0(VALU_DEP_2) | instskip(SKIP_2) | instid1(VALU_DEP_1)
	v_exp_f32_e32 v5, v5
	s_waitcnt_depctr 0xfff
	v_ldexp_f32 v5, v5, v6
	v_cndmask_b32_e32 v5, 0, v5, vcc_lo
	v_cmp_nlt_f32_e32 vcc_lo, 0x42b17218, v4
	s_waitcnt vmcnt(0)
	s_delay_alu instid0(VALU_DEP_2) | instskip(SKIP_1) | instid1(VALU_DEP_1)
	v_dual_cndmask_b32 v4, 0x7f800000, v5 :: v_dual_lshlrev_b32 v3, 16, v3
	s_waitcnt lgkmcnt(0)
	v_fma_f32 v3, -v8, v4, v3
	s_delay_alu instid0(VALU_DEP_1) | instskip(SKIP_1) | instid1(VALU_DEP_2)
	v_bfe_u32 v4, v3, 16, 1
	v_cmp_o_f32_e32 vcc_lo, v3, v3
	v_add3_u32 v4, v3, v4, 0x7fff
	s_delay_alu instid0(VALU_DEP_1) | instskip(NEXT) | instid1(VALU_DEP_1)
	v_lshrrev_b32_e32 v4, 16, v4
	v_cndmask_b32_e32 v3, 0x7fc0, v4, vcc_lo
	v_add_co_u32 v1, vcc_lo, s3, v1
	v_add_co_ci_u32_e32 v2, vcc_lo, s4, v2, vcc_lo
	global_store_b16 v[1:2], v3, off
.LBB323_85:
	s_or_b32 exec_lo, exec_lo, s6
	s_add_i32 s6, s24, s10
	s_delay_alu instid0(SALU_CYCLE_1) | instskip(SKIP_1) | instid1(SALU_CYCLE_1)
	v_sub_nc_u32_e64 v1, s6, s22 clamp
	s_lshl_b32 s6, s22, 1
	s_add_u32 s16, s3, s6
	s_addc_u32 s17, s4, 0
	s_delay_alu instid0(VALU_DEP_1)
	v_readfirstlane_b32 s10, v1
	s_add_u32 s18, s0, s6
	s_addc_u32 s19, s5, 0
	s_add_u32 s12, s1, s6
	s_addc_u32 s13, s2, 0
.LBB323_86:
	s_load_b32 s0, s[20:21], 0x0
	v_mov_b32_e32 v1, 0
	s_waitcnt lgkmcnt(0)
	s_cmp_lt_u32 s15, s0
	s_cselect_b32 s0, 12, 18
	s_delay_alu instid0(SALU_CYCLE_1) | instskip(SKIP_4) | instid1(VALU_DEP_1)
	s_add_u32 s0, s20, s0
	s_addc_u32 s1, s21, 0
	global_load_u16 v3, v1, s[0:1]
	s_waitcnt vmcnt(0)
	v_readfirstlane_b32 s0, v3
	s_lshl_b32 s0, s0, 3
	s_delay_alu instid0(SALU_CYCLE_1) | instskip(SKIP_1) | instid1(VALU_DEP_1)
	v_cvt_f32_u32_e32 v1, s0
	s_sub_i32 s2, 0, s0
	v_rcp_iflag_f32_e32 v1, v1
	s_waitcnt_depctr 0xfff
	v_mul_f32_e32 v1, 0x4f7ffffe, v1
	s_delay_alu instid0(VALU_DEP_1) | instskip(NEXT) | instid1(VALU_DEP_1)
	v_cvt_u32_f32_e32 v1, v1
	v_readfirstlane_b32 s1, v1
	v_lshlrev_b32_e32 v1, 3, v0
	s_delay_alu instid0(VALU_DEP_2) | instskip(NEXT) | instid1(SALU_CYCLE_1)
	s_mul_i32 s2, s2, s1
	s_mul_hi_u32 s2, s1, s2
	s_delay_alu instid0(SALU_CYCLE_1) | instskip(NEXT) | instid1(SALU_CYCLE_1)
	s_add_i32 s1, s1, s2
	s_mul_hi_u32 s1, s10, s1
	s_delay_alu instid0(SALU_CYCLE_1) | instskip(NEXT) | instid1(SALU_CYCLE_1)
	s_mul_i32 s1, s1, s0
	s_sub_i32 s1, s10, s1
	s_delay_alu instid0(SALU_CYCLE_1) | instskip(SKIP_2) | instid1(SALU_CYCLE_1)
	s_sub_i32 s2, s1, s0
	s_cmp_ge_u32 s1, s0
	s_cselect_b32 s1, s2, s1
	s_sub_i32 s2, s1, s0
	s_cmp_ge_u32 s1, s0
	s_cselect_b32 s0, s2, s1
	s_mov_b32 s2, 0
	s_sub_i32 s0, s10, s0
	s_mov_b32 s1, exec_lo
	v_cmpx_gt_i32_e64 s0, v1
	s_cbranch_execz .LBB323_89
; %bb.87:
	v_mov_b32_e32 v1, v0
.LBB323_88:                             ; =>This Inner Loop Header: Depth=1
	s_delay_alu instid0(VALU_DEP_1) | instskip(NEXT) | instid1(VALU_DEP_1)
	v_ashrrev_i32_e32 v2, 31, v1
	v_lshlrev_b64 v[13:14], 4, v[1:2]
	s_delay_alu instid0(VALU_DEP_1) | instskip(NEXT) | instid1(VALU_DEP_2)
	v_add_co_u32 v4, vcc_lo, s18, v13
	v_add_co_ci_u32_e32 v5, vcc_lo, s19, v14, vcc_lo
	v_add_co_u32 v9, vcc_lo, s12, v13
	v_add_co_ci_u32_e32 v10, vcc_lo, s13, v14, vcc_lo
	v_add_co_u32 v13, vcc_lo, s16, v13
	global_load_b128 v[4:7], v[4:5], off
	global_load_b128 v[9:12], v[9:10], off
	v_add_co_ci_u32_e32 v14, vcc_lo, s17, v14, vcc_lo
	s_waitcnt vmcnt(1)
	v_lshlrev_b32_e32 v21, 16, v7
	v_lshlrev_b32_e32 v17, 16, v5
	v_add_nc_u32_e32 v1, v1, v3
	v_lshlrev_b32_e32 v19, 16, v6
	v_and_b32_e32 v6, 0xffff0000, v6
	v_dual_mul_f32 v30, 0x3fb8aa3b, v21 :: v_dual_lshlrev_b32 v15, 16, v4
	v_and_b32_e32 v4, 0xffff0000, v4
	v_mul_f32_e32 v26, 0x3fb8aa3b, v17
	v_lshlrev_b32_e32 v2, 3, v1
	v_mul_f32_e32 v28, 0x3fb8aa3b, v19
	v_fma_f32 v45, 0x3fb8aa3b, v21, -v30
	v_mul_f32_e32 v23, 0x3fb8aa3b, v4
	v_rndne_f32_e32 v38, v26
	v_mul_f32_e32 v24, 0x3fb8aa3b, v15
	v_and_b32_e32 v5, 0xffff0000, v5
	v_fma_f32 v41, 0x3fb8aa3b, v19, -v28
	v_rndne_f32_e32 v32, v23
	s_waitcnt vmcnt(0)
	v_and_b32_e32 v16, 0xffff0000, v9
	v_lshlrev_b32_e32 v9, 16, v9
	v_rndne_f32_e32 v34, v24
	v_fma_f32 v31, 0x3fb8aa3b, v4, -v23
	v_fma_f32 v33, 0x3fb8aa3b, v15, -v24
	v_sub_f32_e32 v23, v23, v32
	s_delay_alu instid0(VALU_DEP_4) | instskip(SKIP_1) | instid1(VALU_DEP_4)
	v_dual_fmac_f32 v41, 0x32a5705f, v19 :: v_dual_sub_f32 v24, v24, v34
	v_fma_f32 v37, 0x3fb8aa3b, v17, -v26
	v_dual_sub_f32 v26, v26, v38 :: v_dual_fmac_f32 v33, 0x32a5705f, v15
	v_and_b32_e32 v7, 0xffff0000, v7
	v_cvt_i32_f32_e32 v32, v32
	s_delay_alu instid0(VALU_DEP_4) | instskip(NEXT) | instid1(VALU_DEP_4)
	v_fmac_f32_e32 v37, 0x32a5705f, v17
	v_dual_fmac_f32 v31, 0x32a5705f, v4 :: v_dual_add_f32 v24, v24, v33
	v_cvt_i32_f32_e32 v34, v34
	v_cvt_i32_f32_e32 v38, v38
	s_delay_alu instid0(VALU_DEP_3) | instskip(NEXT) | instid1(VALU_DEP_4)
	v_dual_add_f32 v26, v26, v37 :: v_dual_add_f32 v23, v23, v31
	v_exp_f32_e32 v24, v24
	v_cmp_ngt_f32_e32 vcc_lo, 0xc2ce8ed0, v4
	v_rndne_f32_e32 v46, v30
	s_delay_alu instid0(VALU_DEP_3) | instskip(SKIP_2) | instid1(VALU_DEP_2)
	v_exp_f32_e32 v26, v26
	v_exp_f32_e32 v23, v23
	v_rndne_f32_e32 v42, v28
	v_dual_mul_f32 v29, 0x3fb8aa3b, v7 :: v_dual_sub_f32 v30, v30, v46
	v_fmac_f32_e32 v45, 0x32a5705f, v21
	v_cvt_i32_f32_e32 v33, v46
	s_delay_alu instid0(TRANS32_DEP_3) | instskip(SKIP_2) | instid1(TRANS32_DEP_2)
	v_ldexp_f32 v24, v24, v34
	v_mul_f32_e32 v27, 0x3fb8aa3b, v6
	v_fma_f32 v43, 0x3fb8aa3b, v7, -v29
	v_ldexp_f32 v26, v26, v38
	s_delay_alu instid0(TRANS32_DEP_1) | instskip(SKIP_3) | instid1(VALU_DEP_4)
	v_ldexp_f32 v23, v23, v32
	v_rndne_f32_e32 v44, v29
	v_and_b32_e32 v20, 0xffff0000, v11
	v_dual_sub_f32 v28, v28, v42 :: v_dual_lshlrev_b32 v11, 16, v11
	v_cndmask_b32_e32 v23, 0, v23, vcc_lo
	v_cmp_ngt_f32_e32 vcc_lo, 0xc2ce8ed0, v15
	v_mul_f32_e32 v25, 0x3fb8aa3b, v5
	v_cvt_i32_f32_e32 v42, v42
	v_fma_f32 v39, 0x3fb8aa3b, v6, -v27
	v_rndne_f32_e32 v40, v27
	v_cndmask_b32_e32 v24, 0, v24, vcc_lo
	v_fma_f32 v35, 0x3fb8aa3b, v5, -v25
	v_rndne_f32_e32 v36, v25
	v_and_b32_e32 v18, 0xffff0000, v10
	v_dual_fmac_f32 v43, 0x32a5705f, v7 :: v_dual_lshlrev_b32 v10, 16, v10
	s_delay_alu instid0(VALU_DEP_4) | instskip(NEXT) | instid1(VALU_DEP_4)
	v_fmac_f32_e32 v35, 0x32a5705f, v5
	v_sub_f32_e32 v25, v25, v36
	v_and_b32_e32 v22, 0xffff0000, v12
	v_lshlrev_b32_e32 v12, 16, v12
	v_cvt_i32_f32_e32 v36, v36
	v_sub_f32_e32 v27, v27, v40
	v_add_f32_e32 v25, v25, v35
	v_dual_fmac_f32 v39, 0x32a5705f, v6 :: v_dual_add_f32 v30, v30, v45
	v_dual_sub_f32 v29, v29, v44 :: v_dual_add_f32 v28, v28, v41
	s_delay_alu instid0(VALU_DEP_3) | instskip(NEXT) | instid1(VALU_DEP_2)
	v_exp_f32_e32 v25, v25
	v_add_f32_e32 v27, v27, v39
	v_cmp_ngt_f32_e32 vcc_lo, 0xc2ce8ed0, v5
	v_cvt_i32_f32_e32 v40, v40
	v_add_f32_e32 v29, v29, v43
	v_exp_f32_e32 v28, v28
	v_exp_f32_e32 v27, v27
	;; [unrolled: 1-line block ×3, first 2 shown]
	v_cvt_i32_f32_e32 v31, v44
	v_exp_f32_e32 v29, v29
	v_ldexp_f32 v25, v25, v36
	s_delay_alu instid0(VALU_DEP_1) | instskip(SKIP_1) | instid1(TRANS32_DEP_3)
	v_cndmask_b32_e32 v25, 0, v25, vcc_lo
	v_cmp_ngt_f32_e32 vcc_lo, 0xc2ce8ed0, v17
	v_ldexp_f32 v27, v27, v40
	v_ldexp_f32 v28, v28, v42
	s_waitcnt_depctr 0xfff
	v_ldexp_f32 v29, v29, v31
	v_ldexp_f32 v30, v30, v33
	v_cndmask_b32_e32 v26, 0, v26, vcc_lo
	v_cmp_ngt_f32_e32 vcc_lo, 0xc2ce8ed0, v6
	v_cndmask_b32_e32 v27, 0, v27, vcc_lo
	v_cmp_ngt_f32_e32 vcc_lo, 0xc2ce8ed0, v19
	;; [unrolled: 2-line block ×4, first 2 shown]
	v_cndmask_b32_e32 v30, 0, v30, vcc_lo
	v_cmp_nlt_f32_e32 vcc_lo, 0x42b17218, v4
	v_cndmask_b32_e32 v4, 0x7f800000, v23, vcc_lo
	v_cmp_nlt_f32_e32 vcc_lo, 0x42b17218, v15
	s_delay_alu instid0(VALU_DEP_2) | instskip(SKIP_2) | instid1(VALU_DEP_2)
	v_fma_f32 v4, -v8, v4, v16
	v_cndmask_b32_e32 v15, 0x7f800000, v24, vcc_lo
	v_cmp_nlt_f32_e32 vcc_lo, 0x42b17218, v5
	v_fma_f32 v9, -v8, v15, v9
	v_cndmask_b32_e32 v5, 0x7f800000, v25, vcc_lo
	v_cmp_nlt_f32_e32 vcc_lo, 0x42b17218, v17
	v_bfe_u32 v15, v4, 16, 1
	s_delay_alu instid0(VALU_DEP_4) | instskip(NEXT) | instid1(VALU_DEP_4)
	v_bfe_u32 v16, v9, 16, 1
	v_fma_f32 v5, -v8, v5, v18
	v_cndmask_b32_e32 v17, 0x7f800000, v26, vcc_lo
	v_cmp_nlt_f32_e32 vcc_lo, 0x42b17218, v6
	v_add3_u32 v15, v4, v15, 0x7fff
	v_add3_u32 v16, v9, v16, 0x7fff
	s_delay_alu instid0(VALU_DEP_4)
	v_fma_f32 v10, -v8, v17, v10
	v_cndmask_b32_e32 v6, 0x7f800000, v27, vcc_lo
	v_cmp_nlt_f32_e32 vcc_lo, 0x42b17218, v19
	v_bfe_u32 v17, v5, 16, 1
	v_lshrrev_b32_e32 v15, 16, v15
	v_bfe_u32 v18, v10, 16, 1
	v_fma_f32 v6, -v8, v6, v20
	v_cndmask_b32_e32 v19, 0x7f800000, v28, vcc_lo
	v_cmp_nlt_f32_e32 vcc_lo, 0x42b17218, v7
	v_add3_u32 v17, v5, v17, 0x7fff
	v_add3_u32 v18, v10, v18, 0x7fff
	v_lshrrev_b32_e32 v16, 16, v16
	v_fma_f32 v11, -v8, v19, v11
	v_cndmask_b32_e32 v7, 0x7f800000, v29, vcc_lo
	v_cmp_nlt_f32_e32 vcc_lo, 0x42b17218, v21
	v_bfe_u32 v19, v6, 16, 1
	v_lshrrev_b32_e32 v17, 16, v17
	v_lshrrev_b32_e32 v18, 16, v18
	v_fma_f32 v7, -v8, v7, v22
	v_cndmask_b32_e32 v21, 0x7f800000, v30, vcc_lo
	v_cmp_o_f32_e32 vcc_lo, v4, v4
	v_add3_u32 v19, v6, v19, 0x7fff
	v_bfe_u32 v20, v11, 16, 1
	s_delay_alu instid0(VALU_DEP_4)
	v_fma_f32 v12, -v8, v21, v12
	v_cndmask_b32_e32 v4, 0x7fc0, v15, vcc_lo
	v_cmp_o_f32_e32 vcc_lo, v5, v5
	v_bfe_u32 v21, v7, 16, 1
	v_lshrrev_b32_e32 v19, 16, v19
	v_bfe_u32 v22, v12, 16, 1
	v_add3_u32 v20, v11, v20, 0x7fff
	v_cndmask_b32_e32 v5, 0x7fc0, v17, vcc_lo
	v_cmp_o_f32_e32 vcc_lo, v10, v10
	v_add3_u32 v21, v7, v21, 0x7fff
	v_add3_u32 v22, v12, v22, 0x7fff
	v_lshrrev_b32_e32 v20, 16, v20
	v_cndmask_b32_e32 v10, 0x7fc0, v18, vcc_lo
	v_cmp_o_f32_e32 vcc_lo, v6, v6
	v_lshrrev_b32_e32 v21, 16, v21
	v_lshrrev_b32_e32 v22, 16, v22
	s_delay_alu instid0(VALU_DEP_4)
	v_perm_b32 v5, v5, v10, 0x5040100
	v_cndmask_b32_e32 v6, 0x7fc0, v19, vcc_lo
	v_cmp_o_f32_e32 vcc_lo, v7, v7
	v_cndmask_b32_e32 v7, 0x7fc0, v21, vcc_lo
	v_cmp_o_f32_e32 vcc_lo, v12, v12
	;; [unrolled: 2-line block ×3, first 2 shown]
	s_delay_alu instid0(VALU_DEP_2) | instskip(SKIP_2) | instid1(VALU_DEP_2)
	v_perm_b32 v7, v7, v12, 0x5040100
	v_cndmask_b32_e32 v11, 0x7fc0, v20, vcc_lo
	v_cmp_o_f32_e32 vcc_lo, v9, v9
	v_perm_b32 v6, v6, v11, 0x5040100
	v_cndmask_b32_e32 v9, 0x7fc0, v16, vcc_lo
	v_cmp_le_i32_e32 vcc_lo, s0, v2
	s_delay_alu instid0(VALU_DEP_2)
	v_perm_b32 v4, v4, v9, 0x5040100
	s_or_b32 s2, vcc_lo, s2
	global_store_b128 v[13:14], v[4:7], off
	s_and_not1_b32 exec_lo, exec_lo, s2
	s_cbranch_execnz .LBB323_88
.LBB323_89:
	s_or_b32 exec_lo, exec_lo, s1
	v_add_nc_u32_e32 v0, s0, v0
	s_mov_b32 s0, exec_lo
	s_delay_alu instid0(VALU_DEP_1)
	v_cmpx_gt_i32_e64 s10, v0
	s_cbranch_execz .LBB323_93
; %bb.90:
	s_mov_b32 s1, 0
.LBB323_91:                             ; =>This Inner Loop Header: Depth=1
	v_ashrrev_i32_e32 v1, 31, v0
	s_delay_alu instid0(VALU_DEP_1) | instskip(SKIP_1) | instid1(VALU_DEP_2)
	v_lshlrev_b64 v[1:2], 1, v[0:1]
	v_add_nc_u32_e32 v0, v0, v3
	v_add_co_u32 v4, vcc_lo, s18, v1
	s_delay_alu instid0(VALU_DEP_3)
	v_add_co_ci_u32_e32 v5, vcc_lo, s19, v2, vcc_lo
	global_load_u16 v6, v[4:5], off
	v_add_co_u32 v4, vcc_lo, s12, v1
	v_add_co_ci_u32_e32 v5, vcc_lo, s13, v2, vcc_lo
	global_load_u16 v4, v[4:5], off
	s_waitcnt vmcnt(1)
	v_lshlrev_b32_e32 v5, 16, v6
	s_delay_alu instid0(VALU_DEP_1) | instskip(NEXT) | instid1(VALU_DEP_1)
	v_mul_f32_e32 v6, 0x3fb8aa3b, v5
	v_fma_f32 v7, 0x3fb8aa3b, v5, -v6
	v_rndne_f32_e32 v9, v6
	s_delay_alu instid0(VALU_DEP_1) | instskip(SKIP_1) | instid1(VALU_DEP_4)
	v_sub_f32_e32 v6, v6, v9
	v_cmp_ngt_f32_e32 vcc_lo, 0xc2ce8ed0, v5
	v_fmac_f32_e32 v7, 0x32a5705f, v5
	s_delay_alu instid0(VALU_DEP_1) | instskip(SKIP_1) | instid1(VALU_DEP_2)
	v_add_f32_e32 v6, v6, v7
	v_cvt_i32_f32_e32 v7, v9
	v_exp_f32_e32 v6, v6
	s_waitcnt_depctr 0xfff
	v_ldexp_f32 v6, v6, v7
	s_delay_alu instid0(VALU_DEP_1) | instskip(SKIP_2) | instid1(VALU_DEP_2)
	v_cndmask_b32_e32 v6, 0, v6, vcc_lo
	v_cmp_nlt_f32_e32 vcc_lo, 0x42b17218, v5
	s_waitcnt vmcnt(0)
	v_dual_cndmask_b32 v5, 0x7f800000, v6 :: v_dual_lshlrev_b32 v4, 16, v4
	v_cmp_le_i32_e32 vcc_lo, s10, v0
	s_delay_alu instid0(VALU_DEP_2) | instskip(SKIP_1) | instid1(VALU_DEP_1)
	v_fma_f32 v4, -v8, v5, v4
	s_or_b32 s1, vcc_lo, s1
	v_bfe_u32 v5, v4, 16, 1
	v_cmp_o_f32_e64 s0, v4, v4
	s_delay_alu instid0(VALU_DEP_2) | instskip(NEXT) | instid1(VALU_DEP_1)
	v_add3_u32 v5, v4, v5, 0x7fff
	v_lshrrev_b32_e32 v5, 16, v5
	s_delay_alu instid0(VALU_DEP_1) | instskip(SKIP_1) | instid1(VALU_DEP_1)
	v_cndmask_b32_e64 v4, 0x7fc0, v5, s0
	v_add_co_u32 v1, s0, s16, v1
	v_add_co_ci_u32_e64 v2, s0, s17, v2, s0
	global_store_b16 v[1:2], v4, off
	s_and_not1_b32 exec_lo, exec_lo, s1
	s_cbranch_execnz .LBB323_91
	s_branch .LBB323_93
.LBB323_92:
	s_cbranch_execz .LBB323_66
.LBB323_93:
	s_nop 0
	s_sendmsg sendmsg(MSG_DEALLOC_VGPRS)
	s_endpgm
.LBB323_94:
                                        ; implicit-def: $vgpr2_vgpr3
	s_branch .LBB323_73
	.section	.rodata,"a",@progbits
	.p2align	6, 0x0
	.amdhsa_kernel _ZN2at6native12_GLOBAL__N_120cunn_SoftMaxBackwardILi8EN3c108BFloat16EfS4_NS1_26LogSoftMaxBackwardEpilogueEEEvPT0_PKT2_SA_l
		.amdhsa_group_segment_fixed_size 0
		.amdhsa_private_segment_fixed_size 0
		.amdhsa_kernarg_size 288
		.amdhsa_user_sgpr_count 15
		.amdhsa_user_sgpr_dispatch_ptr 0
		.amdhsa_user_sgpr_queue_ptr 0
		.amdhsa_user_sgpr_kernarg_segment_ptr 1
		.amdhsa_user_sgpr_dispatch_id 0
		.amdhsa_user_sgpr_private_segment_size 0
		.amdhsa_wavefront_size32 1
		.amdhsa_uses_dynamic_stack 0
		.amdhsa_enable_private_segment 0
		.amdhsa_system_sgpr_workgroup_id_x 1
		.amdhsa_system_sgpr_workgroup_id_y 0
		.amdhsa_system_sgpr_workgroup_id_z 0
		.amdhsa_system_sgpr_workgroup_info 0
		.amdhsa_system_vgpr_workitem_id 0
		.amdhsa_next_free_vgpr 60
		.amdhsa_next_free_sgpr 40
		.amdhsa_reserve_vcc 1
		.amdhsa_float_round_mode_32 0
		.amdhsa_float_round_mode_16_64 0
		.amdhsa_float_denorm_mode_32 3
		.amdhsa_float_denorm_mode_16_64 3
		.amdhsa_dx10_clamp 1
		.amdhsa_ieee_mode 1
		.amdhsa_fp16_overflow 0
		.amdhsa_workgroup_processor_mode 1
		.amdhsa_memory_ordered 1
		.amdhsa_forward_progress 0
		.amdhsa_shared_vgpr_count 0
		.amdhsa_exception_fp_ieee_invalid_op 0
		.amdhsa_exception_fp_denorm_src 0
		.amdhsa_exception_fp_ieee_div_zero 0
		.amdhsa_exception_fp_ieee_overflow 0
		.amdhsa_exception_fp_ieee_underflow 0
		.amdhsa_exception_fp_ieee_inexact 0
		.amdhsa_exception_int_div_zero 0
	.end_amdhsa_kernel
	.section	.text._ZN2at6native12_GLOBAL__N_120cunn_SoftMaxBackwardILi8EN3c108BFloat16EfS4_NS1_26LogSoftMaxBackwardEpilogueEEEvPT0_PKT2_SA_l,"axG",@progbits,_ZN2at6native12_GLOBAL__N_120cunn_SoftMaxBackwardILi8EN3c108BFloat16EfS4_NS1_26LogSoftMaxBackwardEpilogueEEEvPT0_PKT2_SA_l,comdat
.Lfunc_end323:
	.size	_ZN2at6native12_GLOBAL__N_120cunn_SoftMaxBackwardILi8EN3c108BFloat16EfS4_NS1_26LogSoftMaxBackwardEpilogueEEEvPT0_PKT2_SA_l, .Lfunc_end323-_ZN2at6native12_GLOBAL__N_120cunn_SoftMaxBackwardILi8EN3c108BFloat16EfS4_NS1_26LogSoftMaxBackwardEpilogueEEEvPT0_PKT2_SA_l
                                        ; -- End function
	.section	.AMDGPU.csdata,"",@progbits
; Kernel info:
; codeLenInByte = 13288
; NumSgprs: 42
; NumVgprs: 60
; ScratchSize: 0
; MemoryBound: 0
; FloatMode: 240
; IeeeMode: 1
; LDSByteSize: 0 bytes/workgroup (compile time only)
; SGPRBlocks: 5
; VGPRBlocks: 7
; NumSGPRsForWavesPerEU: 42
; NumVGPRsForWavesPerEU: 60
; Occupancy: 16
; WaveLimiterHint : 0
; COMPUTE_PGM_RSRC2:SCRATCH_EN: 0
; COMPUTE_PGM_RSRC2:USER_SGPR: 15
; COMPUTE_PGM_RSRC2:TRAP_HANDLER: 0
; COMPUTE_PGM_RSRC2:TGID_X_EN: 1
; COMPUTE_PGM_RSRC2:TGID_Y_EN: 0
; COMPUTE_PGM_RSRC2:TGID_Z_EN: 0
; COMPUTE_PGM_RSRC2:TIDIG_COMP_CNT: 0
	.section	.text._ZN12_GLOBAL__N_121softmax_warp_backwardIfN3c108BFloat16EfLi0ELb1ELb0ELi64EEEvPT0_PKT_S7_iiiPKb,"axG",@progbits,_ZN12_GLOBAL__N_121softmax_warp_backwardIfN3c108BFloat16EfLi0ELb1ELb0ELi64EEEvPT0_PKT_S7_iiiPKb,comdat
	.globl	_ZN12_GLOBAL__N_121softmax_warp_backwardIfN3c108BFloat16EfLi0ELb1ELb0ELi64EEEvPT0_PKT_S7_iiiPKb ; -- Begin function _ZN12_GLOBAL__N_121softmax_warp_backwardIfN3c108BFloat16EfLi0ELb1ELb0ELi64EEEvPT0_PKT_S7_iiiPKb
	.p2align	8
	.type	_ZN12_GLOBAL__N_121softmax_warp_backwardIfN3c108BFloat16EfLi0ELb1ELb0ELi64EEEvPT0_PKT_S7_iiiPKb,@function
_ZN12_GLOBAL__N_121softmax_warp_backwardIfN3c108BFloat16EfLi0ELb1ELb0ELi64EEEvPT0_PKT_S7_iiiPKb: ; @_ZN12_GLOBAL__N_121softmax_warp_backwardIfN3c108BFloat16EfLi0ELb1ELb0ELi64EEEvPT0_PKT_S7_iiiPKb
; %bb.0:
	s_clause 0x1
	s_load_b32 s2, s[0:1], 0x3c
	s_load_b128 s[4:7], s[0:1], 0x18
	v_bfe_u32 v0, v0, 10, 10
	s_load_b128 s[8:11], s[0:1], 0x0
	v_mov_b32_e32 v6, 0
	v_mov_b32_e32 v8, 0
	v_mov_b32_e32 v10, 0
	s_waitcnt lgkmcnt(0)
	s_lshr_b32 s2, s2, 16
	s_cmp_gt_i32 s6, 0
	s_mul_i32 s15, s15, s2
	s_load_b64 s[2:3], s[0:1], 0x10
	v_add_lshl_u32 v2, s15, v0, 1
	s_cselect_b32 s1, -1, 0
	s_delay_alu instid0(VALU_DEP_1) | instskip(SKIP_1) | instid1(VALU_DEP_1)
	v_mul_lo_u32 v0, v2, s5
	v_sub_nc_u32_e32 v7, s4, v2
	v_cmp_lt_i32_e32 vcc_lo, 0, v7
	s_delay_alu instid0(VALU_DEP_3) | instskip(NEXT) | instid1(VALU_DEP_1)
	v_ashrrev_i32_e32 v1, 31, v0
	v_lshlrev_b64 v[2:3], 2, v[0:1]
	s_delay_alu instid0(VALU_DEP_1) | instskip(NEXT) | instid1(VALU_DEP_1)
	v_add_co_u32 v4, s0, s10, v2
	v_add_co_ci_u32_e64 v5, s0, s11, v3, s0
	s_waitcnt lgkmcnt(0)
	v_add_co_u32 v2, s0, s2, v2
	s_delay_alu instid0(VALU_DEP_1) | instskip(SKIP_1) | instid1(SALU_CYCLE_1)
	v_add_co_ci_u32_e64 v3, s0, s3, v3, s0
	s_and_b32 s2, s1, vcc_lo
	s_and_saveexec_b32 s0, s2
	s_cbranch_execz .LBB324_2
; %bb.1:
	global_load_b32 v8, v[4:5], off
	global_load_b32 v10, v[2:3], off
.LBB324_2:
	s_or_b32 exec_lo, exec_lo, s0
	v_cmp_lt_i32_e64 s0, 1, v7
	v_mov_b32_e32 v9, 0
	s_mov_b32 s7, 0
	s_delay_alu instid0(VALU_DEP_2) | instskip(NEXT) | instid1(SALU_CYCLE_1)
	s_and_b32 s0, s1, s0
	s_and_saveexec_b32 s2, s0
	s_cbranch_execz .LBB324_4
; %bb.3:
	s_lshl_b64 s[4:5], s[6:7], 2
	s_delay_alu instid0(SALU_CYCLE_1) | instskip(NEXT) | instid1(VALU_DEP_1)
	v_add_co_u32 v4, s0, v4, s4
	v_add_co_ci_u32_e64 v5, s0, s5, v5, s0
	v_add_co_u32 v2, s0, v2, s4
	s_delay_alu instid0(VALU_DEP_1)
	v_add_co_ci_u32_e64 v3, s0, s5, v3, s0
	global_load_b32 v6, v[4:5], off
	global_load_b32 v9, v[2:3], off
.LBB324_4:
	s_or_b32 exec_lo, exec_lo, s2
	s_and_saveexec_b32 s0, vcc_lo
	s_cbranch_execz .LBB324_10
; %bb.5:
	v_lshlrev_b64 v[0:1], 1, v[0:1]
	v_cndmask_b32_e64 v2, 0, 1, s1
	s_delay_alu instid0(VALU_DEP_2) | instskip(NEXT) | instid1(VALU_DEP_3)
	v_add_co_u32 v0, vcc_lo, s8, v0
	v_add_co_ci_u32_e32 v1, vcc_lo, s9, v1, vcc_lo
	s_and_not1_b32 vcc_lo, exec_lo, s1
	s_cbranch_vccnz .LBB324_7
; %bb.6:
	s_waitcnt vmcnt(0)
	v_mul_f32_e32 v3, 0x3fb8aa3b, v10
	v_cmp_ngt_f32_e32 vcc_lo, 0xc2ce8ed0, v10
	s_delay_alu instid0(VALU_DEP_2) | instskip(SKIP_1) | instid1(VALU_DEP_2)
	v_rndne_f32_e32 v4, v3
	v_fma_f32 v5, 0x3fb8aa3b, v10, -v3
	v_sub_f32_e32 v3, v3, v4
	s_delay_alu instid0(VALU_DEP_2) | instskip(SKIP_1) | instid1(VALU_DEP_2)
	v_fmamk_f32 v5, v10, 0x32a5705f, v5
	v_cvt_i32_f32_e32 v4, v4
	v_add_f32_e32 v3, v3, v5
	s_delay_alu instid0(VALU_DEP_1) | instskip(SKIP_2) | instid1(VALU_DEP_1)
	v_exp_f32_e32 v3, v3
	s_waitcnt_depctr 0xfff
	v_ldexp_f32 v3, v3, v4
	v_dual_add_f32 v4, 0, v8 :: v_dual_cndmask_b32 v3, 0, v3
	v_cmp_nlt_f32_e32 vcc_lo, 0x42b17218, v10
	s_delay_alu instid0(VALU_DEP_2) | instskip(NEXT) | instid1(VALU_DEP_1)
	v_cndmask_b32_e32 v3, 0x7f800000, v3, vcc_lo
	v_fma_f32 v3, -v4, v3, v8
	s_delay_alu instid0(VALU_DEP_1) | instskip(SKIP_1) | instid1(VALU_DEP_2)
	v_bfe_u32 v4, v3, 16, 1
	v_cmp_o_f32_e32 vcc_lo, v3, v3
	v_add3_u32 v4, v3, v4, 0x7fff
	s_delay_alu instid0(VALU_DEP_1) | instskip(NEXT) | instid1(VALU_DEP_1)
	v_lshrrev_b32_e32 v4, 16, v4
	v_cndmask_b32_e32 v3, 0x7fc0, v4, vcc_lo
	global_store_b16 v[0:1], v3, off
.LBB324_7:
	v_cmp_ne_u32_e32 vcc_lo, 1, v7
	s_and_b32 exec_lo, exec_lo, vcc_lo
	s_cbranch_execz .LBB324_10
; %bb.8:
	v_cmp_ne_u32_e32 vcc_lo, 1, v2
	s_cbranch_vccnz .LBB324_10
; %bb.9:
	s_waitcnt vmcnt(0)
	v_mul_f32_e32 v2, 0x3fb8aa3b, v9
	v_cmp_ngt_f32_e32 vcc_lo, 0xc2ce8ed0, v9
	s_lshl_b64 s[0:1], s[6:7], 1
	s_delay_alu instid0(VALU_DEP_2) | instskip(SKIP_1) | instid1(VALU_DEP_2)
	v_rndne_f32_e32 v3, v2
	v_fma_f32 v4, 0x3fb8aa3b, v9, -v2
	v_sub_f32_e32 v2, v2, v3
	s_delay_alu instid0(VALU_DEP_2) | instskip(SKIP_1) | instid1(VALU_DEP_2)
	v_fmamk_f32 v4, v9, 0x32a5705f, v4
	v_cvt_i32_f32_e32 v3, v3
	v_add_f32_e32 v2, v2, v4
	s_delay_alu instid0(VALU_DEP_1) | instskip(SKIP_3) | instid1(VALU_DEP_2)
	v_exp_f32_e32 v2, v2
	s_waitcnt_depctr 0xfff
	v_ldexp_f32 v2, v2, v3
	v_add_f32_e32 v3, 0, v6
	v_cndmask_b32_e32 v2, 0, v2, vcc_lo
	v_cmp_nlt_f32_e32 vcc_lo, 0x42b17218, v9
	s_delay_alu instid0(VALU_DEP_2) | instskip(NEXT) | instid1(VALU_DEP_1)
	v_cndmask_b32_e32 v2, 0x7f800000, v2, vcc_lo
	v_fma_f32 v2, -v3, v2, v6
	s_delay_alu instid0(VALU_DEP_1) | instskip(SKIP_1) | instid1(VALU_DEP_2)
	v_bfe_u32 v3, v2, 16, 1
	v_cmp_o_f32_e32 vcc_lo, v2, v2
	v_add3_u32 v3, v2, v3, 0x7fff
	s_delay_alu instid0(VALU_DEP_1) | instskip(NEXT) | instid1(VALU_DEP_1)
	v_lshrrev_b32_e32 v3, 16, v3
	v_cndmask_b32_e32 v2, 0x7fc0, v3, vcc_lo
	v_add_co_u32 v0, vcc_lo, v0, s0
	v_add_co_ci_u32_e32 v1, vcc_lo, s1, v1, vcc_lo
	global_store_b16 v[0:1], v2, off
.LBB324_10:
	s_nop 0
	s_sendmsg sendmsg(MSG_DEALLOC_VGPRS)
	s_endpgm
	.section	.rodata,"a",@progbits
	.p2align	6, 0x0
	.amdhsa_kernel _ZN12_GLOBAL__N_121softmax_warp_backwardIfN3c108BFloat16EfLi0ELb1ELb0ELi64EEEvPT0_PKT_S7_iiiPKb
		.amdhsa_group_segment_fixed_size 0
		.amdhsa_private_segment_fixed_size 0
		.amdhsa_kernarg_size 304
		.amdhsa_user_sgpr_count 15
		.amdhsa_user_sgpr_dispatch_ptr 0
		.amdhsa_user_sgpr_queue_ptr 0
		.amdhsa_user_sgpr_kernarg_segment_ptr 1
		.amdhsa_user_sgpr_dispatch_id 0
		.amdhsa_user_sgpr_private_segment_size 0
		.amdhsa_wavefront_size32 1
		.amdhsa_uses_dynamic_stack 0
		.amdhsa_enable_private_segment 0
		.amdhsa_system_sgpr_workgroup_id_x 1
		.amdhsa_system_sgpr_workgroup_id_y 0
		.amdhsa_system_sgpr_workgroup_id_z 0
		.amdhsa_system_sgpr_workgroup_info 0
		.amdhsa_system_vgpr_workitem_id 1
		.amdhsa_next_free_vgpr 11
		.amdhsa_next_free_sgpr 16
		.amdhsa_reserve_vcc 1
		.amdhsa_float_round_mode_32 0
		.amdhsa_float_round_mode_16_64 0
		.amdhsa_float_denorm_mode_32 3
		.amdhsa_float_denorm_mode_16_64 3
		.amdhsa_dx10_clamp 1
		.amdhsa_ieee_mode 1
		.amdhsa_fp16_overflow 0
		.amdhsa_workgroup_processor_mode 1
		.amdhsa_memory_ordered 1
		.amdhsa_forward_progress 0
		.amdhsa_shared_vgpr_count 0
		.amdhsa_exception_fp_ieee_invalid_op 0
		.amdhsa_exception_fp_denorm_src 0
		.amdhsa_exception_fp_ieee_div_zero 0
		.amdhsa_exception_fp_ieee_overflow 0
		.amdhsa_exception_fp_ieee_underflow 0
		.amdhsa_exception_fp_ieee_inexact 0
		.amdhsa_exception_int_div_zero 0
	.end_amdhsa_kernel
	.section	.text._ZN12_GLOBAL__N_121softmax_warp_backwardIfN3c108BFloat16EfLi0ELb1ELb0ELi64EEEvPT0_PKT_S7_iiiPKb,"axG",@progbits,_ZN12_GLOBAL__N_121softmax_warp_backwardIfN3c108BFloat16EfLi0ELb1ELb0ELi64EEEvPT0_PKT_S7_iiiPKb,comdat
.Lfunc_end324:
	.size	_ZN12_GLOBAL__N_121softmax_warp_backwardIfN3c108BFloat16EfLi0ELb1ELb0ELi64EEEvPT0_PKT_S7_iiiPKb, .Lfunc_end324-_ZN12_GLOBAL__N_121softmax_warp_backwardIfN3c108BFloat16EfLi0ELb1ELb0ELi64EEEvPT0_PKT_S7_iiiPKb
                                        ; -- End function
	.section	.AMDGPU.csdata,"",@progbits
; Kernel info:
; codeLenInByte = 732
; NumSgprs: 18
; NumVgprs: 11
; ScratchSize: 0
; MemoryBound: 0
; FloatMode: 240
; IeeeMode: 1
; LDSByteSize: 0 bytes/workgroup (compile time only)
; SGPRBlocks: 2
; VGPRBlocks: 1
; NumSGPRsForWavesPerEU: 18
; NumVGPRsForWavesPerEU: 11
; Occupancy: 16
; WaveLimiterHint : 0
; COMPUTE_PGM_RSRC2:SCRATCH_EN: 0
; COMPUTE_PGM_RSRC2:USER_SGPR: 15
; COMPUTE_PGM_RSRC2:TRAP_HANDLER: 0
; COMPUTE_PGM_RSRC2:TGID_X_EN: 1
; COMPUTE_PGM_RSRC2:TGID_Y_EN: 0
; COMPUTE_PGM_RSRC2:TGID_Z_EN: 0
; COMPUTE_PGM_RSRC2:TIDIG_COMP_CNT: 1
	.section	.text._ZN12_GLOBAL__N_121softmax_warp_backwardIfN3c108BFloat16EfLi0ELb1ELb0ELi32EEEvPT0_PKT_S7_iiiPKb,"axG",@progbits,_ZN12_GLOBAL__N_121softmax_warp_backwardIfN3c108BFloat16EfLi0ELb1ELb0ELi32EEEvPT0_PKT_S7_iiiPKb,comdat
	.globl	_ZN12_GLOBAL__N_121softmax_warp_backwardIfN3c108BFloat16EfLi0ELb1ELb0ELi32EEEvPT0_PKT_S7_iiiPKb ; -- Begin function _ZN12_GLOBAL__N_121softmax_warp_backwardIfN3c108BFloat16EfLi0ELb1ELb0ELi32EEEvPT0_PKT_S7_iiiPKb
	.p2align	8
	.type	_ZN12_GLOBAL__N_121softmax_warp_backwardIfN3c108BFloat16EfLi0ELb1ELb0ELi32EEEvPT0_PKT_S7_iiiPKb,@function
_ZN12_GLOBAL__N_121softmax_warp_backwardIfN3c108BFloat16EfLi0ELb1ELb0ELi32EEEvPT0_PKT_S7_iiiPKb: ; @_ZN12_GLOBAL__N_121softmax_warp_backwardIfN3c108BFloat16EfLi0ELb1ELb0ELi32EEEvPT0_PKT_S7_iiiPKb
; %bb.0:
	s_clause 0x1
	s_load_b32 s2, s[0:1], 0x3c
	s_load_b128 s[4:7], s[0:1], 0x18
	v_bfe_u32 v0, v0, 10, 10
	s_load_b128 s[8:11], s[0:1], 0x0
	v_mov_b32_e32 v6, 0
	v_mov_b32_e32 v8, 0
	v_mov_b32_e32 v10, 0
	s_waitcnt lgkmcnt(0)
	s_lshr_b32 s2, s2, 16
	s_cmp_gt_i32 s6, 0
	s_mul_i32 s15, s15, s2
	s_load_b64 s[2:3], s[0:1], 0x10
	v_add_lshl_u32 v2, s15, v0, 1
	s_cselect_b32 s1, -1, 0
	s_delay_alu instid0(VALU_DEP_1) | instskip(SKIP_1) | instid1(VALU_DEP_1)
	v_mul_lo_u32 v0, v2, s5
	v_sub_nc_u32_e32 v7, s4, v2
	v_cmp_lt_i32_e32 vcc_lo, 0, v7
	s_delay_alu instid0(VALU_DEP_3) | instskip(NEXT) | instid1(VALU_DEP_1)
	v_ashrrev_i32_e32 v1, 31, v0
	v_lshlrev_b64 v[2:3], 2, v[0:1]
	s_delay_alu instid0(VALU_DEP_1) | instskip(NEXT) | instid1(VALU_DEP_1)
	v_add_co_u32 v4, s0, s10, v2
	v_add_co_ci_u32_e64 v5, s0, s11, v3, s0
	s_waitcnt lgkmcnt(0)
	v_add_co_u32 v2, s0, s2, v2
	s_delay_alu instid0(VALU_DEP_1) | instskip(SKIP_1) | instid1(SALU_CYCLE_1)
	v_add_co_ci_u32_e64 v3, s0, s3, v3, s0
	s_and_b32 s2, s1, vcc_lo
	s_and_saveexec_b32 s0, s2
	s_cbranch_execz .LBB325_2
; %bb.1:
	global_load_b32 v8, v[4:5], off
	global_load_b32 v10, v[2:3], off
.LBB325_2:
	s_or_b32 exec_lo, exec_lo, s0
	v_cmp_lt_i32_e64 s0, 1, v7
	v_mov_b32_e32 v9, 0
	s_mov_b32 s7, 0
	s_delay_alu instid0(VALU_DEP_2) | instskip(NEXT) | instid1(SALU_CYCLE_1)
	s_and_b32 s0, s1, s0
	s_and_saveexec_b32 s2, s0
	s_cbranch_execz .LBB325_4
; %bb.3:
	s_lshl_b64 s[4:5], s[6:7], 2
	s_delay_alu instid0(SALU_CYCLE_1) | instskip(NEXT) | instid1(VALU_DEP_1)
	v_add_co_u32 v4, s0, v4, s4
	v_add_co_ci_u32_e64 v5, s0, s5, v5, s0
	v_add_co_u32 v2, s0, v2, s4
	s_delay_alu instid0(VALU_DEP_1)
	v_add_co_ci_u32_e64 v3, s0, s5, v3, s0
	global_load_b32 v6, v[4:5], off
	global_load_b32 v9, v[2:3], off
.LBB325_4:
	s_or_b32 exec_lo, exec_lo, s2
	s_and_saveexec_b32 s0, vcc_lo
	s_cbranch_execz .LBB325_10
; %bb.5:
	v_lshlrev_b64 v[0:1], 1, v[0:1]
	v_cndmask_b32_e64 v2, 0, 1, s1
	s_delay_alu instid0(VALU_DEP_2) | instskip(NEXT) | instid1(VALU_DEP_3)
	v_add_co_u32 v0, vcc_lo, s8, v0
	v_add_co_ci_u32_e32 v1, vcc_lo, s9, v1, vcc_lo
	s_and_not1_b32 vcc_lo, exec_lo, s1
	s_cbranch_vccnz .LBB325_7
; %bb.6:
	s_waitcnt vmcnt(0)
	v_mul_f32_e32 v3, 0x3fb8aa3b, v10
	v_cmp_ngt_f32_e32 vcc_lo, 0xc2ce8ed0, v10
	s_delay_alu instid0(VALU_DEP_2) | instskip(SKIP_1) | instid1(VALU_DEP_2)
	v_rndne_f32_e32 v4, v3
	v_fma_f32 v5, 0x3fb8aa3b, v10, -v3
	v_sub_f32_e32 v3, v3, v4
	s_delay_alu instid0(VALU_DEP_2) | instskip(SKIP_1) | instid1(VALU_DEP_2)
	v_fmamk_f32 v5, v10, 0x32a5705f, v5
	v_cvt_i32_f32_e32 v4, v4
	v_add_f32_e32 v3, v3, v5
	s_delay_alu instid0(VALU_DEP_1) | instskip(SKIP_2) | instid1(VALU_DEP_1)
	v_exp_f32_e32 v3, v3
	s_waitcnt_depctr 0xfff
	v_ldexp_f32 v3, v3, v4
	v_dual_add_f32 v4, 0, v8 :: v_dual_cndmask_b32 v3, 0, v3
	v_cmp_nlt_f32_e32 vcc_lo, 0x42b17218, v10
	s_delay_alu instid0(VALU_DEP_2) | instskip(NEXT) | instid1(VALU_DEP_1)
	v_cndmask_b32_e32 v3, 0x7f800000, v3, vcc_lo
	v_fma_f32 v3, -v4, v3, v8
	s_delay_alu instid0(VALU_DEP_1) | instskip(SKIP_1) | instid1(VALU_DEP_2)
	v_bfe_u32 v4, v3, 16, 1
	v_cmp_o_f32_e32 vcc_lo, v3, v3
	v_add3_u32 v4, v3, v4, 0x7fff
	s_delay_alu instid0(VALU_DEP_1) | instskip(NEXT) | instid1(VALU_DEP_1)
	v_lshrrev_b32_e32 v4, 16, v4
	v_cndmask_b32_e32 v3, 0x7fc0, v4, vcc_lo
	global_store_b16 v[0:1], v3, off
.LBB325_7:
	v_cmp_ne_u32_e32 vcc_lo, 1, v7
	s_and_b32 exec_lo, exec_lo, vcc_lo
	s_cbranch_execz .LBB325_10
; %bb.8:
	v_cmp_ne_u32_e32 vcc_lo, 1, v2
	s_cbranch_vccnz .LBB325_10
; %bb.9:
	s_waitcnt vmcnt(0)
	v_mul_f32_e32 v2, 0x3fb8aa3b, v9
	v_cmp_ngt_f32_e32 vcc_lo, 0xc2ce8ed0, v9
	s_lshl_b64 s[0:1], s[6:7], 1
	s_delay_alu instid0(VALU_DEP_2) | instskip(SKIP_1) | instid1(VALU_DEP_2)
	v_rndne_f32_e32 v3, v2
	v_fma_f32 v4, 0x3fb8aa3b, v9, -v2
	v_sub_f32_e32 v2, v2, v3
	s_delay_alu instid0(VALU_DEP_2) | instskip(SKIP_1) | instid1(VALU_DEP_2)
	v_fmamk_f32 v4, v9, 0x32a5705f, v4
	v_cvt_i32_f32_e32 v3, v3
	v_add_f32_e32 v2, v2, v4
	s_delay_alu instid0(VALU_DEP_1) | instskip(SKIP_3) | instid1(VALU_DEP_2)
	v_exp_f32_e32 v2, v2
	s_waitcnt_depctr 0xfff
	v_ldexp_f32 v2, v2, v3
	v_add_f32_e32 v3, 0, v6
	v_cndmask_b32_e32 v2, 0, v2, vcc_lo
	v_cmp_nlt_f32_e32 vcc_lo, 0x42b17218, v9
	s_delay_alu instid0(VALU_DEP_2) | instskip(NEXT) | instid1(VALU_DEP_1)
	v_cndmask_b32_e32 v2, 0x7f800000, v2, vcc_lo
	v_fma_f32 v2, -v3, v2, v6
	s_delay_alu instid0(VALU_DEP_1) | instskip(SKIP_1) | instid1(VALU_DEP_2)
	v_bfe_u32 v3, v2, 16, 1
	v_cmp_o_f32_e32 vcc_lo, v2, v2
	v_add3_u32 v3, v2, v3, 0x7fff
	s_delay_alu instid0(VALU_DEP_1) | instskip(NEXT) | instid1(VALU_DEP_1)
	v_lshrrev_b32_e32 v3, 16, v3
	v_cndmask_b32_e32 v2, 0x7fc0, v3, vcc_lo
	v_add_co_u32 v0, vcc_lo, v0, s0
	v_add_co_ci_u32_e32 v1, vcc_lo, s1, v1, vcc_lo
	global_store_b16 v[0:1], v2, off
.LBB325_10:
	s_nop 0
	s_sendmsg sendmsg(MSG_DEALLOC_VGPRS)
	s_endpgm
	.section	.rodata,"a",@progbits
	.p2align	6, 0x0
	.amdhsa_kernel _ZN12_GLOBAL__N_121softmax_warp_backwardIfN3c108BFloat16EfLi0ELb1ELb0ELi32EEEvPT0_PKT_S7_iiiPKb
		.amdhsa_group_segment_fixed_size 0
		.amdhsa_private_segment_fixed_size 0
		.amdhsa_kernarg_size 304
		.amdhsa_user_sgpr_count 15
		.amdhsa_user_sgpr_dispatch_ptr 0
		.amdhsa_user_sgpr_queue_ptr 0
		.amdhsa_user_sgpr_kernarg_segment_ptr 1
		.amdhsa_user_sgpr_dispatch_id 0
		.amdhsa_user_sgpr_private_segment_size 0
		.amdhsa_wavefront_size32 1
		.amdhsa_uses_dynamic_stack 0
		.amdhsa_enable_private_segment 0
		.amdhsa_system_sgpr_workgroup_id_x 1
		.amdhsa_system_sgpr_workgroup_id_y 0
		.amdhsa_system_sgpr_workgroup_id_z 0
		.amdhsa_system_sgpr_workgroup_info 0
		.amdhsa_system_vgpr_workitem_id 1
		.amdhsa_next_free_vgpr 11
		.amdhsa_next_free_sgpr 16
		.amdhsa_reserve_vcc 1
		.amdhsa_float_round_mode_32 0
		.amdhsa_float_round_mode_16_64 0
		.amdhsa_float_denorm_mode_32 3
		.amdhsa_float_denorm_mode_16_64 3
		.amdhsa_dx10_clamp 1
		.amdhsa_ieee_mode 1
		.amdhsa_fp16_overflow 0
		.amdhsa_workgroup_processor_mode 1
		.amdhsa_memory_ordered 1
		.amdhsa_forward_progress 0
		.amdhsa_shared_vgpr_count 0
		.amdhsa_exception_fp_ieee_invalid_op 0
		.amdhsa_exception_fp_denorm_src 0
		.amdhsa_exception_fp_ieee_div_zero 0
		.amdhsa_exception_fp_ieee_overflow 0
		.amdhsa_exception_fp_ieee_underflow 0
		.amdhsa_exception_fp_ieee_inexact 0
		.amdhsa_exception_int_div_zero 0
	.end_amdhsa_kernel
	.section	.text._ZN12_GLOBAL__N_121softmax_warp_backwardIfN3c108BFloat16EfLi0ELb1ELb0ELi32EEEvPT0_PKT_S7_iiiPKb,"axG",@progbits,_ZN12_GLOBAL__N_121softmax_warp_backwardIfN3c108BFloat16EfLi0ELb1ELb0ELi32EEEvPT0_PKT_S7_iiiPKb,comdat
.Lfunc_end325:
	.size	_ZN12_GLOBAL__N_121softmax_warp_backwardIfN3c108BFloat16EfLi0ELb1ELb0ELi32EEEvPT0_PKT_S7_iiiPKb, .Lfunc_end325-_ZN12_GLOBAL__N_121softmax_warp_backwardIfN3c108BFloat16EfLi0ELb1ELb0ELi32EEEvPT0_PKT_S7_iiiPKb
                                        ; -- End function
	.section	.AMDGPU.csdata,"",@progbits
; Kernel info:
; codeLenInByte = 732
; NumSgprs: 18
; NumVgprs: 11
; ScratchSize: 0
; MemoryBound: 0
; FloatMode: 240
; IeeeMode: 1
; LDSByteSize: 0 bytes/workgroup (compile time only)
; SGPRBlocks: 2
; VGPRBlocks: 1
; NumSGPRsForWavesPerEU: 18
; NumVGPRsForWavesPerEU: 11
; Occupancy: 16
; WaveLimiterHint : 0
; COMPUTE_PGM_RSRC2:SCRATCH_EN: 0
; COMPUTE_PGM_RSRC2:USER_SGPR: 15
; COMPUTE_PGM_RSRC2:TRAP_HANDLER: 0
; COMPUTE_PGM_RSRC2:TGID_X_EN: 1
; COMPUTE_PGM_RSRC2:TGID_Y_EN: 0
; COMPUTE_PGM_RSRC2:TGID_Z_EN: 0
; COMPUTE_PGM_RSRC2:TIDIG_COMP_CNT: 1
	.section	.text._ZN12_GLOBAL__N_121softmax_warp_backwardIfN3c108BFloat16EfLi1ELb1ELb0ELi64EEEvPT0_PKT_S7_iiiPKb,"axG",@progbits,_ZN12_GLOBAL__N_121softmax_warp_backwardIfN3c108BFloat16EfLi1ELb1ELb0ELi64EEEvPT0_PKT_S7_iiiPKb,comdat
	.globl	_ZN12_GLOBAL__N_121softmax_warp_backwardIfN3c108BFloat16EfLi1ELb1ELb0ELi64EEEvPT0_PKT_S7_iiiPKb ; -- Begin function _ZN12_GLOBAL__N_121softmax_warp_backwardIfN3c108BFloat16EfLi1ELb1ELb0ELi64EEEvPT0_PKT_S7_iiiPKb
	.p2align	8
	.type	_ZN12_GLOBAL__N_121softmax_warp_backwardIfN3c108BFloat16EfLi1ELb1ELb0ELi64EEEvPT0_PKT_S7_iiiPKb,@function
_ZN12_GLOBAL__N_121softmax_warp_backwardIfN3c108BFloat16EfLi1ELb1ELb0ELi64EEEvPT0_PKT_S7_iiiPKb: ; @_ZN12_GLOBAL__N_121softmax_warp_backwardIfN3c108BFloat16EfLi1ELb1ELb0ELi64EEEvPT0_PKT_S7_iiiPKb
; %bb.0:
	s_clause 0x1
	s_load_b32 s2, s[0:1], 0x3c
	s_load_b128 s[4:7], s[0:1], 0x18
	v_bfe_u32 v1, v0, 10, 10
	v_and_b32_e32 v4, 1, v0
	v_mov_b32_e32 v6, 0
	v_mov_b32_e32 v8, 0
	v_mov_b32_e32 v10, 0
	s_waitcnt lgkmcnt(0)
	s_lshr_b32 s2, s2, 16
	v_cmp_gt_i32_e32 vcc_lo, s6, v4
	s_mul_i32 s15, s15, s2
	s_clause 0x1
	s_load_b128 s[8:11], s[0:1], 0x0
	s_load_b64 s[2:3], s[0:1], 0x10
	v_add_lshl_u32 v2, s15, v1, 1
	s_delay_alu instid0(VALU_DEP_1) | instskip(SKIP_1) | instid1(VALU_DEP_1)
	v_mul_lo_u32 v1, v2, s5
	v_sub_nc_u32_e32 v7, s4, v2
	v_cmp_lt_i32_e64 s0, 0, v7
	s_delay_alu instid0(VALU_DEP_3) | instskip(NEXT) | instid1(VALU_DEP_1)
	v_or_b32_e32 v0, v1, v4
	v_ashrrev_i32_e32 v1, 31, v0
	s_delay_alu instid0(VALU_DEP_1) | instskip(SKIP_1) | instid1(VALU_DEP_1)
	v_lshlrev_b64 v[2:3], 2, v[0:1]
	s_waitcnt lgkmcnt(0)
	v_add_co_u32 v4, s1, s10, v2
	s_delay_alu instid0(VALU_DEP_1) | instskip(SKIP_1) | instid1(VALU_DEP_1)
	v_add_co_ci_u32_e64 v5, s1, s11, v3, s1
	v_add_co_u32 v2, s1, s2, v2
	v_add_co_ci_u32_e64 v3, s1, s3, v3, s1
	s_and_b32 s2, vcc_lo, s0
	s_delay_alu instid0(SALU_CYCLE_1)
	s_and_saveexec_b32 s1, s2
	s_cbranch_execz .LBB326_2
; %bb.1:
	global_load_b32 v8, v[4:5], off
	global_load_b32 v10, v[2:3], off
.LBB326_2:
	s_or_b32 exec_lo, exec_lo, s1
	v_cmp_lt_i32_e64 s1, 1, v7
	v_mov_b32_e32 v9, 0
	s_mov_b32 s7, 0
	s_delay_alu instid0(VALU_DEP_2) | instskip(NEXT) | instid1(SALU_CYCLE_1)
	s_and_b32 s1, vcc_lo, s1
	s_and_saveexec_b32 s2, s1
	s_cbranch_execz .LBB326_4
; %bb.3:
	s_lshl_b64 s[4:5], s[6:7], 2
	s_delay_alu instid0(SALU_CYCLE_1) | instskip(NEXT) | instid1(VALU_DEP_1)
	v_add_co_u32 v4, s1, v4, s4
	v_add_co_ci_u32_e64 v5, s1, s5, v5, s1
	v_add_co_u32 v2, s1, v2, s4
	s_delay_alu instid0(VALU_DEP_1)
	v_add_co_ci_u32_e64 v3, s1, s5, v3, s1
	global_load_b32 v6, v[4:5], off
	global_load_b32 v9, v[2:3], off
.LBB326_4:
	s_or_b32 exec_lo, exec_lo, s2
	v_mbcnt_lo_u32_b32 v2, -1, 0
	s_delay_alu instid0(VALU_DEP_1) | instskip(SKIP_1) | instid1(VALU_DEP_2)
	v_and_b32_e32 v3, 30, v2
	v_xor_b32_e32 v4, 1, v2
	v_add_nc_u32_e32 v3, 2, v3
	s_delay_alu instid0(VALU_DEP_1) | instskip(NEXT) | instid1(VALU_DEP_1)
	v_cmp_lt_i32_e64 s1, v4, v3
	v_cndmask_b32_e64 v2, v2, v4, s1
	s_waitcnt vmcnt(1)
	s_delay_alu instid0(VALU_DEP_1)
	v_dual_add_f32 v4, 0, v8 :: v_dual_lshlrev_b32 v3, 2, v2
	v_add_f32_e32 v2, 0, v6
	ds_bpermute_b32 v5, v3, v4
	ds_bpermute_b32 v3, v3, v2
	s_and_saveexec_b32 s1, s0
	s_cbranch_execz .LBB326_10
; %bb.5:
	v_lshlrev_b64 v[0:1], 1, v[0:1]
	s_delay_alu instid0(VALU_DEP_1) | instskip(NEXT) | instid1(VALU_DEP_1)
	v_add_co_u32 v0, s0, s8, v0
	v_add_co_ci_u32_e64 v1, s0, s9, v1, s0
	s_and_saveexec_b32 s1, vcc_lo
	s_cbranch_execz .LBB326_7
; %bb.6:
	s_waitcnt vmcnt(0) lgkmcnt(1)
	v_dual_mul_f32 v11, 0x3fb8aa3b, v10 :: v_dual_add_f32 v4, v4, v5
	v_cmp_ngt_f32_e64 s0, 0xc2ce8ed0, v10
	s_delay_alu instid0(VALU_DEP_2) | instskip(SKIP_1) | instid1(VALU_DEP_2)
	v_rndne_f32_e32 v12, v11
	v_fma_f32 v13, 0x3fb8aa3b, v10, -v11
	v_sub_f32_e32 v11, v11, v12
	s_delay_alu instid0(VALU_DEP_2) | instskip(SKIP_1) | instid1(VALU_DEP_2)
	v_fmamk_f32 v13, v10, 0x32a5705f, v13
	v_cvt_i32_f32_e32 v12, v12
	v_add_f32_e32 v11, v11, v13
	s_delay_alu instid0(VALU_DEP_1) | instskip(SKIP_2) | instid1(VALU_DEP_1)
	v_exp_f32_e32 v11, v11
	s_waitcnt_depctr 0xfff
	v_ldexp_f32 v11, v11, v12
	v_cndmask_b32_e64 v11, 0, v11, s0
	v_cmp_nlt_f32_e64 s0, 0x42b17218, v10
	s_delay_alu instid0(VALU_DEP_1) | instskip(NEXT) | instid1(VALU_DEP_1)
	v_cndmask_b32_e64 v5, 0x7f800000, v11, s0
	v_fma_f32 v4, -v4, v5, v8
	s_delay_alu instid0(VALU_DEP_1) | instskip(SKIP_1) | instid1(VALU_DEP_2)
	v_bfe_u32 v5, v4, 16, 1
	v_cmp_o_f32_e64 s0, v4, v4
	v_add3_u32 v5, v4, v5, 0x7fff
	s_delay_alu instid0(VALU_DEP_1) | instskip(NEXT) | instid1(VALU_DEP_1)
	v_lshrrev_b32_e32 v5, 16, v5
	v_cndmask_b32_e64 v4, 0x7fc0, v5, s0
	global_store_b16 v[0:1], v4, off
.LBB326_7:
	s_or_b32 exec_lo, exec_lo, s1
	v_cmp_ne_u32_e64 s0, 1, v7
	s_delay_alu instid0(VALU_DEP_1)
	s_and_b32 exec_lo, exec_lo, s0
	s_cbranch_execz .LBB326_10
; %bb.8:
	s_and_b32 exec_lo, exec_lo, vcc_lo
	s_cbranch_execz .LBB326_10
; %bb.9:
	s_waitcnt vmcnt(0)
	v_mul_f32_e32 v4, 0x3fb8aa3b, v9
	v_cmp_ngt_f32_e32 vcc_lo, 0xc2ce8ed0, v9
	s_lshl_b64 s[0:1], s[6:7], 1
	s_waitcnt lgkmcnt(1)
	s_delay_alu instid0(VALU_DEP_2) | instskip(SKIP_1) | instid1(VALU_DEP_1)
	v_rndne_f32_e32 v5, v4
	v_fma_f32 v7, 0x3fb8aa3b, v9, -v4
	v_dual_sub_f32 v4, v4, v5 :: v_dual_fmamk_f32 v7, v9, 0x32a5705f, v7
	v_cvt_i32_f32_e32 v5, v5
	s_delay_alu instid0(VALU_DEP_2) | instskip(NEXT) | instid1(VALU_DEP_1)
	v_add_f32_e32 v4, v4, v7
	v_exp_f32_e32 v4, v4
	s_waitcnt_depctr 0xfff
	v_ldexp_f32 v4, v4, v5
	s_delay_alu instid0(VALU_DEP_1) | instskip(SKIP_2) | instid1(VALU_DEP_2)
	v_cndmask_b32_e32 v4, 0, v4, vcc_lo
	v_cmp_nlt_f32_e32 vcc_lo, 0x42b17218, v9
	s_waitcnt lgkmcnt(0)
	v_dual_add_f32 v2, v2, v3 :: v_dual_cndmask_b32 v3, 0x7f800000, v4
	s_delay_alu instid0(VALU_DEP_1) | instskip(NEXT) | instid1(VALU_DEP_1)
	v_fma_f32 v2, -v2, v3, v6
	v_bfe_u32 v3, v2, 16, 1
	v_cmp_o_f32_e32 vcc_lo, v2, v2
	s_delay_alu instid0(VALU_DEP_2) | instskip(NEXT) | instid1(VALU_DEP_1)
	v_add3_u32 v3, v2, v3, 0x7fff
	v_lshrrev_b32_e32 v3, 16, v3
	s_delay_alu instid0(VALU_DEP_1)
	v_cndmask_b32_e32 v2, 0x7fc0, v3, vcc_lo
	v_add_co_u32 v0, vcc_lo, v0, s0
	v_add_co_ci_u32_e32 v1, vcc_lo, s1, v1, vcc_lo
	global_store_b16 v[0:1], v2, off
.LBB326_10:
	s_nop 0
	s_sendmsg sendmsg(MSG_DEALLOC_VGPRS)
	s_endpgm
	.section	.rodata,"a",@progbits
	.p2align	6, 0x0
	.amdhsa_kernel _ZN12_GLOBAL__N_121softmax_warp_backwardIfN3c108BFloat16EfLi1ELb1ELb0ELi64EEEvPT0_PKT_S7_iiiPKb
		.amdhsa_group_segment_fixed_size 0
		.amdhsa_private_segment_fixed_size 0
		.amdhsa_kernarg_size 304
		.amdhsa_user_sgpr_count 15
		.amdhsa_user_sgpr_dispatch_ptr 0
		.amdhsa_user_sgpr_queue_ptr 0
		.amdhsa_user_sgpr_kernarg_segment_ptr 1
		.amdhsa_user_sgpr_dispatch_id 0
		.amdhsa_user_sgpr_private_segment_size 0
		.amdhsa_wavefront_size32 1
		.amdhsa_uses_dynamic_stack 0
		.amdhsa_enable_private_segment 0
		.amdhsa_system_sgpr_workgroup_id_x 1
		.amdhsa_system_sgpr_workgroup_id_y 0
		.amdhsa_system_sgpr_workgroup_id_z 0
		.amdhsa_system_sgpr_workgroup_info 0
		.amdhsa_system_vgpr_workitem_id 1
		.amdhsa_next_free_vgpr 14
		.amdhsa_next_free_sgpr 16
		.amdhsa_reserve_vcc 1
		.amdhsa_float_round_mode_32 0
		.amdhsa_float_round_mode_16_64 0
		.amdhsa_float_denorm_mode_32 3
		.amdhsa_float_denorm_mode_16_64 3
		.amdhsa_dx10_clamp 1
		.amdhsa_ieee_mode 1
		.amdhsa_fp16_overflow 0
		.amdhsa_workgroup_processor_mode 1
		.amdhsa_memory_ordered 1
		.amdhsa_forward_progress 0
		.amdhsa_shared_vgpr_count 0
		.amdhsa_exception_fp_ieee_invalid_op 0
		.amdhsa_exception_fp_denorm_src 0
		.amdhsa_exception_fp_ieee_div_zero 0
		.amdhsa_exception_fp_ieee_overflow 0
		.amdhsa_exception_fp_ieee_underflow 0
		.amdhsa_exception_fp_ieee_inexact 0
		.amdhsa_exception_int_div_zero 0
	.end_amdhsa_kernel
	.section	.text._ZN12_GLOBAL__N_121softmax_warp_backwardIfN3c108BFloat16EfLi1ELb1ELb0ELi64EEEvPT0_PKT_S7_iiiPKb,"axG",@progbits,_ZN12_GLOBAL__N_121softmax_warp_backwardIfN3c108BFloat16EfLi1ELb1ELb0ELi64EEEvPT0_PKT_S7_iiiPKb,comdat
.Lfunc_end326:
	.size	_ZN12_GLOBAL__N_121softmax_warp_backwardIfN3c108BFloat16EfLi1ELb1ELb0ELi64EEEvPT0_PKT_S7_iiiPKb, .Lfunc_end326-_ZN12_GLOBAL__N_121softmax_warp_backwardIfN3c108BFloat16EfLi1ELb1ELb0ELi64EEEvPT0_PKT_S7_iiiPKb
                                        ; -- End function
	.section	.AMDGPU.csdata,"",@progbits
; Kernel info:
; codeLenInByte = 868
; NumSgprs: 18
; NumVgprs: 14
; ScratchSize: 0
; MemoryBound: 0
; FloatMode: 240
; IeeeMode: 1
; LDSByteSize: 0 bytes/workgroup (compile time only)
; SGPRBlocks: 2
; VGPRBlocks: 1
; NumSGPRsForWavesPerEU: 18
; NumVGPRsForWavesPerEU: 14
; Occupancy: 16
; WaveLimiterHint : 0
; COMPUTE_PGM_RSRC2:SCRATCH_EN: 0
; COMPUTE_PGM_RSRC2:USER_SGPR: 15
; COMPUTE_PGM_RSRC2:TRAP_HANDLER: 0
; COMPUTE_PGM_RSRC2:TGID_X_EN: 1
; COMPUTE_PGM_RSRC2:TGID_Y_EN: 0
; COMPUTE_PGM_RSRC2:TGID_Z_EN: 0
; COMPUTE_PGM_RSRC2:TIDIG_COMP_CNT: 1
	.section	.text._ZN12_GLOBAL__N_121softmax_warp_backwardIfN3c108BFloat16EfLi1ELb1ELb0ELi32EEEvPT0_PKT_S7_iiiPKb,"axG",@progbits,_ZN12_GLOBAL__N_121softmax_warp_backwardIfN3c108BFloat16EfLi1ELb1ELb0ELi32EEEvPT0_PKT_S7_iiiPKb,comdat
	.globl	_ZN12_GLOBAL__N_121softmax_warp_backwardIfN3c108BFloat16EfLi1ELb1ELb0ELi32EEEvPT0_PKT_S7_iiiPKb ; -- Begin function _ZN12_GLOBAL__N_121softmax_warp_backwardIfN3c108BFloat16EfLi1ELb1ELb0ELi32EEEvPT0_PKT_S7_iiiPKb
	.p2align	8
	.type	_ZN12_GLOBAL__N_121softmax_warp_backwardIfN3c108BFloat16EfLi1ELb1ELb0ELi32EEEvPT0_PKT_S7_iiiPKb,@function
_ZN12_GLOBAL__N_121softmax_warp_backwardIfN3c108BFloat16EfLi1ELb1ELb0ELi32EEEvPT0_PKT_S7_iiiPKb: ; @_ZN12_GLOBAL__N_121softmax_warp_backwardIfN3c108BFloat16EfLi1ELb1ELb0ELi32EEEvPT0_PKT_S7_iiiPKb
; %bb.0:
	s_clause 0x1
	s_load_b32 s2, s[0:1], 0x3c
	s_load_b128 s[4:7], s[0:1], 0x18
	v_bfe_u32 v1, v0, 10, 10
	v_and_b32_e32 v4, 1, v0
	v_mov_b32_e32 v6, 0
	v_mov_b32_e32 v8, 0
	;; [unrolled: 1-line block ×3, first 2 shown]
	s_waitcnt lgkmcnt(0)
	s_lshr_b32 s2, s2, 16
	v_cmp_gt_i32_e32 vcc_lo, s6, v4
	s_mul_i32 s15, s15, s2
	s_clause 0x1
	s_load_b128 s[8:11], s[0:1], 0x0
	s_load_b64 s[2:3], s[0:1], 0x10
	v_add_lshl_u32 v2, s15, v1, 1
	s_delay_alu instid0(VALU_DEP_1) | instskip(SKIP_1) | instid1(VALU_DEP_1)
	v_mul_lo_u32 v1, v2, s5
	v_sub_nc_u32_e32 v7, s4, v2
	v_cmp_lt_i32_e64 s0, 0, v7
	s_delay_alu instid0(VALU_DEP_3) | instskip(NEXT) | instid1(VALU_DEP_1)
	v_or_b32_e32 v0, v1, v4
	v_ashrrev_i32_e32 v1, 31, v0
	s_delay_alu instid0(VALU_DEP_1) | instskip(SKIP_1) | instid1(VALU_DEP_1)
	v_lshlrev_b64 v[2:3], 2, v[0:1]
	s_waitcnt lgkmcnt(0)
	v_add_co_u32 v4, s1, s10, v2
	s_delay_alu instid0(VALU_DEP_1) | instskip(SKIP_1) | instid1(VALU_DEP_1)
	v_add_co_ci_u32_e64 v5, s1, s11, v3, s1
	v_add_co_u32 v2, s1, s2, v2
	v_add_co_ci_u32_e64 v3, s1, s3, v3, s1
	s_and_b32 s2, vcc_lo, s0
	s_delay_alu instid0(SALU_CYCLE_1)
	s_and_saveexec_b32 s1, s2
	s_cbranch_execz .LBB327_2
; %bb.1:
	global_load_b32 v8, v[4:5], off
	global_load_b32 v10, v[2:3], off
.LBB327_2:
	s_or_b32 exec_lo, exec_lo, s1
	v_cmp_lt_i32_e64 s1, 1, v7
	v_mov_b32_e32 v9, 0
	s_mov_b32 s7, 0
	s_delay_alu instid0(VALU_DEP_2) | instskip(NEXT) | instid1(SALU_CYCLE_1)
	s_and_b32 s1, vcc_lo, s1
	s_and_saveexec_b32 s2, s1
	s_cbranch_execz .LBB327_4
; %bb.3:
	s_lshl_b64 s[4:5], s[6:7], 2
	s_delay_alu instid0(SALU_CYCLE_1) | instskip(NEXT) | instid1(VALU_DEP_1)
	v_add_co_u32 v4, s1, v4, s4
	v_add_co_ci_u32_e64 v5, s1, s5, v5, s1
	v_add_co_u32 v2, s1, v2, s4
	s_delay_alu instid0(VALU_DEP_1)
	v_add_co_ci_u32_e64 v3, s1, s5, v3, s1
	global_load_b32 v6, v[4:5], off
	global_load_b32 v9, v[2:3], off
.LBB327_4:
	s_or_b32 exec_lo, exec_lo, s2
	v_mbcnt_lo_u32_b32 v2, -1, 0
	s_delay_alu instid0(VALU_DEP_1) | instskip(SKIP_1) | instid1(VALU_DEP_2)
	v_and_b32_e32 v3, 30, v2
	v_xor_b32_e32 v4, 1, v2
	v_add_nc_u32_e32 v3, 2, v3
	s_delay_alu instid0(VALU_DEP_1) | instskip(NEXT) | instid1(VALU_DEP_1)
	v_cmp_lt_i32_e64 s1, v4, v3
	v_cndmask_b32_e64 v2, v2, v4, s1
	s_waitcnt vmcnt(1)
	s_delay_alu instid0(VALU_DEP_1)
	v_dual_add_f32 v4, 0, v8 :: v_dual_lshlrev_b32 v3, 2, v2
	v_add_f32_e32 v2, 0, v6
	ds_bpermute_b32 v5, v3, v4
	ds_bpermute_b32 v3, v3, v2
	s_and_saveexec_b32 s1, s0
	s_cbranch_execz .LBB327_10
; %bb.5:
	v_lshlrev_b64 v[0:1], 1, v[0:1]
	s_delay_alu instid0(VALU_DEP_1) | instskip(NEXT) | instid1(VALU_DEP_1)
	v_add_co_u32 v0, s0, s8, v0
	v_add_co_ci_u32_e64 v1, s0, s9, v1, s0
	s_and_saveexec_b32 s1, vcc_lo
	s_cbranch_execz .LBB327_7
; %bb.6:
	s_waitcnt vmcnt(0) lgkmcnt(1)
	v_dual_mul_f32 v11, 0x3fb8aa3b, v10 :: v_dual_add_f32 v4, v4, v5
	v_cmp_ngt_f32_e64 s0, 0xc2ce8ed0, v10
	s_delay_alu instid0(VALU_DEP_2) | instskip(SKIP_1) | instid1(VALU_DEP_2)
	v_rndne_f32_e32 v12, v11
	v_fma_f32 v13, 0x3fb8aa3b, v10, -v11
	v_sub_f32_e32 v11, v11, v12
	s_delay_alu instid0(VALU_DEP_2) | instskip(SKIP_1) | instid1(VALU_DEP_2)
	v_fmamk_f32 v13, v10, 0x32a5705f, v13
	v_cvt_i32_f32_e32 v12, v12
	v_add_f32_e32 v11, v11, v13
	s_delay_alu instid0(VALU_DEP_1) | instskip(SKIP_2) | instid1(VALU_DEP_1)
	v_exp_f32_e32 v11, v11
	s_waitcnt_depctr 0xfff
	v_ldexp_f32 v11, v11, v12
	v_cndmask_b32_e64 v11, 0, v11, s0
	v_cmp_nlt_f32_e64 s0, 0x42b17218, v10
	s_delay_alu instid0(VALU_DEP_1) | instskip(NEXT) | instid1(VALU_DEP_1)
	v_cndmask_b32_e64 v5, 0x7f800000, v11, s0
	v_fma_f32 v4, -v4, v5, v8
	s_delay_alu instid0(VALU_DEP_1) | instskip(SKIP_1) | instid1(VALU_DEP_2)
	v_bfe_u32 v5, v4, 16, 1
	v_cmp_o_f32_e64 s0, v4, v4
	v_add3_u32 v5, v4, v5, 0x7fff
	s_delay_alu instid0(VALU_DEP_1) | instskip(NEXT) | instid1(VALU_DEP_1)
	v_lshrrev_b32_e32 v5, 16, v5
	v_cndmask_b32_e64 v4, 0x7fc0, v5, s0
	global_store_b16 v[0:1], v4, off
.LBB327_7:
	s_or_b32 exec_lo, exec_lo, s1
	v_cmp_ne_u32_e64 s0, 1, v7
	s_delay_alu instid0(VALU_DEP_1)
	s_and_b32 exec_lo, exec_lo, s0
	s_cbranch_execz .LBB327_10
; %bb.8:
	s_and_b32 exec_lo, exec_lo, vcc_lo
	s_cbranch_execz .LBB327_10
; %bb.9:
	s_waitcnt vmcnt(0)
	v_mul_f32_e32 v4, 0x3fb8aa3b, v9
	v_cmp_ngt_f32_e32 vcc_lo, 0xc2ce8ed0, v9
	s_lshl_b64 s[0:1], s[6:7], 1
	s_waitcnt lgkmcnt(1)
	s_delay_alu instid0(VALU_DEP_2) | instskip(SKIP_1) | instid1(VALU_DEP_1)
	v_rndne_f32_e32 v5, v4
	v_fma_f32 v7, 0x3fb8aa3b, v9, -v4
	v_dual_sub_f32 v4, v4, v5 :: v_dual_fmamk_f32 v7, v9, 0x32a5705f, v7
	v_cvt_i32_f32_e32 v5, v5
	s_delay_alu instid0(VALU_DEP_2) | instskip(NEXT) | instid1(VALU_DEP_1)
	v_add_f32_e32 v4, v4, v7
	v_exp_f32_e32 v4, v4
	s_waitcnt_depctr 0xfff
	v_ldexp_f32 v4, v4, v5
	s_delay_alu instid0(VALU_DEP_1) | instskip(SKIP_2) | instid1(VALU_DEP_2)
	v_cndmask_b32_e32 v4, 0, v4, vcc_lo
	v_cmp_nlt_f32_e32 vcc_lo, 0x42b17218, v9
	s_waitcnt lgkmcnt(0)
	v_dual_add_f32 v2, v2, v3 :: v_dual_cndmask_b32 v3, 0x7f800000, v4
	s_delay_alu instid0(VALU_DEP_1) | instskip(NEXT) | instid1(VALU_DEP_1)
	v_fma_f32 v2, -v2, v3, v6
	v_bfe_u32 v3, v2, 16, 1
	v_cmp_o_f32_e32 vcc_lo, v2, v2
	s_delay_alu instid0(VALU_DEP_2) | instskip(NEXT) | instid1(VALU_DEP_1)
	v_add3_u32 v3, v2, v3, 0x7fff
	v_lshrrev_b32_e32 v3, 16, v3
	s_delay_alu instid0(VALU_DEP_1)
	v_cndmask_b32_e32 v2, 0x7fc0, v3, vcc_lo
	v_add_co_u32 v0, vcc_lo, v0, s0
	v_add_co_ci_u32_e32 v1, vcc_lo, s1, v1, vcc_lo
	global_store_b16 v[0:1], v2, off
.LBB327_10:
	s_nop 0
	s_sendmsg sendmsg(MSG_DEALLOC_VGPRS)
	s_endpgm
	.section	.rodata,"a",@progbits
	.p2align	6, 0x0
	.amdhsa_kernel _ZN12_GLOBAL__N_121softmax_warp_backwardIfN3c108BFloat16EfLi1ELb1ELb0ELi32EEEvPT0_PKT_S7_iiiPKb
		.amdhsa_group_segment_fixed_size 0
		.amdhsa_private_segment_fixed_size 0
		.amdhsa_kernarg_size 304
		.amdhsa_user_sgpr_count 15
		.amdhsa_user_sgpr_dispatch_ptr 0
		.amdhsa_user_sgpr_queue_ptr 0
		.amdhsa_user_sgpr_kernarg_segment_ptr 1
		.amdhsa_user_sgpr_dispatch_id 0
		.amdhsa_user_sgpr_private_segment_size 0
		.amdhsa_wavefront_size32 1
		.amdhsa_uses_dynamic_stack 0
		.amdhsa_enable_private_segment 0
		.amdhsa_system_sgpr_workgroup_id_x 1
		.amdhsa_system_sgpr_workgroup_id_y 0
		.amdhsa_system_sgpr_workgroup_id_z 0
		.amdhsa_system_sgpr_workgroup_info 0
		.amdhsa_system_vgpr_workitem_id 1
		.amdhsa_next_free_vgpr 14
		.amdhsa_next_free_sgpr 16
		.amdhsa_reserve_vcc 1
		.amdhsa_float_round_mode_32 0
		.amdhsa_float_round_mode_16_64 0
		.amdhsa_float_denorm_mode_32 3
		.amdhsa_float_denorm_mode_16_64 3
		.amdhsa_dx10_clamp 1
		.amdhsa_ieee_mode 1
		.amdhsa_fp16_overflow 0
		.amdhsa_workgroup_processor_mode 1
		.amdhsa_memory_ordered 1
		.amdhsa_forward_progress 0
		.amdhsa_shared_vgpr_count 0
		.amdhsa_exception_fp_ieee_invalid_op 0
		.amdhsa_exception_fp_denorm_src 0
		.amdhsa_exception_fp_ieee_div_zero 0
		.amdhsa_exception_fp_ieee_overflow 0
		.amdhsa_exception_fp_ieee_underflow 0
		.amdhsa_exception_fp_ieee_inexact 0
		.amdhsa_exception_int_div_zero 0
	.end_amdhsa_kernel
	.section	.text._ZN12_GLOBAL__N_121softmax_warp_backwardIfN3c108BFloat16EfLi1ELb1ELb0ELi32EEEvPT0_PKT_S7_iiiPKb,"axG",@progbits,_ZN12_GLOBAL__N_121softmax_warp_backwardIfN3c108BFloat16EfLi1ELb1ELb0ELi32EEEvPT0_PKT_S7_iiiPKb,comdat
.Lfunc_end327:
	.size	_ZN12_GLOBAL__N_121softmax_warp_backwardIfN3c108BFloat16EfLi1ELb1ELb0ELi32EEEvPT0_PKT_S7_iiiPKb, .Lfunc_end327-_ZN12_GLOBAL__N_121softmax_warp_backwardIfN3c108BFloat16EfLi1ELb1ELb0ELi32EEEvPT0_PKT_S7_iiiPKb
                                        ; -- End function
	.section	.AMDGPU.csdata,"",@progbits
; Kernel info:
; codeLenInByte = 868
; NumSgprs: 18
; NumVgprs: 14
; ScratchSize: 0
; MemoryBound: 0
; FloatMode: 240
; IeeeMode: 1
; LDSByteSize: 0 bytes/workgroup (compile time only)
; SGPRBlocks: 2
; VGPRBlocks: 1
; NumSGPRsForWavesPerEU: 18
; NumVGPRsForWavesPerEU: 14
; Occupancy: 16
; WaveLimiterHint : 0
; COMPUTE_PGM_RSRC2:SCRATCH_EN: 0
; COMPUTE_PGM_RSRC2:USER_SGPR: 15
; COMPUTE_PGM_RSRC2:TRAP_HANDLER: 0
; COMPUTE_PGM_RSRC2:TGID_X_EN: 1
; COMPUTE_PGM_RSRC2:TGID_Y_EN: 0
; COMPUTE_PGM_RSRC2:TGID_Z_EN: 0
; COMPUTE_PGM_RSRC2:TIDIG_COMP_CNT: 1
	.section	.text._ZN12_GLOBAL__N_121softmax_warp_backwardIfN3c108BFloat16EfLi2ELb1ELb0ELi64EEEvPT0_PKT_S7_iiiPKb,"axG",@progbits,_ZN12_GLOBAL__N_121softmax_warp_backwardIfN3c108BFloat16EfLi2ELb1ELb0ELi64EEEvPT0_PKT_S7_iiiPKb,comdat
	.globl	_ZN12_GLOBAL__N_121softmax_warp_backwardIfN3c108BFloat16EfLi2ELb1ELb0ELi64EEEvPT0_PKT_S7_iiiPKb ; -- Begin function _ZN12_GLOBAL__N_121softmax_warp_backwardIfN3c108BFloat16EfLi2ELb1ELb0ELi64EEEvPT0_PKT_S7_iiiPKb
	.p2align	8
	.type	_ZN12_GLOBAL__N_121softmax_warp_backwardIfN3c108BFloat16EfLi2ELb1ELb0ELi64EEEvPT0_PKT_S7_iiiPKb,@function
_ZN12_GLOBAL__N_121softmax_warp_backwardIfN3c108BFloat16EfLi2ELb1ELb0ELi64EEEvPT0_PKT_S7_iiiPKb: ; @_ZN12_GLOBAL__N_121softmax_warp_backwardIfN3c108BFloat16EfLi2ELb1ELb0ELi64EEEvPT0_PKT_S7_iiiPKb
; %bb.0:
	s_clause 0x1
	s_load_b32 s2, s[0:1], 0x3c
	s_load_b128 s[4:7], s[0:1], 0x18
	v_bfe_u32 v1, v0, 10, 10
	v_and_b32_e32 v2, 3, v0
	s_load_b128 s[8:11], s[0:1], 0x0
	v_mov_b32_e32 v6, 0
	v_mov_b32_e32 v8, 0
	s_waitcnt lgkmcnt(0)
	s_lshr_b32 s2, s2, 16
	v_cmp_gt_i32_e32 vcc_lo, s6, v2
	s_mul_i32 s15, s15, s2
	s_load_b64 s[2:3], s[0:1], 0x10
	v_add_lshl_u32 v3, s15, v1, 1
	s_delay_alu instid0(VALU_DEP_1) | instskip(SKIP_1) | instid1(VALU_DEP_1)
	v_mad_u64_u32 v[0:1], null, v3, s5, v[2:3]
	v_sub_nc_u32_e32 v7, s4, v3
	v_cmp_lt_i32_e64 s0, 0, v7
	s_delay_alu instid0(VALU_DEP_3) | instskip(NEXT) | instid1(VALU_DEP_1)
	v_ashrrev_i32_e32 v1, 31, v0
	v_lshlrev_b64 v[9:10], 2, v[0:1]
	s_delay_alu instid0(VALU_DEP_1) | instskip(NEXT) | instid1(VALU_DEP_1)
	v_add_co_u32 v4, s1, s10, v9
	v_add_co_ci_u32_e64 v5, s1, s11, v10, s1
	s_waitcnt lgkmcnt(0)
	v_add_co_u32 v2, s1, s2, v9
	s_delay_alu instid0(VALU_DEP_1) | instskip(SKIP_2) | instid1(SALU_CYCLE_1)
	v_add_co_ci_u32_e64 v3, s1, s3, v10, s1
	v_mov_b32_e32 v10, 0
	s_and_b32 s2, vcc_lo, s0
	s_and_saveexec_b32 s1, s2
	s_cbranch_execz .LBB328_2
; %bb.1:
	global_load_b32 v8, v[4:5], off
	global_load_b32 v10, v[2:3], off
.LBB328_2:
	s_or_b32 exec_lo, exec_lo, s1
	v_cmp_lt_i32_e64 s1, 1, v7
	v_mov_b32_e32 v9, 0
	s_mov_b32 s7, 0
	s_delay_alu instid0(VALU_DEP_2) | instskip(NEXT) | instid1(SALU_CYCLE_1)
	s_and_b32 s1, vcc_lo, s1
	s_and_saveexec_b32 s2, s1
	s_cbranch_execz .LBB328_4
; %bb.3:
	s_lshl_b64 s[4:5], s[6:7], 2
	s_delay_alu instid0(SALU_CYCLE_1) | instskip(NEXT) | instid1(VALU_DEP_1)
	v_add_co_u32 v4, s1, v4, s4
	v_add_co_ci_u32_e64 v5, s1, s5, v5, s1
	v_add_co_u32 v2, s1, v2, s4
	s_delay_alu instid0(VALU_DEP_1)
	v_add_co_ci_u32_e64 v3, s1, s5, v3, s1
	global_load_b32 v6, v[4:5], off
	global_load_b32 v9, v[2:3], off
.LBB328_4:
	s_or_b32 exec_lo, exec_lo, s2
	v_mbcnt_lo_u32_b32 v2, -1, 0
	s_waitcnt vmcnt(1)
	v_add_f32_e32 v5, 0, v8
	v_add_f32_e32 v11, 0, v6
	s_delay_alu instid0(VALU_DEP_3) | instskip(SKIP_1) | instid1(VALU_DEP_2)
	v_and_b32_e32 v3, 28, v2
	v_xor_b32_e32 v4, 2, v2
	v_add_nc_u32_e32 v3, 4, v3
	s_delay_alu instid0(VALU_DEP_1) | instskip(NEXT) | instid1(VALU_DEP_1)
	v_cmp_lt_i32_e64 s1, v4, v3
	v_cndmask_b32_e64 v4, v2, v4, s1
	s_delay_alu instid0(VALU_DEP_1) | instskip(SKIP_3) | instid1(VALU_DEP_1)
	v_lshlrev_b32_e32 v4, 2, v4
	ds_bpermute_b32 v12, v4, v5
	ds_bpermute_b32 v13, v4, v11
	v_xor_b32_e32 v4, 1, v2
	v_cmp_lt_i32_e64 s1, v4, v3
	s_delay_alu instid0(VALU_DEP_1) | instskip(SKIP_1) | instid1(VALU_DEP_1)
	v_cndmask_b32_e64 v2, v2, v4, s1
	s_waitcnt lgkmcnt(1)
	v_dual_add_f32 v4, v5, v12 :: v_dual_lshlrev_b32 v3, 2, v2
	s_waitcnt lgkmcnt(0)
	v_add_f32_e32 v2, v11, v13
	ds_bpermute_b32 v5, v3, v4
	ds_bpermute_b32 v3, v3, v2
	s_and_saveexec_b32 s1, s0
	s_cbranch_execz .LBB328_10
; %bb.5:
	v_lshlrev_b64 v[0:1], 1, v[0:1]
	s_delay_alu instid0(VALU_DEP_1) | instskip(NEXT) | instid1(VALU_DEP_1)
	v_add_co_u32 v0, s0, s8, v0
	v_add_co_ci_u32_e64 v1, s0, s9, v1, s0
	s_and_saveexec_b32 s1, vcc_lo
	s_cbranch_execz .LBB328_7
; %bb.6:
	s_waitcnt vmcnt(0) lgkmcnt(1)
	v_dual_mul_f32 v11, 0x3fb8aa3b, v10 :: v_dual_add_f32 v4, v4, v5
	v_cmp_ngt_f32_e64 s0, 0xc2ce8ed0, v10
	s_delay_alu instid0(VALU_DEP_2) | instskip(SKIP_1) | instid1(VALU_DEP_2)
	v_rndne_f32_e32 v12, v11
	v_fma_f32 v13, 0x3fb8aa3b, v10, -v11
	v_sub_f32_e32 v11, v11, v12
	s_delay_alu instid0(VALU_DEP_2) | instskip(SKIP_1) | instid1(VALU_DEP_2)
	v_fmamk_f32 v13, v10, 0x32a5705f, v13
	v_cvt_i32_f32_e32 v12, v12
	v_add_f32_e32 v11, v11, v13
	s_delay_alu instid0(VALU_DEP_1) | instskip(SKIP_2) | instid1(VALU_DEP_1)
	v_exp_f32_e32 v11, v11
	s_waitcnt_depctr 0xfff
	v_ldexp_f32 v11, v11, v12
	v_cndmask_b32_e64 v11, 0, v11, s0
	v_cmp_nlt_f32_e64 s0, 0x42b17218, v10
	s_delay_alu instid0(VALU_DEP_1) | instskip(NEXT) | instid1(VALU_DEP_1)
	v_cndmask_b32_e64 v5, 0x7f800000, v11, s0
	v_fma_f32 v4, -v4, v5, v8
	s_delay_alu instid0(VALU_DEP_1) | instskip(SKIP_1) | instid1(VALU_DEP_2)
	v_bfe_u32 v5, v4, 16, 1
	v_cmp_o_f32_e64 s0, v4, v4
	v_add3_u32 v5, v4, v5, 0x7fff
	s_delay_alu instid0(VALU_DEP_1) | instskip(NEXT) | instid1(VALU_DEP_1)
	v_lshrrev_b32_e32 v5, 16, v5
	v_cndmask_b32_e64 v4, 0x7fc0, v5, s0
	global_store_b16 v[0:1], v4, off
.LBB328_7:
	s_or_b32 exec_lo, exec_lo, s1
	v_cmp_ne_u32_e64 s0, 1, v7
	s_delay_alu instid0(VALU_DEP_1)
	s_and_b32 exec_lo, exec_lo, s0
	s_cbranch_execz .LBB328_10
; %bb.8:
	s_and_b32 exec_lo, exec_lo, vcc_lo
	s_cbranch_execz .LBB328_10
; %bb.9:
	s_waitcnt vmcnt(0)
	v_mul_f32_e32 v4, 0x3fb8aa3b, v9
	v_cmp_ngt_f32_e32 vcc_lo, 0xc2ce8ed0, v9
	s_lshl_b64 s[0:1], s[6:7], 1
	s_waitcnt lgkmcnt(1)
	s_delay_alu instid0(VALU_DEP_2) | instskip(SKIP_1) | instid1(VALU_DEP_1)
	v_rndne_f32_e32 v5, v4
	v_fma_f32 v7, 0x3fb8aa3b, v9, -v4
	v_dual_sub_f32 v4, v4, v5 :: v_dual_fmamk_f32 v7, v9, 0x32a5705f, v7
	v_cvt_i32_f32_e32 v5, v5
	s_delay_alu instid0(VALU_DEP_2) | instskip(NEXT) | instid1(VALU_DEP_1)
	v_add_f32_e32 v4, v4, v7
	v_exp_f32_e32 v4, v4
	s_waitcnt_depctr 0xfff
	v_ldexp_f32 v4, v4, v5
	s_delay_alu instid0(VALU_DEP_1) | instskip(SKIP_2) | instid1(VALU_DEP_2)
	v_cndmask_b32_e32 v4, 0, v4, vcc_lo
	v_cmp_nlt_f32_e32 vcc_lo, 0x42b17218, v9
	s_waitcnt lgkmcnt(0)
	v_dual_add_f32 v2, v2, v3 :: v_dual_cndmask_b32 v3, 0x7f800000, v4
	s_delay_alu instid0(VALU_DEP_1) | instskip(NEXT) | instid1(VALU_DEP_1)
	v_fma_f32 v2, -v2, v3, v6
	v_bfe_u32 v3, v2, 16, 1
	v_cmp_o_f32_e32 vcc_lo, v2, v2
	s_delay_alu instid0(VALU_DEP_2) | instskip(NEXT) | instid1(VALU_DEP_1)
	v_add3_u32 v3, v2, v3, 0x7fff
	v_lshrrev_b32_e32 v3, 16, v3
	s_delay_alu instid0(VALU_DEP_1)
	v_cndmask_b32_e32 v2, 0x7fc0, v3, vcc_lo
	v_add_co_u32 v0, vcc_lo, v0, s0
	v_add_co_ci_u32_e32 v1, vcc_lo, s1, v1, vcc_lo
	global_store_b16 v[0:1], v2, off
.LBB328_10:
	s_nop 0
	s_sendmsg sendmsg(MSG_DEALLOC_VGPRS)
	s_endpgm
	.section	.rodata,"a",@progbits
	.p2align	6, 0x0
	.amdhsa_kernel _ZN12_GLOBAL__N_121softmax_warp_backwardIfN3c108BFloat16EfLi2ELb1ELb0ELi64EEEvPT0_PKT_S7_iiiPKb
		.amdhsa_group_segment_fixed_size 0
		.amdhsa_private_segment_fixed_size 0
		.amdhsa_kernarg_size 304
		.amdhsa_user_sgpr_count 15
		.amdhsa_user_sgpr_dispatch_ptr 0
		.amdhsa_user_sgpr_queue_ptr 0
		.amdhsa_user_sgpr_kernarg_segment_ptr 1
		.amdhsa_user_sgpr_dispatch_id 0
		.amdhsa_user_sgpr_private_segment_size 0
		.amdhsa_wavefront_size32 1
		.amdhsa_uses_dynamic_stack 0
		.amdhsa_enable_private_segment 0
		.amdhsa_system_sgpr_workgroup_id_x 1
		.amdhsa_system_sgpr_workgroup_id_y 0
		.amdhsa_system_sgpr_workgroup_id_z 0
		.amdhsa_system_sgpr_workgroup_info 0
		.amdhsa_system_vgpr_workitem_id 1
		.amdhsa_next_free_vgpr 14
		.amdhsa_next_free_sgpr 16
		.amdhsa_reserve_vcc 1
		.amdhsa_float_round_mode_32 0
		.amdhsa_float_round_mode_16_64 0
		.amdhsa_float_denorm_mode_32 3
		.amdhsa_float_denorm_mode_16_64 3
		.amdhsa_dx10_clamp 1
		.amdhsa_ieee_mode 1
		.amdhsa_fp16_overflow 0
		.amdhsa_workgroup_processor_mode 1
		.amdhsa_memory_ordered 1
		.amdhsa_forward_progress 0
		.amdhsa_shared_vgpr_count 0
		.amdhsa_exception_fp_ieee_invalid_op 0
		.amdhsa_exception_fp_denorm_src 0
		.amdhsa_exception_fp_ieee_div_zero 0
		.amdhsa_exception_fp_ieee_overflow 0
		.amdhsa_exception_fp_ieee_underflow 0
		.amdhsa_exception_fp_ieee_inexact 0
		.amdhsa_exception_int_div_zero 0
	.end_amdhsa_kernel
	.section	.text._ZN12_GLOBAL__N_121softmax_warp_backwardIfN3c108BFloat16EfLi2ELb1ELb0ELi64EEEvPT0_PKT_S7_iiiPKb,"axG",@progbits,_ZN12_GLOBAL__N_121softmax_warp_backwardIfN3c108BFloat16EfLi2ELb1ELb0ELi64EEEvPT0_PKT_S7_iiiPKb,comdat
.Lfunc_end328:
	.size	_ZN12_GLOBAL__N_121softmax_warp_backwardIfN3c108BFloat16EfLi2ELb1ELb0ELi64EEEvPT0_PKT_S7_iiiPKb, .Lfunc_end328-_ZN12_GLOBAL__N_121softmax_warp_backwardIfN3c108BFloat16EfLi2ELb1ELb0ELi64EEEvPT0_PKT_S7_iiiPKb
                                        ; -- End function
	.section	.AMDGPU.csdata,"",@progbits
; Kernel info:
; codeLenInByte = 916
; NumSgprs: 18
; NumVgprs: 14
; ScratchSize: 0
; MemoryBound: 0
; FloatMode: 240
; IeeeMode: 1
; LDSByteSize: 0 bytes/workgroup (compile time only)
; SGPRBlocks: 2
; VGPRBlocks: 1
; NumSGPRsForWavesPerEU: 18
; NumVGPRsForWavesPerEU: 14
; Occupancy: 16
; WaveLimiterHint : 0
; COMPUTE_PGM_RSRC2:SCRATCH_EN: 0
; COMPUTE_PGM_RSRC2:USER_SGPR: 15
; COMPUTE_PGM_RSRC2:TRAP_HANDLER: 0
; COMPUTE_PGM_RSRC2:TGID_X_EN: 1
; COMPUTE_PGM_RSRC2:TGID_Y_EN: 0
; COMPUTE_PGM_RSRC2:TGID_Z_EN: 0
; COMPUTE_PGM_RSRC2:TIDIG_COMP_CNT: 1
	.section	.text._ZN12_GLOBAL__N_121softmax_warp_backwardIfN3c108BFloat16EfLi2ELb1ELb0ELi32EEEvPT0_PKT_S7_iiiPKb,"axG",@progbits,_ZN12_GLOBAL__N_121softmax_warp_backwardIfN3c108BFloat16EfLi2ELb1ELb0ELi32EEEvPT0_PKT_S7_iiiPKb,comdat
	.globl	_ZN12_GLOBAL__N_121softmax_warp_backwardIfN3c108BFloat16EfLi2ELb1ELb0ELi32EEEvPT0_PKT_S7_iiiPKb ; -- Begin function _ZN12_GLOBAL__N_121softmax_warp_backwardIfN3c108BFloat16EfLi2ELb1ELb0ELi32EEEvPT0_PKT_S7_iiiPKb
	.p2align	8
	.type	_ZN12_GLOBAL__N_121softmax_warp_backwardIfN3c108BFloat16EfLi2ELb1ELb0ELi32EEEvPT0_PKT_S7_iiiPKb,@function
_ZN12_GLOBAL__N_121softmax_warp_backwardIfN3c108BFloat16EfLi2ELb1ELb0ELi32EEEvPT0_PKT_S7_iiiPKb: ; @_ZN12_GLOBAL__N_121softmax_warp_backwardIfN3c108BFloat16EfLi2ELb1ELb0ELi32EEEvPT0_PKT_S7_iiiPKb
; %bb.0:
	s_clause 0x1
	s_load_b32 s2, s[0:1], 0x3c
	s_load_b128 s[4:7], s[0:1], 0x18
	v_bfe_u32 v1, v0, 10, 10
	v_and_b32_e32 v2, 3, v0
	s_load_b128 s[8:11], s[0:1], 0x0
	v_mov_b32_e32 v6, 0
	v_mov_b32_e32 v8, 0
	s_waitcnt lgkmcnt(0)
	s_lshr_b32 s2, s2, 16
	v_cmp_gt_i32_e32 vcc_lo, s6, v2
	s_mul_i32 s15, s15, s2
	s_load_b64 s[2:3], s[0:1], 0x10
	v_add_lshl_u32 v3, s15, v1, 1
	s_delay_alu instid0(VALU_DEP_1) | instskip(SKIP_1) | instid1(VALU_DEP_1)
	v_mad_u64_u32 v[0:1], null, v3, s5, v[2:3]
	v_sub_nc_u32_e32 v7, s4, v3
	v_cmp_lt_i32_e64 s0, 0, v7
	s_delay_alu instid0(VALU_DEP_3) | instskip(NEXT) | instid1(VALU_DEP_1)
	v_ashrrev_i32_e32 v1, 31, v0
	v_lshlrev_b64 v[9:10], 2, v[0:1]
	s_delay_alu instid0(VALU_DEP_1) | instskip(NEXT) | instid1(VALU_DEP_1)
	v_add_co_u32 v4, s1, s10, v9
	v_add_co_ci_u32_e64 v5, s1, s11, v10, s1
	s_waitcnt lgkmcnt(0)
	v_add_co_u32 v2, s1, s2, v9
	s_delay_alu instid0(VALU_DEP_1) | instskip(SKIP_2) | instid1(SALU_CYCLE_1)
	v_add_co_ci_u32_e64 v3, s1, s3, v10, s1
	v_mov_b32_e32 v10, 0
	s_and_b32 s2, vcc_lo, s0
	s_and_saveexec_b32 s1, s2
	s_cbranch_execz .LBB329_2
; %bb.1:
	global_load_b32 v8, v[4:5], off
	global_load_b32 v10, v[2:3], off
.LBB329_2:
	s_or_b32 exec_lo, exec_lo, s1
	v_cmp_lt_i32_e64 s1, 1, v7
	v_mov_b32_e32 v9, 0
	s_mov_b32 s7, 0
	s_delay_alu instid0(VALU_DEP_2) | instskip(NEXT) | instid1(SALU_CYCLE_1)
	s_and_b32 s1, vcc_lo, s1
	s_and_saveexec_b32 s2, s1
	s_cbranch_execz .LBB329_4
; %bb.3:
	s_lshl_b64 s[4:5], s[6:7], 2
	s_delay_alu instid0(SALU_CYCLE_1) | instskip(NEXT) | instid1(VALU_DEP_1)
	v_add_co_u32 v4, s1, v4, s4
	v_add_co_ci_u32_e64 v5, s1, s5, v5, s1
	v_add_co_u32 v2, s1, v2, s4
	s_delay_alu instid0(VALU_DEP_1)
	v_add_co_ci_u32_e64 v3, s1, s5, v3, s1
	global_load_b32 v6, v[4:5], off
	global_load_b32 v9, v[2:3], off
.LBB329_4:
	s_or_b32 exec_lo, exec_lo, s2
	v_mbcnt_lo_u32_b32 v2, -1, 0
	s_waitcnt vmcnt(1)
	v_add_f32_e32 v5, 0, v8
	v_add_f32_e32 v11, 0, v6
	s_delay_alu instid0(VALU_DEP_3) | instskip(SKIP_1) | instid1(VALU_DEP_2)
	v_and_b32_e32 v3, 28, v2
	v_xor_b32_e32 v4, 2, v2
	v_add_nc_u32_e32 v3, 4, v3
	s_delay_alu instid0(VALU_DEP_1) | instskip(NEXT) | instid1(VALU_DEP_1)
	v_cmp_lt_i32_e64 s1, v4, v3
	v_cndmask_b32_e64 v4, v2, v4, s1
	s_delay_alu instid0(VALU_DEP_1) | instskip(SKIP_3) | instid1(VALU_DEP_1)
	v_lshlrev_b32_e32 v4, 2, v4
	ds_bpermute_b32 v12, v4, v5
	ds_bpermute_b32 v13, v4, v11
	v_xor_b32_e32 v4, 1, v2
	v_cmp_lt_i32_e64 s1, v4, v3
	s_delay_alu instid0(VALU_DEP_1) | instskip(SKIP_1) | instid1(VALU_DEP_1)
	v_cndmask_b32_e64 v2, v2, v4, s1
	s_waitcnt lgkmcnt(1)
	v_dual_add_f32 v4, v5, v12 :: v_dual_lshlrev_b32 v3, 2, v2
	s_waitcnt lgkmcnt(0)
	v_add_f32_e32 v2, v11, v13
	ds_bpermute_b32 v5, v3, v4
	ds_bpermute_b32 v3, v3, v2
	s_and_saveexec_b32 s1, s0
	s_cbranch_execz .LBB329_10
; %bb.5:
	v_lshlrev_b64 v[0:1], 1, v[0:1]
	s_delay_alu instid0(VALU_DEP_1) | instskip(NEXT) | instid1(VALU_DEP_1)
	v_add_co_u32 v0, s0, s8, v0
	v_add_co_ci_u32_e64 v1, s0, s9, v1, s0
	s_and_saveexec_b32 s1, vcc_lo
	s_cbranch_execz .LBB329_7
; %bb.6:
	s_waitcnt vmcnt(0) lgkmcnt(1)
	v_dual_mul_f32 v11, 0x3fb8aa3b, v10 :: v_dual_add_f32 v4, v4, v5
	v_cmp_ngt_f32_e64 s0, 0xc2ce8ed0, v10
	s_delay_alu instid0(VALU_DEP_2) | instskip(SKIP_1) | instid1(VALU_DEP_2)
	v_rndne_f32_e32 v12, v11
	v_fma_f32 v13, 0x3fb8aa3b, v10, -v11
	v_sub_f32_e32 v11, v11, v12
	s_delay_alu instid0(VALU_DEP_2) | instskip(SKIP_1) | instid1(VALU_DEP_2)
	v_fmamk_f32 v13, v10, 0x32a5705f, v13
	v_cvt_i32_f32_e32 v12, v12
	v_add_f32_e32 v11, v11, v13
	s_delay_alu instid0(VALU_DEP_1) | instskip(SKIP_2) | instid1(VALU_DEP_1)
	v_exp_f32_e32 v11, v11
	s_waitcnt_depctr 0xfff
	v_ldexp_f32 v11, v11, v12
	v_cndmask_b32_e64 v11, 0, v11, s0
	v_cmp_nlt_f32_e64 s0, 0x42b17218, v10
	s_delay_alu instid0(VALU_DEP_1) | instskip(NEXT) | instid1(VALU_DEP_1)
	v_cndmask_b32_e64 v5, 0x7f800000, v11, s0
	v_fma_f32 v4, -v4, v5, v8
	s_delay_alu instid0(VALU_DEP_1) | instskip(SKIP_1) | instid1(VALU_DEP_2)
	v_bfe_u32 v5, v4, 16, 1
	v_cmp_o_f32_e64 s0, v4, v4
	v_add3_u32 v5, v4, v5, 0x7fff
	s_delay_alu instid0(VALU_DEP_1) | instskip(NEXT) | instid1(VALU_DEP_1)
	v_lshrrev_b32_e32 v5, 16, v5
	v_cndmask_b32_e64 v4, 0x7fc0, v5, s0
	global_store_b16 v[0:1], v4, off
.LBB329_7:
	s_or_b32 exec_lo, exec_lo, s1
	v_cmp_ne_u32_e64 s0, 1, v7
	s_delay_alu instid0(VALU_DEP_1)
	s_and_b32 exec_lo, exec_lo, s0
	s_cbranch_execz .LBB329_10
; %bb.8:
	s_and_b32 exec_lo, exec_lo, vcc_lo
	s_cbranch_execz .LBB329_10
; %bb.9:
	s_waitcnt vmcnt(0)
	v_mul_f32_e32 v4, 0x3fb8aa3b, v9
	v_cmp_ngt_f32_e32 vcc_lo, 0xc2ce8ed0, v9
	s_lshl_b64 s[0:1], s[6:7], 1
	s_waitcnt lgkmcnt(1)
	s_delay_alu instid0(VALU_DEP_2) | instskip(SKIP_1) | instid1(VALU_DEP_1)
	v_rndne_f32_e32 v5, v4
	v_fma_f32 v7, 0x3fb8aa3b, v9, -v4
	v_dual_sub_f32 v4, v4, v5 :: v_dual_fmamk_f32 v7, v9, 0x32a5705f, v7
	v_cvt_i32_f32_e32 v5, v5
	s_delay_alu instid0(VALU_DEP_2) | instskip(NEXT) | instid1(VALU_DEP_1)
	v_add_f32_e32 v4, v4, v7
	v_exp_f32_e32 v4, v4
	s_waitcnt_depctr 0xfff
	v_ldexp_f32 v4, v4, v5
	s_delay_alu instid0(VALU_DEP_1) | instskip(SKIP_2) | instid1(VALU_DEP_2)
	v_cndmask_b32_e32 v4, 0, v4, vcc_lo
	v_cmp_nlt_f32_e32 vcc_lo, 0x42b17218, v9
	s_waitcnt lgkmcnt(0)
	v_dual_add_f32 v2, v2, v3 :: v_dual_cndmask_b32 v3, 0x7f800000, v4
	s_delay_alu instid0(VALU_DEP_1) | instskip(NEXT) | instid1(VALU_DEP_1)
	v_fma_f32 v2, -v2, v3, v6
	v_bfe_u32 v3, v2, 16, 1
	v_cmp_o_f32_e32 vcc_lo, v2, v2
	s_delay_alu instid0(VALU_DEP_2) | instskip(NEXT) | instid1(VALU_DEP_1)
	v_add3_u32 v3, v2, v3, 0x7fff
	v_lshrrev_b32_e32 v3, 16, v3
	s_delay_alu instid0(VALU_DEP_1)
	v_cndmask_b32_e32 v2, 0x7fc0, v3, vcc_lo
	v_add_co_u32 v0, vcc_lo, v0, s0
	v_add_co_ci_u32_e32 v1, vcc_lo, s1, v1, vcc_lo
	global_store_b16 v[0:1], v2, off
.LBB329_10:
	s_nop 0
	s_sendmsg sendmsg(MSG_DEALLOC_VGPRS)
	s_endpgm
	.section	.rodata,"a",@progbits
	.p2align	6, 0x0
	.amdhsa_kernel _ZN12_GLOBAL__N_121softmax_warp_backwardIfN3c108BFloat16EfLi2ELb1ELb0ELi32EEEvPT0_PKT_S7_iiiPKb
		.amdhsa_group_segment_fixed_size 0
		.amdhsa_private_segment_fixed_size 0
		.amdhsa_kernarg_size 304
		.amdhsa_user_sgpr_count 15
		.amdhsa_user_sgpr_dispatch_ptr 0
		.amdhsa_user_sgpr_queue_ptr 0
		.amdhsa_user_sgpr_kernarg_segment_ptr 1
		.amdhsa_user_sgpr_dispatch_id 0
		.amdhsa_user_sgpr_private_segment_size 0
		.amdhsa_wavefront_size32 1
		.amdhsa_uses_dynamic_stack 0
		.amdhsa_enable_private_segment 0
		.amdhsa_system_sgpr_workgroup_id_x 1
		.amdhsa_system_sgpr_workgroup_id_y 0
		.amdhsa_system_sgpr_workgroup_id_z 0
		.amdhsa_system_sgpr_workgroup_info 0
		.amdhsa_system_vgpr_workitem_id 1
		.amdhsa_next_free_vgpr 14
		.amdhsa_next_free_sgpr 16
		.amdhsa_reserve_vcc 1
		.amdhsa_float_round_mode_32 0
		.amdhsa_float_round_mode_16_64 0
		.amdhsa_float_denorm_mode_32 3
		.amdhsa_float_denorm_mode_16_64 3
		.amdhsa_dx10_clamp 1
		.amdhsa_ieee_mode 1
		.amdhsa_fp16_overflow 0
		.amdhsa_workgroup_processor_mode 1
		.amdhsa_memory_ordered 1
		.amdhsa_forward_progress 0
		.amdhsa_shared_vgpr_count 0
		.amdhsa_exception_fp_ieee_invalid_op 0
		.amdhsa_exception_fp_denorm_src 0
		.amdhsa_exception_fp_ieee_div_zero 0
		.amdhsa_exception_fp_ieee_overflow 0
		.amdhsa_exception_fp_ieee_underflow 0
		.amdhsa_exception_fp_ieee_inexact 0
		.amdhsa_exception_int_div_zero 0
	.end_amdhsa_kernel
	.section	.text._ZN12_GLOBAL__N_121softmax_warp_backwardIfN3c108BFloat16EfLi2ELb1ELb0ELi32EEEvPT0_PKT_S7_iiiPKb,"axG",@progbits,_ZN12_GLOBAL__N_121softmax_warp_backwardIfN3c108BFloat16EfLi2ELb1ELb0ELi32EEEvPT0_PKT_S7_iiiPKb,comdat
.Lfunc_end329:
	.size	_ZN12_GLOBAL__N_121softmax_warp_backwardIfN3c108BFloat16EfLi2ELb1ELb0ELi32EEEvPT0_PKT_S7_iiiPKb, .Lfunc_end329-_ZN12_GLOBAL__N_121softmax_warp_backwardIfN3c108BFloat16EfLi2ELb1ELb0ELi32EEEvPT0_PKT_S7_iiiPKb
                                        ; -- End function
	.section	.AMDGPU.csdata,"",@progbits
; Kernel info:
; codeLenInByte = 916
; NumSgprs: 18
; NumVgprs: 14
; ScratchSize: 0
; MemoryBound: 0
; FloatMode: 240
; IeeeMode: 1
; LDSByteSize: 0 bytes/workgroup (compile time only)
; SGPRBlocks: 2
; VGPRBlocks: 1
; NumSGPRsForWavesPerEU: 18
; NumVGPRsForWavesPerEU: 14
; Occupancy: 16
; WaveLimiterHint : 0
; COMPUTE_PGM_RSRC2:SCRATCH_EN: 0
; COMPUTE_PGM_RSRC2:USER_SGPR: 15
; COMPUTE_PGM_RSRC2:TRAP_HANDLER: 0
; COMPUTE_PGM_RSRC2:TGID_X_EN: 1
; COMPUTE_PGM_RSRC2:TGID_Y_EN: 0
; COMPUTE_PGM_RSRC2:TGID_Z_EN: 0
; COMPUTE_PGM_RSRC2:TIDIG_COMP_CNT: 1
	.section	.text._ZN12_GLOBAL__N_121softmax_warp_backwardIfN3c108BFloat16EfLi3ELb1ELb0ELi64EEEvPT0_PKT_S7_iiiPKb,"axG",@progbits,_ZN12_GLOBAL__N_121softmax_warp_backwardIfN3c108BFloat16EfLi3ELb1ELb0ELi64EEEvPT0_PKT_S7_iiiPKb,comdat
	.globl	_ZN12_GLOBAL__N_121softmax_warp_backwardIfN3c108BFloat16EfLi3ELb1ELb0ELi64EEEvPT0_PKT_S7_iiiPKb ; -- Begin function _ZN12_GLOBAL__N_121softmax_warp_backwardIfN3c108BFloat16EfLi3ELb1ELb0ELi64EEEvPT0_PKT_S7_iiiPKb
	.p2align	8
	.type	_ZN12_GLOBAL__N_121softmax_warp_backwardIfN3c108BFloat16EfLi3ELb1ELb0ELi64EEEvPT0_PKT_S7_iiiPKb,@function
_ZN12_GLOBAL__N_121softmax_warp_backwardIfN3c108BFloat16EfLi3ELb1ELb0ELi64EEEvPT0_PKT_S7_iiiPKb: ; @_ZN12_GLOBAL__N_121softmax_warp_backwardIfN3c108BFloat16EfLi3ELb1ELb0ELi64EEEvPT0_PKT_S7_iiiPKb
; %bb.0:
	s_clause 0x1
	s_load_b32 s2, s[0:1], 0x3c
	s_load_b128 s[4:7], s[0:1], 0x18
	v_bfe_u32 v1, v0, 10, 10
	v_and_b32_e32 v2, 7, v0
	s_load_b128 s[8:11], s[0:1], 0x0
	v_mov_b32_e32 v6, 0
	v_mov_b32_e32 v8, 0
	s_waitcnt lgkmcnt(0)
	s_lshr_b32 s2, s2, 16
	v_cmp_gt_i32_e32 vcc_lo, s6, v2
	s_mul_i32 s15, s15, s2
	s_load_b64 s[2:3], s[0:1], 0x10
	v_add_lshl_u32 v3, s15, v1, 1
	s_delay_alu instid0(VALU_DEP_1) | instskip(SKIP_1) | instid1(VALU_DEP_1)
	v_mad_u64_u32 v[0:1], null, v3, s5, v[2:3]
	v_sub_nc_u32_e32 v7, s4, v3
	v_cmp_lt_i32_e64 s0, 0, v7
	s_delay_alu instid0(VALU_DEP_3) | instskip(NEXT) | instid1(VALU_DEP_1)
	v_ashrrev_i32_e32 v1, 31, v0
	v_lshlrev_b64 v[9:10], 2, v[0:1]
	s_delay_alu instid0(VALU_DEP_1) | instskip(NEXT) | instid1(VALU_DEP_1)
	v_add_co_u32 v4, s1, s10, v9
	v_add_co_ci_u32_e64 v5, s1, s11, v10, s1
	s_waitcnt lgkmcnt(0)
	v_add_co_u32 v2, s1, s2, v9
	s_delay_alu instid0(VALU_DEP_1) | instskip(SKIP_2) | instid1(SALU_CYCLE_1)
	v_add_co_ci_u32_e64 v3, s1, s3, v10, s1
	v_mov_b32_e32 v10, 0
	s_and_b32 s2, vcc_lo, s0
	s_and_saveexec_b32 s1, s2
	s_cbranch_execz .LBB330_2
; %bb.1:
	global_load_b32 v8, v[4:5], off
	global_load_b32 v10, v[2:3], off
.LBB330_2:
	s_or_b32 exec_lo, exec_lo, s1
	v_cmp_lt_i32_e64 s1, 1, v7
	v_mov_b32_e32 v9, 0
	s_mov_b32 s7, 0
	s_delay_alu instid0(VALU_DEP_2) | instskip(NEXT) | instid1(SALU_CYCLE_1)
	s_and_b32 s1, vcc_lo, s1
	s_and_saveexec_b32 s2, s1
	s_cbranch_execz .LBB330_4
; %bb.3:
	s_lshl_b64 s[4:5], s[6:7], 2
	s_delay_alu instid0(SALU_CYCLE_1) | instskip(NEXT) | instid1(VALU_DEP_1)
	v_add_co_u32 v4, s1, v4, s4
	v_add_co_ci_u32_e64 v5, s1, s5, v5, s1
	v_add_co_u32 v2, s1, v2, s4
	s_delay_alu instid0(VALU_DEP_1)
	v_add_co_ci_u32_e64 v3, s1, s5, v3, s1
	global_load_b32 v6, v[4:5], off
	global_load_b32 v9, v[2:3], off
.LBB330_4:
	s_or_b32 exec_lo, exec_lo, s2
	v_mbcnt_lo_u32_b32 v2, -1, 0
	s_waitcnt vmcnt(1)
	v_add_f32_e32 v5, 0, v8
	v_add_f32_e32 v11, 0, v6
	s_delay_alu instid0(VALU_DEP_3) | instskip(SKIP_2) | instid1(VALU_DEP_3)
	v_and_b32_e32 v3, 24, v2
	v_xor_b32_e32 v4, 4, v2
	v_xor_b32_e32 v13, 2, v2
	v_add_nc_u32_e32 v3, 8, v3
	s_delay_alu instid0(VALU_DEP_1) | instskip(NEXT) | instid1(VALU_DEP_1)
	v_cmp_lt_i32_e64 s1, v4, v3
	v_cndmask_b32_e64 v4, v2, v4, s1
	s_delay_alu instid0(VALU_DEP_4) | instskip(NEXT) | instid1(VALU_DEP_2)
	v_cmp_lt_i32_e64 s1, v13, v3
	v_lshlrev_b32_e32 v4, 2, v4
	s_delay_alu instid0(VALU_DEP_2)
	v_cndmask_b32_e64 v13, v2, v13, s1
	ds_bpermute_b32 v12, v4, v5
	ds_bpermute_b32 v4, v4, v11
	v_lshlrev_b32_e32 v13, 2, v13
	s_waitcnt lgkmcnt(1)
	v_add_f32_e32 v5, v5, v12
	s_waitcnt lgkmcnt(0)
	v_add_f32_e32 v11, v11, v4
	ds_bpermute_b32 v4, v13, v5
	ds_bpermute_b32 v12, v13, v11
	v_xor_b32_e32 v13, 1, v2
	s_delay_alu instid0(VALU_DEP_1) | instskip(NEXT) | instid1(VALU_DEP_1)
	v_cmp_lt_i32_e64 s1, v13, v3
	v_cndmask_b32_e64 v2, v2, v13, s1
	s_waitcnt lgkmcnt(1)
	s_delay_alu instid0(VALU_DEP_1)
	v_dual_add_f32 v4, v5, v4 :: v_dual_lshlrev_b32 v3, 2, v2
	s_waitcnt lgkmcnt(0)
	v_add_f32_e32 v2, v11, v12
	ds_bpermute_b32 v5, v3, v4
	ds_bpermute_b32 v3, v3, v2
	s_and_saveexec_b32 s1, s0
	s_cbranch_execz .LBB330_10
; %bb.5:
	v_lshlrev_b64 v[0:1], 1, v[0:1]
	s_delay_alu instid0(VALU_DEP_1) | instskip(NEXT) | instid1(VALU_DEP_1)
	v_add_co_u32 v0, s0, s8, v0
	v_add_co_ci_u32_e64 v1, s0, s9, v1, s0
	s_and_saveexec_b32 s1, vcc_lo
	s_cbranch_execz .LBB330_7
; %bb.6:
	s_waitcnt vmcnt(0) lgkmcnt(1)
	v_dual_mul_f32 v11, 0x3fb8aa3b, v10 :: v_dual_add_f32 v4, v4, v5
	v_cmp_ngt_f32_e64 s0, 0xc2ce8ed0, v10
	s_delay_alu instid0(VALU_DEP_2) | instskip(SKIP_1) | instid1(VALU_DEP_2)
	v_rndne_f32_e32 v12, v11
	v_fma_f32 v13, 0x3fb8aa3b, v10, -v11
	v_sub_f32_e32 v11, v11, v12
	s_delay_alu instid0(VALU_DEP_2) | instskip(SKIP_1) | instid1(VALU_DEP_2)
	v_fmamk_f32 v13, v10, 0x32a5705f, v13
	v_cvt_i32_f32_e32 v12, v12
	v_add_f32_e32 v11, v11, v13
	s_delay_alu instid0(VALU_DEP_1) | instskip(SKIP_2) | instid1(VALU_DEP_1)
	v_exp_f32_e32 v11, v11
	s_waitcnt_depctr 0xfff
	v_ldexp_f32 v11, v11, v12
	v_cndmask_b32_e64 v11, 0, v11, s0
	v_cmp_nlt_f32_e64 s0, 0x42b17218, v10
	s_delay_alu instid0(VALU_DEP_1) | instskip(NEXT) | instid1(VALU_DEP_1)
	v_cndmask_b32_e64 v5, 0x7f800000, v11, s0
	v_fma_f32 v4, -v4, v5, v8
	s_delay_alu instid0(VALU_DEP_1) | instskip(SKIP_1) | instid1(VALU_DEP_2)
	v_bfe_u32 v5, v4, 16, 1
	v_cmp_o_f32_e64 s0, v4, v4
	v_add3_u32 v5, v4, v5, 0x7fff
	s_delay_alu instid0(VALU_DEP_1) | instskip(NEXT) | instid1(VALU_DEP_1)
	v_lshrrev_b32_e32 v5, 16, v5
	v_cndmask_b32_e64 v4, 0x7fc0, v5, s0
	global_store_b16 v[0:1], v4, off
.LBB330_7:
	s_or_b32 exec_lo, exec_lo, s1
	v_cmp_ne_u32_e64 s0, 1, v7
	s_delay_alu instid0(VALU_DEP_1)
	s_and_b32 exec_lo, exec_lo, s0
	s_cbranch_execz .LBB330_10
; %bb.8:
	s_and_b32 exec_lo, exec_lo, vcc_lo
	s_cbranch_execz .LBB330_10
; %bb.9:
	s_waitcnt vmcnt(0)
	v_mul_f32_e32 v4, 0x3fb8aa3b, v9
	v_cmp_ngt_f32_e32 vcc_lo, 0xc2ce8ed0, v9
	s_lshl_b64 s[0:1], s[6:7], 1
	s_waitcnt lgkmcnt(1)
	s_delay_alu instid0(VALU_DEP_2) | instskip(SKIP_1) | instid1(VALU_DEP_1)
	v_rndne_f32_e32 v5, v4
	v_fma_f32 v7, 0x3fb8aa3b, v9, -v4
	v_dual_sub_f32 v4, v4, v5 :: v_dual_fmamk_f32 v7, v9, 0x32a5705f, v7
	v_cvt_i32_f32_e32 v5, v5
	s_delay_alu instid0(VALU_DEP_2) | instskip(NEXT) | instid1(VALU_DEP_1)
	v_add_f32_e32 v4, v4, v7
	v_exp_f32_e32 v4, v4
	s_waitcnt_depctr 0xfff
	v_ldexp_f32 v4, v4, v5
	s_delay_alu instid0(VALU_DEP_1) | instskip(SKIP_2) | instid1(VALU_DEP_2)
	v_cndmask_b32_e32 v4, 0, v4, vcc_lo
	v_cmp_nlt_f32_e32 vcc_lo, 0x42b17218, v9
	s_waitcnt lgkmcnt(0)
	v_dual_add_f32 v2, v2, v3 :: v_dual_cndmask_b32 v3, 0x7f800000, v4
	s_delay_alu instid0(VALU_DEP_1) | instskip(NEXT) | instid1(VALU_DEP_1)
	v_fma_f32 v2, -v2, v3, v6
	v_bfe_u32 v3, v2, 16, 1
	v_cmp_o_f32_e32 vcc_lo, v2, v2
	s_delay_alu instid0(VALU_DEP_2) | instskip(NEXT) | instid1(VALU_DEP_1)
	v_add3_u32 v3, v2, v3, 0x7fff
	v_lshrrev_b32_e32 v3, 16, v3
	s_delay_alu instid0(VALU_DEP_1)
	v_cndmask_b32_e32 v2, 0x7fc0, v3, vcc_lo
	v_add_co_u32 v0, vcc_lo, v0, s0
	v_add_co_ci_u32_e32 v1, vcc_lo, s1, v1, vcc_lo
	global_store_b16 v[0:1], v2, off
.LBB330_10:
	s_nop 0
	s_sendmsg sendmsg(MSG_DEALLOC_VGPRS)
	s_endpgm
	.section	.rodata,"a",@progbits
	.p2align	6, 0x0
	.amdhsa_kernel _ZN12_GLOBAL__N_121softmax_warp_backwardIfN3c108BFloat16EfLi3ELb1ELb0ELi64EEEvPT0_PKT_S7_iiiPKb
		.amdhsa_group_segment_fixed_size 0
		.amdhsa_private_segment_fixed_size 0
		.amdhsa_kernarg_size 304
		.amdhsa_user_sgpr_count 15
		.amdhsa_user_sgpr_dispatch_ptr 0
		.amdhsa_user_sgpr_queue_ptr 0
		.amdhsa_user_sgpr_kernarg_segment_ptr 1
		.amdhsa_user_sgpr_dispatch_id 0
		.amdhsa_user_sgpr_private_segment_size 0
		.amdhsa_wavefront_size32 1
		.amdhsa_uses_dynamic_stack 0
		.amdhsa_enable_private_segment 0
		.amdhsa_system_sgpr_workgroup_id_x 1
		.amdhsa_system_sgpr_workgroup_id_y 0
		.amdhsa_system_sgpr_workgroup_id_z 0
		.amdhsa_system_sgpr_workgroup_info 0
		.amdhsa_system_vgpr_workitem_id 1
		.amdhsa_next_free_vgpr 14
		.amdhsa_next_free_sgpr 16
		.amdhsa_reserve_vcc 1
		.amdhsa_float_round_mode_32 0
		.amdhsa_float_round_mode_16_64 0
		.amdhsa_float_denorm_mode_32 3
		.amdhsa_float_denorm_mode_16_64 3
		.amdhsa_dx10_clamp 1
		.amdhsa_ieee_mode 1
		.amdhsa_fp16_overflow 0
		.amdhsa_workgroup_processor_mode 1
		.amdhsa_memory_ordered 1
		.amdhsa_forward_progress 0
		.amdhsa_shared_vgpr_count 0
		.amdhsa_exception_fp_ieee_invalid_op 0
		.amdhsa_exception_fp_denorm_src 0
		.amdhsa_exception_fp_ieee_div_zero 0
		.amdhsa_exception_fp_ieee_overflow 0
		.amdhsa_exception_fp_ieee_underflow 0
		.amdhsa_exception_fp_ieee_inexact 0
		.amdhsa_exception_int_div_zero 0
	.end_amdhsa_kernel
	.section	.text._ZN12_GLOBAL__N_121softmax_warp_backwardIfN3c108BFloat16EfLi3ELb1ELb0ELi64EEEvPT0_PKT_S7_iiiPKb,"axG",@progbits,_ZN12_GLOBAL__N_121softmax_warp_backwardIfN3c108BFloat16EfLi3ELb1ELb0ELi64EEEvPT0_PKT_S7_iiiPKb,comdat
.Lfunc_end330:
	.size	_ZN12_GLOBAL__N_121softmax_warp_backwardIfN3c108BFloat16EfLi3ELb1ELb0ELi64EEEvPT0_PKT_S7_iiiPKb, .Lfunc_end330-_ZN12_GLOBAL__N_121softmax_warp_backwardIfN3c108BFloat16EfLi3ELb1ELb0ELi64EEEvPT0_PKT_S7_iiiPKb
                                        ; -- End function
	.section	.AMDGPU.csdata,"",@progbits
; Kernel info:
; codeLenInByte = 980
; NumSgprs: 18
; NumVgprs: 14
; ScratchSize: 0
; MemoryBound: 0
; FloatMode: 240
; IeeeMode: 1
; LDSByteSize: 0 bytes/workgroup (compile time only)
; SGPRBlocks: 2
; VGPRBlocks: 1
; NumSGPRsForWavesPerEU: 18
; NumVGPRsForWavesPerEU: 14
; Occupancy: 16
; WaveLimiterHint : 0
; COMPUTE_PGM_RSRC2:SCRATCH_EN: 0
; COMPUTE_PGM_RSRC2:USER_SGPR: 15
; COMPUTE_PGM_RSRC2:TRAP_HANDLER: 0
; COMPUTE_PGM_RSRC2:TGID_X_EN: 1
; COMPUTE_PGM_RSRC2:TGID_Y_EN: 0
; COMPUTE_PGM_RSRC2:TGID_Z_EN: 0
; COMPUTE_PGM_RSRC2:TIDIG_COMP_CNT: 1
	.section	.text._ZN12_GLOBAL__N_121softmax_warp_backwardIfN3c108BFloat16EfLi3ELb1ELb0ELi32EEEvPT0_PKT_S7_iiiPKb,"axG",@progbits,_ZN12_GLOBAL__N_121softmax_warp_backwardIfN3c108BFloat16EfLi3ELb1ELb0ELi32EEEvPT0_PKT_S7_iiiPKb,comdat
	.globl	_ZN12_GLOBAL__N_121softmax_warp_backwardIfN3c108BFloat16EfLi3ELb1ELb0ELi32EEEvPT0_PKT_S7_iiiPKb ; -- Begin function _ZN12_GLOBAL__N_121softmax_warp_backwardIfN3c108BFloat16EfLi3ELb1ELb0ELi32EEEvPT0_PKT_S7_iiiPKb
	.p2align	8
	.type	_ZN12_GLOBAL__N_121softmax_warp_backwardIfN3c108BFloat16EfLi3ELb1ELb0ELi32EEEvPT0_PKT_S7_iiiPKb,@function
_ZN12_GLOBAL__N_121softmax_warp_backwardIfN3c108BFloat16EfLi3ELb1ELb0ELi32EEEvPT0_PKT_S7_iiiPKb: ; @_ZN12_GLOBAL__N_121softmax_warp_backwardIfN3c108BFloat16EfLi3ELb1ELb0ELi32EEEvPT0_PKT_S7_iiiPKb
; %bb.0:
	s_clause 0x1
	s_load_b32 s2, s[0:1], 0x3c
	s_load_b128 s[4:7], s[0:1], 0x18
	v_bfe_u32 v1, v0, 10, 10
	v_and_b32_e32 v2, 7, v0
	s_load_b128 s[8:11], s[0:1], 0x0
	v_mov_b32_e32 v6, 0
	v_mov_b32_e32 v8, 0
	s_waitcnt lgkmcnt(0)
	s_lshr_b32 s2, s2, 16
	v_cmp_gt_i32_e32 vcc_lo, s6, v2
	s_mul_i32 s15, s15, s2
	s_load_b64 s[2:3], s[0:1], 0x10
	v_add_lshl_u32 v3, s15, v1, 1
	s_delay_alu instid0(VALU_DEP_1) | instskip(SKIP_1) | instid1(VALU_DEP_1)
	v_mad_u64_u32 v[0:1], null, v3, s5, v[2:3]
	v_sub_nc_u32_e32 v7, s4, v3
	v_cmp_lt_i32_e64 s0, 0, v7
	s_delay_alu instid0(VALU_DEP_3) | instskip(NEXT) | instid1(VALU_DEP_1)
	v_ashrrev_i32_e32 v1, 31, v0
	v_lshlrev_b64 v[9:10], 2, v[0:1]
	s_delay_alu instid0(VALU_DEP_1) | instskip(NEXT) | instid1(VALU_DEP_1)
	v_add_co_u32 v4, s1, s10, v9
	v_add_co_ci_u32_e64 v5, s1, s11, v10, s1
	s_waitcnt lgkmcnt(0)
	v_add_co_u32 v2, s1, s2, v9
	s_delay_alu instid0(VALU_DEP_1) | instskip(SKIP_2) | instid1(SALU_CYCLE_1)
	v_add_co_ci_u32_e64 v3, s1, s3, v10, s1
	v_mov_b32_e32 v10, 0
	s_and_b32 s2, vcc_lo, s0
	s_and_saveexec_b32 s1, s2
	s_cbranch_execz .LBB331_2
; %bb.1:
	global_load_b32 v8, v[4:5], off
	global_load_b32 v10, v[2:3], off
.LBB331_2:
	s_or_b32 exec_lo, exec_lo, s1
	v_cmp_lt_i32_e64 s1, 1, v7
	v_mov_b32_e32 v9, 0
	s_mov_b32 s7, 0
	s_delay_alu instid0(VALU_DEP_2) | instskip(NEXT) | instid1(SALU_CYCLE_1)
	s_and_b32 s1, vcc_lo, s1
	s_and_saveexec_b32 s2, s1
	s_cbranch_execz .LBB331_4
; %bb.3:
	s_lshl_b64 s[4:5], s[6:7], 2
	s_delay_alu instid0(SALU_CYCLE_1) | instskip(NEXT) | instid1(VALU_DEP_1)
	v_add_co_u32 v4, s1, v4, s4
	v_add_co_ci_u32_e64 v5, s1, s5, v5, s1
	v_add_co_u32 v2, s1, v2, s4
	s_delay_alu instid0(VALU_DEP_1)
	v_add_co_ci_u32_e64 v3, s1, s5, v3, s1
	global_load_b32 v6, v[4:5], off
	global_load_b32 v9, v[2:3], off
.LBB331_4:
	s_or_b32 exec_lo, exec_lo, s2
	v_mbcnt_lo_u32_b32 v2, -1, 0
	s_waitcnt vmcnt(1)
	v_add_f32_e32 v5, 0, v8
	v_add_f32_e32 v11, 0, v6
	s_delay_alu instid0(VALU_DEP_3) | instskip(SKIP_2) | instid1(VALU_DEP_3)
	v_and_b32_e32 v3, 24, v2
	v_xor_b32_e32 v4, 4, v2
	v_xor_b32_e32 v13, 2, v2
	v_add_nc_u32_e32 v3, 8, v3
	s_delay_alu instid0(VALU_DEP_1) | instskip(NEXT) | instid1(VALU_DEP_1)
	v_cmp_lt_i32_e64 s1, v4, v3
	v_cndmask_b32_e64 v4, v2, v4, s1
	s_delay_alu instid0(VALU_DEP_4) | instskip(NEXT) | instid1(VALU_DEP_2)
	v_cmp_lt_i32_e64 s1, v13, v3
	v_lshlrev_b32_e32 v4, 2, v4
	s_delay_alu instid0(VALU_DEP_2)
	v_cndmask_b32_e64 v13, v2, v13, s1
	ds_bpermute_b32 v12, v4, v5
	ds_bpermute_b32 v4, v4, v11
	v_lshlrev_b32_e32 v13, 2, v13
	s_waitcnt lgkmcnt(1)
	v_add_f32_e32 v5, v5, v12
	s_waitcnt lgkmcnt(0)
	v_add_f32_e32 v11, v11, v4
	ds_bpermute_b32 v4, v13, v5
	ds_bpermute_b32 v12, v13, v11
	v_xor_b32_e32 v13, 1, v2
	s_delay_alu instid0(VALU_DEP_1) | instskip(NEXT) | instid1(VALU_DEP_1)
	v_cmp_lt_i32_e64 s1, v13, v3
	v_cndmask_b32_e64 v2, v2, v13, s1
	s_waitcnt lgkmcnt(1)
	s_delay_alu instid0(VALU_DEP_1)
	v_dual_add_f32 v4, v5, v4 :: v_dual_lshlrev_b32 v3, 2, v2
	s_waitcnt lgkmcnt(0)
	v_add_f32_e32 v2, v11, v12
	ds_bpermute_b32 v5, v3, v4
	ds_bpermute_b32 v3, v3, v2
	s_and_saveexec_b32 s1, s0
	s_cbranch_execz .LBB331_10
; %bb.5:
	v_lshlrev_b64 v[0:1], 1, v[0:1]
	s_delay_alu instid0(VALU_DEP_1) | instskip(NEXT) | instid1(VALU_DEP_1)
	v_add_co_u32 v0, s0, s8, v0
	v_add_co_ci_u32_e64 v1, s0, s9, v1, s0
	s_and_saveexec_b32 s1, vcc_lo
	s_cbranch_execz .LBB331_7
; %bb.6:
	s_waitcnt vmcnt(0) lgkmcnt(1)
	v_dual_mul_f32 v11, 0x3fb8aa3b, v10 :: v_dual_add_f32 v4, v4, v5
	v_cmp_ngt_f32_e64 s0, 0xc2ce8ed0, v10
	s_delay_alu instid0(VALU_DEP_2) | instskip(SKIP_1) | instid1(VALU_DEP_2)
	v_rndne_f32_e32 v12, v11
	v_fma_f32 v13, 0x3fb8aa3b, v10, -v11
	v_sub_f32_e32 v11, v11, v12
	s_delay_alu instid0(VALU_DEP_2) | instskip(SKIP_1) | instid1(VALU_DEP_2)
	v_fmamk_f32 v13, v10, 0x32a5705f, v13
	v_cvt_i32_f32_e32 v12, v12
	v_add_f32_e32 v11, v11, v13
	s_delay_alu instid0(VALU_DEP_1) | instskip(SKIP_2) | instid1(VALU_DEP_1)
	v_exp_f32_e32 v11, v11
	s_waitcnt_depctr 0xfff
	v_ldexp_f32 v11, v11, v12
	v_cndmask_b32_e64 v11, 0, v11, s0
	v_cmp_nlt_f32_e64 s0, 0x42b17218, v10
	s_delay_alu instid0(VALU_DEP_1) | instskip(NEXT) | instid1(VALU_DEP_1)
	v_cndmask_b32_e64 v5, 0x7f800000, v11, s0
	v_fma_f32 v4, -v4, v5, v8
	s_delay_alu instid0(VALU_DEP_1) | instskip(SKIP_1) | instid1(VALU_DEP_2)
	v_bfe_u32 v5, v4, 16, 1
	v_cmp_o_f32_e64 s0, v4, v4
	v_add3_u32 v5, v4, v5, 0x7fff
	s_delay_alu instid0(VALU_DEP_1) | instskip(NEXT) | instid1(VALU_DEP_1)
	v_lshrrev_b32_e32 v5, 16, v5
	v_cndmask_b32_e64 v4, 0x7fc0, v5, s0
	global_store_b16 v[0:1], v4, off
.LBB331_7:
	s_or_b32 exec_lo, exec_lo, s1
	v_cmp_ne_u32_e64 s0, 1, v7
	s_delay_alu instid0(VALU_DEP_1)
	s_and_b32 exec_lo, exec_lo, s0
	s_cbranch_execz .LBB331_10
; %bb.8:
	s_and_b32 exec_lo, exec_lo, vcc_lo
	s_cbranch_execz .LBB331_10
; %bb.9:
	s_waitcnt vmcnt(0)
	v_mul_f32_e32 v4, 0x3fb8aa3b, v9
	v_cmp_ngt_f32_e32 vcc_lo, 0xc2ce8ed0, v9
	s_lshl_b64 s[0:1], s[6:7], 1
	s_waitcnt lgkmcnt(1)
	s_delay_alu instid0(VALU_DEP_2) | instskip(SKIP_1) | instid1(VALU_DEP_1)
	v_rndne_f32_e32 v5, v4
	v_fma_f32 v7, 0x3fb8aa3b, v9, -v4
	v_dual_sub_f32 v4, v4, v5 :: v_dual_fmamk_f32 v7, v9, 0x32a5705f, v7
	v_cvt_i32_f32_e32 v5, v5
	s_delay_alu instid0(VALU_DEP_2) | instskip(NEXT) | instid1(VALU_DEP_1)
	v_add_f32_e32 v4, v4, v7
	v_exp_f32_e32 v4, v4
	s_waitcnt_depctr 0xfff
	v_ldexp_f32 v4, v4, v5
	s_delay_alu instid0(VALU_DEP_1) | instskip(SKIP_2) | instid1(VALU_DEP_2)
	v_cndmask_b32_e32 v4, 0, v4, vcc_lo
	v_cmp_nlt_f32_e32 vcc_lo, 0x42b17218, v9
	s_waitcnt lgkmcnt(0)
	v_dual_add_f32 v2, v2, v3 :: v_dual_cndmask_b32 v3, 0x7f800000, v4
	s_delay_alu instid0(VALU_DEP_1) | instskip(NEXT) | instid1(VALU_DEP_1)
	v_fma_f32 v2, -v2, v3, v6
	v_bfe_u32 v3, v2, 16, 1
	v_cmp_o_f32_e32 vcc_lo, v2, v2
	s_delay_alu instid0(VALU_DEP_2) | instskip(NEXT) | instid1(VALU_DEP_1)
	v_add3_u32 v3, v2, v3, 0x7fff
	v_lshrrev_b32_e32 v3, 16, v3
	s_delay_alu instid0(VALU_DEP_1)
	v_cndmask_b32_e32 v2, 0x7fc0, v3, vcc_lo
	v_add_co_u32 v0, vcc_lo, v0, s0
	v_add_co_ci_u32_e32 v1, vcc_lo, s1, v1, vcc_lo
	global_store_b16 v[0:1], v2, off
.LBB331_10:
	s_nop 0
	s_sendmsg sendmsg(MSG_DEALLOC_VGPRS)
	s_endpgm
	.section	.rodata,"a",@progbits
	.p2align	6, 0x0
	.amdhsa_kernel _ZN12_GLOBAL__N_121softmax_warp_backwardIfN3c108BFloat16EfLi3ELb1ELb0ELi32EEEvPT0_PKT_S7_iiiPKb
		.amdhsa_group_segment_fixed_size 0
		.amdhsa_private_segment_fixed_size 0
		.amdhsa_kernarg_size 304
		.amdhsa_user_sgpr_count 15
		.amdhsa_user_sgpr_dispatch_ptr 0
		.amdhsa_user_sgpr_queue_ptr 0
		.amdhsa_user_sgpr_kernarg_segment_ptr 1
		.amdhsa_user_sgpr_dispatch_id 0
		.amdhsa_user_sgpr_private_segment_size 0
		.amdhsa_wavefront_size32 1
		.amdhsa_uses_dynamic_stack 0
		.amdhsa_enable_private_segment 0
		.amdhsa_system_sgpr_workgroup_id_x 1
		.amdhsa_system_sgpr_workgroup_id_y 0
		.amdhsa_system_sgpr_workgroup_id_z 0
		.amdhsa_system_sgpr_workgroup_info 0
		.amdhsa_system_vgpr_workitem_id 1
		.amdhsa_next_free_vgpr 14
		.amdhsa_next_free_sgpr 16
		.amdhsa_reserve_vcc 1
		.amdhsa_float_round_mode_32 0
		.amdhsa_float_round_mode_16_64 0
		.amdhsa_float_denorm_mode_32 3
		.amdhsa_float_denorm_mode_16_64 3
		.amdhsa_dx10_clamp 1
		.amdhsa_ieee_mode 1
		.amdhsa_fp16_overflow 0
		.amdhsa_workgroup_processor_mode 1
		.amdhsa_memory_ordered 1
		.amdhsa_forward_progress 0
		.amdhsa_shared_vgpr_count 0
		.amdhsa_exception_fp_ieee_invalid_op 0
		.amdhsa_exception_fp_denorm_src 0
		.amdhsa_exception_fp_ieee_div_zero 0
		.amdhsa_exception_fp_ieee_overflow 0
		.amdhsa_exception_fp_ieee_underflow 0
		.amdhsa_exception_fp_ieee_inexact 0
		.amdhsa_exception_int_div_zero 0
	.end_amdhsa_kernel
	.section	.text._ZN12_GLOBAL__N_121softmax_warp_backwardIfN3c108BFloat16EfLi3ELb1ELb0ELi32EEEvPT0_PKT_S7_iiiPKb,"axG",@progbits,_ZN12_GLOBAL__N_121softmax_warp_backwardIfN3c108BFloat16EfLi3ELb1ELb0ELi32EEEvPT0_PKT_S7_iiiPKb,comdat
.Lfunc_end331:
	.size	_ZN12_GLOBAL__N_121softmax_warp_backwardIfN3c108BFloat16EfLi3ELb1ELb0ELi32EEEvPT0_PKT_S7_iiiPKb, .Lfunc_end331-_ZN12_GLOBAL__N_121softmax_warp_backwardIfN3c108BFloat16EfLi3ELb1ELb0ELi32EEEvPT0_PKT_S7_iiiPKb
                                        ; -- End function
	.section	.AMDGPU.csdata,"",@progbits
; Kernel info:
; codeLenInByte = 980
; NumSgprs: 18
; NumVgprs: 14
; ScratchSize: 0
; MemoryBound: 0
; FloatMode: 240
; IeeeMode: 1
; LDSByteSize: 0 bytes/workgroup (compile time only)
; SGPRBlocks: 2
; VGPRBlocks: 1
; NumSGPRsForWavesPerEU: 18
; NumVGPRsForWavesPerEU: 14
; Occupancy: 16
; WaveLimiterHint : 0
; COMPUTE_PGM_RSRC2:SCRATCH_EN: 0
; COMPUTE_PGM_RSRC2:USER_SGPR: 15
; COMPUTE_PGM_RSRC2:TRAP_HANDLER: 0
; COMPUTE_PGM_RSRC2:TGID_X_EN: 1
; COMPUTE_PGM_RSRC2:TGID_Y_EN: 0
; COMPUTE_PGM_RSRC2:TGID_Z_EN: 0
; COMPUTE_PGM_RSRC2:TIDIG_COMP_CNT: 1
	.section	.text._ZN12_GLOBAL__N_121softmax_warp_backwardIfN3c108BFloat16EfLi4ELb1ELb0ELi64EEEvPT0_PKT_S7_iiiPKb,"axG",@progbits,_ZN12_GLOBAL__N_121softmax_warp_backwardIfN3c108BFloat16EfLi4ELb1ELb0ELi64EEEvPT0_PKT_S7_iiiPKb,comdat
	.globl	_ZN12_GLOBAL__N_121softmax_warp_backwardIfN3c108BFloat16EfLi4ELb1ELb0ELi64EEEvPT0_PKT_S7_iiiPKb ; -- Begin function _ZN12_GLOBAL__N_121softmax_warp_backwardIfN3c108BFloat16EfLi4ELb1ELb0ELi64EEEvPT0_PKT_S7_iiiPKb
	.p2align	8
	.type	_ZN12_GLOBAL__N_121softmax_warp_backwardIfN3c108BFloat16EfLi4ELb1ELb0ELi64EEEvPT0_PKT_S7_iiiPKb,@function
_ZN12_GLOBAL__N_121softmax_warp_backwardIfN3c108BFloat16EfLi4ELb1ELb0ELi64EEEvPT0_PKT_S7_iiiPKb: ; @_ZN12_GLOBAL__N_121softmax_warp_backwardIfN3c108BFloat16EfLi4ELb1ELb0ELi64EEEvPT0_PKT_S7_iiiPKb
; %bb.0:
	s_clause 0x1
	s_load_b32 s2, s[0:1], 0x3c
	s_load_b128 s[4:7], s[0:1], 0x18
	v_bfe_u32 v1, v0, 10, 10
	v_and_b32_e32 v2, 15, v0
	s_load_b128 s[8:11], s[0:1], 0x0
	v_mov_b32_e32 v6, 0
	v_mov_b32_e32 v8, 0
	s_waitcnt lgkmcnt(0)
	s_lshr_b32 s2, s2, 16
	v_cmp_gt_i32_e32 vcc_lo, s6, v2
	s_mul_i32 s15, s15, s2
	s_load_b64 s[2:3], s[0:1], 0x10
	v_add_lshl_u32 v3, s15, v1, 1
	s_delay_alu instid0(VALU_DEP_1) | instskip(SKIP_1) | instid1(VALU_DEP_1)
	v_mad_u64_u32 v[0:1], null, v3, s5, v[2:3]
	v_sub_nc_u32_e32 v7, s4, v3
	v_cmp_lt_i32_e64 s0, 0, v7
	s_delay_alu instid0(VALU_DEP_3) | instskip(NEXT) | instid1(VALU_DEP_1)
	v_ashrrev_i32_e32 v1, 31, v0
	v_lshlrev_b64 v[9:10], 2, v[0:1]
	s_delay_alu instid0(VALU_DEP_1) | instskip(NEXT) | instid1(VALU_DEP_1)
	v_add_co_u32 v4, s1, s10, v9
	v_add_co_ci_u32_e64 v5, s1, s11, v10, s1
	s_waitcnt lgkmcnt(0)
	v_add_co_u32 v2, s1, s2, v9
	s_delay_alu instid0(VALU_DEP_1) | instskip(SKIP_2) | instid1(SALU_CYCLE_1)
	v_add_co_ci_u32_e64 v3, s1, s3, v10, s1
	v_mov_b32_e32 v10, 0
	s_and_b32 s2, vcc_lo, s0
	s_and_saveexec_b32 s1, s2
	s_cbranch_execz .LBB332_2
; %bb.1:
	global_load_b32 v8, v[4:5], off
	global_load_b32 v10, v[2:3], off
.LBB332_2:
	s_or_b32 exec_lo, exec_lo, s1
	v_cmp_lt_i32_e64 s1, 1, v7
	v_mov_b32_e32 v9, 0
	s_mov_b32 s7, 0
	s_delay_alu instid0(VALU_DEP_2) | instskip(NEXT) | instid1(SALU_CYCLE_1)
	s_and_b32 s1, vcc_lo, s1
	s_and_saveexec_b32 s2, s1
	s_cbranch_execz .LBB332_4
; %bb.3:
	s_lshl_b64 s[4:5], s[6:7], 2
	s_delay_alu instid0(SALU_CYCLE_1) | instskip(NEXT) | instid1(VALU_DEP_1)
	v_add_co_u32 v4, s1, v4, s4
	v_add_co_ci_u32_e64 v5, s1, s5, v5, s1
	v_add_co_u32 v2, s1, v2, s4
	s_delay_alu instid0(VALU_DEP_1)
	v_add_co_ci_u32_e64 v3, s1, s5, v3, s1
	global_load_b32 v6, v[4:5], off
	global_load_b32 v9, v[2:3], off
.LBB332_4:
	s_or_b32 exec_lo, exec_lo, s2
	v_mbcnt_lo_u32_b32 v2, -1, 0
	s_waitcnt vmcnt(1)
	v_add_f32_e32 v11, 0, v6
	v_add_f32_e32 v5, 0, v8
	s_delay_alu instid0(VALU_DEP_3) | instskip(SKIP_2) | instid1(VALU_DEP_3)
	v_and_b32_e32 v3, 16, v2
	v_xor_b32_e32 v4, 8, v2
	v_xor_b32_e32 v13, 4, v2
	v_add_nc_u32_e32 v3, 16, v3
	s_delay_alu instid0(VALU_DEP_1) | instskip(NEXT) | instid1(VALU_DEP_1)
	v_cmp_lt_i32_e64 s1, v4, v3
	v_cndmask_b32_e64 v4, v2, v4, s1
	s_delay_alu instid0(VALU_DEP_4) | instskip(NEXT) | instid1(VALU_DEP_2)
	v_cmp_lt_i32_e64 s1, v13, v3
	v_lshlrev_b32_e32 v4, 2, v4
	s_delay_alu instid0(VALU_DEP_2)
	v_cndmask_b32_e64 v13, v2, v13, s1
	ds_bpermute_b32 v12, v4, v5
	ds_bpermute_b32 v4, v4, v11
	v_lshlrev_b32_e32 v13, 2, v13
	s_waitcnt lgkmcnt(1)
	v_add_f32_e32 v5, v5, v12
	s_waitcnt lgkmcnt(0)
	v_add_f32_e32 v4, v11, v4
	ds_bpermute_b32 v11, v13, v5
	ds_bpermute_b32 v12, v13, v4
	v_xor_b32_e32 v13, 2, v2
	s_delay_alu instid0(VALU_DEP_1) | instskip(NEXT) | instid1(VALU_DEP_1)
	v_cmp_lt_i32_e64 s1, v13, v3
	v_cndmask_b32_e64 v13, v2, v13, s1
	s_delay_alu instid0(VALU_DEP_1)
	v_lshlrev_b32_e32 v13, 2, v13
	s_waitcnt lgkmcnt(1)
	v_add_f32_e32 v5, v5, v11
	s_waitcnt lgkmcnt(0)
	v_add_f32_e32 v11, v4, v12
	ds_bpermute_b32 v4, v13, v5
	ds_bpermute_b32 v12, v13, v11
	v_xor_b32_e32 v13, 1, v2
	s_waitcnt lgkmcnt(1)
	v_add_f32_e32 v4, v5, v4
	s_delay_alu instid0(VALU_DEP_2) | instskip(NEXT) | instid1(VALU_DEP_1)
	v_cmp_lt_i32_e64 s1, v13, v3
	v_cndmask_b32_e64 v2, v2, v13, s1
	s_waitcnt lgkmcnt(0)
	s_delay_alu instid0(VALU_DEP_1)
	v_dual_add_f32 v2, v11, v12 :: v_dual_lshlrev_b32 v3, 2, v2
	ds_bpermute_b32 v5, v3, v4
	ds_bpermute_b32 v3, v3, v2
	s_and_saveexec_b32 s1, s0
	s_cbranch_execz .LBB332_10
; %bb.5:
	v_lshlrev_b64 v[0:1], 1, v[0:1]
	s_delay_alu instid0(VALU_DEP_1) | instskip(NEXT) | instid1(VALU_DEP_1)
	v_add_co_u32 v0, s0, s8, v0
	v_add_co_ci_u32_e64 v1, s0, s9, v1, s0
	s_and_saveexec_b32 s1, vcc_lo
	s_cbranch_execz .LBB332_7
; %bb.6:
	s_waitcnt vmcnt(0) lgkmcnt(1)
	v_dual_mul_f32 v11, 0x3fb8aa3b, v10 :: v_dual_add_f32 v4, v4, v5
	v_cmp_ngt_f32_e64 s0, 0xc2ce8ed0, v10
	s_delay_alu instid0(VALU_DEP_2) | instskip(SKIP_1) | instid1(VALU_DEP_2)
	v_rndne_f32_e32 v12, v11
	v_fma_f32 v13, 0x3fb8aa3b, v10, -v11
	v_sub_f32_e32 v11, v11, v12
	s_delay_alu instid0(VALU_DEP_2) | instskip(SKIP_1) | instid1(VALU_DEP_2)
	v_fmamk_f32 v13, v10, 0x32a5705f, v13
	v_cvt_i32_f32_e32 v12, v12
	v_add_f32_e32 v11, v11, v13
	s_delay_alu instid0(VALU_DEP_1) | instskip(SKIP_2) | instid1(VALU_DEP_1)
	v_exp_f32_e32 v11, v11
	s_waitcnt_depctr 0xfff
	v_ldexp_f32 v11, v11, v12
	v_cndmask_b32_e64 v11, 0, v11, s0
	v_cmp_nlt_f32_e64 s0, 0x42b17218, v10
	s_delay_alu instid0(VALU_DEP_1) | instskip(NEXT) | instid1(VALU_DEP_1)
	v_cndmask_b32_e64 v5, 0x7f800000, v11, s0
	v_fma_f32 v4, -v4, v5, v8
	s_delay_alu instid0(VALU_DEP_1) | instskip(SKIP_1) | instid1(VALU_DEP_2)
	v_bfe_u32 v5, v4, 16, 1
	v_cmp_o_f32_e64 s0, v4, v4
	v_add3_u32 v5, v4, v5, 0x7fff
	s_delay_alu instid0(VALU_DEP_1) | instskip(NEXT) | instid1(VALU_DEP_1)
	v_lshrrev_b32_e32 v5, 16, v5
	v_cndmask_b32_e64 v4, 0x7fc0, v5, s0
	global_store_b16 v[0:1], v4, off
.LBB332_7:
	s_or_b32 exec_lo, exec_lo, s1
	v_cmp_ne_u32_e64 s0, 1, v7
	s_delay_alu instid0(VALU_DEP_1)
	s_and_b32 exec_lo, exec_lo, s0
	s_cbranch_execz .LBB332_10
; %bb.8:
	s_and_b32 exec_lo, exec_lo, vcc_lo
	s_cbranch_execz .LBB332_10
; %bb.9:
	s_waitcnt vmcnt(0)
	v_mul_f32_e32 v4, 0x3fb8aa3b, v9
	v_cmp_ngt_f32_e32 vcc_lo, 0xc2ce8ed0, v9
	s_lshl_b64 s[0:1], s[6:7], 1
	s_waitcnt lgkmcnt(1)
	s_delay_alu instid0(VALU_DEP_2) | instskip(SKIP_1) | instid1(VALU_DEP_1)
	v_rndne_f32_e32 v5, v4
	v_fma_f32 v7, 0x3fb8aa3b, v9, -v4
	v_dual_sub_f32 v4, v4, v5 :: v_dual_fmamk_f32 v7, v9, 0x32a5705f, v7
	v_cvt_i32_f32_e32 v5, v5
	s_delay_alu instid0(VALU_DEP_2) | instskip(NEXT) | instid1(VALU_DEP_1)
	v_add_f32_e32 v4, v4, v7
	v_exp_f32_e32 v4, v4
	s_waitcnt_depctr 0xfff
	v_ldexp_f32 v4, v4, v5
	s_delay_alu instid0(VALU_DEP_1) | instskip(SKIP_2) | instid1(VALU_DEP_2)
	v_cndmask_b32_e32 v4, 0, v4, vcc_lo
	v_cmp_nlt_f32_e32 vcc_lo, 0x42b17218, v9
	s_waitcnt lgkmcnt(0)
	v_dual_add_f32 v2, v2, v3 :: v_dual_cndmask_b32 v3, 0x7f800000, v4
	s_delay_alu instid0(VALU_DEP_1) | instskip(NEXT) | instid1(VALU_DEP_1)
	v_fma_f32 v2, -v2, v3, v6
	v_bfe_u32 v3, v2, 16, 1
	v_cmp_o_f32_e32 vcc_lo, v2, v2
	s_delay_alu instid0(VALU_DEP_2) | instskip(NEXT) | instid1(VALU_DEP_1)
	v_add3_u32 v3, v2, v3, 0x7fff
	v_lshrrev_b32_e32 v3, 16, v3
	s_delay_alu instid0(VALU_DEP_1)
	v_cndmask_b32_e32 v2, 0x7fc0, v3, vcc_lo
	v_add_co_u32 v0, vcc_lo, v0, s0
	v_add_co_ci_u32_e32 v1, vcc_lo, s1, v1, vcc_lo
	global_store_b16 v[0:1], v2, off
.LBB332_10:
	s_nop 0
	s_sendmsg sendmsg(MSG_DEALLOC_VGPRS)
	s_endpgm
	.section	.rodata,"a",@progbits
	.p2align	6, 0x0
	.amdhsa_kernel _ZN12_GLOBAL__N_121softmax_warp_backwardIfN3c108BFloat16EfLi4ELb1ELb0ELi64EEEvPT0_PKT_S7_iiiPKb
		.amdhsa_group_segment_fixed_size 0
		.amdhsa_private_segment_fixed_size 0
		.amdhsa_kernarg_size 304
		.amdhsa_user_sgpr_count 15
		.amdhsa_user_sgpr_dispatch_ptr 0
		.amdhsa_user_sgpr_queue_ptr 0
		.amdhsa_user_sgpr_kernarg_segment_ptr 1
		.amdhsa_user_sgpr_dispatch_id 0
		.amdhsa_user_sgpr_private_segment_size 0
		.amdhsa_wavefront_size32 1
		.amdhsa_uses_dynamic_stack 0
		.amdhsa_enable_private_segment 0
		.amdhsa_system_sgpr_workgroup_id_x 1
		.amdhsa_system_sgpr_workgroup_id_y 0
		.amdhsa_system_sgpr_workgroup_id_z 0
		.amdhsa_system_sgpr_workgroup_info 0
		.amdhsa_system_vgpr_workitem_id 1
		.amdhsa_next_free_vgpr 14
		.amdhsa_next_free_sgpr 16
		.amdhsa_reserve_vcc 1
		.amdhsa_float_round_mode_32 0
		.amdhsa_float_round_mode_16_64 0
		.amdhsa_float_denorm_mode_32 3
		.amdhsa_float_denorm_mode_16_64 3
		.amdhsa_dx10_clamp 1
		.amdhsa_ieee_mode 1
		.amdhsa_fp16_overflow 0
		.amdhsa_workgroup_processor_mode 1
		.amdhsa_memory_ordered 1
		.amdhsa_forward_progress 0
		.amdhsa_shared_vgpr_count 0
		.amdhsa_exception_fp_ieee_invalid_op 0
		.amdhsa_exception_fp_denorm_src 0
		.amdhsa_exception_fp_ieee_div_zero 0
		.amdhsa_exception_fp_ieee_overflow 0
		.amdhsa_exception_fp_ieee_underflow 0
		.amdhsa_exception_fp_ieee_inexact 0
		.amdhsa_exception_int_div_zero 0
	.end_amdhsa_kernel
	.section	.text._ZN12_GLOBAL__N_121softmax_warp_backwardIfN3c108BFloat16EfLi4ELb1ELb0ELi64EEEvPT0_PKT_S7_iiiPKb,"axG",@progbits,_ZN12_GLOBAL__N_121softmax_warp_backwardIfN3c108BFloat16EfLi4ELb1ELb0ELi64EEEvPT0_PKT_S7_iiiPKb,comdat
.Lfunc_end332:
	.size	_ZN12_GLOBAL__N_121softmax_warp_backwardIfN3c108BFloat16EfLi4ELb1ELb0ELi64EEEvPT0_PKT_S7_iiiPKb, .Lfunc_end332-_ZN12_GLOBAL__N_121softmax_warp_backwardIfN3c108BFloat16EfLi4ELb1ELb0ELi64EEEvPT0_PKT_S7_iiiPKb
                                        ; -- End function
	.section	.AMDGPU.csdata,"",@progbits
; Kernel info:
; codeLenInByte = 1044
; NumSgprs: 18
; NumVgprs: 14
; ScratchSize: 0
; MemoryBound: 0
; FloatMode: 240
; IeeeMode: 1
; LDSByteSize: 0 bytes/workgroup (compile time only)
; SGPRBlocks: 2
; VGPRBlocks: 1
; NumSGPRsForWavesPerEU: 18
; NumVGPRsForWavesPerEU: 14
; Occupancy: 16
; WaveLimiterHint : 0
; COMPUTE_PGM_RSRC2:SCRATCH_EN: 0
; COMPUTE_PGM_RSRC2:USER_SGPR: 15
; COMPUTE_PGM_RSRC2:TRAP_HANDLER: 0
; COMPUTE_PGM_RSRC2:TGID_X_EN: 1
; COMPUTE_PGM_RSRC2:TGID_Y_EN: 0
; COMPUTE_PGM_RSRC2:TGID_Z_EN: 0
; COMPUTE_PGM_RSRC2:TIDIG_COMP_CNT: 1
	.section	.text._ZN12_GLOBAL__N_121softmax_warp_backwardIfN3c108BFloat16EfLi4ELb1ELb0ELi32EEEvPT0_PKT_S7_iiiPKb,"axG",@progbits,_ZN12_GLOBAL__N_121softmax_warp_backwardIfN3c108BFloat16EfLi4ELb1ELb0ELi32EEEvPT0_PKT_S7_iiiPKb,comdat
	.globl	_ZN12_GLOBAL__N_121softmax_warp_backwardIfN3c108BFloat16EfLi4ELb1ELb0ELi32EEEvPT0_PKT_S7_iiiPKb ; -- Begin function _ZN12_GLOBAL__N_121softmax_warp_backwardIfN3c108BFloat16EfLi4ELb1ELb0ELi32EEEvPT0_PKT_S7_iiiPKb
	.p2align	8
	.type	_ZN12_GLOBAL__N_121softmax_warp_backwardIfN3c108BFloat16EfLi4ELb1ELb0ELi32EEEvPT0_PKT_S7_iiiPKb,@function
_ZN12_GLOBAL__N_121softmax_warp_backwardIfN3c108BFloat16EfLi4ELb1ELb0ELi32EEEvPT0_PKT_S7_iiiPKb: ; @_ZN12_GLOBAL__N_121softmax_warp_backwardIfN3c108BFloat16EfLi4ELb1ELb0ELi32EEEvPT0_PKT_S7_iiiPKb
; %bb.0:
	s_clause 0x1
	s_load_b32 s2, s[0:1], 0x3c
	s_load_b128 s[4:7], s[0:1], 0x18
	v_bfe_u32 v1, v0, 10, 10
	v_and_b32_e32 v2, 15, v0
	s_load_b128 s[8:11], s[0:1], 0x0
	v_mov_b32_e32 v6, 0
	v_mov_b32_e32 v8, 0
	s_waitcnt lgkmcnt(0)
	s_lshr_b32 s2, s2, 16
	v_cmp_gt_i32_e32 vcc_lo, s6, v2
	s_mul_i32 s15, s15, s2
	s_load_b64 s[2:3], s[0:1], 0x10
	v_add_lshl_u32 v3, s15, v1, 1
	s_delay_alu instid0(VALU_DEP_1) | instskip(SKIP_1) | instid1(VALU_DEP_1)
	v_mad_u64_u32 v[0:1], null, v3, s5, v[2:3]
	v_sub_nc_u32_e32 v7, s4, v3
	v_cmp_lt_i32_e64 s0, 0, v7
	s_delay_alu instid0(VALU_DEP_3) | instskip(NEXT) | instid1(VALU_DEP_1)
	v_ashrrev_i32_e32 v1, 31, v0
	v_lshlrev_b64 v[9:10], 2, v[0:1]
	s_delay_alu instid0(VALU_DEP_1) | instskip(NEXT) | instid1(VALU_DEP_1)
	v_add_co_u32 v4, s1, s10, v9
	v_add_co_ci_u32_e64 v5, s1, s11, v10, s1
	s_waitcnt lgkmcnt(0)
	v_add_co_u32 v2, s1, s2, v9
	s_delay_alu instid0(VALU_DEP_1) | instskip(SKIP_2) | instid1(SALU_CYCLE_1)
	v_add_co_ci_u32_e64 v3, s1, s3, v10, s1
	v_mov_b32_e32 v10, 0
	s_and_b32 s2, vcc_lo, s0
	s_and_saveexec_b32 s1, s2
	s_cbranch_execz .LBB333_2
; %bb.1:
	global_load_b32 v8, v[4:5], off
	global_load_b32 v10, v[2:3], off
.LBB333_2:
	s_or_b32 exec_lo, exec_lo, s1
	v_cmp_lt_i32_e64 s1, 1, v7
	v_mov_b32_e32 v9, 0
	s_mov_b32 s7, 0
	s_delay_alu instid0(VALU_DEP_2) | instskip(NEXT) | instid1(SALU_CYCLE_1)
	s_and_b32 s1, vcc_lo, s1
	s_and_saveexec_b32 s2, s1
	s_cbranch_execz .LBB333_4
; %bb.3:
	s_lshl_b64 s[4:5], s[6:7], 2
	s_delay_alu instid0(SALU_CYCLE_1) | instskip(NEXT) | instid1(VALU_DEP_1)
	v_add_co_u32 v4, s1, v4, s4
	v_add_co_ci_u32_e64 v5, s1, s5, v5, s1
	v_add_co_u32 v2, s1, v2, s4
	s_delay_alu instid0(VALU_DEP_1)
	v_add_co_ci_u32_e64 v3, s1, s5, v3, s1
	global_load_b32 v6, v[4:5], off
	global_load_b32 v9, v[2:3], off
.LBB333_4:
	s_or_b32 exec_lo, exec_lo, s2
	v_mbcnt_lo_u32_b32 v2, -1, 0
	s_waitcnt vmcnt(1)
	v_add_f32_e32 v11, 0, v6
	v_add_f32_e32 v5, 0, v8
	s_delay_alu instid0(VALU_DEP_3) | instskip(SKIP_2) | instid1(VALU_DEP_3)
	v_and_b32_e32 v3, 16, v2
	v_xor_b32_e32 v4, 8, v2
	v_xor_b32_e32 v13, 4, v2
	v_add_nc_u32_e32 v3, 16, v3
	s_delay_alu instid0(VALU_DEP_1) | instskip(NEXT) | instid1(VALU_DEP_1)
	v_cmp_lt_i32_e64 s1, v4, v3
	v_cndmask_b32_e64 v4, v2, v4, s1
	s_delay_alu instid0(VALU_DEP_4) | instskip(NEXT) | instid1(VALU_DEP_2)
	v_cmp_lt_i32_e64 s1, v13, v3
	v_lshlrev_b32_e32 v4, 2, v4
	s_delay_alu instid0(VALU_DEP_2)
	v_cndmask_b32_e64 v13, v2, v13, s1
	ds_bpermute_b32 v12, v4, v5
	ds_bpermute_b32 v4, v4, v11
	v_lshlrev_b32_e32 v13, 2, v13
	s_waitcnt lgkmcnt(1)
	v_add_f32_e32 v5, v5, v12
	s_waitcnt lgkmcnt(0)
	v_add_f32_e32 v4, v11, v4
	ds_bpermute_b32 v11, v13, v5
	ds_bpermute_b32 v12, v13, v4
	v_xor_b32_e32 v13, 2, v2
	s_delay_alu instid0(VALU_DEP_1) | instskip(NEXT) | instid1(VALU_DEP_1)
	v_cmp_lt_i32_e64 s1, v13, v3
	v_cndmask_b32_e64 v13, v2, v13, s1
	s_delay_alu instid0(VALU_DEP_1)
	v_lshlrev_b32_e32 v13, 2, v13
	s_waitcnt lgkmcnt(1)
	v_add_f32_e32 v5, v5, v11
	s_waitcnt lgkmcnt(0)
	v_add_f32_e32 v11, v4, v12
	ds_bpermute_b32 v4, v13, v5
	ds_bpermute_b32 v12, v13, v11
	v_xor_b32_e32 v13, 1, v2
	s_waitcnt lgkmcnt(1)
	v_add_f32_e32 v4, v5, v4
	s_delay_alu instid0(VALU_DEP_2) | instskip(NEXT) | instid1(VALU_DEP_1)
	v_cmp_lt_i32_e64 s1, v13, v3
	v_cndmask_b32_e64 v2, v2, v13, s1
	s_waitcnt lgkmcnt(0)
	s_delay_alu instid0(VALU_DEP_1)
	v_dual_add_f32 v2, v11, v12 :: v_dual_lshlrev_b32 v3, 2, v2
	ds_bpermute_b32 v5, v3, v4
	ds_bpermute_b32 v3, v3, v2
	s_and_saveexec_b32 s1, s0
	s_cbranch_execz .LBB333_10
; %bb.5:
	v_lshlrev_b64 v[0:1], 1, v[0:1]
	s_delay_alu instid0(VALU_DEP_1) | instskip(NEXT) | instid1(VALU_DEP_1)
	v_add_co_u32 v0, s0, s8, v0
	v_add_co_ci_u32_e64 v1, s0, s9, v1, s0
	s_and_saveexec_b32 s1, vcc_lo
	s_cbranch_execz .LBB333_7
; %bb.6:
	s_waitcnt vmcnt(0) lgkmcnt(1)
	v_dual_mul_f32 v11, 0x3fb8aa3b, v10 :: v_dual_add_f32 v4, v4, v5
	v_cmp_ngt_f32_e64 s0, 0xc2ce8ed0, v10
	s_delay_alu instid0(VALU_DEP_2) | instskip(SKIP_1) | instid1(VALU_DEP_2)
	v_rndne_f32_e32 v12, v11
	v_fma_f32 v13, 0x3fb8aa3b, v10, -v11
	v_sub_f32_e32 v11, v11, v12
	s_delay_alu instid0(VALU_DEP_2) | instskip(SKIP_1) | instid1(VALU_DEP_2)
	v_fmamk_f32 v13, v10, 0x32a5705f, v13
	v_cvt_i32_f32_e32 v12, v12
	v_add_f32_e32 v11, v11, v13
	s_delay_alu instid0(VALU_DEP_1) | instskip(SKIP_2) | instid1(VALU_DEP_1)
	v_exp_f32_e32 v11, v11
	s_waitcnt_depctr 0xfff
	v_ldexp_f32 v11, v11, v12
	v_cndmask_b32_e64 v11, 0, v11, s0
	v_cmp_nlt_f32_e64 s0, 0x42b17218, v10
	s_delay_alu instid0(VALU_DEP_1) | instskip(NEXT) | instid1(VALU_DEP_1)
	v_cndmask_b32_e64 v5, 0x7f800000, v11, s0
	v_fma_f32 v4, -v4, v5, v8
	s_delay_alu instid0(VALU_DEP_1) | instskip(SKIP_1) | instid1(VALU_DEP_2)
	v_bfe_u32 v5, v4, 16, 1
	v_cmp_o_f32_e64 s0, v4, v4
	v_add3_u32 v5, v4, v5, 0x7fff
	s_delay_alu instid0(VALU_DEP_1) | instskip(NEXT) | instid1(VALU_DEP_1)
	v_lshrrev_b32_e32 v5, 16, v5
	v_cndmask_b32_e64 v4, 0x7fc0, v5, s0
	global_store_b16 v[0:1], v4, off
.LBB333_7:
	s_or_b32 exec_lo, exec_lo, s1
	v_cmp_ne_u32_e64 s0, 1, v7
	s_delay_alu instid0(VALU_DEP_1)
	s_and_b32 exec_lo, exec_lo, s0
	s_cbranch_execz .LBB333_10
; %bb.8:
	s_and_b32 exec_lo, exec_lo, vcc_lo
	s_cbranch_execz .LBB333_10
; %bb.9:
	s_waitcnt vmcnt(0)
	v_mul_f32_e32 v4, 0x3fb8aa3b, v9
	v_cmp_ngt_f32_e32 vcc_lo, 0xc2ce8ed0, v9
	s_lshl_b64 s[0:1], s[6:7], 1
	s_waitcnt lgkmcnt(1)
	s_delay_alu instid0(VALU_DEP_2) | instskip(SKIP_1) | instid1(VALU_DEP_1)
	v_rndne_f32_e32 v5, v4
	v_fma_f32 v7, 0x3fb8aa3b, v9, -v4
	v_dual_sub_f32 v4, v4, v5 :: v_dual_fmamk_f32 v7, v9, 0x32a5705f, v7
	v_cvt_i32_f32_e32 v5, v5
	s_delay_alu instid0(VALU_DEP_2) | instskip(NEXT) | instid1(VALU_DEP_1)
	v_add_f32_e32 v4, v4, v7
	v_exp_f32_e32 v4, v4
	s_waitcnt_depctr 0xfff
	v_ldexp_f32 v4, v4, v5
	s_delay_alu instid0(VALU_DEP_1) | instskip(SKIP_2) | instid1(VALU_DEP_2)
	v_cndmask_b32_e32 v4, 0, v4, vcc_lo
	v_cmp_nlt_f32_e32 vcc_lo, 0x42b17218, v9
	s_waitcnt lgkmcnt(0)
	v_dual_add_f32 v2, v2, v3 :: v_dual_cndmask_b32 v3, 0x7f800000, v4
	s_delay_alu instid0(VALU_DEP_1) | instskip(NEXT) | instid1(VALU_DEP_1)
	v_fma_f32 v2, -v2, v3, v6
	v_bfe_u32 v3, v2, 16, 1
	v_cmp_o_f32_e32 vcc_lo, v2, v2
	s_delay_alu instid0(VALU_DEP_2) | instskip(NEXT) | instid1(VALU_DEP_1)
	v_add3_u32 v3, v2, v3, 0x7fff
	v_lshrrev_b32_e32 v3, 16, v3
	s_delay_alu instid0(VALU_DEP_1)
	v_cndmask_b32_e32 v2, 0x7fc0, v3, vcc_lo
	v_add_co_u32 v0, vcc_lo, v0, s0
	v_add_co_ci_u32_e32 v1, vcc_lo, s1, v1, vcc_lo
	global_store_b16 v[0:1], v2, off
.LBB333_10:
	s_nop 0
	s_sendmsg sendmsg(MSG_DEALLOC_VGPRS)
	s_endpgm
	.section	.rodata,"a",@progbits
	.p2align	6, 0x0
	.amdhsa_kernel _ZN12_GLOBAL__N_121softmax_warp_backwardIfN3c108BFloat16EfLi4ELb1ELb0ELi32EEEvPT0_PKT_S7_iiiPKb
		.amdhsa_group_segment_fixed_size 0
		.amdhsa_private_segment_fixed_size 0
		.amdhsa_kernarg_size 304
		.amdhsa_user_sgpr_count 15
		.amdhsa_user_sgpr_dispatch_ptr 0
		.amdhsa_user_sgpr_queue_ptr 0
		.amdhsa_user_sgpr_kernarg_segment_ptr 1
		.amdhsa_user_sgpr_dispatch_id 0
		.amdhsa_user_sgpr_private_segment_size 0
		.amdhsa_wavefront_size32 1
		.amdhsa_uses_dynamic_stack 0
		.amdhsa_enable_private_segment 0
		.amdhsa_system_sgpr_workgroup_id_x 1
		.amdhsa_system_sgpr_workgroup_id_y 0
		.amdhsa_system_sgpr_workgroup_id_z 0
		.amdhsa_system_sgpr_workgroup_info 0
		.amdhsa_system_vgpr_workitem_id 1
		.amdhsa_next_free_vgpr 14
		.amdhsa_next_free_sgpr 16
		.amdhsa_reserve_vcc 1
		.amdhsa_float_round_mode_32 0
		.amdhsa_float_round_mode_16_64 0
		.amdhsa_float_denorm_mode_32 3
		.amdhsa_float_denorm_mode_16_64 3
		.amdhsa_dx10_clamp 1
		.amdhsa_ieee_mode 1
		.amdhsa_fp16_overflow 0
		.amdhsa_workgroup_processor_mode 1
		.amdhsa_memory_ordered 1
		.amdhsa_forward_progress 0
		.amdhsa_shared_vgpr_count 0
		.amdhsa_exception_fp_ieee_invalid_op 0
		.amdhsa_exception_fp_denorm_src 0
		.amdhsa_exception_fp_ieee_div_zero 0
		.amdhsa_exception_fp_ieee_overflow 0
		.amdhsa_exception_fp_ieee_underflow 0
		.amdhsa_exception_fp_ieee_inexact 0
		.amdhsa_exception_int_div_zero 0
	.end_amdhsa_kernel
	.section	.text._ZN12_GLOBAL__N_121softmax_warp_backwardIfN3c108BFloat16EfLi4ELb1ELb0ELi32EEEvPT0_PKT_S7_iiiPKb,"axG",@progbits,_ZN12_GLOBAL__N_121softmax_warp_backwardIfN3c108BFloat16EfLi4ELb1ELb0ELi32EEEvPT0_PKT_S7_iiiPKb,comdat
.Lfunc_end333:
	.size	_ZN12_GLOBAL__N_121softmax_warp_backwardIfN3c108BFloat16EfLi4ELb1ELb0ELi32EEEvPT0_PKT_S7_iiiPKb, .Lfunc_end333-_ZN12_GLOBAL__N_121softmax_warp_backwardIfN3c108BFloat16EfLi4ELb1ELb0ELi32EEEvPT0_PKT_S7_iiiPKb
                                        ; -- End function
	.section	.AMDGPU.csdata,"",@progbits
; Kernel info:
; codeLenInByte = 1044
; NumSgprs: 18
; NumVgprs: 14
; ScratchSize: 0
; MemoryBound: 0
; FloatMode: 240
; IeeeMode: 1
; LDSByteSize: 0 bytes/workgroup (compile time only)
; SGPRBlocks: 2
; VGPRBlocks: 1
; NumSGPRsForWavesPerEU: 18
; NumVGPRsForWavesPerEU: 14
; Occupancy: 16
; WaveLimiterHint : 0
; COMPUTE_PGM_RSRC2:SCRATCH_EN: 0
; COMPUTE_PGM_RSRC2:USER_SGPR: 15
; COMPUTE_PGM_RSRC2:TRAP_HANDLER: 0
; COMPUTE_PGM_RSRC2:TGID_X_EN: 1
; COMPUTE_PGM_RSRC2:TGID_Y_EN: 0
; COMPUTE_PGM_RSRC2:TGID_Z_EN: 0
; COMPUTE_PGM_RSRC2:TIDIG_COMP_CNT: 1
	.section	.text._ZN12_GLOBAL__N_121softmax_warp_backwardIfN3c108BFloat16EfLi5ELb1ELb0ELi64EEEvPT0_PKT_S7_iiiPKb,"axG",@progbits,_ZN12_GLOBAL__N_121softmax_warp_backwardIfN3c108BFloat16EfLi5ELb1ELb0ELi64EEEvPT0_PKT_S7_iiiPKb,comdat
	.globl	_ZN12_GLOBAL__N_121softmax_warp_backwardIfN3c108BFloat16EfLi5ELb1ELb0ELi64EEEvPT0_PKT_S7_iiiPKb ; -- Begin function _ZN12_GLOBAL__N_121softmax_warp_backwardIfN3c108BFloat16EfLi5ELb1ELb0ELi64EEEvPT0_PKT_S7_iiiPKb
	.p2align	8
	.type	_ZN12_GLOBAL__N_121softmax_warp_backwardIfN3c108BFloat16EfLi5ELb1ELb0ELi64EEEvPT0_PKT_S7_iiiPKb,@function
_ZN12_GLOBAL__N_121softmax_warp_backwardIfN3c108BFloat16EfLi5ELb1ELb0ELi64EEEvPT0_PKT_S7_iiiPKb: ; @_ZN12_GLOBAL__N_121softmax_warp_backwardIfN3c108BFloat16EfLi5ELb1ELb0ELi64EEEvPT0_PKT_S7_iiiPKb
; %bb.0:
	s_clause 0x1
	s_load_b32 s2, s[0:1], 0x3c
	s_load_b128 s[4:7], s[0:1], 0x18
	v_bfe_u32 v1, v0, 10, 10
	v_and_b32_e32 v2, 31, v0
	s_load_b128 s[8:11], s[0:1], 0x0
	v_mov_b32_e32 v6, 0
	v_mov_b32_e32 v8, 0
	s_waitcnt lgkmcnt(0)
	s_lshr_b32 s2, s2, 16
	v_cmp_gt_i32_e32 vcc_lo, s6, v2
	s_mul_i32 s15, s15, s2
	s_load_b64 s[2:3], s[0:1], 0x10
	v_add_lshl_u32 v3, s15, v1, 1
	s_delay_alu instid0(VALU_DEP_1) | instskip(SKIP_1) | instid1(VALU_DEP_1)
	v_mad_u64_u32 v[0:1], null, v3, s5, v[2:3]
	v_sub_nc_u32_e32 v7, s4, v3
	v_cmp_lt_i32_e64 s0, 0, v7
	s_delay_alu instid0(VALU_DEP_3) | instskip(NEXT) | instid1(VALU_DEP_1)
	v_ashrrev_i32_e32 v1, 31, v0
	v_lshlrev_b64 v[9:10], 2, v[0:1]
	s_delay_alu instid0(VALU_DEP_1) | instskip(NEXT) | instid1(VALU_DEP_1)
	v_add_co_u32 v4, s1, s10, v9
	v_add_co_ci_u32_e64 v5, s1, s11, v10, s1
	s_waitcnt lgkmcnt(0)
	v_add_co_u32 v2, s1, s2, v9
	s_delay_alu instid0(VALU_DEP_1) | instskip(SKIP_2) | instid1(SALU_CYCLE_1)
	v_add_co_ci_u32_e64 v3, s1, s3, v10, s1
	v_mov_b32_e32 v10, 0
	s_and_b32 s2, vcc_lo, s0
	s_and_saveexec_b32 s1, s2
	s_cbranch_execz .LBB334_2
; %bb.1:
	global_load_b32 v8, v[4:5], off
	global_load_b32 v10, v[2:3], off
.LBB334_2:
	s_or_b32 exec_lo, exec_lo, s1
	v_cmp_lt_i32_e64 s1, 1, v7
	v_mov_b32_e32 v9, 0
	s_mov_b32 s7, 0
	s_delay_alu instid0(VALU_DEP_2) | instskip(NEXT) | instid1(SALU_CYCLE_1)
	s_and_b32 s1, vcc_lo, s1
	s_and_saveexec_b32 s2, s1
	s_cbranch_execz .LBB334_4
; %bb.3:
	s_lshl_b64 s[4:5], s[6:7], 2
	s_delay_alu instid0(SALU_CYCLE_1) | instskip(NEXT) | instid1(VALU_DEP_1)
	v_add_co_u32 v4, s1, v4, s4
	v_add_co_ci_u32_e64 v5, s1, s5, v5, s1
	v_add_co_u32 v2, s1, v2, s4
	s_delay_alu instid0(VALU_DEP_1)
	v_add_co_ci_u32_e64 v3, s1, s5, v3, s1
	global_load_b32 v6, v[4:5], off
	global_load_b32 v9, v[2:3], off
.LBB334_4:
	s_or_b32 exec_lo, exec_lo, s2
	v_mbcnt_lo_u32_b32 v2, -1, 0
	s_delay_alu instid0(VALU_DEP_1) | instskip(SKIP_1) | instid1(VALU_DEP_2)
	v_xor_b32_e32 v3, 16, v2
	v_xor_b32_e32 v12, 8, v2
	v_cmp_gt_i32_e64 s1, 32, v3
	s_delay_alu instid0(VALU_DEP_1) | instskip(NEXT) | instid1(VALU_DEP_3)
	v_cndmask_b32_e64 v3, v2, v3, s1
	v_cmp_gt_i32_e64 s1, 32, v12
	s_waitcnt vmcnt(1)
	s_delay_alu instid0(VALU_DEP_2) | instskip(NEXT) | instid1(VALU_DEP_2)
	v_dual_add_f32 v4, 0, v8 :: v_dual_lshlrev_b32 v3, 2, v3
	v_cndmask_b32_e64 v12, v2, v12, s1
	v_add_f32_e32 v5, 0, v6
	ds_bpermute_b32 v11, v3, v4
	v_lshlrev_b32_e32 v12, 2, v12
	ds_bpermute_b32 v3, v3, v5
	s_waitcnt lgkmcnt(1)
	v_add_f32_e32 v4, v4, v11
	s_waitcnt lgkmcnt(0)
	v_add_f32_e32 v3, v5, v3
	ds_bpermute_b32 v5, v12, v4
	ds_bpermute_b32 v11, v12, v3
	v_xor_b32_e32 v12, 4, v2
	s_delay_alu instid0(VALU_DEP_1) | instskip(NEXT) | instid1(VALU_DEP_1)
	v_cmp_gt_i32_e64 s1, 32, v12
	v_cndmask_b32_e64 v12, v2, v12, s1
	s_delay_alu instid0(VALU_DEP_1)
	v_lshlrev_b32_e32 v12, 2, v12
	s_waitcnt lgkmcnt(0)
	v_dual_add_f32 v4, v4, v5 :: v_dual_add_f32 v3, v3, v11
	ds_bpermute_b32 v5, v12, v4
	ds_bpermute_b32 v11, v12, v3
	v_xor_b32_e32 v12, 2, v2
	s_delay_alu instid0(VALU_DEP_1) | instskip(NEXT) | instid1(VALU_DEP_1)
	v_cmp_gt_i32_e64 s1, 32, v12
	v_cndmask_b32_e64 v12, v2, v12, s1
	s_delay_alu instid0(VALU_DEP_1)
	v_lshlrev_b32_e32 v12, 2, v12
	s_waitcnt lgkmcnt(0)
	v_dual_add_f32 v4, v4, v5 :: v_dual_add_f32 v3, v3, v11
	ds_bpermute_b32 v5, v12, v4
	ds_bpermute_b32 v11, v12, v3
	v_xor_b32_e32 v12, 1, v2
	s_delay_alu instid0(VALU_DEP_1) | instskip(NEXT) | instid1(VALU_DEP_1)
	v_cmp_gt_i32_e64 s1, 32, v12
	v_cndmask_b32_e64 v2, v2, v12, s1
	s_delay_alu instid0(VALU_DEP_1)
	v_lshlrev_b32_e32 v12, 2, v2
	s_waitcnt lgkmcnt(1)
	v_add_f32_e32 v4, v4, v5
	s_waitcnt lgkmcnt(0)
	v_add_f32_e32 v2, v3, v11
	ds_bpermute_b32 v5, v12, v4
	ds_bpermute_b32 v3, v12, v2
	s_and_saveexec_b32 s1, s0
	s_cbranch_execz .LBB334_10
; %bb.5:
	v_lshlrev_b64 v[0:1], 1, v[0:1]
	s_delay_alu instid0(VALU_DEP_1) | instskip(NEXT) | instid1(VALU_DEP_1)
	v_add_co_u32 v0, s0, s8, v0
	v_add_co_ci_u32_e64 v1, s0, s9, v1, s0
	s_and_saveexec_b32 s1, vcc_lo
	s_cbranch_execz .LBB334_7
; %bb.6:
	s_waitcnt vmcnt(0) lgkmcnt(1)
	v_dual_mul_f32 v11, 0x3fb8aa3b, v10 :: v_dual_add_f32 v4, v4, v5
	v_cmp_ngt_f32_e64 s0, 0xc2ce8ed0, v10
	s_delay_alu instid0(VALU_DEP_2) | instskip(SKIP_1) | instid1(VALU_DEP_2)
	v_rndne_f32_e32 v12, v11
	v_fma_f32 v13, 0x3fb8aa3b, v10, -v11
	v_sub_f32_e32 v11, v11, v12
	s_delay_alu instid0(VALU_DEP_2) | instskip(SKIP_1) | instid1(VALU_DEP_2)
	v_fmamk_f32 v13, v10, 0x32a5705f, v13
	v_cvt_i32_f32_e32 v12, v12
	v_add_f32_e32 v11, v11, v13
	s_delay_alu instid0(VALU_DEP_1) | instskip(SKIP_2) | instid1(VALU_DEP_1)
	v_exp_f32_e32 v11, v11
	s_waitcnt_depctr 0xfff
	v_ldexp_f32 v11, v11, v12
	v_cndmask_b32_e64 v11, 0, v11, s0
	v_cmp_nlt_f32_e64 s0, 0x42b17218, v10
	s_delay_alu instid0(VALU_DEP_1) | instskip(NEXT) | instid1(VALU_DEP_1)
	v_cndmask_b32_e64 v5, 0x7f800000, v11, s0
	v_fma_f32 v4, -v4, v5, v8
	s_delay_alu instid0(VALU_DEP_1) | instskip(SKIP_1) | instid1(VALU_DEP_2)
	v_bfe_u32 v5, v4, 16, 1
	v_cmp_o_f32_e64 s0, v4, v4
	v_add3_u32 v5, v4, v5, 0x7fff
	s_delay_alu instid0(VALU_DEP_1) | instskip(NEXT) | instid1(VALU_DEP_1)
	v_lshrrev_b32_e32 v5, 16, v5
	v_cndmask_b32_e64 v4, 0x7fc0, v5, s0
	global_store_b16 v[0:1], v4, off
.LBB334_7:
	s_or_b32 exec_lo, exec_lo, s1
	v_cmp_ne_u32_e64 s0, 1, v7
	s_delay_alu instid0(VALU_DEP_1)
	s_and_b32 exec_lo, exec_lo, s0
	s_cbranch_execz .LBB334_10
; %bb.8:
	s_and_b32 exec_lo, exec_lo, vcc_lo
	s_cbranch_execz .LBB334_10
; %bb.9:
	s_waitcnt vmcnt(0)
	v_mul_f32_e32 v4, 0x3fb8aa3b, v9
	v_cmp_ngt_f32_e32 vcc_lo, 0xc2ce8ed0, v9
	s_lshl_b64 s[0:1], s[6:7], 1
	s_waitcnt lgkmcnt(1)
	s_delay_alu instid0(VALU_DEP_2) | instskip(SKIP_1) | instid1(VALU_DEP_1)
	v_rndne_f32_e32 v5, v4
	v_fma_f32 v7, 0x3fb8aa3b, v9, -v4
	v_dual_sub_f32 v4, v4, v5 :: v_dual_fmamk_f32 v7, v9, 0x32a5705f, v7
	v_cvt_i32_f32_e32 v5, v5
	s_delay_alu instid0(VALU_DEP_2) | instskip(NEXT) | instid1(VALU_DEP_1)
	v_add_f32_e32 v4, v4, v7
	v_exp_f32_e32 v4, v4
	s_waitcnt_depctr 0xfff
	v_ldexp_f32 v4, v4, v5
	s_delay_alu instid0(VALU_DEP_1) | instskip(SKIP_2) | instid1(VALU_DEP_2)
	v_cndmask_b32_e32 v4, 0, v4, vcc_lo
	v_cmp_nlt_f32_e32 vcc_lo, 0x42b17218, v9
	s_waitcnt lgkmcnt(0)
	v_dual_add_f32 v2, v2, v3 :: v_dual_cndmask_b32 v3, 0x7f800000, v4
	s_delay_alu instid0(VALU_DEP_1) | instskip(NEXT) | instid1(VALU_DEP_1)
	v_fma_f32 v2, -v2, v3, v6
	v_bfe_u32 v3, v2, 16, 1
	v_cmp_o_f32_e32 vcc_lo, v2, v2
	s_delay_alu instid0(VALU_DEP_2) | instskip(NEXT) | instid1(VALU_DEP_1)
	v_add3_u32 v3, v2, v3, 0x7fff
	v_lshrrev_b32_e32 v3, 16, v3
	s_delay_alu instid0(VALU_DEP_1)
	v_cndmask_b32_e32 v2, 0x7fc0, v3, vcc_lo
	v_add_co_u32 v0, vcc_lo, v0, s0
	v_add_co_ci_u32_e32 v1, vcc_lo, s1, v1, vcc_lo
	global_store_b16 v[0:1], v2, off
.LBB334_10:
	s_nop 0
	s_sendmsg sendmsg(MSG_DEALLOC_VGPRS)
	s_endpgm
	.section	.rodata,"a",@progbits
	.p2align	6, 0x0
	.amdhsa_kernel _ZN12_GLOBAL__N_121softmax_warp_backwardIfN3c108BFloat16EfLi5ELb1ELb0ELi64EEEvPT0_PKT_S7_iiiPKb
		.amdhsa_group_segment_fixed_size 0
		.amdhsa_private_segment_fixed_size 0
		.amdhsa_kernarg_size 304
		.amdhsa_user_sgpr_count 15
		.amdhsa_user_sgpr_dispatch_ptr 0
		.amdhsa_user_sgpr_queue_ptr 0
		.amdhsa_user_sgpr_kernarg_segment_ptr 1
		.amdhsa_user_sgpr_dispatch_id 0
		.amdhsa_user_sgpr_private_segment_size 0
		.amdhsa_wavefront_size32 1
		.amdhsa_uses_dynamic_stack 0
		.amdhsa_enable_private_segment 0
		.amdhsa_system_sgpr_workgroup_id_x 1
		.amdhsa_system_sgpr_workgroup_id_y 0
		.amdhsa_system_sgpr_workgroup_id_z 0
		.amdhsa_system_sgpr_workgroup_info 0
		.amdhsa_system_vgpr_workitem_id 1
		.amdhsa_next_free_vgpr 14
		.amdhsa_next_free_sgpr 16
		.amdhsa_reserve_vcc 1
		.amdhsa_float_round_mode_32 0
		.amdhsa_float_round_mode_16_64 0
		.amdhsa_float_denorm_mode_32 3
		.amdhsa_float_denorm_mode_16_64 3
		.amdhsa_dx10_clamp 1
		.amdhsa_ieee_mode 1
		.amdhsa_fp16_overflow 0
		.amdhsa_workgroup_processor_mode 1
		.amdhsa_memory_ordered 1
		.amdhsa_forward_progress 0
		.amdhsa_shared_vgpr_count 0
		.amdhsa_exception_fp_ieee_invalid_op 0
		.amdhsa_exception_fp_denorm_src 0
		.amdhsa_exception_fp_ieee_div_zero 0
		.amdhsa_exception_fp_ieee_overflow 0
		.amdhsa_exception_fp_ieee_underflow 0
		.amdhsa_exception_fp_ieee_inexact 0
		.amdhsa_exception_int_div_zero 0
	.end_amdhsa_kernel
	.section	.text._ZN12_GLOBAL__N_121softmax_warp_backwardIfN3c108BFloat16EfLi5ELb1ELb0ELi64EEEvPT0_PKT_S7_iiiPKb,"axG",@progbits,_ZN12_GLOBAL__N_121softmax_warp_backwardIfN3c108BFloat16EfLi5ELb1ELb0ELi64EEEvPT0_PKT_S7_iiiPKb,comdat
.Lfunc_end334:
	.size	_ZN12_GLOBAL__N_121softmax_warp_backwardIfN3c108BFloat16EfLi5ELb1ELb0ELi64EEEvPT0_PKT_S7_iiiPKb, .Lfunc_end334-_ZN12_GLOBAL__N_121softmax_warp_backwardIfN3c108BFloat16EfLi5ELb1ELb0ELi64EEEvPT0_PKT_S7_iiiPKb
                                        ; -- End function
	.section	.AMDGPU.csdata,"",@progbits
; Kernel info:
; codeLenInByte = 1088
; NumSgprs: 18
; NumVgprs: 14
; ScratchSize: 0
; MemoryBound: 0
; FloatMode: 240
; IeeeMode: 1
; LDSByteSize: 0 bytes/workgroup (compile time only)
; SGPRBlocks: 2
; VGPRBlocks: 1
; NumSGPRsForWavesPerEU: 18
; NumVGPRsForWavesPerEU: 14
; Occupancy: 16
; WaveLimiterHint : 0
; COMPUTE_PGM_RSRC2:SCRATCH_EN: 0
; COMPUTE_PGM_RSRC2:USER_SGPR: 15
; COMPUTE_PGM_RSRC2:TRAP_HANDLER: 0
; COMPUTE_PGM_RSRC2:TGID_X_EN: 1
; COMPUTE_PGM_RSRC2:TGID_Y_EN: 0
; COMPUTE_PGM_RSRC2:TGID_Z_EN: 0
; COMPUTE_PGM_RSRC2:TIDIG_COMP_CNT: 1
	.section	.text._ZN12_GLOBAL__N_121softmax_warp_backwardIfN3c108BFloat16EfLi5ELb1ELb0ELi32EEEvPT0_PKT_S7_iiiPKb,"axG",@progbits,_ZN12_GLOBAL__N_121softmax_warp_backwardIfN3c108BFloat16EfLi5ELb1ELb0ELi32EEEvPT0_PKT_S7_iiiPKb,comdat
	.globl	_ZN12_GLOBAL__N_121softmax_warp_backwardIfN3c108BFloat16EfLi5ELb1ELb0ELi32EEEvPT0_PKT_S7_iiiPKb ; -- Begin function _ZN12_GLOBAL__N_121softmax_warp_backwardIfN3c108BFloat16EfLi5ELb1ELb0ELi32EEEvPT0_PKT_S7_iiiPKb
	.p2align	8
	.type	_ZN12_GLOBAL__N_121softmax_warp_backwardIfN3c108BFloat16EfLi5ELb1ELb0ELi32EEEvPT0_PKT_S7_iiiPKb,@function
_ZN12_GLOBAL__N_121softmax_warp_backwardIfN3c108BFloat16EfLi5ELb1ELb0ELi32EEEvPT0_PKT_S7_iiiPKb: ; @_ZN12_GLOBAL__N_121softmax_warp_backwardIfN3c108BFloat16EfLi5ELb1ELb0ELi32EEEvPT0_PKT_S7_iiiPKb
; %bb.0:
	s_clause 0x1
	s_load_b32 s2, s[0:1], 0x3c
	s_load_b128 s[4:7], s[0:1], 0x18
	v_bfe_u32 v1, v0, 10, 10
	v_and_b32_e32 v2, 31, v0
	s_load_b128 s[8:11], s[0:1], 0x0
	v_mov_b32_e32 v6, 0
	v_mov_b32_e32 v8, 0
	s_waitcnt lgkmcnt(0)
	s_lshr_b32 s2, s2, 16
	v_cmp_gt_i32_e32 vcc_lo, s6, v2
	s_mul_i32 s15, s15, s2
	s_load_b64 s[2:3], s[0:1], 0x10
	v_add_lshl_u32 v3, s15, v1, 1
	s_delay_alu instid0(VALU_DEP_1) | instskip(SKIP_1) | instid1(VALU_DEP_1)
	v_mad_u64_u32 v[0:1], null, v3, s5, v[2:3]
	v_sub_nc_u32_e32 v7, s4, v3
	v_cmp_lt_i32_e64 s0, 0, v7
	s_delay_alu instid0(VALU_DEP_3) | instskip(NEXT) | instid1(VALU_DEP_1)
	v_ashrrev_i32_e32 v1, 31, v0
	v_lshlrev_b64 v[9:10], 2, v[0:1]
	s_delay_alu instid0(VALU_DEP_1) | instskip(NEXT) | instid1(VALU_DEP_1)
	v_add_co_u32 v4, s1, s10, v9
	v_add_co_ci_u32_e64 v5, s1, s11, v10, s1
	s_waitcnt lgkmcnt(0)
	v_add_co_u32 v2, s1, s2, v9
	s_delay_alu instid0(VALU_DEP_1) | instskip(SKIP_2) | instid1(SALU_CYCLE_1)
	v_add_co_ci_u32_e64 v3, s1, s3, v10, s1
	v_mov_b32_e32 v10, 0
	s_and_b32 s2, vcc_lo, s0
	s_and_saveexec_b32 s1, s2
	s_cbranch_execz .LBB335_2
; %bb.1:
	global_load_b32 v8, v[4:5], off
	global_load_b32 v10, v[2:3], off
.LBB335_2:
	s_or_b32 exec_lo, exec_lo, s1
	v_cmp_lt_i32_e64 s1, 1, v7
	v_mov_b32_e32 v9, 0
	s_mov_b32 s7, 0
	s_delay_alu instid0(VALU_DEP_2) | instskip(NEXT) | instid1(SALU_CYCLE_1)
	s_and_b32 s1, vcc_lo, s1
	s_and_saveexec_b32 s2, s1
	s_cbranch_execz .LBB335_4
; %bb.3:
	s_lshl_b64 s[4:5], s[6:7], 2
	s_delay_alu instid0(SALU_CYCLE_1) | instskip(NEXT) | instid1(VALU_DEP_1)
	v_add_co_u32 v4, s1, v4, s4
	v_add_co_ci_u32_e64 v5, s1, s5, v5, s1
	v_add_co_u32 v2, s1, v2, s4
	s_delay_alu instid0(VALU_DEP_1)
	v_add_co_ci_u32_e64 v3, s1, s5, v3, s1
	global_load_b32 v6, v[4:5], off
	global_load_b32 v9, v[2:3], off
.LBB335_4:
	s_or_b32 exec_lo, exec_lo, s2
	v_mbcnt_lo_u32_b32 v2, -1, 0
	s_delay_alu instid0(VALU_DEP_1) | instskip(SKIP_1) | instid1(VALU_DEP_2)
	v_xor_b32_e32 v3, 16, v2
	v_xor_b32_e32 v12, 8, v2
	v_cmp_gt_i32_e64 s1, 32, v3
	s_delay_alu instid0(VALU_DEP_1) | instskip(NEXT) | instid1(VALU_DEP_3)
	v_cndmask_b32_e64 v3, v2, v3, s1
	v_cmp_gt_i32_e64 s1, 32, v12
	s_waitcnt vmcnt(1)
	s_delay_alu instid0(VALU_DEP_2) | instskip(NEXT) | instid1(VALU_DEP_2)
	v_dual_add_f32 v4, 0, v8 :: v_dual_lshlrev_b32 v3, 2, v3
	v_cndmask_b32_e64 v12, v2, v12, s1
	v_add_f32_e32 v5, 0, v6
	ds_bpermute_b32 v11, v3, v4
	v_lshlrev_b32_e32 v12, 2, v12
	ds_bpermute_b32 v3, v3, v5
	s_waitcnt lgkmcnt(1)
	v_add_f32_e32 v4, v4, v11
	s_waitcnt lgkmcnt(0)
	v_add_f32_e32 v3, v5, v3
	ds_bpermute_b32 v5, v12, v4
	ds_bpermute_b32 v11, v12, v3
	v_xor_b32_e32 v12, 4, v2
	s_delay_alu instid0(VALU_DEP_1) | instskip(NEXT) | instid1(VALU_DEP_1)
	v_cmp_gt_i32_e64 s1, 32, v12
	v_cndmask_b32_e64 v12, v2, v12, s1
	s_delay_alu instid0(VALU_DEP_1)
	v_lshlrev_b32_e32 v12, 2, v12
	s_waitcnt lgkmcnt(0)
	v_dual_add_f32 v4, v4, v5 :: v_dual_add_f32 v3, v3, v11
	ds_bpermute_b32 v5, v12, v4
	ds_bpermute_b32 v11, v12, v3
	v_xor_b32_e32 v12, 2, v2
	s_delay_alu instid0(VALU_DEP_1) | instskip(NEXT) | instid1(VALU_DEP_1)
	v_cmp_gt_i32_e64 s1, 32, v12
	v_cndmask_b32_e64 v12, v2, v12, s1
	s_delay_alu instid0(VALU_DEP_1)
	v_lshlrev_b32_e32 v12, 2, v12
	s_waitcnt lgkmcnt(0)
	v_dual_add_f32 v4, v4, v5 :: v_dual_add_f32 v3, v3, v11
	ds_bpermute_b32 v5, v12, v4
	ds_bpermute_b32 v11, v12, v3
	v_xor_b32_e32 v12, 1, v2
	s_delay_alu instid0(VALU_DEP_1) | instskip(NEXT) | instid1(VALU_DEP_1)
	v_cmp_gt_i32_e64 s1, 32, v12
	v_cndmask_b32_e64 v2, v2, v12, s1
	s_delay_alu instid0(VALU_DEP_1)
	v_lshlrev_b32_e32 v12, 2, v2
	s_waitcnt lgkmcnt(1)
	v_add_f32_e32 v4, v4, v5
	s_waitcnt lgkmcnt(0)
	v_add_f32_e32 v2, v3, v11
	ds_bpermute_b32 v5, v12, v4
	ds_bpermute_b32 v3, v12, v2
	s_and_saveexec_b32 s1, s0
	s_cbranch_execz .LBB335_10
; %bb.5:
	v_lshlrev_b64 v[0:1], 1, v[0:1]
	s_delay_alu instid0(VALU_DEP_1) | instskip(NEXT) | instid1(VALU_DEP_1)
	v_add_co_u32 v0, s0, s8, v0
	v_add_co_ci_u32_e64 v1, s0, s9, v1, s0
	s_and_saveexec_b32 s1, vcc_lo
	s_cbranch_execz .LBB335_7
; %bb.6:
	s_waitcnt vmcnt(0) lgkmcnt(1)
	v_dual_mul_f32 v11, 0x3fb8aa3b, v10 :: v_dual_add_f32 v4, v4, v5
	v_cmp_ngt_f32_e64 s0, 0xc2ce8ed0, v10
	s_delay_alu instid0(VALU_DEP_2) | instskip(SKIP_1) | instid1(VALU_DEP_2)
	v_rndne_f32_e32 v12, v11
	v_fma_f32 v13, 0x3fb8aa3b, v10, -v11
	v_sub_f32_e32 v11, v11, v12
	s_delay_alu instid0(VALU_DEP_2) | instskip(SKIP_1) | instid1(VALU_DEP_2)
	v_fmamk_f32 v13, v10, 0x32a5705f, v13
	v_cvt_i32_f32_e32 v12, v12
	v_add_f32_e32 v11, v11, v13
	s_delay_alu instid0(VALU_DEP_1) | instskip(SKIP_2) | instid1(VALU_DEP_1)
	v_exp_f32_e32 v11, v11
	s_waitcnt_depctr 0xfff
	v_ldexp_f32 v11, v11, v12
	v_cndmask_b32_e64 v11, 0, v11, s0
	v_cmp_nlt_f32_e64 s0, 0x42b17218, v10
	s_delay_alu instid0(VALU_DEP_1) | instskip(NEXT) | instid1(VALU_DEP_1)
	v_cndmask_b32_e64 v5, 0x7f800000, v11, s0
	v_fma_f32 v4, -v4, v5, v8
	s_delay_alu instid0(VALU_DEP_1) | instskip(SKIP_1) | instid1(VALU_DEP_2)
	v_bfe_u32 v5, v4, 16, 1
	v_cmp_o_f32_e64 s0, v4, v4
	v_add3_u32 v5, v4, v5, 0x7fff
	s_delay_alu instid0(VALU_DEP_1) | instskip(NEXT) | instid1(VALU_DEP_1)
	v_lshrrev_b32_e32 v5, 16, v5
	v_cndmask_b32_e64 v4, 0x7fc0, v5, s0
	global_store_b16 v[0:1], v4, off
.LBB335_7:
	s_or_b32 exec_lo, exec_lo, s1
	v_cmp_ne_u32_e64 s0, 1, v7
	s_delay_alu instid0(VALU_DEP_1)
	s_and_b32 exec_lo, exec_lo, s0
	s_cbranch_execz .LBB335_10
; %bb.8:
	s_and_b32 exec_lo, exec_lo, vcc_lo
	s_cbranch_execz .LBB335_10
; %bb.9:
	s_waitcnt vmcnt(0)
	v_mul_f32_e32 v4, 0x3fb8aa3b, v9
	v_cmp_ngt_f32_e32 vcc_lo, 0xc2ce8ed0, v9
	s_lshl_b64 s[0:1], s[6:7], 1
	s_waitcnt lgkmcnt(1)
	s_delay_alu instid0(VALU_DEP_2) | instskip(SKIP_1) | instid1(VALU_DEP_1)
	v_rndne_f32_e32 v5, v4
	v_fma_f32 v7, 0x3fb8aa3b, v9, -v4
	v_dual_sub_f32 v4, v4, v5 :: v_dual_fmamk_f32 v7, v9, 0x32a5705f, v7
	v_cvt_i32_f32_e32 v5, v5
	s_delay_alu instid0(VALU_DEP_2) | instskip(NEXT) | instid1(VALU_DEP_1)
	v_add_f32_e32 v4, v4, v7
	v_exp_f32_e32 v4, v4
	s_waitcnt_depctr 0xfff
	v_ldexp_f32 v4, v4, v5
	s_delay_alu instid0(VALU_DEP_1) | instskip(SKIP_2) | instid1(VALU_DEP_2)
	v_cndmask_b32_e32 v4, 0, v4, vcc_lo
	v_cmp_nlt_f32_e32 vcc_lo, 0x42b17218, v9
	s_waitcnt lgkmcnt(0)
	v_dual_add_f32 v2, v2, v3 :: v_dual_cndmask_b32 v3, 0x7f800000, v4
	s_delay_alu instid0(VALU_DEP_1) | instskip(NEXT) | instid1(VALU_DEP_1)
	v_fma_f32 v2, -v2, v3, v6
	v_bfe_u32 v3, v2, 16, 1
	v_cmp_o_f32_e32 vcc_lo, v2, v2
	s_delay_alu instid0(VALU_DEP_2) | instskip(NEXT) | instid1(VALU_DEP_1)
	v_add3_u32 v3, v2, v3, 0x7fff
	v_lshrrev_b32_e32 v3, 16, v3
	s_delay_alu instid0(VALU_DEP_1)
	v_cndmask_b32_e32 v2, 0x7fc0, v3, vcc_lo
	v_add_co_u32 v0, vcc_lo, v0, s0
	v_add_co_ci_u32_e32 v1, vcc_lo, s1, v1, vcc_lo
	global_store_b16 v[0:1], v2, off
.LBB335_10:
	s_nop 0
	s_sendmsg sendmsg(MSG_DEALLOC_VGPRS)
	s_endpgm
	.section	.rodata,"a",@progbits
	.p2align	6, 0x0
	.amdhsa_kernel _ZN12_GLOBAL__N_121softmax_warp_backwardIfN3c108BFloat16EfLi5ELb1ELb0ELi32EEEvPT0_PKT_S7_iiiPKb
		.amdhsa_group_segment_fixed_size 0
		.amdhsa_private_segment_fixed_size 0
		.amdhsa_kernarg_size 304
		.amdhsa_user_sgpr_count 15
		.amdhsa_user_sgpr_dispatch_ptr 0
		.amdhsa_user_sgpr_queue_ptr 0
		.amdhsa_user_sgpr_kernarg_segment_ptr 1
		.amdhsa_user_sgpr_dispatch_id 0
		.amdhsa_user_sgpr_private_segment_size 0
		.amdhsa_wavefront_size32 1
		.amdhsa_uses_dynamic_stack 0
		.amdhsa_enable_private_segment 0
		.amdhsa_system_sgpr_workgroup_id_x 1
		.amdhsa_system_sgpr_workgroup_id_y 0
		.amdhsa_system_sgpr_workgroup_id_z 0
		.amdhsa_system_sgpr_workgroup_info 0
		.amdhsa_system_vgpr_workitem_id 1
		.amdhsa_next_free_vgpr 14
		.amdhsa_next_free_sgpr 16
		.amdhsa_reserve_vcc 1
		.amdhsa_float_round_mode_32 0
		.amdhsa_float_round_mode_16_64 0
		.amdhsa_float_denorm_mode_32 3
		.amdhsa_float_denorm_mode_16_64 3
		.amdhsa_dx10_clamp 1
		.amdhsa_ieee_mode 1
		.amdhsa_fp16_overflow 0
		.amdhsa_workgroup_processor_mode 1
		.amdhsa_memory_ordered 1
		.amdhsa_forward_progress 0
		.amdhsa_shared_vgpr_count 0
		.amdhsa_exception_fp_ieee_invalid_op 0
		.amdhsa_exception_fp_denorm_src 0
		.amdhsa_exception_fp_ieee_div_zero 0
		.amdhsa_exception_fp_ieee_overflow 0
		.amdhsa_exception_fp_ieee_underflow 0
		.amdhsa_exception_fp_ieee_inexact 0
		.amdhsa_exception_int_div_zero 0
	.end_amdhsa_kernel
	.section	.text._ZN12_GLOBAL__N_121softmax_warp_backwardIfN3c108BFloat16EfLi5ELb1ELb0ELi32EEEvPT0_PKT_S7_iiiPKb,"axG",@progbits,_ZN12_GLOBAL__N_121softmax_warp_backwardIfN3c108BFloat16EfLi5ELb1ELb0ELi32EEEvPT0_PKT_S7_iiiPKb,comdat
.Lfunc_end335:
	.size	_ZN12_GLOBAL__N_121softmax_warp_backwardIfN3c108BFloat16EfLi5ELb1ELb0ELi32EEEvPT0_PKT_S7_iiiPKb, .Lfunc_end335-_ZN12_GLOBAL__N_121softmax_warp_backwardIfN3c108BFloat16EfLi5ELb1ELb0ELi32EEEvPT0_PKT_S7_iiiPKb
                                        ; -- End function
	.section	.AMDGPU.csdata,"",@progbits
; Kernel info:
; codeLenInByte = 1088
; NumSgprs: 18
; NumVgprs: 14
; ScratchSize: 0
; MemoryBound: 0
; FloatMode: 240
; IeeeMode: 1
; LDSByteSize: 0 bytes/workgroup (compile time only)
; SGPRBlocks: 2
; VGPRBlocks: 1
; NumSGPRsForWavesPerEU: 18
; NumVGPRsForWavesPerEU: 14
; Occupancy: 16
; WaveLimiterHint : 0
; COMPUTE_PGM_RSRC2:SCRATCH_EN: 0
; COMPUTE_PGM_RSRC2:USER_SGPR: 15
; COMPUTE_PGM_RSRC2:TRAP_HANDLER: 0
; COMPUTE_PGM_RSRC2:TGID_X_EN: 1
; COMPUTE_PGM_RSRC2:TGID_Y_EN: 0
; COMPUTE_PGM_RSRC2:TGID_Z_EN: 0
; COMPUTE_PGM_RSRC2:TIDIG_COMP_CNT: 1
	.section	.text._ZN12_GLOBAL__N_121softmax_warp_backwardIfN3c108BFloat16EfLi6ELb1ELb0ELi64EEEvPT0_PKT_S7_iiiPKb,"axG",@progbits,_ZN12_GLOBAL__N_121softmax_warp_backwardIfN3c108BFloat16EfLi6ELb1ELb0ELi64EEEvPT0_PKT_S7_iiiPKb,comdat
	.globl	_ZN12_GLOBAL__N_121softmax_warp_backwardIfN3c108BFloat16EfLi6ELb1ELb0ELi64EEEvPT0_PKT_S7_iiiPKb ; -- Begin function _ZN12_GLOBAL__N_121softmax_warp_backwardIfN3c108BFloat16EfLi6ELb1ELb0ELi64EEEvPT0_PKT_S7_iiiPKb
	.p2align	8
	.type	_ZN12_GLOBAL__N_121softmax_warp_backwardIfN3c108BFloat16EfLi6ELb1ELb0ELi64EEEvPT0_PKT_S7_iiiPKb,@function
_ZN12_GLOBAL__N_121softmax_warp_backwardIfN3c108BFloat16EfLi6ELb1ELb0ELi64EEEvPT0_PKT_S7_iiiPKb: ; @_ZN12_GLOBAL__N_121softmax_warp_backwardIfN3c108BFloat16EfLi6ELb1ELb0ELi64EEEvPT0_PKT_S7_iiiPKb
; %bb.0:
	s_clause 0x1
	s_load_b32 s2, s[0:1], 0x3c
	s_load_b128 s[4:7], s[0:1], 0x18
	v_bfe_u32 v1, v0, 10, 10
	v_and_b32_e32 v2, 63, v0
	s_load_b128 s[8:11], s[0:1], 0x0
	v_mov_b32_e32 v6, 0
	v_mov_b32_e32 v8, 0
	s_waitcnt lgkmcnt(0)
	s_lshr_b32 s2, s2, 16
	v_cmp_gt_i32_e32 vcc_lo, s6, v2
	s_mul_i32 s15, s15, s2
	s_load_b64 s[2:3], s[0:1], 0x10
	v_add_lshl_u32 v3, s15, v1, 1
	s_delay_alu instid0(VALU_DEP_1) | instskip(SKIP_1) | instid1(VALU_DEP_1)
	v_mad_u64_u32 v[0:1], null, v3, s5, v[2:3]
	v_sub_nc_u32_e32 v7, s4, v3
	v_cmp_lt_i32_e64 s0, 0, v7
	s_delay_alu instid0(VALU_DEP_3) | instskip(NEXT) | instid1(VALU_DEP_1)
	v_ashrrev_i32_e32 v1, 31, v0
	v_lshlrev_b64 v[9:10], 2, v[0:1]
	s_delay_alu instid0(VALU_DEP_1) | instskip(NEXT) | instid1(VALU_DEP_1)
	v_add_co_u32 v4, s1, s10, v9
	v_add_co_ci_u32_e64 v5, s1, s11, v10, s1
	s_waitcnt lgkmcnt(0)
	v_add_co_u32 v2, s1, s2, v9
	s_delay_alu instid0(VALU_DEP_1) | instskip(SKIP_2) | instid1(SALU_CYCLE_1)
	v_add_co_ci_u32_e64 v3, s1, s3, v10, s1
	v_mov_b32_e32 v10, 0
	s_and_b32 s2, vcc_lo, s0
	s_and_saveexec_b32 s1, s2
	s_cbranch_execz .LBB336_2
; %bb.1:
	global_load_b32 v8, v[4:5], off
	global_load_b32 v10, v[2:3], off
.LBB336_2:
	s_or_b32 exec_lo, exec_lo, s1
	v_cmp_lt_i32_e64 s1, 1, v7
	v_mov_b32_e32 v9, 0
	s_mov_b32 s7, 0
	s_delay_alu instid0(VALU_DEP_2) | instskip(NEXT) | instid1(SALU_CYCLE_1)
	s_and_b32 s1, vcc_lo, s1
	s_and_saveexec_b32 s2, s1
	s_cbranch_execz .LBB336_4
; %bb.3:
	s_lshl_b64 s[4:5], s[6:7], 2
	s_delay_alu instid0(SALU_CYCLE_1) | instskip(NEXT) | instid1(VALU_DEP_1)
	v_add_co_u32 v4, s1, v4, s4
	v_add_co_ci_u32_e64 v5, s1, s5, v5, s1
	v_add_co_u32 v2, s1, v2, s4
	s_delay_alu instid0(VALU_DEP_1)
	v_add_co_ci_u32_e64 v3, s1, s5, v3, s1
	global_load_b32 v6, v[4:5], off
	global_load_b32 v9, v[2:3], off
.LBB336_4:
	s_or_b32 exec_lo, exec_lo, s2
	v_mbcnt_lo_u32_b32 v2, -1, 0
	s_delay_alu instid0(VALU_DEP_1) | instskip(SKIP_1) | instid1(VALU_DEP_2)
	v_or_b32_e32 v3, 32, v2
	v_xor_b32_e32 v12, 16, v2
	v_cmp_gt_i32_e64 s1, 64, v3
	s_delay_alu instid0(VALU_DEP_1) | instskip(NEXT) | instid1(VALU_DEP_3)
	v_cndmask_b32_e64 v3, v2, v3, s1
	v_cmp_gt_i32_e64 s1, 64, v12
	s_waitcnt vmcnt(1)
	s_delay_alu instid0(VALU_DEP_2) | instskip(NEXT) | instid1(VALU_DEP_2)
	v_dual_add_f32 v4, 0, v8 :: v_dual_lshlrev_b32 v3, 2, v3
	v_cndmask_b32_e64 v12, v2, v12, s1
	v_add_f32_e32 v5, 0, v6
	ds_bpermute_b32 v11, v3, v4
	v_lshlrev_b32_e32 v12, 2, v12
	ds_bpermute_b32 v3, v3, v5
	s_waitcnt lgkmcnt(1)
	v_add_f32_e32 v4, v4, v11
	s_waitcnt lgkmcnt(0)
	v_add_f32_e32 v3, v5, v3
	ds_bpermute_b32 v5, v12, v4
	ds_bpermute_b32 v11, v12, v3
	v_xor_b32_e32 v12, 8, v2
	s_delay_alu instid0(VALU_DEP_1) | instskip(NEXT) | instid1(VALU_DEP_1)
	v_cmp_gt_i32_e64 s1, 64, v12
	v_cndmask_b32_e64 v12, v2, v12, s1
	s_delay_alu instid0(VALU_DEP_1)
	v_lshlrev_b32_e32 v12, 2, v12
	s_waitcnt lgkmcnt(0)
	v_dual_add_f32 v4, v4, v5 :: v_dual_add_f32 v3, v3, v11
	ds_bpermute_b32 v5, v12, v4
	ds_bpermute_b32 v11, v12, v3
	v_xor_b32_e32 v12, 4, v2
	s_delay_alu instid0(VALU_DEP_1) | instskip(NEXT) | instid1(VALU_DEP_1)
	v_cmp_gt_i32_e64 s1, 64, v12
	v_cndmask_b32_e64 v12, v2, v12, s1
	s_waitcnt lgkmcnt(0)
	s_delay_alu instid0(VALU_DEP_1)
	v_dual_add_f32 v3, v3, v11 :: v_dual_lshlrev_b32 v12, 2, v12
	ds_bpermute_b32 v11, v12, v3
	s_waitcnt lgkmcnt(0)
	v_dual_add_f32 v4, v4, v5 :: v_dual_add_f32 v3, v3, v11
	ds_bpermute_b32 v5, v12, v4
	v_xor_b32_e32 v12, 2, v2
	s_delay_alu instid0(VALU_DEP_1) | instskip(NEXT) | instid1(VALU_DEP_1)
	v_cmp_gt_i32_e64 s1, 64, v12
	v_cndmask_b32_e64 v12, v2, v12, s1
	s_delay_alu instid0(VALU_DEP_1)
	v_lshlrev_b32_e32 v12, 2, v12
	s_waitcnt lgkmcnt(0)
	v_add_f32_e32 v4, v4, v5
	ds_bpermute_b32 v11, v12, v3
	ds_bpermute_b32 v5, v12, v4
	v_xor_b32_e32 v12, 1, v2
	s_delay_alu instid0(VALU_DEP_1) | instskip(NEXT) | instid1(VALU_DEP_1)
	v_cmp_gt_i32_e64 s1, 64, v12
	v_cndmask_b32_e64 v2, v2, v12, s1
	s_delay_alu instid0(VALU_DEP_1)
	v_lshlrev_b32_e32 v12, 2, v2
	s_waitcnt lgkmcnt(1)
	v_add_f32_e32 v2, v3, v11
	s_waitcnt lgkmcnt(0)
	v_add_f32_e32 v4, v4, v5
	ds_bpermute_b32 v3, v12, v2
	ds_bpermute_b32 v5, v12, v4
	s_and_saveexec_b32 s1, s0
	s_cbranch_execz .LBB336_10
; %bb.5:
	v_lshlrev_b64 v[0:1], 1, v[0:1]
	s_delay_alu instid0(VALU_DEP_1) | instskip(NEXT) | instid1(VALU_DEP_1)
	v_add_co_u32 v0, s0, s8, v0
	v_add_co_ci_u32_e64 v1, s0, s9, v1, s0
	s_and_saveexec_b32 s1, vcc_lo
	s_cbranch_execz .LBB336_7
; %bb.6:
	s_waitcnt vmcnt(0) lgkmcnt(0)
	v_dual_mul_f32 v11, 0x3fb8aa3b, v10 :: v_dual_add_f32 v4, v4, v5
	v_cmp_ngt_f32_e64 s0, 0xc2ce8ed0, v10
	s_delay_alu instid0(VALU_DEP_2) | instskip(SKIP_1) | instid1(VALU_DEP_2)
	v_rndne_f32_e32 v12, v11
	v_fma_f32 v13, 0x3fb8aa3b, v10, -v11
	v_sub_f32_e32 v11, v11, v12
	s_delay_alu instid0(VALU_DEP_2) | instskip(SKIP_1) | instid1(VALU_DEP_2)
	v_fmamk_f32 v13, v10, 0x32a5705f, v13
	v_cvt_i32_f32_e32 v12, v12
	v_add_f32_e32 v11, v11, v13
	s_delay_alu instid0(VALU_DEP_1) | instskip(SKIP_2) | instid1(VALU_DEP_1)
	v_exp_f32_e32 v11, v11
	s_waitcnt_depctr 0xfff
	v_ldexp_f32 v11, v11, v12
	v_cndmask_b32_e64 v11, 0, v11, s0
	v_cmp_nlt_f32_e64 s0, 0x42b17218, v10
	s_delay_alu instid0(VALU_DEP_1) | instskip(NEXT) | instid1(VALU_DEP_1)
	v_cndmask_b32_e64 v5, 0x7f800000, v11, s0
	v_fma_f32 v4, -v4, v5, v8
	s_delay_alu instid0(VALU_DEP_1) | instskip(SKIP_1) | instid1(VALU_DEP_2)
	v_bfe_u32 v5, v4, 16, 1
	v_cmp_o_f32_e64 s0, v4, v4
	v_add3_u32 v5, v4, v5, 0x7fff
	s_delay_alu instid0(VALU_DEP_1) | instskip(NEXT) | instid1(VALU_DEP_1)
	v_lshrrev_b32_e32 v5, 16, v5
	v_cndmask_b32_e64 v4, 0x7fc0, v5, s0
	global_store_b16 v[0:1], v4, off
.LBB336_7:
	s_or_b32 exec_lo, exec_lo, s1
	v_cmp_ne_u32_e64 s0, 1, v7
	s_delay_alu instid0(VALU_DEP_1)
	s_and_b32 exec_lo, exec_lo, s0
	s_cbranch_execz .LBB336_10
; %bb.8:
	s_and_b32 exec_lo, exec_lo, vcc_lo
	s_cbranch_execz .LBB336_10
; %bb.9:
	s_waitcnt vmcnt(0)
	v_mul_f32_e32 v4, 0x3fb8aa3b, v9
	v_cmp_ngt_f32_e32 vcc_lo, 0xc2ce8ed0, v9
	s_lshl_b64 s[0:1], s[6:7], 1
	s_waitcnt lgkmcnt(0)
	s_delay_alu instid0(VALU_DEP_2) | instskip(SKIP_1) | instid1(VALU_DEP_1)
	v_rndne_f32_e32 v5, v4
	v_fma_f32 v7, 0x3fb8aa3b, v9, -v4
	v_dual_sub_f32 v4, v4, v5 :: v_dual_fmamk_f32 v7, v9, 0x32a5705f, v7
	v_cvt_i32_f32_e32 v5, v5
	s_delay_alu instid0(VALU_DEP_2) | instskip(NEXT) | instid1(VALU_DEP_1)
	v_add_f32_e32 v4, v4, v7
	v_exp_f32_e32 v4, v4
	s_waitcnt_depctr 0xfff
	v_ldexp_f32 v4, v4, v5
	s_delay_alu instid0(VALU_DEP_1) | instskip(SKIP_1) | instid1(VALU_DEP_2)
	v_cndmask_b32_e32 v4, 0, v4, vcc_lo
	v_cmp_nlt_f32_e32 vcc_lo, 0x42b17218, v9
	v_dual_add_f32 v2, v2, v3 :: v_dual_cndmask_b32 v3, 0x7f800000, v4
	s_delay_alu instid0(VALU_DEP_1) | instskip(NEXT) | instid1(VALU_DEP_1)
	v_fma_f32 v2, -v2, v3, v6
	v_bfe_u32 v3, v2, 16, 1
	v_cmp_o_f32_e32 vcc_lo, v2, v2
	s_delay_alu instid0(VALU_DEP_2) | instskip(NEXT) | instid1(VALU_DEP_1)
	v_add3_u32 v3, v2, v3, 0x7fff
	v_lshrrev_b32_e32 v3, 16, v3
	s_delay_alu instid0(VALU_DEP_1)
	v_cndmask_b32_e32 v2, 0x7fc0, v3, vcc_lo
	v_add_co_u32 v0, vcc_lo, v0, s0
	v_add_co_ci_u32_e32 v1, vcc_lo, s1, v1, vcc_lo
	global_store_b16 v[0:1], v2, off
.LBB336_10:
	s_nop 0
	s_sendmsg sendmsg(MSG_DEALLOC_VGPRS)
	s_endpgm
	.section	.rodata,"a",@progbits
	.p2align	6, 0x0
	.amdhsa_kernel _ZN12_GLOBAL__N_121softmax_warp_backwardIfN3c108BFloat16EfLi6ELb1ELb0ELi64EEEvPT0_PKT_S7_iiiPKb
		.amdhsa_group_segment_fixed_size 0
		.amdhsa_private_segment_fixed_size 0
		.amdhsa_kernarg_size 304
		.amdhsa_user_sgpr_count 15
		.amdhsa_user_sgpr_dispatch_ptr 0
		.amdhsa_user_sgpr_queue_ptr 0
		.amdhsa_user_sgpr_kernarg_segment_ptr 1
		.amdhsa_user_sgpr_dispatch_id 0
		.amdhsa_user_sgpr_private_segment_size 0
		.amdhsa_wavefront_size32 1
		.amdhsa_uses_dynamic_stack 0
		.amdhsa_enable_private_segment 0
		.amdhsa_system_sgpr_workgroup_id_x 1
		.amdhsa_system_sgpr_workgroup_id_y 0
		.amdhsa_system_sgpr_workgroup_id_z 0
		.amdhsa_system_sgpr_workgroup_info 0
		.amdhsa_system_vgpr_workitem_id 1
		.amdhsa_next_free_vgpr 14
		.amdhsa_next_free_sgpr 16
		.amdhsa_reserve_vcc 1
		.amdhsa_float_round_mode_32 0
		.amdhsa_float_round_mode_16_64 0
		.amdhsa_float_denorm_mode_32 3
		.amdhsa_float_denorm_mode_16_64 3
		.amdhsa_dx10_clamp 1
		.amdhsa_ieee_mode 1
		.amdhsa_fp16_overflow 0
		.amdhsa_workgroup_processor_mode 1
		.amdhsa_memory_ordered 1
		.amdhsa_forward_progress 0
		.amdhsa_shared_vgpr_count 0
		.amdhsa_exception_fp_ieee_invalid_op 0
		.amdhsa_exception_fp_denorm_src 0
		.amdhsa_exception_fp_ieee_div_zero 0
		.amdhsa_exception_fp_ieee_overflow 0
		.amdhsa_exception_fp_ieee_underflow 0
		.amdhsa_exception_fp_ieee_inexact 0
		.amdhsa_exception_int_div_zero 0
	.end_amdhsa_kernel
	.section	.text._ZN12_GLOBAL__N_121softmax_warp_backwardIfN3c108BFloat16EfLi6ELb1ELb0ELi64EEEvPT0_PKT_S7_iiiPKb,"axG",@progbits,_ZN12_GLOBAL__N_121softmax_warp_backwardIfN3c108BFloat16EfLi6ELb1ELb0ELi64EEEvPT0_PKT_S7_iiiPKb,comdat
.Lfunc_end336:
	.size	_ZN12_GLOBAL__N_121softmax_warp_backwardIfN3c108BFloat16EfLi6ELb1ELb0ELi64EEEvPT0_PKT_S7_iiiPKb, .Lfunc_end336-_ZN12_GLOBAL__N_121softmax_warp_backwardIfN3c108BFloat16EfLi6ELb1ELb0ELi64EEEvPT0_PKT_S7_iiiPKb
                                        ; -- End function
	.section	.AMDGPU.csdata,"",@progbits
; Kernel info:
; codeLenInByte = 1148
; NumSgprs: 18
; NumVgprs: 14
; ScratchSize: 0
; MemoryBound: 0
; FloatMode: 240
; IeeeMode: 1
; LDSByteSize: 0 bytes/workgroup (compile time only)
; SGPRBlocks: 2
; VGPRBlocks: 1
; NumSGPRsForWavesPerEU: 18
; NumVGPRsForWavesPerEU: 14
; Occupancy: 16
; WaveLimiterHint : 0
; COMPUTE_PGM_RSRC2:SCRATCH_EN: 0
; COMPUTE_PGM_RSRC2:USER_SGPR: 15
; COMPUTE_PGM_RSRC2:TRAP_HANDLER: 0
; COMPUTE_PGM_RSRC2:TGID_X_EN: 1
; COMPUTE_PGM_RSRC2:TGID_Y_EN: 0
; COMPUTE_PGM_RSRC2:TGID_Z_EN: 0
; COMPUTE_PGM_RSRC2:TIDIG_COMP_CNT: 1
	.section	.text._ZN12_GLOBAL__N_121softmax_warp_backwardIfN3c108BFloat16EfLi6ELb1ELb0ELi32EEEvPT0_PKT_S7_iiiPKb,"axG",@progbits,_ZN12_GLOBAL__N_121softmax_warp_backwardIfN3c108BFloat16EfLi6ELb1ELb0ELi32EEEvPT0_PKT_S7_iiiPKb,comdat
	.globl	_ZN12_GLOBAL__N_121softmax_warp_backwardIfN3c108BFloat16EfLi6ELb1ELb0ELi32EEEvPT0_PKT_S7_iiiPKb ; -- Begin function _ZN12_GLOBAL__N_121softmax_warp_backwardIfN3c108BFloat16EfLi6ELb1ELb0ELi32EEEvPT0_PKT_S7_iiiPKb
	.p2align	8
	.type	_ZN12_GLOBAL__N_121softmax_warp_backwardIfN3c108BFloat16EfLi6ELb1ELb0ELi32EEEvPT0_PKT_S7_iiiPKb,@function
_ZN12_GLOBAL__N_121softmax_warp_backwardIfN3c108BFloat16EfLi6ELb1ELb0ELi32EEEvPT0_PKT_S7_iiiPKb: ; @_ZN12_GLOBAL__N_121softmax_warp_backwardIfN3c108BFloat16EfLi6ELb1ELb0ELi32EEEvPT0_PKT_S7_iiiPKb
; %bb.0:
	s_clause 0x1
	s_load_b32 s2, s[0:1], 0x3c
	s_load_b128 s[4:7], s[0:1], 0x18
	v_bfe_u32 v1, v0, 10, 10
	v_and_b32_e32 v6, 31, v0
	s_load_b128 s[8:11], s[0:1], 0x0
	v_mov_b32_e32 v8, 0
	v_mov_b32_e32 v12, 0
	;; [unrolled: 1-line block ×3, first 2 shown]
	s_waitcnt lgkmcnt(0)
	s_lshr_b32 s2, s2, 16
	s_delay_alu instid0(SALU_CYCLE_1) | instskip(SKIP_3) | instid1(VALU_DEP_2)
	s_mul_i32 s15, s15, s2
	s_load_b64 s[2:3], s[0:1], 0x10
	v_add_lshl_u32 v2, s15, v1, 1
	v_cmp_gt_i32_e64 s0, s6, v6
	v_mad_u64_u32 v[0:1], null, v2, s5, v[6:7]
	v_sub_nc_u32_e32 v7, s4, v2
	s_delay_alu instid0(VALU_DEP_1) | instskip(NEXT) | instid1(VALU_DEP_3)
	v_cmp_lt_i32_e64 s1, 0, v7
	v_ashrrev_i32_e32 v1, 31, v0
	s_delay_alu instid0(VALU_DEP_1) | instskip(NEXT) | instid1(VALU_DEP_1)
	v_lshlrev_b64 v[2:3], 2, v[0:1]
	v_add_co_u32 v4, vcc_lo, s10, v2
	s_delay_alu instid0(VALU_DEP_2) | instskip(SKIP_4) | instid1(SALU_CYCLE_1)
	v_add_co_ci_u32_e32 v5, vcc_lo, s11, v3, vcc_lo
	s_waitcnt lgkmcnt(0)
	v_add_co_u32 v2, vcc_lo, s2, v2
	v_add_co_ci_u32_e32 v3, vcc_lo, s3, v3, vcc_lo
	s_and_b32 s3, s1, s0
	s_and_saveexec_b32 s2, s3
	s_cbranch_execz .LBB337_2
; %bb.1:
	global_load_b32 v12, v[4:5], off
	global_load_b32 v14, v[2:3], off
.LBB337_2:
	s_or_b32 exec_lo, exec_lo, s2
	v_or_b32_e32 v6, 32, v6
	v_mov_b32_e32 v13, 0
	s_delay_alu instid0(VALU_DEP_2) | instskip(SKIP_1) | instid1(SALU_CYCLE_1)
	v_cmp_gt_i32_e32 vcc_lo, s6, v6
	s_and_b32 s3, s1, vcc_lo
	s_and_saveexec_b32 s2, s3
	s_cbranch_execz .LBB337_4
; %bb.3:
	global_load_b32 v8, v[4:5], off offset:128
	global_load_b32 v13, v[2:3], off offset:128
.LBB337_4:
	s_or_b32 exec_lo, exec_lo, s2
	v_cmp_lt_i32_e64 s2, 1, v7
	v_dual_mov_b32 v6, 0 :: v_dual_mov_b32 v11, 0
	v_mov_b32_e32 v10, 0
	s_mov_b32 s7, 0
	s_delay_alu instid0(VALU_DEP_3) | instskip(NEXT) | instid1(SALU_CYCLE_1)
	s_and_b32 s3, s2, s0
	s_and_saveexec_b32 s4, s3
	s_cbranch_execz .LBB337_6
; %bb.5:
	s_lshl_b64 s[10:11], s[6:7], 2
	s_delay_alu instid0(SALU_CYCLE_1) | instskip(NEXT) | instid1(VALU_DEP_1)
	v_add_co_u32 v9, s3, v4, s10
	v_add_co_ci_u32_e64 v10, s3, s11, v5, s3
	v_add_co_u32 v15, s3, v2, s10
	s_delay_alu instid0(VALU_DEP_1)
	v_add_co_ci_u32_e64 v16, s3, s11, v3, s3
	global_load_b32 v10, v[9:10], off
	global_load_b32 v11, v[15:16], off
.LBB337_6:
	s_or_b32 exec_lo, exec_lo, s4
	v_mov_b32_e32 v9, 0
	s_and_b32 s2, s2, vcc_lo
	s_delay_alu instid0(SALU_CYCLE_1)
	s_and_saveexec_b32 s3, s2
	s_cbranch_execz .LBB337_8
; %bb.7:
	s_lshl_b64 s[4:5], s[6:7], 2
	s_delay_alu instid0(SALU_CYCLE_1) | instskip(NEXT) | instid1(VALU_DEP_1)
	v_add_co_u32 v4, s2, v4, s4
	v_add_co_ci_u32_e64 v5, s2, s5, v5, s2
	v_add_co_u32 v2, s2, v2, s4
	s_delay_alu instid0(VALU_DEP_1)
	v_add_co_ci_u32_e64 v3, s2, s5, v3, s2
	global_load_b32 v6, v[4:5], off offset:128
	global_load_b32 v9, v[2:3], off offset:128
.LBB337_8:
	s_or_b32 exec_lo, exec_lo, s3
	v_mbcnt_lo_u32_b32 v2, -1, 0
	s_waitcnt vmcnt(1)
	v_dual_add_f32 v4, 0, v12 :: v_dual_add_f32 v5, 0, v10
	s_delay_alu instid0(VALU_DEP_2) | instskip(SKIP_1) | instid1(VALU_DEP_2)
	v_xor_b32_e32 v3, 16, v2
	v_xor_b32_e32 v16, 8, v2
	v_cmp_gt_i32_e64 s2, 32, v3
	s_delay_alu instid0(VALU_DEP_1) | instskip(NEXT) | instid1(VALU_DEP_3)
	v_cndmask_b32_e64 v3, v2, v3, s2
	v_cmp_gt_i32_e64 s2, 32, v16
	s_delay_alu instid0(VALU_DEP_2) | instskip(NEXT) | instid1(VALU_DEP_2)
	v_dual_add_f32 v4, v4, v8 :: v_dual_lshlrev_b32 v3, 2, v3
	v_cndmask_b32_e64 v16, v2, v16, s2
	v_add_f32_e32 v5, v5, v6
	ds_bpermute_b32 v15, v3, v4
	v_lshlrev_b32_e32 v16, 2, v16
	ds_bpermute_b32 v3, v3, v5
	s_waitcnt lgkmcnt(1)
	v_add_f32_e32 v4, v4, v15
	s_waitcnt lgkmcnt(0)
	v_add_f32_e32 v3, v5, v3
	ds_bpermute_b32 v5, v16, v4
	ds_bpermute_b32 v15, v16, v3
	v_xor_b32_e32 v16, 4, v2
	s_delay_alu instid0(VALU_DEP_1) | instskip(NEXT) | instid1(VALU_DEP_1)
	v_cmp_gt_i32_e64 s2, 32, v16
	v_cndmask_b32_e64 v16, v2, v16, s2
	s_delay_alu instid0(VALU_DEP_1)
	v_lshlrev_b32_e32 v16, 2, v16
	s_waitcnt lgkmcnt(0)
	v_dual_add_f32 v4, v4, v5 :: v_dual_add_f32 v3, v3, v15
	ds_bpermute_b32 v5, v16, v4
	ds_bpermute_b32 v15, v16, v3
	v_xor_b32_e32 v16, 2, v2
	s_delay_alu instid0(VALU_DEP_1) | instskip(NEXT) | instid1(VALU_DEP_1)
	v_cmp_gt_i32_e64 s2, 32, v16
	v_cndmask_b32_e64 v16, v2, v16, s2
	s_delay_alu instid0(VALU_DEP_1)
	v_lshlrev_b32_e32 v16, 2, v16
	s_waitcnt lgkmcnt(0)
	v_dual_add_f32 v4, v4, v5 :: v_dual_add_f32 v3, v3, v15
	ds_bpermute_b32 v5, v16, v4
	ds_bpermute_b32 v15, v16, v3
	v_xor_b32_e32 v16, 1, v2
	s_delay_alu instid0(VALU_DEP_1) | instskip(NEXT) | instid1(VALU_DEP_1)
	v_cmp_gt_i32_e64 s2, 32, v16
	v_cndmask_b32_e64 v2, v2, v16, s2
	s_delay_alu instid0(VALU_DEP_1)
	v_lshlrev_b32_e32 v16, 2, v2
	s_waitcnt lgkmcnt(1)
	v_add_f32_e32 v4, v4, v5
	s_waitcnt lgkmcnt(0)
	v_add_f32_e32 v2, v3, v15
	ds_bpermute_b32 v5, v16, v4
	ds_bpermute_b32 v3, v16, v2
	s_and_saveexec_b32 s2, s1
	s_cbranch_execz .LBB337_12
; %bb.9:
	v_lshlrev_b64 v[0:1], 1, v[0:1]
	s_waitcnt lgkmcnt(1)
	v_add_f32_e32 v4, v4, v5
	s_delay_alu instid0(VALU_DEP_2) | instskip(NEXT) | instid1(VALU_DEP_1)
	v_add_co_u32 v0, s1, s8, v0
	v_add_co_ci_u32_e64 v1, s1, s9, v1, s1
	s_and_saveexec_b32 s2, s0
	s_cbranch_execnz .LBB337_13
; %bb.10:
	s_or_b32 exec_lo, exec_lo, s2
	s_and_saveexec_b32 s2, vcc_lo
	s_cbranch_execnz .LBB337_14
.LBB337_11:
	s_or_b32 exec_lo, exec_lo, s2
	v_cmp_ne_u32_e64 s1, 1, v7
	s_delay_alu instid0(VALU_DEP_1)
	s_and_b32 exec_lo, exec_lo, s1
	s_cbranch_execnz .LBB337_15
.LBB337_12:
	s_nop 0
	s_sendmsg sendmsg(MSG_DEALLOC_VGPRS)
	s_endpgm
.LBB337_13:
	s_waitcnt vmcnt(0)
	v_mul_f32_e32 v5, 0x3fb8aa3b, v14
	v_cmp_ngt_f32_e64 s1, 0xc2ce8ed0, v14
	s_delay_alu instid0(VALU_DEP_2) | instskip(SKIP_1) | instid1(VALU_DEP_1)
	v_rndne_f32_e32 v15, v5
	v_fma_f32 v16, 0x3fb8aa3b, v14, -v5
	v_dual_sub_f32 v5, v5, v15 :: v_dual_fmamk_f32 v16, v14, 0x32a5705f, v16
	v_cvt_i32_f32_e32 v15, v15
	s_delay_alu instid0(VALU_DEP_2) | instskip(NEXT) | instid1(VALU_DEP_1)
	v_add_f32_e32 v5, v5, v16
	v_exp_f32_e32 v5, v5
	s_waitcnt_depctr 0xfff
	v_ldexp_f32 v5, v5, v15
	s_delay_alu instid0(VALU_DEP_1) | instskip(SKIP_1) | instid1(VALU_DEP_1)
	v_cndmask_b32_e64 v5, 0, v5, s1
	v_cmp_nlt_f32_e64 s1, 0x42b17218, v14
	v_cndmask_b32_e64 v5, 0x7f800000, v5, s1
	s_delay_alu instid0(VALU_DEP_1) | instskip(NEXT) | instid1(VALU_DEP_1)
	v_fma_f32 v5, -v4, v5, v12
	v_bfe_u32 v12, v5, 16, 1
	v_cmp_o_f32_e64 s1, v5, v5
	s_delay_alu instid0(VALU_DEP_2) | instskip(NEXT) | instid1(VALU_DEP_1)
	v_add3_u32 v12, v5, v12, 0x7fff
	v_lshrrev_b32_e32 v12, 16, v12
	s_delay_alu instid0(VALU_DEP_1)
	v_cndmask_b32_e64 v5, 0x7fc0, v12, s1
	global_store_b16 v[0:1], v5, off
	s_or_b32 exec_lo, exec_lo, s2
	s_and_saveexec_b32 s2, vcc_lo
	s_cbranch_execz .LBB337_11
.LBB337_14:
	s_waitcnt vmcnt(0)
	v_mul_f32_e32 v5, 0x3fb8aa3b, v13
	v_cmp_ngt_f32_e64 s1, 0xc2ce8ed0, v13
	s_delay_alu instid0(VALU_DEP_2) | instskip(SKIP_1) | instid1(VALU_DEP_2)
	v_rndne_f32_e32 v12, v5
	v_fma_f32 v14, 0x3fb8aa3b, v13, -v5
	v_sub_f32_e32 v5, v5, v12
	s_delay_alu instid0(VALU_DEP_2) | instskip(SKIP_1) | instid1(VALU_DEP_2)
	v_fmamk_f32 v14, v13, 0x32a5705f, v14
	v_cvt_i32_f32_e32 v12, v12
	v_add_f32_e32 v5, v5, v14
	s_delay_alu instid0(VALU_DEP_1) | instskip(SKIP_2) | instid1(VALU_DEP_1)
	v_exp_f32_e32 v5, v5
	s_waitcnt_depctr 0xfff
	v_ldexp_f32 v5, v5, v12
	v_cndmask_b32_e64 v5, 0, v5, s1
	v_cmp_nlt_f32_e64 s1, 0x42b17218, v13
	s_delay_alu instid0(VALU_DEP_1) | instskip(NEXT) | instid1(VALU_DEP_1)
	v_cndmask_b32_e64 v5, 0x7f800000, v5, s1
	v_fma_f32 v4, -v4, v5, v8
	s_delay_alu instid0(VALU_DEP_1) | instskip(SKIP_1) | instid1(VALU_DEP_2)
	v_bfe_u32 v5, v4, 16, 1
	v_cmp_o_f32_e64 s1, v4, v4
	v_add3_u32 v5, v4, v5, 0x7fff
	s_delay_alu instid0(VALU_DEP_1) | instskip(NEXT) | instid1(VALU_DEP_1)
	v_lshrrev_b32_e32 v5, 16, v5
	v_cndmask_b32_e64 v4, 0x7fc0, v5, s1
	global_store_b16 v[0:1], v4, off offset:64
	s_or_b32 exec_lo, exec_lo, s2
	v_cmp_ne_u32_e64 s1, 1, v7
	s_delay_alu instid0(VALU_DEP_1)
	s_and_b32 exec_lo, exec_lo, s1
	s_cbranch_execz .LBB337_12
.LBB337_15:
	s_waitcnt lgkmcnt(0)
	v_add_f32_e32 v2, v2, v3
	s_and_saveexec_b32 s1, s0
	s_cbranch_execz .LBB337_17
; %bb.16:
	s_waitcnt vmcnt(0)
	v_mul_f32_e32 v3, 0x3fb8aa3b, v11
	v_cmp_ngt_f32_e64 s0, 0xc2ce8ed0, v11
	s_lshl_b64 s[2:3], s[6:7], 1
	s_delay_alu instid0(VALU_DEP_2) | instskip(SKIP_1) | instid1(VALU_DEP_2)
	v_rndne_f32_e32 v4, v3
	v_fma_f32 v5, 0x3fb8aa3b, v11, -v3
	v_sub_f32_e32 v3, v3, v4
	s_delay_alu instid0(VALU_DEP_2) | instskip(SKIP_1) | instid1(VALU_DEP_2)
	v_fmamk_f32 v5, v11, 0x32a5705f, v5
	v_cvt_i32_f32_e32 v4, v4
	v_add_f32_e32 v3, v3, v5
	s_delay_alu instid0(VALU_DEP_1) | instskip(SKIP_2) | instid1(VALU_DEP_1)
	v_exp_f32_e32 v3, v3
	s_waitcnt_depctr 0xfff
	v_ldexp_f32 v3, v3, v4
	v_cndmask_b32_e64 v3, 0, v3, s0
	v_cmp_nlt_f32_e64 s0, 0x42b17218, v11
	s_delay_alu instid0(VALU_DEP_1) | instskip(NEXT) | instid1(VALU_DEP_1)
	v_cndmask_b32_e64 v3, 0x7f800000, v3, s0
	v_fma_f32 v3, -v2, v3, v10
	s_delay_alu instid0(VALU_DEP_1) | instskip(SKIP_1) | instid1(VALU_DEP_2)
	v_bfe_u32 v4, v3, 16, 1
	v_cmp_o_f32_e64 s0, v3, v3
	v_add3_u32 v4, v3, v4, 0x7fff
	s_delay_alu instid0(VALU_DEP_1) | instskip(NEXT) | instid1(VALU_DEP_1)
	v_lshrrev_b32_e32 v4, 16, v4
	v_cndmask_b32_e64 v5, 0x7fc0, v4, s0
	v_add_co_u32 v3, s0, v0, s2
	s_delay_alu instid0(VALU_DEP_1)
	v_add_co_ci_u32_e64 v4, s0, s3, v1, s0
	global_store_b16 v[3:4], v5, off
.LBB337_17:
	s_or_b32 exec_lo, exec_lo, s1
	s_delay_alu instid0(SALU_CYCLE_1)
	s_and_b32 exec_lo, exec_lo, vcc_lo
	s_cbranch_execz .LBB337_12
; %bb.18:
	s_waitcnt vmcnt(0)
	v_mul_f32_e32 v3, 0x3fb8aa3b, v9
	v_cmp_ngt_f32_e32 vcc_lo, 0xc2ce8ed0, v9
	s_ashr_i32 s7, s6, 31
	s_delay_alu instid0(SALU_CYCLE_1) | instskip(NEXT) | instid1(VALU_DEP_2)
	s_lshl_b64 s[0:1], s[6:7], 1
	v_rndne_f32_e32 v4, v3
	v_fma_f32 v5, 0x3fb8aa3b, v9, -v3
	s_delay_alu instid0(VALU_DEP_2) | instskip(NEXT) | instid1(VALU_DEP_2)
	v_sub_f32_e32 v3, v3, v4
	v_fmamk_f32 v5, v9, 0x32a5705f, v5
	v_cvt_i32_f32_e32 v4, v4
	s_delay_alu instid0(VALU_DEP_2) | instskip(NEXT) | instid1(VALU_DEP_1)
	v_add_f32_e32 v3, v3, v5
	v_exp_f32_e32 v3, v3
	s_waitcnt_depctr 0xfff
	v_ldexp_f32 v3, v3, v4
	s_delay_alu instid0(VALU_DEP_1) | instskip(SKIP_1) | instid1(VALU_DEP_2)
	v_cndmask_b32_e32 v3, 0, v3, vcc_lo
	v_cmp_nlt_f32_e32 vcc_lo, 0x42b17218, v9
	v_cndmask_b32_e32 v3, 0x7f800000, v3, vcc_lo
	s_delay_alu instid0(VALU_DEP_1) | instskip(NEXT) | instid1(VALU_DEP_1)
	v_fma_f32 v2, -v2, v3, v6
	v_bfe_u32 v3, v2, 16, 1
	v_cmp_o_f32_e32 vcc_lo, v2, v2
	s_delay_alu instid0(VALU_DEP_2) | instskip(NEXT) | instid1(VALU_DEP_1)
	v_add3_u32 v3, v2, v3, 0x7fff
	v_lshrrev_b32_e32 v3, 16, v3
	s_delay_alu instid0(VALU_DEP_1)
	v_cndmask_b32_e32 v2, 0x7fc0, v3, vcc_lo
	v_add_co_u32 v0, vcc_lo, v0, s0
	v_add_co_ci_u32_e32 v1, vcc_lo, s1, v1, vcc_lo
	global_store_b16 v[0:1], v2, off offset:64
	s_nop 0
	s_sendmsg sendmsg(MSG_DEALLOC_VGPRS)
	s_endpgm
	.section	.rodata,"a",@progbits
	.p2align	6, 0x0
	.amdhsa_kernel _ZN12_GLOBAL__N_121softmax_warp_backwardIfN3c108BFloat16EfLi6ELb1ELb0ELi32EEEvPT0_PKT_S7_iiiPKb
		.amdhsa_group_segment_fixed_size 0
		.amdhsa_private_segment_fixed_size 0
		.amdhsa_kernarg_size 304
		.amdhsa_user_sgpr_count 15
		.amdhsa_user_sgpr_dispatch_ptr 0
		.amdhsa_user_sgpr_queue_ptr 0
		.amdhsa_user_sgpr_kernarg_segment_ptr 1
		.amdhsa_user_sgpr_dispatch_id 0
		.amdhsa_user_sgpr_private_segment_size 0
		.amdhsa_wavefront_size32 1
		.amdhsa_uses_dynamic_stack 0
		.amdhsa_enable_private_segment 0
		.amdhsa_system_sgpr_workgroup_id_x 1
		.amdhsa_system_sgpr_workgroup_id_y 0
		.amdhsa_system_sgpr_workgroup_id_z 0
		.amdhsa_system_sgpr_workgroup_info 0
		.amdhsa_system_vgpr_workitem_id 1
		.amdhsa_next_free_vgpr 17
		.amdhsa_next_free_sgpr 16
		.amdhsa_reserve_vcc 1
		.amdhsa_float_round_mode_32 0
		.amdhsa_float_round_mode_16_64 0
		.amdhsa_float_denorm_mode_32 3
		.amdhsa_float_denorm_mode_16_64 3
		.amdhsa_dx10_clamp 1
		.amdhsa_ieee_mode 1
		.amdhsa_fp16_overflow 0
		.amdhsa_workgroup_processor_mode 1
		.amdhsa_memory_ordered 1
		.amdhsa_forward_progress 0
		.amdhsa_shared_vgpr_count 0
		.amdhsa_exception_fp_ieee_invalid_op 0
		.amdhsa_exception_fp_denorm_src 0
		.amdhsa_exception_fp_ieee_div_zero 0
		.amdhsa_exception_fp_ieee_overflow 0
		.amdhsa_exception_fp_ieee_underflow 0
		.amdhsa_exception_fp_ieee_inexact 0
		.amdhsa_exception_int_div_zero 0
	.end_amdhsa_kernel
	.section	.text._ZN12_GLOBAL__N_121softmax_warp_backwardIfN3c108BFloat16EfLi6ELb1ELb0ELi32EEEvPT0_PKT_S7_iiiPKb,"axG",@progbits,_ZN12_GLOBAL__N_121softmax_warp_backwardIfN3c108BFloat16EfLi6ELb1ELb0ELi32EEEvPT0_PKT_S7_iiiPKb,comdat
.Lfunc_end337:
	.size	_ZN12_GLOBAL__N_121softmax_warp_backwardIfN3c108BFloat16EfLi6ELb1ELb0ELi32EEEvPT0_PKT_S7_iiiPKb, .Lfunc_end337-_ZN12_GLOBAL__N_121softmax_warp_backwardIfN3c108BFloat16EfLi6ELb1ELb0ELi32EEEvPT0_PKT_S7_iiiPKb
                                        ; -- End function
	.section	.AMDGPU.csdata,"",@progbits
; Kernel info:
; codeLenInByte = 1724
; NumSgprs: 18
; NumVgprs: 17
; ScratchSize: 0
; MemoryBound: 0
; FloatMode: 240
; IeeeMode: 1
; LDSByteSize: 0 bytes/workgroup (compile time only)
; SGPRBlocks: 2
; VGPRBlocks: 2
; NumSGPRsForWavesPerEU: 18
; NumVGPRsForWavesPerEU: 17
; Occupancy: 16
; WaveLimiterHint : 0
; COMPUTE_PGM_RSRC2:SCRATCH_EN: 0
; COMPUTE_PGM_RSRC2:USER_SGPR: 15
; COMPUTE_PGM_RSRC2:TRAP_HANDLER: 0
; COMPUTE_PGM_RSRC2:TGID_X_EN: 1
; COMPUTE_PGM_RSRC2:TGID_Y_EN: 0
; COMPUTE_PGM_RSRC2:TGID_Z_EN: 0
; COMPUTE_PGM_RSRC2:TIDIG_COMP_CNT: 1
	.section	.text._ZN12_GLOBAL__N_121softmax_warp_backwardIfN3c108BFloat16EfLi7ELb1ELb0ELi64EEEvPT0_PKT_S7_iiiPKb,"axG",@progbits,_ZN12_GLOBAL__N_121softmax_warp_backwardIfN3c108BFloat16EfLi7ELb1ELb0ELi64EEEvPT0_PKT_S7_iiiPKb,comdat
	.globl	_ZN12_GLOBAL__N_121softmax_warp_backwardIfN3c108BFloat16EfLi7ELb1ELb0ELi64EEEvPT0_PKT_S7_iiiPKb ; -- Begin function _ZN12_GLOBAL__N_121softmax_warp_backwardIfN3c108BFloat16EfLi7ELb1ELb0ELi64EEEvPT0_PKT_S7_iiiPKb
	.p2align	8
	.type	_ZN12_GLOBAL__N_121softmax_warp_backwardIfN3c108BFloat16EfLi7ELb1ELb0ELi64EEEvPT0_PKT_S7_iiiPKb,@function
_ZN12_GLOBAL__N_121softmax_warp_backwardIfN3c108BFloat16EfLi7ELb1ELb0ELi64EEEvPT0_PKT_S7_iiiPKb: ; @_ZN12_GLOBAL__N_121softmax_warp_backwardIfN3c108BFloat16EfLi7ELb1ELb0ELi64EEEvPT0_PKT_S7_iiiPKb
; %bb.0:
	s_clause 0x1
	s_load_b32 s2, s[0:1], 0x3c
	s_load_b128 s[4:7], s[0:1], 0x18
	v_bfe_u32 v1, v0, 10, 10
	v_and_b32_e32 v6, 63, v0
	s_load_b128 s[8:11], s[0:1], 0x0
	v_mov_b32_e32 v8, 0
	v_mov_b32_e32 v12, 0
	v_mov_b32_e32 v14, 0
	s_waitcnt lgkmcnt(0)
	s_lshr_b32 s2, s2, 16
	s_delay_alu instid0(SALU_CYCLE_1) | instskip(SKIP_3) | instid1(VALU_DEP_2)
	s_mul_i32 s15, s15, s2
	s_load_b64 s[2:3], s[0:1], 0x10
	v_add_lshl_u32 v2, s15, v1, 1
	v_cmp_gt_i32_e64 s0, s6, v6
	v_mad_u64_u32 v[0:1], null, v2, s5, v[6:7]
	v_sub_nc_u32_e32 v7, s4, v2
	s_delay_alu instid0(VALU_DEP_1) | instskip(NEXT) | instid1(VALU_DEP_3)
	v_cmp_lt_i32_e64 s1, 0, v7
	v_ashrrev_i32_e32 v1, 31, v0
	s_delay_alu instid0(VALU_DEP_1) | instskip(NEXT) | instid1(VALU_DEP_1)
	v_lshlrev_b64 v[2:3], 2, v[0:1]
	v_add_co_u32 v4, vcc_lo, s10, v2
	s_delay_alu instid0(VALU_DEP_2) | instskip(SKIP_4) | instid1(SALU_CYCLE_1)
	v_add_co_ci_u32_e32 v5, vcc_lo, s11, v3, vcc_lo
	s_waitcnt lgkmcnt(0)
	v_add_co_u32 v2, vcc_lo, s2, v2
	v_add_co_ci_u32_e32 v3, vcc_lo, s3, v3, vcc_lo
	s_and_b32 s3, s1, s0
	s_and_saveexec_b32 s2, s3
	s_cbranch_execz .LBB338_2
; %bb.1:
	global_load_b32 v12, v[4:5], off
	global_load_b32 v14, v[2:3], off
.LBB338_2:
	s_or_b32 exec_lo, exec_lo, s2
	v_or_b32_e32 v6, 64, v6
	v_mov_b32_e32 v13, 0
	s_delay_alu instid0(VALU_DEP_2) | instskip(SKIP_1) | instid1(SALU_CYCLE_1)
	v_cmp_gt_i32_e32 vcc_lo, s6, v6
	s_and_b32 s3, s1, vcc_lo
	s_and_saveexec_b32 s2, s3
	s_cbranch_execz .LBB338_4
; %bb.3:
	global_load_b32 v8, v[4:5], off offset:256
	global_load_b32 v13, v[2:3], off offset:256
.LBB338_4:
	s_or_b32 exec_lo, exec_lo, s2
	v_cmp_lt_i32_e64 s2, 1, v7
	v_dual_mov_b32 v6, 0 :: v_dual_mov_b32 v11, 0
	v_mov_b32_e32 v10, 0
	s_mov_b32 s7, 0
	s_delay_alu instid0(VALU_DEP_3) | instskip(NEXT) | instid1(SALU_CYCLE_1)
	s_and_b32 s3, s2, s0
	s_and_saveexec_b32 s4, s3
	s_cbranch_execz .LBB338_6
; %bb.5:
	s_lshl_b64 s[10:11], s[6:7], 2
	s_delay_alu instid0(SALU_CYCLE_1) | instskip(NEXT) | instid1(VALU_DEP_1)
	v_add_co_u32 v9, s3, v4, s10
	v_add_co_ci_u32_e64 v10, s3, s11, v5, s3
	v_add_co_u32 v15, s3, v2, s10
	s_delay_alu instid0(VALU_DEP_1)
	v_add_co_ci_u32_e64 v16, s3, s11, v3, s3
	global_load_b32 v10, v[9:10], off
	global_load_b32 v11, v[15:16], off
.LBB338_6:
	s_or_b32 exec_lo, exec_lo, s4
	v_mov_b32_e32 v9, 0
	s_and_b32 s2, s2, vcc_lo
	s_delay_alu instid0(SALU_CYCLE_1)
	s_and_saveexec_b32 s3, s2
	s_cbranch_execz .LBB338_8
; %bb.7:
	s_lshl_b64 s[4:5], s[6:7], 2
	s_delay_alu instid0(SALU_CYCLE_1) | instskip(NEXT) | instid1(VALU_DEP_1)
	v_add_co_u32 v4, s2, v4, s4
	v_add_co_ci_u32_e64 v5, s2, s5, v5, s2
	v_add_co_u32 v2, s2, v2, s4
	s_delay_alu instid0(VALU_DEP_1)
	v_add_co_ci_u32_e64 v3, s2, s5, v3, s2
	global_load_b32 v6, v[4:5], off offset:256
	global_load_b32 v9, v[2:3], off offset:256
.LBB338_8:
	s_or_b32 exec_lo, exec_lo, s3
	v_mbcnt_lo_u32_b32 v2, -1, 0
	s_waitcnt vmcnt(1)
	v_dual_add_f32 v4, 0, v12 :: v_dual_add_f32 v5, 0, v10
	s_delay_alu instid0(VALU_DEP_2) | instskip(SKIP_1) | instid1(VALU_DEP_2)
	v_or_b32_e32 v3, 32, v2
	v_xor_b32_e32 v16, 16, v2
	v_cmp_gt_i32_e64 s2, 64, v3
	s_delay_alu instid0(VALU_DEP_1) | instskip(NEXT) | instid1(VALU_DEP_3)
	v_cndmask_b32_e64 v3, v2, v3, s2
	v_cmp_gt_i32_e64 s2, 64, v16
	s_delay_alu instid0(VALU_DEP_2) | instskip(NEXT) | instid1(VALU_DEP_2)
	v_dual_add_f32 v4, v4, v8 :: v_dual_lshlrev_b32 v3, 2, v3
	v_cndmask_b32_e64 v16, v2, v16, s2
	v_add_f32_e32 v5, v5, v6
	ds_bpermute_b32 v15, v3, v4
	v_lshlrev_b32_e32 v16, 2, v16
	ds_bpermute_b32 v3, v3, v5
	s_waitcnt lgkmcnt(1)
	v_add_f32_e32 v4, v4, v15
	s_waitcnt lgkmcnt(0)
	v_add_f32_e32 v3, v5, v3
	ds_bpermute_b32 v5, v16, v4
	ds_bpermute_b32 v15, v16, v3
	v_xor_b32_e32 v16, 8, v2
	s_delay_alu instid0(VALU_DEP_1) | instskip(NEXT) | instid1(VALU_DEP_1)
	v_cmp_gt_i32_e64 s2, 64, v16
	v_cndmask_b32_e64 v16, v2, v16, s2
	s_delay_alu instid0(VALU_DEP_1)
	v_lshlrev_b32_e32 v16, 2, v16
	s_waitcnt lgkmcnt(0)
	v_dual_add_f32 v4, v4, v5 :: v_dual_add_f32 v3, v3, v15
	ds_bpermute_b32 v5, v16, v4
	ds_bpermute_b32 v15, v16, v3
	v_xor_b32_e32 v16, 4, v2
	s_delay_alu instid0(VALU_DEP_1) | instskip(NEXT) | instid1(VALU_DEP_1)
	v_cmp_gt_i32_e64 s2, 64, v16
	v_cndmask_b32_e64 v16, v2, v16, s2
	s_waitcnt lgkmcnt(0)
	s_delay_alu instid0(VALU_DEP_1)
	v_dual_add_f32 v3, v3, v15 :: v_dual_lshlrev_b32 v16, 2, v16
	ds_bpermute_b32 v15, v16, v3
	s_waitcnt lgkmcnt(0)
	v_dual_add_f32 v4, v4, v5 :: v_dual_add_f32 v3, v3, v15
	ds_bpermute_b32 v5, v16, v4
	v_xor_b32_e32 v16, 2, v2
	s_delay_alu instid0(VALU_DEP_1) | instskip(NEXT) | instid1(VALU_DEP_1)
	v_cmp_gt_i32_e64 s2, 64, v16
	v_cndmask_b32_e64 v16, v2, v16, s2
	s_delay_alu instid0(VALU_DEP_1)
	v_lshlrev_b32_e32 v16, 2, v16
	s_waitcnt lgkmcnt(0)
	v_add_f32_e32 v4, v4, v5
	ds_bpermute_b32 v15, v16, v3
	ds_bpermute_b32 v5, v16, v4
	v_xor_b32_e32 v16, 1, v2
	s_delay_alu instid0(VALU_DEP_1) | instskip(NEXT) | instid1(VALU_DEP_1)
	v_cmp_gt_i32_e64 s2, 64, v16
	v_cndmask_b32_e64 v2, v2, v16, s2
	s_delay_alu instid0(VALU_DEP_1)
	v_lshlrev_b32_e32 v16, 2, v2
	s_waitcnt lgkmcnt(1)
	v_add_f32_e32 v2, v3, v15
	s_waitcnt lgkmcnt(0)
	v_add_f32_e32 v4, v4, v5
	ds_bpermute_b32 v3, v16, v2
	ds_bpermute_b32 v5, v16, v4
	s_and_saveexec_b32 s2, s1
	s_cbranch_execz .LBB338_12
; %bb.9:
	v_lshlrev_b64 v[0:1], 1, v[0:1]
	s_waitcnt lgkmcnt(0)
	v_add_f32_e32 v4, v4, v5
	s_delay_alu instid0(VALU_DEP_2) | instskip(NEXT) | instid1(VALU_DEP_1)
	v_add_co_u32 v0, s1, s8, v0
	v_add_co_ci_u32_e64 v1, s1, s9, v1, s1
	s_and_saveexec_b32 s2, s0
	s_cbranch_execnz .LBB338_13
; %bb.10:
	s_or_b32 exec_lo, exec_lo, s2
	s_and_saveexec_b32 s2, vcc_lo
	s_cbranch_execnz .LBB338_14
.LBB338_11:
	s_or_b32 exec_lo, exec_lo, s2
	v_cmp_ne_u32_e64 s1, 1, v7
	s_delay_alu instid0(VALU_DEP_1)
	s_and_b32 exec_lo, exec_lo, s1
	s_cbranch_execnz .LBB338_15
.LBB338_12:
	s_nop 0
	s_sendmsg sendmsg(MSG_DEALLOC_VGPRS)
	s_endpgm
.LBB338_13:
	s_waitcnt vmcnt(0)
	v_mul_f32_e32 v5, 0x3fb8aa3b, v14
	v_cmp_ngt_f32_e64 s1, 0xc2ce8ed0, v14
	s_delay_alu instid0(VALU_DEP_2) | instskip(SKIP_1) | instid1(VALU_DEP_1)
	v_rndne_f32_e32 v15, v5
	v_fma_f32 v16, 0x3fb8aa3b, v14, -v5
	v_dual_sub_f32 v5, v5, v15 :: v_dual_fmamk_f32 v16, v14, 0x32a5705f, v16
	v_cvt_i32_f32_e32 v15, v15
	s_delay_alu instid0(VALU_DEP_2) | instskip(NEXT) | instid1(VALU_DEP_1)
	v_add_f32_e32 v5, v5, v16
	v_exp_f32_e32 v5, v5
	s_waitcnt_depctr 0xfff
	v_ldexp_f32 v5, v5, v15
	s_delay_alu instid0(VALU_DEP_1) | instskip(SKIP_1) | instid1(VALU_DEP_1)
	v_cndmask_b32_e64 v5, 0, v5, s1
	v_cmp_nlt_f32_e64 s1, 0x42b17218, v14
	v_cndmask_b32_e64 v5, 0x7f800000, v5, s1
	s_delay_alu instid0(VALU_DEP_1) | instskip(NEXT) | instid1(VALU_DEP_1)
	v_fma_f32 v5, -v4, v5, v12
	v_bfe_u32 v12, v5, 16, 1
	v_cmp_o_f32_e64 s1, v5, v5
	s_delay_alu instid0(VALU_DEP_2) | instskip(NEXT) | instid1(VALU_DEP_1)
	v_add3_u32 v12, v5, v12, 0x7fff
	v_lshrrev_b32_e32 v12, 16, v12
	s_delay_alu instid0(VALU_DEP_1)
	v_cndmask_b32_e64 v5, 0x7fc0, v12, s1
	global_store_b16 v[0:1], v5, off
	s_or_b32 exec_lo, exec_lo, s2
	s_and_saveexec_b32 s2, vcc_lo
	s_cbranch_execz .LBB338_11
.LBB338_14:
	s_waitcnt vmcnt(0)
	v_mul_f32_e32 v5, 0x3fb8aa3b, v13
	v_cmp_ngt_f32_e64 s1, 0xc2ce8ed0, v13
	s_delay_alu instid0(VALU_DEP_2) | instskip(SKIP_1) | instid1(VALU_DEP_2)
	v_rndne_f32_e32 v12, v5
	v_fma_f32 v14, 0x3fb8aa3b, v13, -v5
	v_sub_f32_e32 v5, v5, v12
	s_delay_alu instid0(VALU_DEP_2) | instskip(SKIP_1) | instid1(VALU_DEP_2)
	v_fmamk_f32 v14, v13, 0x32a5705f, v14
	v_cvt_i32_f32_e32 v12, v12
	v_add_f32_e32 v5, v5, v14
	s_delay_alu instid0(VALU_DEP_1) | instskip(SKIP_2) | instid1(VALU_DEP_1)
	v_exp_f32_e32 v5, v5
	s_waitcnt_depctr 0xfff
	v_ldexp_f32 v5, v5, v12
	v_cndmask_b32_e64 v5, 0, v5, s1
	v_cmp_nlt_f32_e64 s1, 0x42b17218, v13
	s_delay_alu instid0(VALU_DEP_1) | instskip(NEXT) | instid1(VALU_DEP_1)
	v_cndmask_b32_e64 v5, 0x7f800000, v5, s1
	v_fma_f32 v4, -v4, v5, v8
	s_delay_alu instid0(VALU_DEP_1) | instskip(SKIP_1) | instid1(VALU_DEP_2)
	v_bfe_u32 v5, v4, 16, 1
	v_cmp_o_f32_e64 s1, v4, v4
	v_add3_u32 v5, v4, v5, 0x7fff
	s_delay_alu instid0(VALU_DEP_1) | instskip(NEXT) | instid1(VALU_DEP_1)
	v_lshrrev_b32_e32 v5, 16, v5
	v_cndmask_b32_e64 v4, 0x7fc0, v5, s1
	global_store_b16 v[0:1], v4, off offset:128
	s_or_b32 exec_lo, exec_lo, s2
	v_cmp_ne_u32_e64 s1, 1, v7
	s_delay_alu instid0(VALU_DEP_1)
	s_and_b32 exec_lo, exec_lo, s1
	s_cbranch_execz .LBB338_12
.LBB338_15:
	v_add_f32_e32 v2, v2, v3
	s_and_saveexec_b32 s1, s0
	s_cbranch_execz .LBB338_17
; %bb.16:
	s_waitcnt vmcnt(0)
	v_mul_f32_e32 v3, 0x3fb8aa3b, v11
	v_cmp_ngt_f32_e64 s0, 0xc2ce8ed0, v11
	s_lshl_b64 s[2:3], s[6:7], 1
	s_delay_alu instid0(VALU_DEP_2) | instskip(SKIP_1) | instid1(VALU_DEP_2)
	v_rndne_f32_e32 v4, v3
	v_fma_f32 v5, 0x3fb8aa3b, v11, -v3
	v_sub_f32_e32 v3, v3, v4
	s_delay_alu instid0(VALU_DEP_2) | instskip(SKIP_1) | instid1(VALU_DEP_2)
	v_fmamk_f32 v5, v11, 0x32a5705f, v5
	v_cvt_i32_f32_e32 v4, v4
	v_add_f32_e32 v3, v3, v5
	s_delay_alu instid0(VALU_DEP_1) | instskip(SKIP_2) | instid1(VALU_DEP_1)
	v_exp_f32_e32 v3, v3
	s_waitcnt_depctr 0xfff
	v_ldexp_f32 v3, v3, v4
	v_cndmask_b32_e64 v3, 0, v3, s0
	v_cmp_nlt_f32_e64 s0, 0x42b17218, v11
	s_delay_alu instid0(VALU_DEP_1) | instskip(NEXT) | instid1(VALU_DEP_1)
	v_cndmask_b32_e64 v3, 0x7f800000, v3, s0
	v_fma_f32 v3, -v2, v3, v10
	s_delay_alu instid0(VALU_DEP_1) | instskip(SKIP_1) | instid1(VALU_DEP_2)
	v_bfe_u32 v4, v3, 16, 1
	v_cmp_o_f32_e64 s0, v3, v3
	v_add3_u32 v4, v3, v4, 0x7fff
	s_delay_alu instid0(VALU_DEP_1) | instskip(NEXT) | instid1(VALU_DEP_1)
	v_lshrrev_b32_e32 v4, 16, v4
	v_cndmask_b32_e64 v5, 0x7fc0, v4, s0
	v_add_co_u32 v3, s0, v0, s2
	s_delay_alu instid0(VALU_DEP_1)
	v_add_co_ci_u32_e64 v4, s0, s3, v1, s0
	global_store_b16 v[3:4], v5, off
.LBB338_17:
	s_or_b32 exec_lo, exec_lo, s1
	s_delay_alu instid0(SALU_CYCLE_1)
	s_and_b32 exec_lo, exec_lo, vcc_lo
	s_cbranch_execz .LBB338_12
; %bb.18:
	s_waitcnt vmcnt(0)
	v_mul_f32_e32 v3, 0x3fb8aa3b, v9
	v_cmp_ngt_f32_e32 vcc_lo, 0xc2ce8ed0, v9
	s_ashr_i32 s7, s6, 31
	s_delay_alu instid0(SALU_CYCLE_1) | instskip(NEXT) | instid1(VALU_DEP_2)
	s_lshl_b64 s[0:1], s[6:7], 1
	v_rndne_f32_e32 v4, v3
	v_fma_f32 v5, 0x3fb8aa3b, v9, -v3
	s_delay_alu instid0(VALU_DEP_2) | instskip(NEXT) | instid1(VALU_DEP_2)
	v_sub_f32_e32 v3, v3, v4
	v_fmamk_f32 v5, v9, 0x32a5705f, v5
	v_cvt_i32_f32_e32 v4, v4
	s_delay_alu instid0(VALU_DEP_2) | instskip(NEXT) | instid1(VALU_DEP_1)
	v_add_f32_e32 v3, v3, v5
	v_exp_f32_e32 v3, v3
	s_waitcnt_depctr 0xfff
	v_ldexp_f32 v3, v3, v4
	s_delay_alu instid0(VALU_DEP_1) | instskip(SKIP_1) | instid1(VALU_DEP_2)
	v_cndmask_b32_e32 v3, 0, v3, vcc_lo
	v_cmp_nlt_f32_e32 vcc_lo, 0x42b17218, v9
	v_cndmask_b32_e32 v3, 0x7f800000, v3, vcc_lo
	s_delay_alu instid0(VALU_DEP_1) | instskip(NEXT) | instid1(VALU_DEP_1)
	v_fma_f32 v2, -v2, v3, v6
	v_bfe_u32 v3, v2, 16, 1
	v_cmp_o_f32_e32 vcc_lo, v2, v2
	s_delay_alu instid0(VALU_DEP_2) | instskip(NEXT) | instid1(VALU_DEP_1)
	v_add3_u32 v3, v2, v3, 0x7fff
	v_lshrrev_b32_e32 v3, 16, v3
	s_delay_alu instid0(VALU_DEP_1)
	v_cndmask_b32_e32 v2, 0x7fc0, v3, vcc_lo
	v_add_co_u32 v0, vcc_lo, v0, s0
	v_add_co_ci_u32_e32 v1, vcc_lo, s1, v1, vcc_lo
	global_store_b16 v[0:1], v2, off offset:128
	s_nop 0
	s_sendmsg sendmsg(MSG_DEALLOC_VGPRS)
	s_endpgm
	.section	.rodata,"a",@progbits
	.p2align	6, 0x0
	.amdhsa_kernel _ZN12_GLOBAL__N_121softmax_warp_backwardIfN3c108BFloat16EfLi7ELb1ELb0ELi64EEEvPT0_PKT_S7_iiiPKb
		.amdhsa_group_segment_fixed_size 0
		.amdhsa_private_segment_fixed_size 0
		.amdhsa_kernarg_size 304
		.amdhsa_user_sgpr_count 15
		.amdhsa_user_sgpr_dispatch_ptr 0
		.amdhsa_user_sgpr_queue_ptr 0
		.amdhsa_user_sgpr_kernarg_segment_ptr 1
		.amdhsa_user_sgpr_dispatch_id 0
		.amdhsa_user_sgpr_private_segment_size 0
		.amdhsa_wavefront_size32 1
		.amdhsa_uses_dynamic_stack 0
		.amdhsa_enable_private_segment 0
		.amdhsa_system_sgpr_workgroup_id_x 1
		.amdhsa_system_sgpr_workgroup_id_y 0
		.amdhsa_system_sgpr_workgroup_id_z 0
		.amdhsa_system_sgpr_workgroup_info 0
		.amdhsa_system_vgpr_workitem_id 1
		.amdhsa_next_free_vgpr 17
		.amdhsa_next_free_sgpr 16
		.amdhsa_reserve_vcc 1
		.amdhsa_float_round_mode_32 0
		.amdhsa_float_round_mode_16_64 0
		.amdhsa_float_denorm_mode_32 3
		.amdhsa_float_denorm_mode_16_64 3
		.amdhsa_dx10_clamp 1
		.amdhsa_ieee_mode 1
		.amdhsa_fp16_overflow 0
		.amdhsa_workgroup_processor_mode 1
		.amdhsa_memory_ordered 1
		.amdhsa_forward_progress 0
		.amdhsa_shared_vgpr_count 0
		.amdhsa_exception_fp_ieee_invalid_op 0
		.amdhsa_exception_fp_denorm_src 0
		.amdhsa_exception_fp_ieee_div_zero 0
		.amdhsa_exception_fp_ieee_overflow 0
		.amdhsa_exception_fp_ieee_underflow 0
		.amdhsa_exception_fp_ieee_inexact 0
		.amdhsa_exception_int_div_zero 0
	.end_amdhsa_kernel
	.section	.text._ZN12_GLOBAL__N_121softmax_warp_backwardIfN3c108BFloat16EfLi7ELb1ELb0ELi64EEEvPT0_PKT_S7_iiiPKb,"axG",@progbits,_ZN12_GLOBAL__N_121softmax_warp_backwardIfN3c108BFloat16EfLi7ELb1ELb0ELi64EEEvPT0_PKT_S7_iiiPKb,comdat
.Lfunc_end338:
	.size	_ZN12_GLOBAL__N_121softmax_warp_backwardIfN3c108BFloat16EfLi7ELb1ELb0ELi64EEEvPT0_PKT_S7_iiiPKb, .Lfunc_end338-_ZN12_GLOBAL__N_121softmax_warp_backwardIfN3c108BFloat16EfLi7ELb1ELb0ELi64EEEvPT0_PKT_S7_iiiPKb
                                        ; -- End function
	.section	.AMDGPU.csdata,"",@progbits
; Kernel info:
; codeLenInByte = 1784
; NumSgprs: 18
; NumVgprs: 17
; ScratchSize: 0
; MemoryBound: 0
; FloatMode: 240
; IeeeMode: 1
; LDSByteSize: 0 bytes/workgroup (compile time only)
; SGPRBlocks: 2
; VGPRBlocks: 2
; NumSGPRsForWavesPerEU: 18
; NumVGPRsForWavesPerEU: 17
; Occupancy: 16
; WaveLimiterHint : 0
; COMPUTE_PGM_RSRC2:SCRATCH_EN: 0
; COMPUTE_PGM_RSRC2:USER_SGPR: 15
; COMPUTE_PGM_RSRC2:TRAP_HANDLER: 0
; COMPUTE_PGM_RSRC2:TGID_X_EN: 1
; COMPUTE_PGM_RSRC2:TGID_Y_EN: 0
; COMPUTE_PGM_RSRC2:TGID_Z_EN: 0
; COMPUTE_PGM_RSRC2:TIDIG_COMP_CNT: 1
	.section	.text._ZN12_GLOBAL__N_121softmax_warp_backwardIfN3c108BFloat16EfLi7ELb1ELb0ELi32EEEvPT0_PKT_S7_iiiPKb,"axG",@progbits,_ZN12_GLOBAL__N_121softmax_warp_backwardIfN3c108BFloat16EfLi7ELb1ELb0ELi32EEEvPT0_PKT_S7_iiiPKb,comdat
	.globl	_ZN12_GLOBAL__N_121softmax_warp_backwardIfN3c108BFloat16EfLi7ELb1ELb0ELi32EEEvPT0_PKT_S7_iiiPKb ; -- Begin function _ZN12_GLOBAL__N_121softmax_warp_backwardIfN3c108BFloat16EfLi7ELb1ELb0ELi32EEEvPT0_PKT_S7_iiiPKb
	.p2align	8
	.type	_ZN12_GLOBAL__N_121softmax_warp_backwardIfN3c108BFloat16EfLi7ELb1ELb0ELi32EEEvPT0_PKT_S7_iiiPKb,@function
_ZN12_GLOBAL__N_121softmax_warp_backwardIfN3c108BFloat16EfLi7ELb1ELb0ELi32EEEvPT0_PKT_S7_iiiPKb: ; @_ZN12_GLOBAL__N_121softmax_warp_backwardIfN3c108BFloat16EfLi7ELb1ELb0ELi32EEEvPT0_PKT_S7_iiiPKb
; %bb.0:
	s_clause 0x1
	s_load_b32 s2, s[0:1], 0x3c
	s_load_b128 s[4:7], s[0:1], 0x18
	v_bfe_u32 v1, v0, 10, 10
	v_and_b32_e32 v6, 31, v0
	s_clause 0x1
	s_load_b128 s[8:11], s[0:1], 0x0
	s_load_b64 s[0:1], s[0:1], 0x10
	v_mov_b32_e32 v12, 0
	v_mov_b32_e32 v20, 0
	;; [unrolled: 1-line block ×3, first 2 shown]
	s_waitcnt lgkmcnt(0)
	s_lshr_b32 s2, s2, 16
	s_delay_alu instid0(SALU_CYCLE_1) | instskip(SKIP_2) | instid1(VALU_DEP_1)
	s_mul_i32 s15, s15, s2
	v_cmp_gt_i32_e64 s2, s6, v6
	v_add_lshl_u32 v2, s15, v1, 1
	v_mad_u64_u32 v[0:1], null, v2, s5, v[6:7]
	v_sub_nc_u32_e32 v7, s4, v2
	s_delay_alu instid0(VALU_DEP_1) | instskip(NEXT) | instid1(VALU_DEP_3)
	v_cmp_lt_i32_e64 s3, 0, v7
	v_ashrrev_i32_e32 v1, 31, v0
	s_delay_alu instid0(VALU_DEP_1) | instskip(NEXT) | instid1(VALU_DEP_1)
	v_lshlrev_b64 v[2:3], 2, v[0:1]
	v_add_co_u32 v4, vcc_lo, s10, v2
	s_delay_alu instid0(VALU_DEP_2) | instskip(SKIP_3) | instid1(SALU_CYCLE_1)
	v_add_co_ci_u32_e32 v5, vcc_lo, s11, v3, vcc_lo
	v_add_co_u32 v2, vcc_lo, s0, v2
	v_add_co_ci_u32_e32 v3, vcc_lo, s1, v3, vcc_lo
	s_and_b32 s1, s3, s2
	s_and_saveexec_b32 s0, s1
	s_cbranch_execz .LBB339_2
; %bb.1:
	global_load_b32 v20, v[4:5], off
	global_load_b32 v22, v[2:3], off
.LBB339_2:
	s_or_b32 exec_lo, exec_lo, s0
	v_or_b32_e32 v8, 32, v6
	v_mov_b32_e32 v21, 0
	s_delay_alu instid0(VALU_DEP_2) | instskip(NEXT) | instid1(VALU_DEP_1)
	v_cmp_gt_i32_e64 s1, s6, v8
	s_and_b32 s4, s3, s1
	s_delay_alu instid0(SALU_CYCLE_1)
	s_and_saveexec_b32 s0, s4
	s_cbranch_execz .LBB339_4
; %bb.3:
	global_load_b32 v12, v[4:5], off offset:128
	global_load_b32 v21, v[2:3], off offset:128
.LBB339_4:
	s_or_b32 exec_lo, exec_lo, s0
	v_or_b32_e32 v8, 64, v6
	v_dual_mov_b32 v9, 0 :: v_dual_mov_b32 v18, 0
	v_mov_b32_e32 v19, 0
	s_delay_alu instid0(VALU_DEP_3) | instskip(NEXT) | instid1(VALU_DEP_1)
	v_cmp_gt_i32_e64 s0, s6, v8
	s_and_b32 s5, s3, s0
	s_delay_alu instid0(SALU_CYCLE_1)
	s_and_saveexec_b32 s4, s5
	s_cbranch_execz .LBB339_6
; %bb.5:
	global_load_b32 v18, v[4:5], off offset:256
	global_load_b32 v19, v[2:3], off offset:256
.LBB339_6:
	s_or_b32 exec_lo, exec_lo, s4
	v_or_b32_e32 v6, 0x60, v6
	v_mov_b32_e32 v17, 0
	s_delay_alu instid0(VALU_DEP_2) | instskip(SKIP_1) | instid1(SALU_CYCLE_1)
	v_cmp_gt_i32_e32 vcc_lo, s6, v6
	s_and_b32 s5, s3, vcc_lo
	s_and_saveexec_b32 s4, s5
	s_cbranch_execz .LBB339_8
; %bb.7:
	global_load_b32 v9, v[4:5], off offset:384
	global_load_b32 v17, v[2:3], off offset:384
.LBB339_8:
	s_or_b32 exec_lo, exec_lo, s4
	v_cmp_lt_i32_e64 s4, 1, v7
	v_dual_mov_b32 v6, 0 :: v_dual_mov_b32 v13, 0
	v_mov_b32_e32 v10, 0
	s_mov_b32 s7, 0
	s_delay_alu instid0(VALU_DEP_3) | instskip(NEXT) | instid1(SALU_CYCLE_1)
	s_and_b32 s5, s4, s2
	s_and_saveexec_b32 s10, s5
	s_cbranch_execz .LBB339_10
; %bb.9:
	s_lshl_b64 s[12:13], s[6:7], 2
	s_delay_alu instid0(SALU_CYCLE_1) | instskip(NEXT) | instid1(VALU_DEP_1)
	v_add_co_u32 v10, s5, v4, s12
	v_add_co_ci_u32_e64 v11, s5, s13, v5, s5
	v_add_co_u32 v13, s5, v2, s12
	s_delay_alu instid0(VALU_DEP_1)
	v_add_co_ci_u32_e64 v14, s5, s13, v3, s5
	global_load_b32 v10, v[10:11], off
	global_load_b32 v13, v[13:14], off
.LBB339_10:
	s_or_b32 exec_lo, exec_lo, s10
	v_mov_b32_e32 v14, 0
	s_and_b32 s5, s4, s1
	s_delay_alu instid0(SALU_CYCLE_1)
	s_and_saveexec_b32 s10, s5
	s_cbranch_execz .LBB339_12
; %bb.11:
	s_lshl_b64 s[12:13], s[6:7], 2
	s_delay_alu instid0(SALU_CYCLE_1) | instskip(NEXT) | instid1(VALU_DEP_1)
	v_add_co_u32 v14, s5, v4, s12
	v_add_co_ci_u32_e64 v15, s5, s13, v5, s5
	v_add_co_u32 v23, s5, v2, s12
	s_delay_alu instid0(VALU_DEP_1)
	v_add_co_ci_u32_e64 v24, s5, s13, v3, s5
	global_load_b32 v6, v[14:15], off offset:128
	global_load_b32 v14, v[23:24], off offset:128
.LBB339_12:
	s_or_b32 exec_lo, exec_lo, s10
	v_dual_mov_b32 v8, 0 :: v_dual_mov_b32 v11, 0
	v_mov_b32_e32 v15, 0
	s_and_b32 s5, s4, s0
	s_delay_alu instid0(SALU_CYCLE_1)
	s_and_saveexec_b32 s10, s5
	s_cbranch_execz .LBB339_14
; %bb.13:
	s_lshl_b64 s[12:13], s[6:7], 2
	s_delay_alu instid0(SALU_CYCLE_1) | instskip(NEXT) | instid1(VALU_DEP_1)
	v_add_co_u32 v15, s5, v4, s12
	v_add_co_ci_u32_e64 v16, s5, s13, v5, s5
	v_add_co_u32 v23, s5, v2, s12
	s_delay_alu instid0(VALU_DEP_1)
	v_add_co_ci_u32_e64 v24, s5, s13, v3, s5
	global_load_b32 v11, v[15:16], off offset:256
	global_load_b32 v15, v[23:24], off offset:256
.LBB339_14:
	s_or_b32 exec_lo, exec_lo, s10
	v_mov_b32_e32 v16, 0
	s_and_b32 s4, s4, vcc_lo
	s_delay_alu instid0(SALU_CYCLE_1)
	s_and_saveexec_b32 s5, s4
	s_cbranch_execz .LBB339_16
; %bb.15:
	s_lshl_b64 s[10:11], s[6:7], 2
	s_delay_alu instid0(SALU_CYCLE_1) | instskip(NEXT) | instid1(VALU_DEP_1)
	v_add_co_u32 v4, s4, v4, s10
	v_add_co_ci_u32_e64 v5, s4, s11, v5, s4
	v_add_co_u32 v2, s4, v2, s10
	s_delay_alu instid0(VALU_DEP_1)
	v_add_co_ci_u32_e64 v3, s4, s11, v3, s4
	global_load_b32 v8, v[4:5], off offset:384
	global_load_b32 v16, v[2:3], off offset:384
.LBB339_16:
	s_or_b32 exec_lo, exec_lo, s5
	v_mbcnt_lo_u32_b32 v3, -1, 0
	s_waitcnt vmcnt(1)
	v_add_f32_e32 v4, 0, v10
	s_delay_alu instid0(VALU_DEP_2) | instskip(NEXT) | instid1(VALU_DEP_2)
	v_xor_b32_e32 v5, 16, v3
	v_add_f32_e32 v4, v4, v6
	v_xor_b32_e32 v24, 8, v3
	s_delay_alu instid0(VALU_DEP_3) | instskip(NEXT) | instid1(VALU_DEP_3)
	v_cmp_gt_i32_e64 s4, 32, v5
	v_add_f32_e32 v4, v4, v11
	s_delay_alu instid0(VALU_DEP_2) | instskip(SKIP_1) | instid1(VALU_DEP_3)
	v_cndmask_b32_e64 v5, v3, v5, s4
	v_add_f32_e32 v2, 0, v20
	v_add_f32_e32 v4, v4, v8
	v_cmp_gt_i32_e64 s4, 32, v24
	s_delay_alu instid0(VALU_DEP_3) | instskip(NEXT) | instid1(VALU_DEP_2)
	v_dual_add_f32 v2, v2, v12 :: v_dual_lshlrev_b32 v5, 2, v5
	v_cndmask_b32_e64 v24, v3, v24, s4
	s_delay_alu instid0(VALU_DEP_2) | instskip(NEXT) | instid1(VALU_DEP_2)
	v_add_f32_e32 v2, v2, v18
	v_lshlrev_b32_e32 v24, 2, v24
	s_delay_alu instid0(VALU_DEP_2)
	v_add_f32_e32 v2, v2, v9
	ds_bpermute_b32 v23, v5, v2
	ds_bpermute_b32 v5, v5, v4
	s_waitcnt lgkmcnt(1)
	v_add_f32_e32 v2, v2, v23
	s_waitcnt lgkmcnt(0)
	v_add_f32_e32 v4, v4, v5
	ds_bpermute_b32 v5, v24, v2
	ds_bpermute_b32 v23, v24, v4
	v_xor_b32_e32 v24, 4, v3
	s_delay_alu instid0(VALU_DEP_1) | instskip(NEXT) | instid1(VALU_DEP_1)
	v_cmp_gt_i32_e64 s4, 32, v24
	v_cndmask_b32_e64 v24, v3, v24, s4
	s_delay_alu instid0(VALU_DEP_1)
	v_lshlrev_b32_e32 v24, 2, v24
	s_waitcnt lgkmcnt(1)
	v_add_f32_e32 v2, v2, v5
	s_waitcnt lgkmcnt(0)
	v_add_f32_e32 v4, v4, v23
	ds_bpermute_b32 v5, v24, v2
	ds_bpermute_b32 v23, v24, v4
	v_xor_b32_e32 v24, 2, v3
	s_delay_alu instid0(VALU_DEP_1) | instskip(NEXT) | instid1(VALU_DEP_1)
	v_cmp_gt_i32_e64 s4, 32, v24
	v_cndmask_b32_e64 v24, v3, v24, s4
	s_delay_alu instid0(VALU_DEP_1)
	v_lshlrev_b32_e32 v24, 2, v24
	s_waitcnt lgkmcnt(0)
	v_dual_add_f32 v2, v2, v5 :: v_dual_add_f32 v5, v4, v23
	ds_bpermute_b32 v4, v24, v2
	ds_bpermute_b32 v23, v24, v5
	v_xor_b32_e32 v24, 1, v3
	s_delay_alu instid0(VALU_DEP_1) | instskip(NEXT) | instid1(VALU_DEP_1)
	v_cmp_gt_i32_e64 s4, 32, v24
	v_cndmask_b32_e64 v3, v3, v24, s4
	s_waitcnt lgkmcnt(1)
	s_delay_alu instid0(VALU_DEP_1)
	v_dual_add_f32 v4, v2, v4 :: v_dual_lshlrev_b32 v3, 2, v3
	s_waitcnt lgkmcnt(0)
	v_add_f32_e32 v2, v5, v23
	ds_bpermute_b32 v5, v3, v4
	ds_bpermute_b32 v3, v3, v2
	s_and_saveexec_b32 s4, s3
	s_cbranch_execz .LBB339_22
; %bb.17:
	v_lshlrev_b64 v[0:1], 1, v[0:1]
	s_waitcnt lgkmcnt(1)
	v_add_f32_e32 v4, v4, v5
	s_delay_alu instid0(VALU_DEP_2) | instskip(NEXT) | instid1(VALU_DEP_1)
	v_add_co_u32 v0, s3, s8, v0
	v_add_co_ci_u32_e64 v1, s3, s9, v1, s3
	s_and_saveexec_b32 s4, s2
	s_cbranch_execnz .LBB339_23
; %bb.18:
	s_or_b32 exec_lo, exec_lo, s4
	s_and_saveexec_b32 s4, s1
	s_cbranch_execnz .LBB339_24
.LBB339_19:
	s_or_b32 exec_lo, exec_lo, s4
	s_and_saveexec_b32 s4, s0
	s_cbranch_execnz .LBB339_25
.LBB339_20:
	s_or_b32 exec_lo, exec_lo, s4
	s_and_saveexec_b32 s4, vcc_lo
	s_cbranch_execnz .LBB339_26
.LBB339_21:
	s_or_b32 exec_lo, exec_lo, s4
	v_cmp_ne_u32_e64 s3, 1, v7
	s_delay_alu instid0(VALU_DEP_1)
	s_and_b32 exec_lo, exec_lo, s3
	s_cbranch_execnz .LBB339_27
.LBB339_22:
	s_nop 0
	s_sendmsg sendmsg(MSG_DEALLOC_VGPRS)
	s_endpgm
.LBB339_23:
	s_waitcnt vmcnt(0)
	v_mul_f32_e32 v5, 0x3fb8aa3b, v22
	v_cmp_ngt_f32_e64 s3, 0xc2ce8ed0, v22
	s_delay_alu instid0(VALU_DEP_2) | instskip(SKIP_1) | instid1(VALU_DEP_1)
	v_rndne_f32_e32 v23, v5
	v_fma_f32 v24, 0x3fb8aa3b, v22, -v5
	v_dual_sub_f32 v5, v5, v23 :: v_dual_fmamk_f32 v24, v22, 0x32a5705f, v24
	v_cvt_i32_f32_e32 v23, v23
	s_delay_alu instid0(VALU_DEP_2) | instskip(NEXT) | instid1(VALU_DEP_1)
	v_add_f32_e32 v5, v5, v24
	v_exp_f32_e32 v5, v5
	s_waitcnt_depctr 0xfff
	v_ldexp_f32 v5, v5, v23
	s_delay_alu instid0(VALU_DEP_1) | instskip(SKIP_1) | instid1(VALU_DEP_1)
	v_cndmask_b32_e64 v5, 0, v5, s3
	v_cmp_nlt_f32_e64 s3, 0x42b17218, v22
	v_cndmask_b32_e64 v5, 0x7f800000, v5, s3
	s_delay_alu instid0(VALU_DEP_1) | instskip(NEXT) | instid1(VALU_DEP_1)
	v_fma_f32 v5, -v4, v5, v20
	v_bfe_u32 v20, v5, 16, 1
	v_cmp_o_f32_e64 s3, v5, v5
	s_delay_alu instid0(VALU_DEP_2) | instskip(NEXT) | instid1(VALU_DEP_1)
	v_add3_u32 v20, v5, v20, 0x7fff
	v_lshrrev_b32_e32 v20, 16, v20
	s_delay_alu instid0(VALU_DEP_1)
	v_cndmask_b32_e64 v5, 0x7fc0, v20, s3
	global_store_b16 v[0:1], v5, off
	s_or_b32 exec_lo, exec_lo, s4
	s_and_saveexec_b32 s4, s1
	s_cbranch_execz .LBB339_19
.LBB339_24:
	s_waitcnt vmcnt(0)
	v_mul_f32_e32 v5, 0x3fb8aa3b, v21
	v_cmp_ngt_f32_e64 s3, 0xc2ce8ed0, v21
	s_delay_alu instid0(VALU_DEP_2) | instskip(SKIP_1) | instid1(VALU_DEP_2)
	v_rndne_f32_e32 v20, v5
	v_fma_f32 v22, 0x3fb8aa3b, v21, -v5
	v_sub_f32_e32 v5, v5, v20
	s_delay_alu instid0(VALU_DEP_2) | instskip(SKIP_1) | instid1(VALU_DEP_2)
	v_fmamk_f32 v22, v21, 0x32a5705f, v22
	v_cvt_i32_f32_e32 v20, v20
	v_add_f32_e32 v5, v5, v22
	s_delay_alu instid0(VALU_DEP_1) | instskip(SKIP_2) | instid1(VALU_DEP_1)
	v_exp_f32_e32 v5, v5
	s_waitcnt_depctr 0xfff
	v_ldexp_f32 v5, v5, v20
	v_cndmask_b32_e64 v5, 0, v5, s3
	v_cmp_nlt_f32_e64 s3, 0x42b17218, v21
	s_delay_alu instid0(VALU_DEP_1) | instskip(NEXT) | instid1(VALU_DEP_1)
	v_cndmask_b32_e64 v5, 0x7f800000, v5, s3
	v_fma_f32 v5, -v4, v5, v12
	s_delay_alu instid0(VALU_DEP_1) | instskip(SKIP_1) | instid1(VALU_DEP_2)
	v_bfe_u32 v12, v5, 16, 1
	v_cmp_o_f32_e64 s3, v5, v5
	v_add3_u32 v12, v5, v12, 0x7fff
	s_delay_alu instid0(VALU_DEP_1) | instskip(NEXT) | instid1(VALU_DEP_1)
	v_lshrrev_b32_e32 v12, 16, v12
	v_cndmask_b32_e64 v5, 0x7fc0, v12, s3
	global_store_b16 v[0:1], v5, off offset:64
	s_or_b32 exec_lo, exec_lo, s4
	s_and_saveexec_b32 s4, s0
	s_cbranch_execz .LBB339_20
.LBB339_25:
	s_waitcnt vmcnt(0)
	v_mul_f32_e32 v5, 0x3fb8aa3b, v19
	v_cmp_ngt_f32_e64 s3, 0xc2ce8ed0, v19
	s_delay_alu instid0(VALU_DEP_2) | instskip(SKIP_1) | instid1(VALU_DEP_1)
	v_rndne_f32_e32 v12, v5
	v_fma_f32 v20, 0x3fb8aa3b, v19, -v5
	v_dual_sub_f32 v5, v5, v12 :: v_dual_fmamk_f32 v20, v19, 0x32a5705f, v20
	v_cvt_i32_f32_e32 v12, v12
	s_delay_alu instid0(VALU_DEP_2) | instskip(NEXT) | instid1(VALU_DEP_1)
	v_add_f32_e32 v5, v5, v20
	v_exp_f32_e32 v5, v5
	s_waitcnt_depctr 0xfff
	v_ldexp_f32 v5, v5, v12
	s_delay_alu instid0(VALU_DEP_1) | instskip(SKIP_1) | instid1(VALU_DEP_1)
	v_cndmask_b32_e64 v5, 0, v5, s3
	v_cmp_nlt_f32_e64 s3, 0x42b17218, v19
	v_cndmask_b32_e64 v5, 0x7f800000, v5, s3
	s_delay_alu instid0(VALU_DEP_1) | instskip(NEXT) | instid1(VALU_DEP_1)
	v_fma_f32 v5, -v4, v5, v18
	v_bfe_u32 v12, v5, 16, 1
	v_cmp_o_f32_e64 s3, v5, v5
	s_delay_alu instid0(VALU_DEP_2) | instskip(NEXT) | instid1(VALU_DEP_1)
	v_add3_u32 v12, v5, v12, 0x7fff
	v_lshrrev_b32_e32 v12, 16, v12
	s_delay_alu instid0(VALU_DEP_1)
	v_cndmask_b32_e64 v5, 0x7fc0, v12, s3
	global_store_b16 v[0:1], v5, off offset:128
	s_or_b32 exec_lo, exec_lo, s4
	s_and_saveexec_b32 s4, vcc_lo
	s_cbranch_execz .LBB339_21
.LBB339_26:
	s_waitcnt vmcnt(0)
	v_mul_f32_e32 v5, 0x3fb8aa3b, v17
	v_cmp_ngt_f32_e64 s3, 0xc2ce8ed0, v17
	s_delay_alu instid0(VALU_DEP_2) | instskip(SKIP_1) | instid1(VALU_DEP_2)
	v_rndne_f32_e32 v12, v5
	v_fma_f32 v18, 0x3fb8aa3b, v17, -v5
	v_sub_f32_e32 v5, v5, v12
	s_delay_alu instid0(VALU_DEP_2) | instskip(SKIP_1) | instid1(VALU_DEP_2)
	v_fmamk_f32 v18, v17, 0x32a5705f, v18
	v_cvt_i32_f32_e32 v12, v12
	v_add_f32_e32 v5, v5, v18
	s_delay_alu instid0(VALU_DEP_1) | instskip(SKIP_2) | instid1(VALU_DEP_1)
	v_exp_f32_e32 v5, v5
	s_waitcnt_depctr 0xfff
	v_ldexp_f32 v5, v5, v12
	v_cndmask_b32_e64 v5, 0, v5, s3
	v_cmp_nlt_f32_e64 s3, 0x42b17218, v17
	s_delay_alu instid0(VALU_DEP_1) | instskip(NEXT) | instid1(VALU_DEP_1)
	v_cndmask_b32_e64 v5, 0x7f800000, v5, s3
	v_fma_f32 v4, -v4, v5, v9
	s_delay_alu instid0(VALU_DEP_1) | instskip(SKIP_1) | instid1(VALU_DEP_2)
	v_bfe_u32 v5, v4, 16, 1
	v_cmp_o_f32_e64 s3, v4, v4
	v_add3_u32 v5, v4, v5, 0x7fff
	s_delay_alu instid0(VALU_DEP_1) | instskip(NEXT) | instid1(VALU_DEP_1)
	v_lshrrev_b32_e32 v5, 16, v5
	v_cndmask_b32_e64 v4, 0x7fc0, v5, s3
	global_store_b16 v[0:1], v4, off offset:192
	s_or_b32 exec_lo, exec_lo, s4
	v_cmp_ne_u32_e64 s3, 1, v7
	s_delay_alu instid0(VALU_DEP_1)
	s_and_b32 exec_lo, exec_lo, s3
	s_cbranch_execz .LBB339_22
.LBB339_27:
	s_ashr_i32 s7, s6, 31
	s_waitcnt lgkmcnt(0)
	v_add_f32_e32 v2, v2, v3
	s_lshl_b64 s[4:5], s[6:7], 1
	s_delay_alu instid0(SALU_CYCLE_1) | instskip(NEXT) | instid1(VALU_DEP_1)
	v_add_co_u32 v0, s3, v0, s4
	v_add_co_ci_u32_e64 v1, s3, s5, v1, s3
	s_and_saveexec_b32 s3, s2
	s_cbranch_execnz .LBB339_31
; %bb.28:
	s_or_b32 exec_lo, exec_lo, s3
	s_and_saveexec_b32 s2, s1
	s_cbranch_execnz .LBB339_32
.LBB339_29:
	s_or_b32 exec_lo, exec_lo, s2
	s_and_saveexec_b32 s1, s0
	s_cbranch_execnz .LBB339_33
.LBB339_30:
	s_or_b32 exec_lo, exec_lo, s1
	s_delay_alu instid0(SALU_CYCLE_1)
	s_and_b32 exec_lo, exec_lo, vcc_lo
	s_cbranch_execz .LBB339_22
	s_branch .LBB339_34
.LBB339_31:
	s_waitcnt vmcnt(0)
	v_mul_f32_e32 v3, 0x3fb8aa3b, v13
	v_cmp_ngt_f32_e64 s2, 0xc2ce8ed0, v13
	s_delay_alu instid0(VALU_DEP_2) | instskip(SKIP_1) | instid1(VALU_DEP_2)
	v_rndne_f32_e32 v4, v3
	v_fma_f32 v5, 0x3fb8aa3b, v13, -v3
	v_sub_f32_e32 v3, v3, v4
	s_delay_alu instid0(VALU_DEP_2) | instskip(SKIP_1) | instid1(VALU_DEP_2)
	v_fmamk_f32 v5, v13, 0x32a5705f, v5
	v_cvt_i32_f32_e32 v4, v4
	v_add_f32_e32 v3, v3, v5
	s_delay_alu instid0(VALU_DEP_1) | instskip(SKIP_2) | instid1(VALU_DEP_1)
	v_exp_f32_e32 v3, v3
	s_waitcnt_depctr 0xfff
	v_ldexp_f32 v3, v3, v4
	v_cndmask_b32_e64 v3, 0, v3, s2
	v_cmp_nlt_f32_e64 s2, 0x42b17218, v13
	s_delay_alu instid0(VALU_DEP_1) | instskip(NEXT) | instid1(VALU_DEP_1)
	v_cndmask_b32_e64 v3, 0x7f800000, v3, s2
	v_fma_f32 v3, -v2, v3, v10
	s_delay_alu instid0(VALU_DEP_1) | instskip(SKIP_1) | instid1(VALU_DEP_2)
	v_bfe_u32 v4, v3, 16, 1
	v_cmp_o_f32_e64 s2, v3, v3
	v_add3_u32 v4, v3, v4, 0x7fff
	s_delay_alu instid0(VALU_DEP_1) | instskip(NEXT) | instid1(VALU_DEP_1)
	v_lshrrev_b32_e32 v4, 16, v4
	v_cndmask_b32_e64 v3, 0x7fc0, v4, s2
	global_store_b16 v[0:1], v3, off
	s_or_b32 exec_lo, exec_lo, s3
	s_and_saveexec_b32 s2, s1
	s_cbranch_execz .LBB339_29
.LBB339_32:
	s_waitcnt vmcnt(0)
	v_mul_f32_e32 v3, 0x3fb8aa3b, v14
	v_cmp_ngt_f32_e64 s1, 0xc2ce8ed0, v14
	s_delay_alu instid0(VALU_DEP_2) | instskip(SKIP_1) | instid1(VALU_DEP_2)
	v_rndne_f32_e32 v4, v3
	v_fma_f32 v5, 0x3fb8aa3b, v14, -v3
	v_sub_f32_e32 v3, v3, v4
	s_delay_alu instid0(VALU_DEP_2) | instskip(SKIP_1) | instid1(VALU_DEP_2)
	v_fmamk_f32 v5, v14, 0x32a5705f, v5
	v_cvt_i32_f32_e32 v4, v4
	v_add_f32_e32 v3, v3, v5
	s_delay_alu instid0(VALU_DEP_1) | instskip(SKIP_2) | instid1(VALU_DEP_1)
	v_exp_f32_e32 v3, v3
	s_waitcnt_depctr 0xfff
	v_ldexp_f32 v3, v3, v4
	v_cndmask_b32_e64 v3, 0, v3, s1
	v_cmp_nlt_f32_e64 s1, 0x42b17218, v14
	s_delay_alu instid0(VALU_DEP_1) | instskip(NEXT) | instid1(VALU_DEP_1)
	v_cndmask_b32_e64 v3, 0x7f800000, v3, s1
	v_fma_f32 v3, -v2, v3, v6
	s_delay_alu instid0(VALU_DEP_1) | instskip(SKIP_1) | instid1(VALU_DEP_2)
	v_bfe_u32 v4, v3, 16, 1
	v_cmp_o_f32_e64 s1, v3, v3
	v_add3_u32 v4, v3, v4, 0x7fff
	s_delay_alu instid0(VALU_DEP_1) | instskip(NEXT) | instid1(VALU_DEP_1)
	v_lshrrev_b32_e32 v4, 16, v4
	v_cndmask_b32_e64 v3, 0x7fc0, v4, s1
	global_store_b16 v[0:1], v3, off offset:64
	s_or_b32 exec_lo, exec_lo, s2
	s_and_saveexec_b32 s1, s0
	s_cbranch_execz .LBB339_30
.LBB339_33:
	s_waitcnt vmcnt(0)
	v_mul_f32_e32 v3, 0x3fb8aa3b, v15
	v_cmp_ngt_f32_e64 s0, 0xc2ce8ed0, v15
	s_delay_alu instid0(VALU_DEP_2) | instskip(SKIP_1) | instid1(VALU_DEP_2)
	v_rndne_f32_e32 v4, v3
	v_fma_f32 v5, 0x3fb8aa3b, v15, -v3
	v_sub_f32_e32 v3, v3, v4
	s_delay_alu instid0(VALU_DEP_2) | instskip(SKIP_1) | instid1(VALU_DEP_2)
	v_fmamk_f32 v5, v15, 0x32a5705f, v5
	v_cvt_i32_f32_e32 v4, v4
	v_add_f32_e32 v3, v3, v5
	s_delay_alu instid0(VALU_DEP_1) | instskip(SKIP_2) | instid1(VALU_DEP_1)
	v_exp_f32_e32 v3, v3
	s_waitcnt_depctr 0xfff
	v_ldexp_f32 v3, v3, v4
	v_cndmask_b32_e64 v3, 0, v3, s0
	v_cmp_nlt_f32_e64 s0, 0x42b17218, v15
	s_delay_alu instid0(VALU_DEP_1) | instskip(NEXT) | instid1(VALU_DEP_1)
	v_cndmask_b32_e64 v3, 0x7f800000, v3, s0
	v_fma_f32 v3, -v2, v3, v11
	s_delay_alu instid0(VALU_DEP_1) | instskip(SKIP_1) | instid1(VALU_DEP_2)
	v_bfe_u32 v4, v3, 16, 1
	v_cmp_o_f32_e64 s0, v3, v3
	v_add3_u32 v4, v3, v4, 0x7fff
	s_delay_alu instid0(VALU_DEP_1) | instskip(NEXT) | instid1(VALU_DEP_1)
	v_lshrrev_b32_e32 v4, 16, v4
	v_cndmask_b32_e64 v3, 0x7fc0, v4, s0
	global_store_b16 v[0:1], v3, off offset:128
	s_or_b32 exec_lo, exec_lo, s1
	s_delay_alu instid0(SALU_CYCLE_1)
	s_and_b32 exec_lo, exec_lo, vcc_lo
	s_cbranch_execz .LBB339_22
.LBB339_34:
	s_waitcnt vmcnt(0)
	v_mul_f32_e32 v3, 0x3fb8aa3b, v16
	v_cmp_ngt_f32_e32 vcc_lo, 0xc2ce8ed0, v16
	s_delay_alu instid0(VALU_DEP_2) | instskip(SKIP_1) | instid1(VALU_DEP_2)
	v_rndne_f32_e32 v4, v3
	v_fma_f32 v5, 0x3fb8aa3b, v16, -v3
	v_sub_f32_e32 v3, v3, v4
	s_delay_alu instid0(VALU_DEP_2) | instskip(SKIP_1) | instid1(VALU_DEP_2)
	v_fmamk_f32 v5, v16, 0x32a5705f, v5
	v_cvt_i32_f32_e32 v4, v4
	v_add_f32_e32 v3, v3, v5
	s_delay_alu instid0(VALU_DEP_1) | instskip(SKIP_2) | instid1(VALU_DEP_1)
	v_exp_f32_e32 v3, v3
	s_waitcnt_depctr 0xfff
	v_ldexp_f32 v3, v3, v4
	v_cndmask_b32_e32 v3, 0, v3, vcc_lo
	v_cmp_nlt_f32_e32 vcc_lo, 0x42b17218, v16
	s_delay_alu instid0(VALU_DEP_2) | instskip(NEXT) | instid1(VALU_DEP_1)
	v_cndmask_b32_e32 v3, 0x7f800000, v3, vcc_lo
	v_fma_f32 v2, -v2, v3, v8
	s_delay_alu instid0(VALU_DEP_1) | instskip(SKIP_1) | instid1(VALU_DEP_2)
	v_bfe_u32 v3, v2, 16, 1
	v_cmp_o_f32_e32 vcc_lo, v2, v2
	v_add3_u32 v3, v2, v3, 0x7fff
	s_delay_alu instid0(VALU_DEP_1) | instskip(NEXT) | instid1(VALU_DEP_1)
	v_lshrrev_b32_e32 v3, 16, v3
	v_cndmask_b32_e32 v2, 0x7fc0, v3, vcc_lo
	global_store_b16 v[0:1], v2, off offset:192
	s_nop 0
	s_sendmsg sendmsg(MSG_DEALLOC_VGPRS)
	s_endpgm
	.section	.rodata,"a",@progbits
	.p2align	6, 0x0
	.amdhsa_kernel _ZN12_GLOBAL__N_121softmax_warp_backwardIfN3c108BFloat16EfLi7ELb1ELb0ELi32EEEvPT0_PKT_S7_iiiPKb
		.amdhsa_group_segment_fixed_size 0
		.amdhsa_private_segment_fixed_size 0
		.amdhsa_kernarg_size 304
		.amdhsa_user_sgpr_count 15
		.amdhsa_user_sgpr_dispatch_ptr 0
		.amdhsa_user_sgpr_queue_ptr 0
		.amdhsa_user_sgpr_kernarg_segment_ptr 1
		.amdhsa_user_sgpr_dispatch_id 0
		.amdhsa_user_sgpr_private_segment_size 0
		.amdhsa_wavefront_size32 1
		.amdhsa_uses_dynamic_stack 0
		.amdhsa_enable_private_segment 0
		.amdhsa_system_sgpr_workgroup_id_x 1
		.amdhsa_system_sgpr_workgroup_id_y 0
		.amdhsa_system_sgpr_workgroup_id_z 0
		.amdhsa_system_sgpr_workgroup_info 0
		.amdhsa_system_vgpr_workitem_id 1
		.amdhsa_next_free_vgpr 25
		.amdhsa_next_free_sgpr 16
		.amdhsa_reserve_vcc 1
		.amdhsa_float_round_mode_32 0
		.amdhsa_float_round_mode_16_64 0
		.amdhsa_float_denorm_mode_32 3
		.amdhsa_float_denorm_mode_16_64 3
		.amdhsa_dx10_clamp 1
		.amdhsa_ieee_mode 1
		.amdhsa_fp16_overflow 0
		.amdhsa_workgroup_processor_mode 1
		.amdhsa_memory_ordered 1
		.amdhsa_forward_progress 0
		.amdhsa_shared_vgpr_count 0
		.amdhsa_exception_fp_ieee_invalid_op 0
		.amdhsa_exception_fp_denorm_src 0
		.amdhsa_exception_fp_ieee_div_zero 0
		.amdhsa_exception_fp_ieee_overflow 0
		.amdhsa_exception_fp_ieee_underflow 0
		.amdhsa_exception_fp_ieee_inexact 0
		.amdhsa_exception_int_div_zero 0
	.end_amdhsa_kernel
	.section	.text._ZN12_GLOBAL__N_121softmax_warp_backwardIfN3c108BFloat16EfLi7ELb1ELb0ELi32EEEvPT0_PKT_S7_iiiPKb,"axG",@progbits,_ZN12_GLOBAL__N_121softmax_warp_backwardIfN3c108BFloat16EfLi7ELb1ELb0ELi32EEEvPT0_PKT_S7_iiiPKb,comdat
.Lfunc_end339:
	.size	_ZN12_GLOBAL__N_121softmax_warp_backwardIfN3c108BFloat16EfLi7ELb1ELb0ELi32EEEvPT0_PKT_S7_iiiPKb, .Lfunc_end339-_ZN12_GLOBAL__N_121softmax_warp_backwardIfN3c108BFloat16EfLi7ELb1ELb0ELi32EEEvPT0_PKT_S7_iiiPKb
                                        ; -- End function
	.section	.AMDGPU.csdata,"",@progbits
; Kernel info:
; codeLenInByte = 2920
; NumSgprs: 18
; NumVgprs: 25
; ScratchSize: 0
; MemoryBound: 0
; FloatMode: 240
; IeeeMode: 1
; LDSByteSize: 0 bytes/workgroup (compile time only)
; SGPRBlocks: 2
; VGPRBlocks: 3
; NumSGPRsForWavesPerEU: 18
; NumVGPRsForWavesPerEU: 25
; Occupancy: 16
; WaveLimiterHint : 0
; COMPUTE_PGM_RSRC2:SCRATCH_EN: 0
; COMPUTE_PGM_RSRC2:USER_SGPR: 15
; COMPUTE_PGM_RSRC2:TRAP_HANDLER: 0
; COMPUTE_PGM_RSRC2:TGID_X_EN: 1
; COMPUTE_PGM_RSRC2:TGID_Y_EN: 0
; COMPUTE_PGM_RSRC2:TGID_Z_EN: 0
; COMPUTE_PGM_RSRC2:TIDIG_COMP_CNT: 1
	.section	.text._ZN12_GLOBAL__N_121softmax_warp_backwardIfN3c108BFloat16EfLi8ELb1ELb0ELi64EEEvPT0_PKT_S7_iiiPKb,"axG",@progbits,_ZN12_GLOBAL__N_121softmax_warp_backwardIfN3c108BFloat16EfLi8ELb1ELb0ELi64EEEvPT0_PKT_S7_iiiPKb,comdat
	.globl	_ZN12_GLOBAL__N_121softmax_warp_backwardIfN3c108BFloat16EfLi8ELb1ELb0ELi64EEEvPT0_PKT_S7_iiiPKb ; -- Begin function _ZN12_GLOBAL__N_121softmax_warp_backwardIfN3c108BFloat16EfLi8ELb1ELb0ELi64EEEvPT0_PKT_S7_iiiPKb
	.p2align	8
	.type	_ZN12_GLOBAL__N_121softmax_warp_backwardIfN3c108BFloat16EfLi8ELb1ELb0ELi64EEEvPT0_PKT_S7_iiiPKb,@function
_ZN12_GLOBAL__N_121softmax_warp_backwardIfN3c108BFloat16EfLi8ELb1ELb0ELi64EEEvPT0_PKT_S7_iiiPKb: ; @_ZN12_GLOBAL__N_121softmax_warp_backwardIfN3c108BFloat16EfLi8ELb1ELb0ELi64EEEvPT0_PKT_S7_iiiPKb
; %bb.0:
	s_clause 0x1
	s_load_b32 s2, s[0:1], 0x3c
	s_load_b128 s[8:11], s[0:1], 0x18
	v_bfe_u32 v1, v0, 10, 10
	s_clause 0x1
	s_load_b128 s[4:7], s[0:1], 0x0
	s_load_b64 s[0:1], s[0:1], 0x10
	v_dual_mov_b32 v8, 0 :: v_dual_mov_b32 v13, 0
	v_mov_b32_e32 v11, 0
	s_waitcnt lgkmcnt(0)
	s_lshr_b32 s2, s2, 16
	s_delay_alu instid0(SALU_CYCLE_1) | instskip(SKIP_1) | instid1(VALU_DEP_1)
	v_mad_u64_u32 v[3:4], null, s15, s2, v[1:2]
	v_and_b32_e32 v2, 63, v0
	v_cmp_gt_i32_e64 s2, s10, v2
	s_delay_alu instid0(VALU_DEP_3) | instskip(SKIP_1) | instid1(VALU_DEP_1)
	v_mad_u64_u32 v[0:1], null, v3, s9, v[2:3]
	v_sub_nc_u32_e32 v14, s8, v3
	v_cmp_lt_i32_e64 s3, 0, v14
	s_delay_alu instid0(VALU_DEP_3) | instskip(NEXT) | instid1(VALU_DEP_1)
	v_ashrrev_i32_e32 v1, 31, v0
	v_lshlrev_b64 v[5:6], 2, v[0:1]
	s_delay_alu instid0(VALU_DEP_1) | instskip(NEXT) | instid1(VALU_DEP_2)
	v_add_co_u32 v3, vcc_lo, s6, v5
	v_add_co_ci_u32_e32 v4, vcc_lo, s7, v6, vcc_lo
	v_add_co_u32 v5, vcc_lo, s0, v5
	v_add_co_ci_u32_e32 v6, vcc_lo, s1, v6, vcc_lo
	s_and_b32 s1, s3, s2
	s_delay_alu instid0(SALU_CYCLE_1)
	s_and_saveexec_b32 s0, s1
	s_cbranch_execz .LBB340_2
; %bb.1:
	global_load_b32 v11, v[3:4], off
	global_load_b32 v13, v[5:6], off
.LBB340_2:
	s_or_b32 exec_lo, exec_lo, s0
	v_or_b32_e32 v7, 64, v2
	v_mov_b32_e32 v12, 0
	s_delay_alu instid0(VALU_DEP_2) | instskip(NEXT) | instid1(VALU_DEP_1)
	v_cmp_gt_i32_e64 s1, s10, v7
	s_and_b32 s6, s3, s1
	s_delay_alu instid0(SALU_CYCLE_1)
	s_and_saveexec_b32 s0, s6
	s_cbranch_execz .LBB340_4
; %bb.3:
	global_load_b32 v8, v[3:4], off offset:256
	global_load_b32 v12, v[5:6], off offset:256
.LBB340_4:
	s_or_b32 exec_lo, exec_lo, s0
	v_or_b32_e32 v7, 0x80, v2
	v_dual_mov_b32 v9, 0 :: v_dual_mov_b32 v10, 0
	s_delay_alu instid0(VALU_DEP_2) | instskip(SKIP_1) | instid1(VALU_DEP_2)
	v_cmp_gt_i32_e64 s0, s10, v7
	v_mov_b32_e32 v7, 0
	s_and_b32 s7, s3, s0
	s_delay_alu instid0(SALU_CYCLE_1)
	s_and_saveexec_b32 s6, s7
	s_cbranch_execz .LBB340_6
; %bb.5:
	global_load_b32 v9, v[3:4], off offset:512
	global_load_b32 v10, v[5:6], off offset:512
.LBB340_6:
	s_or_b32 exec_lo, exec_lo, s6
	v_or_b32_e32 v2, 0xc0, v2
	s_delay_alu instid0(VALU_DEP_1) | instskip(SKIP_2) | instid1(SALU_CYCLE_1)
	v_cmp_gt_i32_e32 vcc_lo, s10, v2
	v_mov_b32_e32 v2, 0
	s_and_b32 s6, s3, vcc_lo
	s_and_saveexec_b32 s3, s6
	s_cbranch_execz .LBB340_8
; %bb.7:
	global_load_b32 v7, v[3:4], off offset:768
	global_load_b32 v2, v[5:6], off offset:768
.LBB340_8:
	s_or_b32 exec_lo, exec_lo, s3
	v_mbcnt_lo_u32_b32 v4, -1, 0
	s_mov_b32 s6, exec_lo
	s_delay_alu instid0(VALU_DEP_1) | instskip(SKIP_1) | instid1(VALU_DEP_2)
	v_or_b32_e32 v5, 32, v4
	v_xor_b32_e32 v6, 16, v4
	v_cmp_gt_i32_e64 s3, 64, v5
	s_delay_alu instid0(VALU_DEP_1) | instskip(NEXT) | instid1(VALU_DEP_3)
	v_cndmask_b32_e64 v5, v4, v5, s3
	v_cmp_gt_i32_e64 s3, 64, v6
	s_delay_alu instid0(VALU_DEP_2) | instskip(NEXT) | instid1(VALU_DEP_2)
	v_lshlrev_b32_e32 v5, 2, v5
	v_cndmask_b32_e64 v6, v4, v6, s3
	s_waitcnt vmcnt(1)
	s_delay_alu instid0(VALU_DEP_1) | instskip(NEXT) | instid1(VALU_DEP_1)
	v_dual_add_f32 v3, 0, v11 :: v_dual_lshlrev_b32 v6, 2, v6
	v_add_f32_e32 v3, v3, v8
	s_delay_alu instid0(VALU_DEP_1) | instskip(NEXT) | instid1(VALU_DEP_1)
	v_add_f32_e32 v3, v3, v9
	v_add_f32_e32 v3, v3, v7
	ds_bpermute_b32 v5, v5, v3
	s_waitcnt lgkmcnt(0)
	v_add_f32_e32 v3, v3, v5
	ds_bpermute_b32 v5, v6, v3
	v_xor_b32_e32 v6, 8, v4
	s_delay_alu instid0(VALU_DEP_1) | instskip(NEXT) | instid1(VALU_DEP_1)
	v_cmp_gt_i32_e64 s3, 64, v6
	v_cndmask_b32_e64 v6, v4, v6, s3
	s_waitcnt lgkmcnt(0)
	s_delay_alu instid0(VALU_DEP_1) | instskip(SKIP_2) | instid1(VALU_DEP_1)
	v_dual_add_f32 v3, v3, v5 :: v_dual_lshlrev_b32 v6, 2, v6
	ds_bpermute_b32 v5, v6, v3
	v_xor_b32_e32 v6, 4, v4
	v_cmp_gt_i32_e64 s3, 64, v6
	s_delay_alu instid0(VALU_DEP_1) | instskip(SKIP_1) | instid1(VALU_DEP_1)
	v_cndmask_b32_e64 v6, v4, v6, s3
	s_waitcnt lgkmcnt(0)
	v_dual_add_f32 v3, v3, v5 :: v_dual_lshlrev_b32 v6, 2, v6
	ds_bpermute_b32 v5, v6, v3
	v_xor_b32_e32 v6, 2, v4
	s_delay_alu instid0(VALU_DEP_1) | instskip(NEXT) | instid1(VALU_DEP_1)
	v_cmp_gt_i32_e64 s3, 64, v6
	v_cndmask_b32_e64 v6, v4, v6, s3
	s_waitcnt lgkmcnt(0)
	s_delay_alu instid0(VALU_DEP_1) | instskip(SKIP_2) | instid1(VALU_DEP_1)
	v_dual_add_f32 v3, v3, v5 :: v_dual_lshlrev_b32 v6, 2, v6
	ds_bpermute_b32 v5, v6, v3
	v_xor_b32_e32 v6, 1, v4
	v_cmp_gt_i32_e64 s3, 64, v6
	s_delay_alu instid0(VALU_DEP_1) | instskip(SKIP_1) | instid1(VALU_DEP_1)
	v_cndmask_b32_e64 v4, v4, v6, s3
	s_waitcnt lgkmcnt(0)
	v_dual_add_f32 v3, v3, v5 :: v_dual_lshlrev_b32 v4, 2, v4
	ds_bpermute_b32 v4, v4, v3
	v_cmpx_lt_i32_e32 0, v14
	s_cbranch_execz .LBB340_14
; %bb.9:
	v_lshlrev_b64 v[0:1], 1, v[0:1]
	s_waitcnt lgkmcnt(0)
	v_add_f32_e32 v3, v3, v4
	s_delay_alu instid0(VALU_DEP_2) | instskip(NEXT) | instid1(VALU_DEP_1)
	v_add_co_u32 v0, s3, s4, v0
	v_add_co_ci_u32_e64 v1, s3, s5, v1, s3
	s_and_saveexec_b32 s3, s2
	s_cbranch_execnz .LBB340_15
; %bb.10:
	s_or_b32 exec_lo, exec_lo, s3
	s_and_saveexec_b32 s2, s1
	s_cbranch_execnz .LBB340_16
.LBB340_11:
	s_or_b32 exec_lo, exec_lo, s2
	s_and_saveexec_b32 s1, s0
	s_cbranch_execnz .LBB340_17
.LBB340_12:
	s_or_b32 exec_lo, exec_lo, s1
	s_delay_alu instid0(SALU_CYCLE_1)
	s_and_b32 exec_lo, exec_lo, vcc_lo
	s_cbranch_execz .LBB340_14
.LBB340_13:
	s_waitcnt vmcnt(0)
	v_mul_f32_e32 v4, 0x3fb8aa3b, v2
	v_cmp_ngt_f32_e32 vcc_lo, 0xc2ce8ed0, v2
	s_delay_alu instid0(VALU_DEP_2) | instskip(SKIP_1) | instid1(VALU_DEP_2)
	v_rndne_f32_e32 v5, v4
	v_fma_f32 v6, 0x3fb8aa3b, v2, -v4
	v_sub_f32_e32 v4, v4, v5
	s_delay_alu instid0(VALU_DEP_2) | instskip(SKIP_1) | instid1(VALU_DEP_2)
	v_fmamk_f32 v6, v2, 0x32a5705f, v6
	v_cvt_i32_f32_e32 v5, v5
	v_add_f32_e32 v4, v4, v6
	s_delay_alu instid0(VALU_DEP_1) | instskip(SKIP_2) | instid1(VALU_DEP_1)
	v_exp_f32_e32 v4, v4
	s_waitcnt_depctr 0xfff
	v_ldexp_f32 v4, v4, v5
	v_cndmask_b32_e32 v4, 0, v4, vcc_lo
	v_cmp_nlt_f32_e32 vcc_lo, 0x42b17218, v2
	s_delay_alu instid0(VALU_DEP_2) | instskip(NEXT) | instid1(VALU_DEP_1)
	v_cndmask_b32_e32 v2, 0x7f800000, v4, vcc_lo
	v_fma_f32 v2, -v3, v2, v7
	s_delay_alu instid0(VALU_DEP_1) | instskip(SKIP_1) | instid1(VALU_DEP_2)
	v_bfe_u32 v3, v2, 16, 1
	v_cmp_o_f32_e32 vcc_lo, v2, v2
	v_add3_u32 v3, v2, v3, 0x7fff
	s_delay_alu instid0(VALU_DEP_1) | instskip(NEXT) | instid1(VALU_DEP_1)
	v_lshrrev_b32_e32 v3, 16, v3
	v_cndmask_b32_e32 v2, 0x7fc0, v3, vcc_lo
	global_store_b16 v[0:1], v2, off offset:384
.LBB340_14:
	s_nop 0
	s_sendmsg sendmsg(MSG_DEALLOC_VGPRS)
	s_endpgm
.LBB340_15:
	s_waitcnt vmcnt(0)
	v_mul_f32_e32 v4, 0x3fb8aa3b, v13
	v_cmp_ngt_f32_e64 s2, 0xc2ce8ed0, v13
	s_delay_alu instid0(VALU_DEP_2) | instskip(SKIP_1) | instid1(VALU_DEP_2)
	v_rndne_f32_e32 v5, v4
	v_fma_f32 v6, 0x3fb8aa3b, v13, -v4
	v_sub_f32_e32 v4, v4, v5
	s_delay_alu instid0(VALU_DEP_2) | instskip(SKIP_1) | instid1(VALU_DEP_2)
	v_fmamk_f32 v6, v13, 0x32a5705f, v6
	v_cvt_i32_f32_e32 v5, v5
	v_add_f32_e32 v4, v4, v6
	s_delay_alu instid0(VALU_DEP_1) | instskip(SKIP_2) | instid1(VALU_DEP_1)
	v_exp_f32_e32 v4, v4
	s_waitcnt_depctr 0xfff
	v_ldexp_f32 v4, v4, v5
	v_cndmask_b32_e64 v4, 0, v4, s2
	v_cmp_nlt_f32_e64 s2, 0x42b17218, v13
	s_delay_alu instid0(VALU_DEP_1) | instskip(NEXT) | instid1(VALU_DEP_1)
	v_cndmask_b32_e64 v4, 0x7f800000, v4, s2
	v_fma_f32 v4, -v3, v4, v11
	s_delay_alu instid0(VALU_DEP_1) | instskip(SKIP_1) | instid1(VALU_DEP_2)
	v_bfe_u32 v5, v4, 16, 1
	v_cmp_o_f32_e64 s2, v4, v4
	v_add3_u32 v5, v4, v5, 0x7fff
	s_delay_alu instid0(VALU_DEP_1) | instskip(NEXT) | instid1(VALU_DEP_1)
	v_lshrrev_b32_e32 v5, 16, v5
	v_cndmask_b32_e64 v4, 0x7fc0, v5, s2
	global_store_b16 v[0:1], v4, off
	s_or_b32 exec_lo, exec_lo, s3
	s_and_saveexec_b32 s2, s1
	s_cbranch_execz .LBB340_11
.LBB340_16:
	s_waitcnt vmcnt(0)
	v_mul_f32_e32 v4, 0x3fb8aa3b, v12
	v_cmp_ngt_f32_e64 s1, 0xc2ce8ed0, v12
	s_delay_alu instid0(VALU_DEP_2) | instskip(SKIP_1) | instid1(VALU_DEP_2)
	v_rndne_f32_e32 v5, v4
	v_fma_f32 v6, 0x3fb8aa3b, v12, -v4
	v_sub_f32_e32 v4, v4, v5
	s_delay_alu instid0(VALU_DEP_2) | instskip(SKIP_1) | instid1(VALU_DEP_2)
	v_fmamk_f32 v6, v12, 0x32a5705f, v6
	v_cvt_i32_f32_e32 v5, v5
	v_add_f32_e32 v4, v4, v6
	s_delay_alu instid0(VALU_DEP_1) | instskip(SKIP_2) | instid1(VALU_DEP_1)
	v_exp_f32_e32 v4, v4
	s_waitcnt_depctr 0xfff
	v_ldexp_f32 v4, v4, v5
	v_cndmask_b32_e64 v4, 0, v4, s1
	v_cmp_nlt_f32_e64 s1, 0x42b17218, v12
	s_delay_alu instid0(VALU_DEP_1) | instskip(NEXT) | instid1(VALU_DEP_1)
	v_cndmask_b32_e64 v4, 0x7f800000, v4, s1
	v_fma_f32 v4, -v3, v4, v8
	s_delay_alu instid0(VALU_DEP_1) | instskip(SKIP_1) | instid1(VALU_DEP_2)
	v_bfe_u32 v5, v4, 16, 1
	v_cmp_o_f32_e64 s1, v4, v4
	v_add3_u32 v5, v4, v5, 0x7fff
	s_delay_alu instid0(VALU_DEP_1) | instskip(NEXT) | instid1(VALU_DEP_1)
	v_lshrrev_b32_e32 v5, 16, v5
	v_cndmask_b32_e64 v4, 0x7fc0, v5, s1
	global_store_b16 v[0:1], v4, off offset:128
	s_or_b32 exec_lo, exec_lo, s2
	s_and_saveexec_b32 s1, s0
	s_cbranch_execz .LBB340_12
.LBB340_17:
	s_waitcnt vmcnt(0)
	v_mul_f32_e32 v4, 0x3fb8aa3b, v10
	v_cmp_ngt_f32_e64 s0, 0xc2ce8ed0, v10
	s_delay_alu instid0(VALU_DEP_2) | instskip(SKIP_1) | instid1(VALU_DEP_2)
	v_rndne_f32_e32 v5, v4
	v_fma_f32 v6, 0x3fb8aa3b, v10, -v4
	v_sub_f32_e32 v4, v4, v5
	s_delay_alu instid0(VALU_DEP_2) | instskip(SKIP_1) | instid1(VALU_DEP_2)
	v_fmamk_f32 v6, v10, 0x32a5705f, v6
	v_cvt_i32_f32_e32 v5, v5
	v_add_f32_e32 v4, v4, v6
	s_delay_alu instid0(VALU_DEP_1) | instskip(SKIP_2) | instid1(VALU_DEP_1)
	v_exp_f32_e32 v4, v4
	s_waitcnt_depctr 0xfff
	v_ldexp_f32 v4, v4, v5
	v_cndmask_b32_e64 v4, 0, v4, s0
	v_cmp_nlt_f32_e64 s0, 0x42b17218, v10
	s_delay_alu instid0(VALU_DEP_1) | instskip(NEXT) | instid1(VALU_DEP_1)
	v_cndmask_b32_e64 v4, 0x7f800000, v4, s0
	v_fma_f32 v4, -v3, v4, v9
	s_delay_alu instid0(VALU_DEP_1) | instskip(SKIP_1) | instid1(VALU_DEP_2)
	v_bfe_u32 v5, v4, 16, 1
	v_cmp_o_f32_e64 s0, v4, v4
	v_add3_u32 v5, v4, v5, 0x7fff
	s_delay_alu instid0(VALU_DEP_1) | instskip(NEXT) | instid1(VALU_DEP_1)
	v_lshrrev_b32_e32 v5, 16, v5
	v_cndmask_b32_e64 v4, 0x7fc0, v5, s0
	global_store_b16 v[0:1], v4, off offset:256
	s_or_b32 exec_lo, exec_lo, s1
	s_delay_alu instid0(SALU_CYCLE_1)
	s_and_b32 exec_lo, exec_lo, vcc_lo
	s_cbranch_execnz .LBB340_13
	s_branch .LBB340_14
	.section	.rodata,"a",@progbits
	.p2align	6, 0x0
	.amdhsa_kernel _ZN12_GLOBAL__N_121softmax_warp_backwardIfN3c108BFloat16EfLi8ELb1ELb0ELi64EEEvPT0_PKT_S7_iiiPKb
		.amdhsa_group_segment_fixed_size 0
		.amdhsa_private_segment_fixed_size 0
		.amdhsa_kernarg_size 304
		.amdhsa_user_sgpr_count 15
		.amdhsa_user_sgpr_dispatch_ptr 0
		.amdhsa_user_sgpr_queue_ptr 0
		.amdhsa_user_sgpr_kernarg_segment_ptr 1
		.amdhsa_user_sgpr_dispatch_id 0
		.amdhsa_user_sgpr_private_segment_size 0
		.amdhsa_wavefront_size32 1
		.amdhsa_uses_dynamic_stack 0
		.amdhsa_enable_private_segment 0
		.amdhsa_system_sgpr_workgroup_id_x 1
		.amdhsa_system_sgpr_workgroup_id_y 0
		.amdhsa_system_sgpr_workgroup_id_z 0
		.amdhsa_system_sgpr_workgroup_info 0
		.amdhsa_system_vgpr_workitem_id 1
		.amdhsa_next_free_vgpr 15
		.amdhsa_next_free_sgpr 16
		.amdhsa_reserve_vcc 1
		.amdhsa_float_round_mode_32 0
		.amdhsa_float_round_mode_16_64 0
		.amdhsa_float_denorm_mode_32 3
		.amdhsa_float_denorm_mode_16_64 3
		.amdhsa_dx10_clamp 1
		.amdhsa_ieee_mode 1
		.amdhsa_fp16_overflow 0
		.amdhsa_workgroup_processor_mode 1
		.amdhsa_memory_ordered 1
		.amdhsa_forward_progress 0
		.amdhsa_shared_vgpr_count 0
		.amdhsa_exception_fp_ieee_invalid_op 0
		.amdhsa_exception_fp_denorm_src 0
		.amdhsa_exception_fp_ieee_div_zero 0
		.amdhsa_exception_fp_ieee_overflow 0
		.amdhsa_exception_fp_ieee_underflow 0
		.amdhsa_exception_fp_ieee_inexact 0
		.amdhsa_exception_int_div_zero 0
	.end_amdhsa_kernel
	.section	.text._ZN12_GLOBAL__N_121softmax_warp_backwardIfN3c108BFloat16EfLi8ELb1ELb0ELi64EEEvPT0_PKT_S7_iiiPKb,"axG",@progbits,_ZN12_GLOBAL__N_121softmax_warp_backwardIfN3c108BFloat16EfLi8ELb1ELb0ELi64EEEvPT0_PKT_S7_iiiPKb,comdat
.Lfunc_end340:
	.size	_ZN12_GLOBAL__N_121softmax_warp_backwardIfN3c108BFloat16EfLi8ELb1ELb0ELi64EEEvPT0_PKT_S7_iiiPKb, .Lfunc_end340-_ZN12_GLOBAL__N_121softmax_warp_backwardIfN3c108BFloat16EfLi8ELb1ELb0ELi64EEEvPT0_PKT_S7_iiiPKb
                                        ; -- End function
	.section	.AMDGPU.csdata,"",@progbits
; Kernel info:
; codeLenInByte = 1572
; NumSgprs: 18
; NumVgprs: 15
; ScratchSize: 0
; MemoryBound: 0
; FloatMode: 240
; IeeeMode: 1
; LDSByteSize: 0 bytes/workgroup (compile time only)
; SGPRBlocks: 2
; VGPRBlocks: 1
; NumSGPRsForWavesPerEU: 18
; NumVGPRsForWavesPerEU: 15
; Occupancy: 16
; WaveLimiterHint : 0
; COMPUTE_PGM_RSRC2:SCRATCH_EN: 0
; COMPUTE_PGM_RSRC2:USER_SGPR: 15
; COMPUTE_PGM_RSRC2:TRAP_HANDLER: 0
; COMPUTE_PGM_RSRC2:TGID_X_EN: 1
; COMPUTE_PGM_RSRC2:TGID_Y_EN: 0
; COMPUTE_PGM_RSRC2:TGID_Z_EN: 0
; COMPUTE_PGM_RSRC2:TIDIG_COMP_CNT: 1
	.section	.text._ZN12_GLOBAL__N_121softmax_warp_backwardIfN3c108BFloat16EfLi8ELb1ELb0ELi32EEEvPT0_PKT_S7_iiiPKb,"axG",@progbits,_ZN12_GLOBAL__N_121softmax_warp_backwardIfN3c108BFloat16EfLi8ELb1ELb0ELi32EEEvPT0_PKT_S7_iiiPKb,comdat
	.globl	_ZN12_GLOBAL__N_121softmax_warp_backwardIfN3c108BFloat16EfLi8ELb1ELb0ELi32EEEvPT0_PKT_S7_iiiPKb ; -- Begin function _ZN12_GLOBAL__N_121softmax_warp_backwardIfN3c108BFloat16EfLi8ELb1ELb0ELi32EEEvPT0_PKT_S7_iiiPKb
	.p2align	8
	.type	_ZN12_GLOBAL__N_121softmax_warp_backwardIfN3c108BFloat16EfLi8ELb1ELb0ELi32EEEvPT0_PKT_S7_iiiPKb,@function
_ZN12_GLOBAL__N_121softmax_warp_backwardIfN3c108BFloat16EfLi8ELb1ELb0ELi32EEEvPT0_PKT_S7_iiiPKb: ; @_ZN12_GLOBAL__N_121softmax_warp_backwardIfN3c108BFloat16EfLi8ELb1ELb0ELi32EEEvPT0_PKT_S7_iiiPKb
; %bb.0:
	s_clause 0x1
	s_load_b32 s2, s[0:1], 0x3c
	s_load_b128 s[16:19], s[0:1], 0x18
	v_bfe_u32 v1, v0, 10, 10
	s_clause 0x1
	s_load_b128 s[8:11], s[0:1], 0x0
	s_load_b64 s[0:1], s[0:1], 0x10
	v_mov_b32_e32 v19, 0
	v_mov_b32_e32 v21, 0
	;; [unrolled: 1-line block ×3, first 2 shown]
	s_waitcnt lgkmcnt(0)
	s_lshr_b32 s2, s2, 16
	s_delay_alu instid0(SALU_CYCLE_1) | instskip(SKIP_1) | instid1(VALU_DEP_1)
	v_mad_u64_u32 v[3:4], null, s15, s2, v[1:2]
	v_and_b32_e32 v2, 31, v0
	v_cmp_gt_i32_e64 s6, s18, v2
	s_delay_alu instid0(VALU_DEP_3) | instskip(SKIP_1) | instid1(VALU_DEP_1)
	v_mad_u64_u32 v[0:1], null, v3, s17, v[2:3]
	v_sub_nc_u32_e32 v22, s16, v3
	v_cmp_lt_i32_e64 s7, 0, v22
	s_delay_alu instid0(VALU_DEP_3) | instskip(NEXT) | instid1(VALU_DEP_1)
	v_ashrrev_i32_e32 v1, 31, v0
	v_lshlrev_b64 v[5:6], 2, v[0:1]
	s_delay_alu instid0(VALU_DEP_1) | instskip(NEXT) | instid1(VALU_DEP_2)
	v_add_co_u32 v3, vcc_lo, s10, v5
	v_add_co_ci_u32_e32 v4, vcc_lo, s11, v6, vcc_lo
	v_add_co_u32 v5, vcc_lo, s0, v5
	v_add_co_ci_u32_e32 v6, vcc_lo, s1, v6, vcc_lo
	s_and_b32 s1, s7, s6
	s_delay_alu instid0(SALU_CYCLE_1)
	s_and_saveexec_b32 s0, s1
	s_cbranch_execz .LBB341_2
; %bb.1:
	global_load_b32 v19, v[3:4], off
	global_load_b32 v21, v[5:6], off
.LBB341_2:
	s_or_b32 exec_lo, exec_lo, s0
	v_or_b32_e32 v7, 32, v2
	v_mov_b32_e32 v20, 0
	s_delay_alu instid0(VALU_DEP_2) | instskip(NEXT) | instid1(VALU_DEP_1)
	v_cmp_gt_i32_e64 s5, s18, v7
	s_and_b32 s1, s7, s5
	s_delay_alu instid0(SALU_CYCLE_1)
	s_and_saveexec_b32 s0, s1
	s_cbranch_execz .LBB341_4
; %bb.3:
	global_load_b32 v13, v[3:4], off offset:128
	global_load_b32 v20, v[5:6], off offset:128
.LBB341_4:
	s_or_b32 exec_lo, exec_lo, s0
	v_or_b32_e32 v7, 64, v2
	v_dual_mov_b32 v10, 0 :: v_dual_mov_b32 v17, 0
	v_mov_b32_e32 v18, 0
	s_delay_alu instid0(VALU_DEP_3) | instskip(NEXT) | instid1(VALU_DEP_1)
	v_cmp_gt_i32_e64 s4, s18, v7
	s_and_b32 s1, s7, s4
	s_delay_alu instid0(SALU_CYCLE_1)
	s_and_saveexec_b32 s0, s1
	s_cbranch_execz .LBB341_6
; %bb.5:
	global_load_b32 v17, v[3:4], off offset:256
	global_load_b32 v18, v[5:6], off offset:256
.LBB341_6:
	s_or_b32 exec_lo, exec_lo, s0
	v_or_b32_e32 v7, 0x60, v2
	v_mov_b32_e32 v16, 0
	s_delay_alu instid0(VALU_DEP_2) | instskip(NEXT) | instid1(VALU_DEP_1)
	v_cmp_gt_i32_e64 s3, s18, v7
	s_and_b32 s1, s7, s3
	s_delay_alu instid0(SALU_CYCLE_1)
	s_and_saveexec_b32 s0, s1
	s_cbranch_execz .LBB341_8
; %bb.7:
	global_load_b32 v10, v[3:4], off offset:384
	global_load_b32 v16, v[5:6], off offset:384
.LBB341_8:
	s_or_b32 exec_lo, exec_lo, s0
	v_or_b32_e32 v7, 0x80, v2
	v_dual_mov_b32 v8, 0 :: v_dual_mov_b32 v15, 0
	v_mov_b32_e32 v14, 0
	s_delay_alu instid0(VALU_DEP_3) | instskip(NEXT) | instid1(VALU_DEP_1)
	v_cmp_gt_i32_e64 s2, s18, v7
	s_and_b32 s1, s7, s2
	s_delay_alu instid0(SALU_CYCLE_1)
	s_and_saveexec_b32 s0, s1
	s_cbranch_execz .LBB341_10
; %bb.9:
	global_load_b32 v14, v[3:4], off offset:512
	global_load_b32 v15, v[5:6], off offset:512
.LBB341_10:
	s_or_b32 exec_lo, exec_lo, s0
	v_or_b32_e32 v7, 0xa0, v2
	v_mov_b32_e32 v12, 0
	s_delay_alu instid0(VALU_DEP_2) | instskip(NEXT) | instid1(VALU_DEP_1)
	v_cmp_gt_i32_e64 s1, s18, v7
	s_and_b32 s10, s7, s1
	s_delay_alu instid0(SALU_CYCLE_1)
	s_and_saveexec_b32 s0, s10
	s_cbranch_execz .LBB341_12
; %bb.11:
	global_load_b32 v8, v[3:4], off offset:640
	global_load_b32 v12, v[5:6], off offset:640
.LBB341_12:
	s_or_b32 exec_lo, exec_lo, s0
	v_or_b32_e32 v7, 0xc0, v2
	v_mov_b32_e32 v9, 0
	v_mov_b32_e32 v11, 0
	s_delay_alu instid0(VALU_DEP_3) | instskip(SKIP_1) | instid1(VALU_DEP_2)
	v_cmp_gt_i32_e64 s0, s18, v7
	v_mov_b32_e32 v7, 0
	s_and_b32 s11, s7, s0
	s_delay_alu instid0(SALU_CYCLE_1)
	s_and_saveexec_b32 s10, s11
	s_cbranch_execz .LBB341_14
; %bb.13:
	global_load_b32 v9, v[3:4], off offset:768
	global_load_b32 v11, v[5:6], off offset:768
.LBB341_14:
	s_or_b32 exec_lo, exec_lo, s10
	v_or_b32_e32 v2, 0xe0, v2
	s_delay_alu instid0(VALU_DEP_1) | instskip(SKIP_2) | instid1(SALU_CYCLE_1)
	v_cmp_gt_i32_e32 vcc_lo, s18, v2
	v_mov_b32_e32 v2, 0
	s_and_b32 s10, s7, vcc_lo
	s_and_saveexec_b32 s7, s10
	s_cbranch_execz .LBB341_16
; %bb.15:
	global_load_b32 v7, v[3:4], off offset:896
	global_load_b32 v2, v[5:6], off offset:896
.LBB341_16:
	s_or_b32 exec_lo, exec_lo, s7
	v_mbcnt_lo_u32_b32 v4, -1, 0
	s_mov_b32 s10, exec_lo
	s_delay_alu instid0(VALU_DEP_1) | instskip(SKIP_1) | instid1(VALU_DEP_2)
	v_xor_b32_e32 v5, 16, v4
	v_xor_b32_e32 v6, 8, v4
	v_cmp_gt_i32_e64 s7, 32, v5
	s_delay_alu instid0(VALU_DEP_1) | instskip(NEXT) | instid1(VALU_DEP_3)
	v_cndmask_b32_e64 v5, v4, v5, s7
	v_cmp_gt_i32_e64 s7, 32, v6
	s_delay_alu instid0(VALU_DEP_2) | instskip(NEXT) | instid1(VALU_DEP_2)
	v_lshlrev_b32_e32 v5, 2, v5
	v_cndmask_b32_e64 v6, v4, v6, s7
	s_waitcnt vmcnt(1)
	s_delay_alu instid0(VALU_DEP_1) | instskip(NEXT) | instid1(VALU_DEP_1)
	v_dual_add_f32 v3, 0, v19 :: v_dual_lshlrev_b32 v6, 2, v6
	v_add_f32_e32 v3, v3, v13
	s_delay_alu instid0(VALU_DEP_1) | instskip(NEXT) | instid1(VALU_DEP_1)
	v_add_f32_e32 v3, v3, v17
	v_add_f32_e32 v3, v3, v10
	s_delay_alu instid0(VALU_DEP_1) | instskip(NEXT) | instid1(VALU_DEP_1)
	v_add_f32_e32 v3, v3, v14
	;; [unrolled: 3-line block ×3, first 2 shown]
	v_add_f32_e32 v3, v3, v7
	ds_bpermute_b32 v5, v5, v3
	s_waitcnt lgkmcnt(0)
	v_add_f32_e32 v3, v3, v5
	ds_bpermute_b32 v5, v6, v3
	v_xor_b32_e32 v6, 4, v4
	s_delay_alu instid0(VALU_DEP_1) | instskip(NEXT) | instid1(VALU_DEP_1)
	v_cmp_gt_i32_e64 s7, 32, v6
	v_cndmask_b32_e64 v6, v4, v6, s7
	s_waitcnt lgkmcnt(0)
	s_delay_alu instid0(VALU_DEP_1) | instskip(SKIP_2) | instid1(VALU_DEP_1)
	v_dual_add_f32 v3, v3, v5 :: v_dual_lshlrev_b32 v6, 2, v6
	ds_bpermute_b32 v5, v6, v3
	v_xor_b32_e32 v6, 2, v4
	v_cmp_gt_i32_e64 s7, 32, v6
	s_delay_alu instid0(VALU_DEP_1) | instskip(SKIP_1) | instid1(VALU_DEP_1)
	v_cndmask_b32_e64 v6, v4, v6, s7
	s_waitcnt lgkmcnt(0)
	v_dual_add_f32 v3, v3, v5 :: v_dual_lshlrev_b32 v6, 2, v6
	ds_bpermute_b32 v5, v6, v3
	v_xor_b32_e32 v6, 1, v4
	s_delay_alu instid0(VALU_DEP_1) | instskip(NEXT) | instid1(VALU_DEP_1)
	v_cmp_gt_i32_e64 s7, 32, v6
	v_cndmask_b32_e64 v4, v4, v6, s7
	s_waitcnt lgkmcnt(0)
	s_delay_alu instid0(VALU_DEP_1)
	v_dual_add_f32 v3, v3, v5 :: v_dual_lshlrev_b32 v4, 2, v4
	ds_bpermute_b32 v4, v4, v3
	v_cmpx_lt_i32_e32 0, v22
	s_cbranch_execz .LBB341_26
; %bb.17:
	v_lshlrev_b64 v[0:1], 1, v[0:1]
	s_waitcnt lgkmcnt(0)
	v_add_f32_e32 v3, v3, v4
	s_delay_alu instid0(VALU_DEP_2) | instskip(NEXT) | instid1(VALU_DEP_1)
	v_add_co_u32 v0, s7, s8, v0
	v_add_co_ci_u32_e64 v1, s7, s9, v1, s7
	s_and_saveexec_b32 s7, s6
	s_cbranch_execnz .LBB341_27
; %bb.18:
	s_or_b32 exec_lo, exec_lo, s7
	s_and_saveexec_b32 s6, s5
	s_cbranch_execnz .LBB341_28
.LBB341_19:
	s_or_b32 exec_lo, exec_lo, s6
	s_and_saveexec_b32 s5, s4
	s_cbranch_execnz .LBB341_29
.LBB341_20:
	s_or_b32 exec_lo, exec_lo, s5
	s_and_saveexec_b32 s4, s3
	s_cbranch_execnz .LBB341_30
.LBB341_21:
	s_or_b32 exec_lo, exec_lo, s4
	s_and_saveexec_b32 s3, s2
	s_cbranch_execnz .LBB341_31
.LBB341_22:
	s_or_b32 exec_lo, exec_lo, s3
	s_and_saveexec_b32 s2, s1
	s_cbranch_execnz .LBB341_32
.LBB341_23:
	s_or_b32 exec_lo, exec_lo, s2
	s_and_saveexec_b32 s1, s0
	s_cbranch_execnz .LBB341_33
.LBB341_24:
	s_or_b32 exec_lo, exec_lo, s1
	s_delay_alu instid0(SALU_CYCLE_1)
	s_and_b32 exec_lo, exec_lo, vcc_lo
	s_cbranch_execz .LBB341_26
.LBB341_25:
	s_waitcnt vmcnt(0)
	v_mul_f32_e32 v4, 0x3fb8aa3b, v2
	v_cmp_ngt_f32_e32 vcc_lo, 0xc2ce8ed0, v2
	s_delay_alu instid0(VALU_DEP_2) | instskip(SKIP_1) | instid1(VALU_DEP_2)
	v_rndne_f32_e32 v5, v4
	v_fma_f32 v6, 0x3fb8aa3b, v2, -v4
	v_sub_f32_e32 v4, v4, v5
	s_delay_alu instid0(VALU_DEP_2) | instskip(SKIP_1) | instid1(VALU_DEP_2)
	v_fmamk_f32 v6, v2, 0x32a5705f, v6
	v_cvt_i32_f32_e32 v5, v5
	v_add_f32_e32 v4, v4, v6
	s_delay_alu instid0(VALU_DEP_1) | instskip(SKIP_2) | instid1(VALU_DEP_1)
	v_exp_f32_e32 v4, v4
	s_waitcnt_depctr 0xfff
	v_ldexp_f32 v4, v4, v5
	v_cndmask_b32_e32 v4, 0, v4, vcc_lo
	v_cmp_nlt_f32_e32 vcc_lo, 0x42b17218, v2
	s_delay_alu instid0(VALU_DEP_2) | instskip(NEXT) | instid1(VALU_DEP_1)
	v_cndmask_b32_e32 v2, 0x7f800000, v4, vcc_lo
	v_fma_f32 v2, -v3, v2, v7
	s_delay_alu instid0(VALU_DEP_1) | instskip(SKIP_1) | instid1(VALU_DEP_2)
	v_bfe_u32 v3, v2, 16, 1
	v_cmp_o_f32_e32 vcc_lo, v2, v2
	v_add3_u32 v3, v2, v3, 0x7fff
	s_delay_alu instid0(VALU_DEP_1) | instskip(NEXT) | instid1(VALU_DEP_1)
	v_lshrrev_b32_e32 v3, 16, v3
	v_cndmask_b32_e32 v2, 0x7fc0, v3, vcc_lo
	global_store_b16 v[0:1], v2, off offset:448
.LBB341_26:
	s_nop 0
	s_sendmsg sendmsg(MSG_DEALLOC_VGPRS)
	s_endpgm
.LBB341_27:
	s_waitcnt vmcnt(0)
	v_mul_f32_e32 v4, 0x3fb8aa3b, v21
	v_cmp_ngt_f32_e64 s6, 0xc2ce8ed0, v21
	s_delay_alu instid0(VALU_DEP_2) | instskip(SKIP_1) | instid1(VALU_DEP_2)
	v_rndne_f32_e32 v5, v4
	v_fma_f32 v6, 0x3fb8aa3b, v21, -v4
	v_sub_f32_e32 v4, v4, v5
	s_delay_alu instid0(VALU_DEP_2) | instskip(SKIP_1) | instid1(VALU_DEP_2)
	v_fmamk_f32 v6, v21, 0x32a5705f, v6
	v_cvt_i32_f32_e32 v5, v5
	v_add_f32_e32 v4, v4, v6
	s_delay_alu instid0(VALU_DEP_1) | instskip(SKIP_2) | instid1(VALU_DEP_1)
	v_exp_f32_e32 v4, v4
	s_waitcnt_depctr 0xfff
	v_ldexp_f32 v4, v4, v5
	v_cndmask_b32_e64 v4, 0, v4, s6
	v_cmp_nlt_f32_e64 s6, 0x42b17218, v21
	s_delay_alu instid0(VALU_DEP_1) | instskip(NEXT) | instid1(VALU_DEP_1)
	v_cndmask_b32_e64 v4, 0x7f800000, v4, s6
	v_fma_f32 v4, -v3, v4, v19
	s_delay_alu instid0(VALU_DEP_1) | instskip(SKIP_1) | instid1(VALU_DEP_2)
	v_bfe_u32 v5, v4, 16, 1
	v_cmp_o_f32_e64 s6, v4, v4
	v_add3_u32 v5, v4, v5, 0x7fff
	s_delay_alu instid0(VALU_DEP_1) | instskip(NEXT) | instid1(VALU_DEP_1)
	v_lshrrev_b32_e32 v5, 16, v5
	v_cndmask_b32_e64 v4, 0x7fc0, v5, s6
	global_store_b16 v[0:1], v4, off
	s_or_b32 exec_lo, exec_lo, s7
	s_and_saveexec_b32 s6, s5
	s_cbranch_execz .LBB341_19
.LBB341_28:
	s_waitcnt vmcnt(0)
	v_mul_f32_e32 v4, 0x3fb8aa3b, v20
	v_cmp_ngt_f32_e64 s5, 0xc2ce8ed0, v20
	s_delay_alu instid0(VALU_DEP_2) | instskip(SKIP_1) | instid1(VALU_DEP_2)
	v_rndne_f32_e32 v5, v4
	v_fma_f32 v6, 0x3fb8aa3b, v20, -v4
	v_sub_f32_e32 v4, v4, v5
	s_delay_alu instid0(VALU_DEP_2) | instskip(SKIP_1) | instid1(VALU_DEP_2)
	v_fmamk_f32 v6, v20, 0x32a5705f, v6
	v_cvt_i32_f32_e32 v5, v5
	v_add_f32_e32 v4, v4, v6
	s_delay_alu instid0(VALU_DEP_1) | instskip(SKIP_2) | instid1(VALU_DEP_1)
	v_exp_f32_e32 v4, v4
	s_waitcnt_depctr 0xfff
	v_ldexp_f32 v4, v4, v5
	v_cndmask_b32_e64 v4, 0, v4, s5
	v_cmp_nlt_f32_e64 s5, 0x42b17218, v20
	s_delay_alu instid0(VALU_DEP_1) | instskip(NEXT) | instid1(VALU_DEP_1)
	v_cndmask_b32_e64 v4, 0x7f800000, v4, s5
	v_fma_f32 v4, -v3, v4, v13
	s_delay_alu instid0(VALU_DEP_1) | instskip(SKIP_1) | instid1(VALU_DEP_2)
	v_bfe_u32 v5, v4, 16, 1
	v_cmp_o_f32_e64 s5, v4, v4
	v_add3_u32 v5, v4, v5, 0x7fff
	s_delay_alu instid0(VALU_DEP_1) | instskip(NEXT) | instid1(VALU_DEP_1)
	v_lshrrev_b32_e32 v5, 16, v5
	v_cndmask_b32_e64 v4, 0x7fc0, v5, s5
	global_store_b16 v[0:1], v4, off offset:64
	s_or_b32 exec_lo, exec_lo, s6
	s_and_saveexec_b32 s5, s4
	s_cbranch_execz .LBB341_20
.LBB341_29:
	s_waitcnt vmcnt(0)
	v_mul_f32_e32 v4, 0x3fb8aa3b, v18
	v_cmp_ngt_f32_e64 s4, 0xc2ce8ed0, v18
	s_delay_alu instid0(VALU_DEP_2) | instskip(SKIP_1) | instid1(VALU_DEP_2)
	v_rndne_f32_e32 v5, v4
	v_fma_f32 v6, 0x3fb8aa3b, v18, -v4
	v_sub_f32_e32 v4, v4, v5
	s_delay_alu instid0(VALU_DEP_2) | instskip(SKIP_1) | instid1(VALU_DEP_2)
	v_fmamk_f32 v6, v18, 0x32a5705f, v6
	v_cvt_i32_f32_e32 v5, v5
	v_add_f32_e32 v4, v4, v6
	s_delay_alu instid0(VALU_DEP_1) | instskip(SKIP_2) | instid1(VALU_DEP_1)
	v_exp_f32_e32 v4, v4
	s_waitcnt_depctr 0xfff
	v_ldexp_f32 v4, v4, v5
	v_cndmask_b32_e64 v4, 0, v4, s4
	v_cmp_nlt_f32_e64 s4, 0x42b17218, v18
	s_delay_alu instid0(VALU_DEP_1) | instskip(NEXT) | instid1(VALU_DEP_1)
	v_cndmask_b32_e64 v4, 0x7f800000, v4, s4
	v_fma_f32 v4, -v3, v4, v17
	s_delay_alu instid0(VALU_DEP_1) | instskip(SKIP_1) | instid1(VALU_DEP_2)
	v_bfe_u32 v5, v4, 16, 1
	v_cmp_o_f32_e64 s4, v4, v4
	v_add3_u32 v5, v4, v5, 0x7fff
	s_delay_alu instid0(VALU_DEP_1) | instskip(NEXT) | instid1(VALU_DEP_1)
	v_lshrrev_b32_e32 v5, 16, v5
	v_cndmask_b32_e64 v4, 0x7fc0, v5, s4
	global_store_b16 v[0:1], v4, off offset:128
	s_or_b32 exec_lo, exec_lo, s5
	s_and_saveexec_b32 s4, s3
	s_cbranch_execz .LBB341_21
.LBB341_30:
	s_waitcnt vmcnt(0)
	v_mul_f32_e32 v4, 0x3fb8aa3b, v16
	v_cmp_ngt_f32_e64 s3, 0xc2ce8ed0, v16
	s_delay_alu instid0(VALU_DEP_2) | instskip(SKIP_1) | instid1(VALU_DEP_2)
	v_rndne_f32_e32 v5, v4
	v_fma_f32 v6, 0x3fb8aa3b, v16, -v4
	v_sub_f32_e32 v4, v4, v5
	s_delay_alu instid0(VALU_DEP_2) | instskip(SKIP_1) | instid1(VALU_DEP_2)
	v_fmamk_f32 v6, v16, 0x32a5705f, v6
	v_cvt_i32_f32_e32 v5, v5
	v_add_f32_e32 v4, v4, v6
	s_delay_alu instid0(VALU_DEP_1) | instskip(SKIP_2) | instid1(VALU_DEP_1)
	v_exp_f32_e32 v4, v4
	s_waitcnt_depctr 0xfff
	v_ldexp_f32 v4, v4, v5
	v_cndmask_b32_e64 v4, 0, v4, s3
	v_cmp_nlt_f32_e64 s3, 0x42b17218, v16
	s_delay_alu instid0(VALU_DEP_1) | instskip(NEXT) | instid1(VALU_DEP_1)
	v_cndmask_b32_e64 v4, 0x7f800000, v4, s3
	v_fma_f32 v4, -v3, v4, v10
	s_delay_alu instid0(VALU_DEP_1) | instskip(SKIP_1) | instid1(VALU_DEP_2)
	v_bfe_u32 v5, v4, 16, 1
	v_cmp_o_f32_e64 s3, v4, v4
	v_add3_u32 v5, v4, v5, 0x7fff
	s_delay_alu instid0(VALU_DEP_1) | instskip(NEXT) | instid1(VALU_DEP_1)
	v_lshrrev_b32_e32 v5, 16, v5
	v_cndmask_b32_e64 v4, 0x7fc0, v5, s3
	global_store_b16 v[0:1], v4, off offset:192
	s_or_b32 exec_lo, exec_lo, s4
	s_and_saveexec_b32 s3, s2
	s_cbranch_execz .LBB341_22
.LBB341_31:
	s_waitcnt vmcnt(0)
	v_mul_f32_e32 v4, 0x3fb8aa3b, v15
	v_cmp_ngt_f32_e64 s2, 0xc2ce8ed0, v15
	s_delay_alu instid0(VALU_DEP_2) | instskip(SKIP_1) | instid1(VALU_DEP_2)
	v_rndne_f32_e32 v5, v4
	v_fma_f32 v6, 0x3fb8aa3b, v15, -v4
	v_sub_f32_e32 v4, v4, v5
	s_delay_alu instid0(VALU_DEP_2) | instskip(SKIP_1) | instid1(VALU_DEP_2)
	v_fmamk_f32 v6, v15, 0x32a5705f, v6
	v_cvt_i32_f32_e32 v5, v5
	v_add_f32_e32 v4, v4, v6
	s_delay_alu instid0(VALU_DEP_1) | instskip(SKIP_2) | instid1(VALU_DEP_1)
	v_exp_f32_e32 v4, v4
	s_waitcnt_depctr 0xfff
	v_ldexp_f32 v4, v4, v5
	v_cndmask_b32_e64 v4, 0, v4, s2
	v_cmp_nlt_f32_e64 s2, 0x42b17218, v15
	s_delay_alu instid0(VALU_DEP_1) | instskip(NEXT) | instid1(VALU_DEP_1)
	v_cndmask_b32_e64 v4, 0x7f800000, v4, s2
	v_fma_f32 v4, -v3, v4, v14
	s_delay_alu instid0(VALU_DEP_1) | instskip(SKIP_1) | instid1(VALU_DEP_2)
	v_bfe_u32 v5, v4, 16, 1
	v_cmp_o_f32_e64 s2, v4, v4
	v_add3_u32 v5, v4, v5, 0x7fff
	s_delay_alu instid0(VALU_DEP_1) | instskip(NEXT) | instid1(VALU_DEP_1)
	v_lshrrev_b32_e32 v5, 16, v5
	v_cndmask_b32_e64 v4, 0x7fc0, v5, s2
	global_store_b16 v[0:1], v4, off offset:256
	s_or_b32 exec_lo, exec_lo, s3
	s_and_saveexec_b32 s2, s1
	s_cbranch_execz .LBB341_23
.LBB341_32:
	s_waitcnt vmcnt(0)
	v_mul_f32_e32 v4, 0x3fb8aa3b, v12
	v_cmp_ngt_f32_e64 s1, 0xc2ce8ed0, v12
	s_delay_alu instid0(VALU_DEP_2) | instskip(SKIP_1) | instid1(VALU_DEP_2)
	v_rndne_f32_e32 v5, v4
	v_fma_f32 v6, 0x3fb8aa3b, v12, -v4
	v_sub_f32_e32 v4, v4, v5
	s_delay_alu instid0(VALU_DEP_2) | instskip(SKIP_1) | instid1(VALU_DEP_2)
	v_fmamk_f32 v6, v12, 0x32a5705f, v6
	v_cvt_i32_f32_e32 v5, v5
	v_add_f32_e32 v4, v4, v6
	s_delay_alu instid0(VALU_DEP_1) | instskip(SKIP_2) | instid1(VALU_DEP_1)
	v_exp_f32_e32 v4, v4
	s_waitcnt_depctr 0xfff
	v_ldexp_f32 v4, v4, v5
	v_cndmask_b32_e64 v4, 0, v4, s1
	v_cmp_nlt_f32_e64 s1, 0x42b17218, v12
	s_delay_alu instid0(VALU_DEP_1) | instskip(NEXT) | instid1(VALU_DEP_1)
	v_cndmask_b32_e64 v4, 0x7f800000, v4, s1
	v_fma_f32 v4, -v3, v4, v8
	s_delay_alu instid0(VALU_DEP_1) | instskip(SKIP_1) | instid1(VALU_DEP_2)
	v_bfe_u32 v5, v4, 16, 1
	v_cmp_o_f32_e64 s1, v4, v4
	v_add3_u32 v5, v4, v5, 0x7fff
	s_delay_alu instid0(VALU_DEP_1) | instskip(NEXT) | instid1(VALU_DEP_1)
	v_lshrrev_b32_e32 v5, 16, v5
	v_cndmask_b32_e64 v4, 0x7fc0, v5, s1
	global_store_b16 v[0:1], v4, off offset:320
	s_or_b32 exec_lo, exec_lo, s2
	s_and_saveexec_b32 s1, s0
	s_cbranch_execz .LBB341_24
.LBB341_33:
	s_waitcnt vmcnt(0)
	v_mul_f32_e32 v4, 0x3fb8aa3b, v11
	v_cmp_ngt_f32_e64 s0, 0xc2ce8ed0, v11
	s_delay_alu instid0(VALU_DEP_2) | instskip(SKIP_1) | instid1(VALU_DEP_2)
	v_rndne_f32_e32 v5, v4
	v_fma_f32 v6, 0x3fb8aa3b, v11, -v4
	v_sub_f32_e32 v4, v4, v5
	s_delay_alu instid0(VALU_DEP_2) | instskip(SKIP_1) | instid1(VALU_DEP_2)
	v_fmamk_f32 v6, v11, 0x32a5705f, v6
	v_cvt_i32_f32_e32 v5, v5
	v_add_f32_e32 v4, v4, v6
	s_delay_alu instid0(VALU_DEP_1) | instskip(SKIP_2) | instid1(VALU_DEP_1)
	v_exp_f32_e32 v4, v4
	s_waitcnt_depctr 0xfff
	v_ldexp_f32 v4, v4, v5
	v_cndmask_b32_e64 v4, 0, v4, s0
	v_cmp_nlt_f32_e64 s0, 0x42b17218, v11
	s_delay_alu instid0(VALU_DEP_1) | instskip(NEXT) | instid1(VALU_DEP_1)
	v_cndmask_b32_e64 v4, 0x7f800000, v4, s0
	v_fma_f32 v4, -v3, v4, v9
	s_delay_alu instid0(VALU_DEP_1) | instskip(SKIP_1) | instid1(VALU_DEP_2)
	v_bfe_u32 v5, v4, 16, 1
	v_cmp_o_f32_e64 s0, v4, v4
	v_add3_u32 v5, v4, v5, 0x7fff
	s_delay_alu instid0(VALU_DEP_1) | instskip(NEXT) | instid1(VALU_DEP_1)
	v_lshrrev_b32_e32 v5, 16, v5
	v_cndmask_b32_e64 v4, 0x7fc0, v5, s0
	global_store_b16 v[0:1], v4, off offset:384
	s_or_b32 exec_lo, exec_lo, s1
	s_delay_alu instid0(SALU_CYCLE_1)
	s_and_b32 exec_lo, exec_lo, vcc_lo
	s_cbranch_execnz .LBB341_25
	s_branch .LBB341_26
	.section	.rodata,"a",@progbits
	.p2align	6, 0x0
	.amdhsa_kernel _ZN12_GLOBAL__N_121softmax_warp_backwardIfN3c108BFloat16EfLi8ELb1ELb0ELi32EEEvPT0_PKT_S7_iiiPKb
		.amdhsa_group_segment_fixed_size 0
		.amdhsa_private_segment_fixed_size 0
		.amdhsa_kernarg_size 304
		.amdhsa_user_sgpr_count 15
		.amdhsa_user_sgpr_dispatch_ptr 0
		.amdhsa_user_sgpr_queue_ptr 0
		.amdhsa_user_sgpr_kernarg_segment_ptr 1
		.amdhsa_user_sgpr_dispatch_id 0
		.amdhsa_user_sgpr_private_segment_size 0
		.amdhsa_wavefront_size32 1
		.amdhsa_uses_dynamic_stack 0
		.amdhsa_enable_private_segment 0
		.amdhsa_system_sgpr_workgroup_id_x 1
		.amdhsa_system_sgpr_workgroup_id_y 0
		.amdhsa_system_sgpr_workgroup_id_z 0
		.amdhsa_system_sgpr_workgroup_info 0
		.amdhsa_system_vgpr_workitem_id 1
		.amdhsa_next_free_vgpr 23
		.amdhsa_next_free_sgpr 20
		.amdhsa_reserve_vcc 1
		.amdhsa_float_round_mode_32 0
		.amdhsa_float_round_mode_16_64 0
		.amdhsa_float_denorm_mode_32 3
		.amdhsa_float_denorm_mode_16_64 3
		.amdhsa_dx10_clamp 1
		.amdhsa_ieee_mode 1
		.amdhsa_fp16_overflow 0
		.amdhsa_workgroup_processor_mode 1
		.amdhsa_memory_ordered 1
		.amdhsa_forward_progress 0
		.amdhsa_shared_vgpr_count 0
		.amdhsa_exception_fp_ieee_invalid_op 0
		.amdhsa_exception_fp_denorm_src 0
		.amdhsa_exception_fp_ieee_div_zero 0
		.amdhsa_exception_fp_ieee_overflow 0
		.amdhsa_exception_fp_ieee_underflow 0
		.amdhsa_exception_fp_ieee_inexact 0
		.amdhsa_exception_int_div_zero 0
	.end_amdhsa_kernel
	.section	.text._ZN12_GLOBAL__N_121softmax_warp_backwardIfN3c108BFloat16EfLi8ELb1ELb0ELi32EEEvPT0_PKT_S7_iiiPKb,"axG",@progbits,_ZN12_GLOBAL__N_121softmax_warp_backwardIfN3c108BFloat16EfLi8ELb1ELb0ELi32EEEvPT0_PKT_S7_iiiPKb,comdat
.Lfunc_end341:
	.size	_ZN12_GLOBAL__N_121softmax_warp_backwardIfN3c108BFloat16EfLi8ELb1ELb0ELi32EEEvPT0_PKT_S7_iiiPKb, .Lfunc_end341-_ZN12_GLOBAL__N_121softmax_warp_backwardIfN3c108BFloat16EfLi8ELb1ELb0ELi32EEEvPT0_PKT_S7_iiiPKb
                                        ; -- End function
	.section	.AMDGPU.csdata,"",@progbits
; Kernel info:
; codeLenInByte = 2668
; NumSgprs: 22
; NumVgprs: 23
; ScratchSize: 0
; MemoryBound: 0
; FloatMode: 240
; IeeeMode: 1
; LDSByteSize: 0 bytes/workgroup (compile time only)
; SGPRBlocks: 2
; VGPRBlocks: 2
; NumSGPRsForWavesPerEU: 22
; NumVGPRsForWavesPerEU: 23
; Occupancy: 16
; WaveLimiterHint : 0
; COMPUTE_PGM_RSRC2:SCRATCH_EN: 0
; COMPUTE_PGM_RSRC2:USER_SGPR: 15
; COMPUTE_PGM_RSRC2:TRAP_HANDLER: 0
; COMPUTE_PGM_RSRC2:TGID_X_EN: 1
; COMPUTE_PGM_RSRC2:TGID_Y_EN: 0
; COMPUTE_PGM_RSRC2:TGID_Z_EN: 0
; COMPUTE_PGM_RSRC2:TIDIG_COMP_CNT: 1
	.section	.text._ZN12_GLOBAL__N_121softmax_warp_backwardIfN3c108BFloat16EfLi9ELb1ELb0ELi64EEEvPT0_PKT_S7_iiiPKb,"axG",@progbits,_ZN12_GLOBAL__N_121softmax_warp_backwardIfN3c108BFloat16EfLi9ELb1ELb0ELi64EEEvPT0_PKT_S7_iiiPKb,comdat
	.globl	_ZN12_GLOBAL__N_121softmax_warp_backwardIfN3c108BFloat16EfLi9ELb1ELb0ELi64EEEvPT0_PKT_S7_iiiPKb ; -- Begin function _ZN12_GLOBAL__N_121softmax_warp_backwardIfN3c108BFloat16EfLi9ELb1ELb0ELi64EEEvPT0_PKT_S7_iiiPKb
	.p2align	8
	.type	_ZN12_GLOBAL__N_121softmax_warp_backwardIfN3c108BFloat16EfLi9ELb1ELb0ELi64EEEvPT0_PKT_S7_iiiPKb,@function
_ZN12_GLOBAL__N_121softmax_warp_backwardIfN3c108BFloat16EfLi9ELb1ELb0ELi64EEEvPT0_PKT_S7_iiiPKb: ; @_ZN12_GLOBAL__N_121softmax_warp_backwardIfN3c108BFloat16EfLi9ELb1ELb0ELi64EEEvPT0_PKT_S7_iiiPKb
; %bb.0:
	s_clause 0x1
	s_load_b32 s2, s[0:1], 0x3c
	s_load_b128 s[16:19], s[0:1], 0x18
	v_bfe_u32 v1, v0, 10, 10
	s_clause 0x1
	s_load_b128 s[8:11], s[0:1], 0x0
	s_load_b64 s[0:1], s[0:1], 0x10
	v_mov_b32_e32 v19, 0
	v_mov_b32_e32 v21, 0
	;; [unrolled: 1-line block ×3, first 2 shown]
	s_waitcnt lgkmcnt(0)
	s_lshr_b32 s2, s2, 16
	s_delay_alu instid0(SALU_CYCLE_1) | instskip(SKIP_1) | instid1(VALU_DEP_1)
	v_mad_u64_u32 v[3:4], null, s15, s2, v[1:2]
	v_and_b32_e32 v2, 63, v0
	v_cmp_gt_i32_e64 s6, s18, v2
	s_delay_alu instid0(VALU_DEP_3) | instskip(SKIP_1) | instid1(VALU_DEP_1)
	v_mad_u64_u32 v[0:1], null, v3, s17, v[2:3]
	v_sub_nc_u32_e32 v22, s16, v3
	v_cmp_lt_i32_e64 s7, 0, v22
	s_delay_alu instid0(VALU_DEP_3) | instskip(NEXT) | instid1(VALU_DEP_1)
	v_ashrrev_i32_e32 v1, 31, v0
	v_lshlrev_b64 v[5:6], 2, v[0:1]
	s_delay_alu instid0(VALU_DEP_1) | instskip(NEXT) | instid1(VALU_DEP_2)
	v_add_co_u32 v3, vcc_lo, s10, v5
	v_add_co_ci_u32_e32 v4, vcc_lo, s11, v6, vcc_lo
	v_add_co_u32 v5, vcc_lo, s0, v5
	v_add_co_ci_u32_e32 v6, vcc_lo, s1, v6, vcc_lo
	s_and_b32 s1, s7, s6
	s_delay_alu instid0(SALU_CYCLE_1)
	s_and_saveexec_b32 s0, s1
	s_cbranch_execz .LBB342_2
; %bb.1:
	global_load_b32 v19, v[3:4], off
	global_load_b32 v21, v[5:6], off
.LBB342_2:
	s_or_b32 exec_lo, exec_lo, s0
	v_or_b32_e32 v7, 64, v2
	v_mov_b32_e32 v20, 0
	s_delay_alu instid0(VALU_DEP_2) | instskip(NEXT) | instid1(VALU_DEP_1)
	v_cmp_gt_i32_e64 s5, s18, v7
	s_and_b32 s1, s7, s5
	s_delay_alu instid0(SALU_CYCLE_1)
	s_and_saveexec_b32 s0, s1
	s_cbranch_execz .LBB342_4
; %bb.3:
	global_load_b32 v13, v[3:4], off offset:256
	global_load_b32 v20, v[5:6], off offset:256
.LBB342_4:
	s_or_b32 exec_lo, exec_lo, s0
	v_or_b32_e32 v7, 0x80, v2
	v_dual_mov_b32 v10, 0 :: v_dual_mov_b32 v17, 0
	v_mov_b32_e32 v18, 0
	s_delay_alu instid0(VALU_DEP_3) | instskip(NEXT) | instid1(VALU_DEP_1)
	v_cmp_gt_i32_e64 s4, s18, v7
	s_and_b32 s1, s7, s4
	s_delay_alu instid0(SALU_CYCLE_1)
	s_and_saveexec_b32 s0, s1
	s_cbranch_execz .LBB342_6
; %bb.5:
	global_load_b32 v17, v[3:4], off offset:512
	global_load_b32 v18, v[5:6], off offset:512
.LBB342_6:
	s_or_b32 exec_lo, exec_lo, s0
	v_or_b32_e32 v7, 0xc0, v2
	v_mov_b32_e32 v16, 0
	s_delay_alu instid0(VALU_DEP_2) | instskip(NEXT) | instid1(VALU_DEP_1)
	v_cmp_gt_i32_e64 s3, s18, v7
	s_and_b32 s1, s7, s3
	s_delay_alu instid0(SALU_CYCLE_1)
	s_and_saveexec_b32 s0, s1
	s_cbranch_execz .LBB342_8
; %bb.7:
	global_load_b32 v10, v[3:4], off offset:768
	global_load_b32 v16, v[5:6], off offset:768
.LBB342_8:
	s_or_b32 exec_lo, exec_lo, s0
	v_or_b32_e32 v7, 0x100, v2
	v_dual_mov_b32 v8, 0 :: v_dual_mov_b32 v15, 0
	v_mov_b32_e32 v14, 0
	s_delay_alu instid0(VALU_DEP_3) | instskip(NEXT) | instid1(VALU_DEP_1)
	v_cmp_gt_i32_e64 s2, s18, v7
	s_and_b32 s1, s7, s2
	s_delay_alu instid0(SALU_CYCLE_1)
	s_and_saveexec_b32 s0, s1
	s_cbranch_execz .LBB342_10
; %bb.9:
	global_load_b32 v14, v[3:4], off offset:1024
	global_load_b32 v15, v[5:6], off offset:1024
.LBB342_10:
	s_or_b32 exec_lo, exec_lo, s0
	v_or_b32_e32 v7, 0x140, v2
	v_mov_b32_e32 v12, 0
	s_delay_alu instid0(VALU_DEP_2) | instskip(NEXT) | instid1(VALU_DEP_1)
	v_cmp_gt_i32_e64 s1, s18, v7
	s_and_b32 s10, s7, s1
	s_delay_alu instid0(SALU_CYCLE_1)
	s_and_saveexec_b32 s0, s10
	s_cbranch_execz .LBB342_12
; %bb.11:
	global_load_b32 v8, v[3:4], off offset:1280
	global_load_b32 v12, v[5:6], off offset:1280
.LBB342_12:
	s_or_b32 exec_lo, exec_lo, s0
	v_or_b32_e32 v7, 0x180, v2
	v_mov_b32_e32 v9, 0
	v_mov_b32_e32 v11, 0
	s_delay_alu instid0(VALU_DEP_3) | instskip(SKIP_1) | instid1(VALU_DEP_2)
	v_cmp_gt_i32_e64 s0, s18, v7
	v_mov_b32_e32 v7, 0
	s_and_b32 s11, s7, s0
	s_delay_alu instid0(SALU_CYCLE_1)
	s_and_saveexec_b32 s10, s11
	s_cbranch_execz .LBB342_14
; %bb.13:
	global_load_b32 v9, v[3:4], off offset:1536
	global_load_b32 v11, v[5:6], off offset:1536
.LBB342_14:
	s_or_b32 exec_lo, exec_lo, s10
	v_or_b32_e32 v2, 0x1c0, v2
	s_delay_alu instid0(VALU_DEP_1) | instskip(SKIP_2) | instid1(SALU_CYCLE_1)
	v_cmp_gt_i32_e32 vcc_lo, s18, v2
	v_mov_b32_e32 v2, 0
	s_and_b32 s10, s7, vcc_lo
	s_and_saveexec_b32 s7, s10
	s_cbranch_execz .LBB342_16
; %bb.15:
	global_load_b32 v7, v[3:4], off offset:1792
	global_load_b32 v2, v[5:6], off offset:1792
.LBB342_16:
	s_or_b32 exec_lo, exec_lo, s7
	v_mbcnt_lo_u32_b32 v4, -1, 0
	s_mov_b32 s10, exec_lo
	s_delay_alu instid0(VALU_DEP_1) | instskip(SKIP_1) | instid1(VALU_DEP_2)
	v_or_b32_e32 v5, 32, v4
	v_xor_b32_e32 v6, 16, v4
	v_cmp_gt_i32_e64 s7, 64, v5
	s_delay_alu instid0(VALU_DEP_1) | instskip(NEXT) | instid1(VALU_DEP_3)
	v_cndmask_b32_e64 v5, v4, v5, s7
	v_cmp_gt_i32_e64 s7, 64, v6
	s_delay_alu instid0(VALU_DEP_2) | instskip(NEXT) | instid1(VALU_DEP_2)
	v_lshlrev_b32_e32 v5, 2, v5
	v_cndmask_b32_e64 v6, v4, v6, s7
	s_waitcnt vmcnt(1)
	s_delay_alu instid0(VALU_DEP_1) | instskip(NEXT) | instid1(VALU_DEP_1)
	v_dual_add_f32 v3, 0, v19 :: v_dual_lshlrev_b32 v6, 2, v6
	v_add_f32_e32 v3, v3, v13
	s_delay_alu instid0(VALU_DEP_1) | instskip(NEXT) | instid1(VALU_DEP_1)
	v_add_f32_e32 v3, v3, v17
	v_add_f32_e32 v3, v3, v10
	s_delay_alu instid0(VALU_DEP_1) | instskip(NEXT) | instid1(VALU_DEP_1)
	v_add_f32_e32 v3, v3, v14
	;; [unrolled: 3-line block ×3, first 2 shown]
	v_add_f32_e32 v3, v3, v7
	ds_bpermute_b32 v5, v5, v3
	s_waitcnt lgkmcnt(0)
	v_add_f32_e32 v3, v3, v5
	ds_bpermute_b32 v5, v6, v3
	v_xor_b32_e32 v6, 8, v4
	s_delay_alu instid0(VALU_DEP_1) | instskip(NEXT) | instid1(VALU_DEP_1)
	v_cmp_gt_i32_e64 s7, 64, v6
	v_cndmask_b32_e64 v6, v4, v6, s7
	s_waitcnt lgkmcnt(0)
	s_delay_alu instid0(VALU_DEP_1) | instskip(SKIP_2) | instid1(VALU_DEP_1)
	v_dual_add_f32 v3, v3, v5 :: v_dual_lshlrev_b32 v6, 2, v6
	ds_bpermute_b32 v5, v6, v3
	v_xor_b32_e32 v6, 4, v4
	v_cmp_gt_i32_e64 s7, 64, v6
	s_delay_alu instid0(VALU_DEP_1) | instskip(SKIP_1) | instid1(VALU_DEP_1)
	v_cndmask_b32_e64 v6, v4, v6, s7
	s_waitcnt lgkmcnt(0)
	v_dual_add_f32 v3, v3, v5 :: v_dual_lshlrev_b32 v6, 2, v6
	ds_bpermute_b32 v5, v6, v3
	v_xor_b32_e32 v6, 2, v4
	s_delay_alu instid0(VALU_DEP_1) | instskip(NEXT) | instid1(VALU_DEP_1)
	v_cmp_gt_i32_e64 s7, 64, v6
	v_cndmask_b32_e64 v6, v4, v6, s7
	s_waitcnt lgkmcnt(0)
	s_delay_alu instid0(VALU_DEP_1) | instskip(SKIP_2) | instid1(VALU_DEP_1)
	v_dual_add_f32 v3, v3, v5 :: v_dual_lshlrev_b32 v6, 2, v6
	ds_bpermute_b32 v5, v6, v3
	v_xor_b32_e32 v6, 1, v4
	v_cmp_gt_i32_e64 s7, 64, v6
	s_delay_alu instid0(VALU_DEP_1) | instskip(SKIP_1) | instid1(VALU_DEP_1)
	v_cndmask_b32_e64 v4, v4, v6, s7
	s_waitcnt lgkmcnt(0)
	v_dual_add_f32 v3, v3, v5 :: v_dual_lshlrev_b32 v4, 2, v4
	ds_bpermute_b32 v4, v4, v3
	v_cmpx_lt_i32_e32 0, v22
	s_cbranch_execz .LBB342_26
; %bb.17:
	v_lshlrev_b64 v[0:1], 1, v[0:1]
	s_waitcnt lgkmcnt(0)
	v_add_f32_e32 v3, v3, v4
	s_delay_alu instid0(VALU_DEP_2) | instskip(NEXT) | instid1(VALU_DEP_1)
	v_add_co_u32 v0, s7, s8, v0
	v_add_co_ci_u32_e64 v1, s7, s9, v1, s7
	s_and_saveexec_b32 s7, s6
	s_cbranch_execnz .LBB342_27
; %bb.18:
	s_or_b32 exec_lo, exec_lo, s7
	s_and_saveexec_b32 s6, s5
	s_cbranch_execnz .LBB342_28
.LBB342_19:
	s_or_b32 exec_lo, exec_lo, s6
	s_and_saveexec_b32 s5, s4
	s_cbranch_execnz .LBB342_29
.LBB342_20:
	s_or_b32 exec_lo, exec_lo, s5
	s_and_saveexec_b32 s4, s3
	s_cbranch_execnz .LBB342_30
.LBB342_21:
	s_or_b32 exec_lo, exec_lo, s4
	s_and_saveexec_b32 s3, s2
	s_cbranch_execnz .LBB342_31
.LBB342_22:
	s_or_b32 exec_lo, exec_lo, s3
	s_and_saveexec_b32 s2, s1
	s_cbranch_execnz .LBB342_32
.LBB342_23:
	s_or_b32 exec_lo, exec_lo, s2
	s_and_saveexec_b32 s1, s0
	s_cbranch_execnz .LBB342_33
.LBB342_24:
	s_or_b32 exec_lo, exec_lo, s1
	s_delay_alu instid0(SALU_CYCLE_1)
	s_and_b32 exec_lo, exec_lo, vcc_lo
	s_cbranch_execz .LBB342_26
.LBB342_25:
	s_waitcnt vmcnt(0)
	v_mul_f32_e32 v4, 0x3fb8aa3b, v2
	v_cmp_ngt_f32_e32 vcc_lo, 0xc2ce8ed0, v2
	s_delay_alu instid0(VALU_DEP_2) | instskip(SKIP_1) | instid1(VALU_DEP_2)
	v_rndne_f32_e32 v5, v4
	v_fma_f32 v6, 0x3fb8aa3b, v2, -v4
	v_sub_f32_e32 v4, v4, v5
	s_delay_alu instid0(VALU_DEP_2) | instskip(SKIP_1) | instid1(VALU_DEP_2)
	v_fmamk_f32 v6, v2, 0x32a5705f, v6
	v_cvt_i32_f32_e32 v5, v5
	v_add_f32_e32 v4, v4, v6
	s_delay_alu instid0(VALU_DEP_1) | instskip(SKIP_2) | instid1(VALU_DEP_1)
	v_exp_f32_e32 v4, v4
	s_waitcnt_depctr 0xfff
	v_ldexp_f32 v4, v4, v5
	v_cndmask_b32_e32 v4, 0, v4, vcc_lo
	v_cmp_nlt_f32_e32 vcc_lo, 0x42b17218, v2
	s_delay_alu instid0(VALU_DEP_2) | instskip(NEXT) | instid1(VALU_DEP_1)
	v_cndmask_b32_e32 v2, 0x7f800000, v4, vcc_lo
	v_fma_f32 v2, -v3, v2, v7
	s_delay_alu instid0(VALU_DEP_1) | instskip(SKIP_1) | instid1(VALU_DEP_2)
	v_bfe_u32 v3, v2, 16, 1
	v_cmp_o_f32_e32 vcc_lo, v2, v2
	v_add3_u32 v3, v2, v3, 0x7fff
	s_delay_alu instid0(VALU_DEP_1) | instskip(NEXT) | instid1(VALU_DEP_1)
	v_lshrrev_b32_e32 v3, 16, v3
	v_cndmask_b32_e32 v2, 0x7fc0, v3, vcc_lo
	global_store_b16 v[0:1], v2, off offset:896
.LBB342_26:
	s_nop 0
	s_sendmsg sendmsg(MSG_DEALLOC_VGPRS)
	s_endpgm
.LBB342_27:
	s_waitcnt vmcnt(0)
	v_mul_f32_e32 v4, 0x3fb8aa3b, v21
	v_cmp_ngt_f32_e64 s6, 0xc2ce8ed0, v21
	s_delay_alu instid0(VALU_DEP_2) | instskip(SKIP_1) | instid1(VALU_DEP_2)
	v_rndne_f32_e32 v5, v4
	v_fma_f32 v6, 0x3fb8aa3b, v21, -v4
	v_sub_f32_e32 v4, v4, v5
	s_delay_alu instid0(VALU_DEP_2) | instskip(SKIP_1) | instid1(VALU_DEP_2)
	v_fmamk_f32 v6, v21, 0x32a5705f, v6
	v_cvt_i32_f32_e32 v5, v5
	v_add_f32_e32 v4, v4, v6
	s_delay_alu instid0(VALU_DEP_1) | instskip(SKIP_2) | instid1(VALU_DEP_1)
	v_exp_f32_e32 v4, v4
	s_waitcnt_depctr 0xfff
	v_ldexp_f32 v4, v4, v5
	v_cndmask_b32_e64 v4, 0, v4, s6
	v_cmp_nlt_f32_e64 s6, 0x42b17218, v21
	s_delay_alu instid0(VALU_DEP_1) | instskip(NEXT) | instid1(VALU_DEP_1)
	v_cndmask_b32_e64 v4, 0x7f800000, v4, s6
	v_fma_f32 v4, -v3, v4, v19
	s_delay_alu instid0(VALU_DEP_1) | instskip(SKIP_1) | instid1(VALU_DEP_2)
	v_bfe_u32 v5, v4, 16, 1
	v_cmp_o_f32_e64 s6, v4, v4
	v_add3_u32 v5, v4, v5, 0x7fff
	s_delay_alu instid0(VALU_DEP_1) | instskip(NEXT) | instid1(VALU_DEP_1)
	v_lshrrev_b32_e32 v5, 16, v5
	v_cndmask_b32_e64 v4, 0x7fc0, v5, s6
	global_store_b16 v[0:1], v4, off
	s_or_b32 exec_lo, exec_lo, s7
	s_and_saveexec_b32 s6, s5
	s_cbranch_execz .LBB342_19
.LBB342_28:
	s_waitcnt vmcnt(0)
	v_mul_f32_e32 v4, 0x3fb8aa3b, v20
	v_cmp_ngt_f32_e64 s5, 0xc2ce8ed0, v20
	s_delay_alu instid0(VALU_DEP_2) | instskip(SKIP_1) | instid1(VALU_DEP_2)
	v_rndne_f32_e32 v5, v4
	v_fma_f32 v6, 0x3fb8aa3b, v20, -v4
	v_sub_f32_e32 v4, v4, v5
	s_delay_alu instid0(VALU_DEP_2) | instskip(SKIP_1) | instid1(VALU_DEP_2)
	v_fmamk_f32 v6, v20, 0x32a5705f, v6
	v_cvt_i32_f32_e32 v5, v5
	v_add_f32_e32 v4, v4, v6
	s_delay_alu instid0(VALU_DEP_1) | instskip(SKIP_2) | instid1(VALU_DEP_1)
	v_exp_f32_e32 v4, v4
	s_waitcnt_depctr 0xfff
	v_ldexp_f32 v4, v4, v5
	v_cndmask_b32_e64 v4, 0, v4, s5
	v_cmp_nlt_f32_e64 s5, 0x42b17218, v20
	s_delay_alu instid0(VALU_DEP_1) | instskip(NEXT) | instid1(VALU_DEP_1)
	v_cndmask_b32_e64 v4, 0x7f800000, v4, s5
	v_fma_f32 v4, -v3, v4, v13
	s_delay_alu instid0(VALU_DEP_1) | instskip(SKIP_1) | instid1(VALU_DEP_2)
	v_bfe_u32 v5, v4, 16, 1
	v_cmp_o_f32_e64 s5, v4, v4
	v_add3_u32 v5, v4, v5, 0x7fff
	s_delay_alu instid0(VALU_DEP_1) | instskip(NEXT) | instid1(VALU_DEP_1)
	v_lshrrev_b32_e32 v5, 16, v5
	v_cndmask_b32_e64 v4, 0x7fc0, v5, s5
	global_store_b16 v[0:1], v4, off offset:128
	s_or_b32 exec_lo, exec_lo, s6
	s_and_saveexec_b32 s5, s4
	s_cbranch_execz .LBB342_20
.LBB342_29:
	s_waitcnt vmcnt(0)
	v_mul_f32_e32 v4, 0x3fb8aa3b, v18
	v_cmp_ngt_f32_e64 s4, 0xc2ce8ed0, v18
	s_delay_alu instid0(VALU_DEP_2) | instskip(SKIP_1) | instid1(VALU_DEP_2)
	v_rndne_f32_e32 v5, v4
	v_fma_f32 v6, 0x3fb8aa3b, v18, -v4
	v_sub_f32_e32 v4, v4, v5
	s_delay_alu instid0(VALU_DEP_2) | instskip(SKIP_1) | instid1(VALU_DEP_2)
	v_fmamk_f32 v6, v18, 0x32a5705f, v6
	v_cvt_i32_f32_e32 v5, v5
	v_add_f32_e32 v4, v4, v6
	s_delay_alu instid0(VALU_DEP_1) | instskip(SKIP_2) | instid1(VALU_DEP_1)
	v_exp_f32_e32 v4, v4
	s_waitcnt_depctr 0xfff
	v_ldexp_f32 v4, v4, v5
	v_cndmask_b32_e64 v4, 0, v4, s4
	v_cmp_nlt_f32_e64 s4, 0x42b17218, v18
	s_delay_alu instid0(VALU_DEP_1) | instskip(NEXT) | instid1(VALU_DEP_1)
	v_cndmask_b32_e64 v4, 0x7f800000, v4, s4
	v_fma_f32 v4, -v3, v4, v17
	s_delay_alu instid0(VALU_DEP_1) | instskip(SKIP_1) | instid1(VALU_DEP_2)
	v_bfe_u32 v5, v4, 16, 1
	v_cmp_o_f32_e64 s4, v4, v4
	v_add3_u32 v5, v4, v5, 0x7fff
	s_delay_alu instid0(VALU_DEP_1) | instskip(NEXT) | instid1(VALU_DEP_1)
	v_lshrrev_b32_e32 v5, 16, v5
	v_cndmask_b32_e64 v4, 0x7fc0, v5, s4
	global_store_b16 v[0:1], v4, off offset:256
	s_or_b32 exec_lo, exec_lo, s5
	s_and_saveexec_b32 s4, s3
	s_cbranch_execz .LBB342_21
.LBB342_30:
	s_waitcnt vmcnt(0)
	v_mul_f32_e32 v4, 0x3fb8aa3b, v16
	v_cmp_ngt_f32_e64 s3, 0xc2ce8ed0, v16
	s_delay_alu instid0(VALU_DEP_2) | instskip(SKIP_1) | instid1(VALU_DEP_2)
	v_rndne_f32_e32 v5, v4
	v_fma_f32 v6, 0x3fb8aa3b, v16, -v4
	v_sub_f32_e32 v4, v4, v5
	s_delay_alu instid0(VALU_DEP_2) | instskip(SKIP_1) | instid1(VALU_DEP_2)
	v_fmamk_f32 v6, v16, 0x32a5705f, v6
	v_cvt_i32_f32_e32 v5, v5
	v_add_f32_e32 v4, v4, v6
	s_delay_alu instid0(VALU_DEP_1) | instskip(SKIP_2) | instid1(VALU_DEP_1)
	v_exp_f32_e32 v4, v4
	s_waitcnt_depctr 0xfff
	v_ldexp_f32 v4, v4, v5
	v_cndmask_b32_e64 v4, 0, v4, s3
	v_cmp_nlt_f32_e64 s3, 0x42b17218, v16
	s_delay_alu instid0(VALU_DEP_1) | instskip(NEXT) | instid1(VALU_DEP_1)
	v_cndmask_b32_e64 v4, 0x7f800000, v4, s3
	v_fma_f32 v4, -v3, v4, v10
	s_delay_alu instid0(VALU_DEP_1) | instskip(SKIP_1) | instid1(VALU_DEP_2)
	v_bfe_u32 v5, v4, 16, 1
	v_cmp_o_f32_e64 s3, v4, v4
	v_add3_u32 v5, v4, v5, 0x7fff
	s_delay_alu instid0(VALU_DEP_1) | instskip(NEXT) | instid1(VALU_DEP_1)
	v_lshrrev_b32_e32 v5, 16, v5
	v_cndmask_b32_e64 v4, 0x7fc0, v5, s3
	global_store_b16 v[0:1], v4, off offset:384
	s_or_b32 exec_lo, exec_lo, s4
	s_and_saveexec_b32 s3, s2
	s_cbranch_execz .LBB342_22
.LBB342_31:
	s_waitcnt vmcnt(0)
	v_mul_f32_e32 v4, 0x3fb8aa3b, v15
	v_cmp_ngt_f32_e64 s2, 0xc2ce8ed0, v15
	s_delay_alu instid0(VALU_DEP_2) | instskip(SKIP_1) | instid1(VALU_DEP_2)
	v_rndne_f32_e32 v5, v4
	v_fma_f32 v6, 0x3fb8aa3b, v15, -v4
	v_sub_f32_e32 v4, v4, v5
	s_delay_alu instid0(VALU_DEP_2) | instskip(SKIP_1) | instid1(VALU_DEP_2)
	v_fmamk_f32 v6, v15, 0x32a5705f, v6
	v_cvt_i32_f32_e32 v5, v5
	v_add_f32_e32 v4, v4, v6
	s_delay_alu instid0(VALU_DEP_1) | instskip(SKIP_2) | instid1(VALU_DEP_1)
	v_exp_f32_e32 v4, v4
	s_waitcnt_depctr 0xfff
	v_ldexp_f32 v4, v4, v5
	v_cndmask_b32_e64 v4, 0, v4, s2
	v_cmp_nlt_f32_e64 s2, 0x42b17218, v15
	s_delay_alu instid0(VALU_DEP_1) | instskip(NEXT) | instid1(VALU_DEP_1)
	v_cndmask_b32_e64 v4, 0x7f800000, v4, s2
	v_fma_f32 v4, -v3, v4, v14
	s_delay_alu instid0(VALU_DEP_1) | instskip(SKIP_1) | instid1(VALU_DEP_2)
	v_bfe_u32 v5, v4, 16, 1
	v_cmp_o_f32_e64 s2, v4, v4
	v_add3_u32 v5, v4, v5, 0x7fff
	s_delay_alu instid0(VALU_DEP_1) | instskip(NEXT) | instid1(VALU_DEP_1)
	v_lshrrev_b32_e32 v5, 16, v5
	v_cndmask_b32_e64 v4, 0x7fc0, v5, s2
	global_store_b16 v[0:1], v4, off offset:512
	s_or_b32 exec_lo, exec_lo, s3
	s_and_saveexec_b32 s2, s1
	s_cbranch_execz .LBB342_23
.LBB342_32:
	s_waitcnt vmcnt(0)
	v_mul_f32_e32 v4, 0x3fb8aa3b, v12
	v_cmp_ngt_f32_e64 s1, 0xc2ce8ed0, v12
	s_delay_alu instid0(VALU_DEP_2) | instskip(SKIP_1) | instid1(VALU_DEP_2)
	v_rndne_f32_e32 v5, v4
	v_fma_f32 v6, 0x3fb8aa3b, v12, -v4
	v_sub_f32_e32 v4, v4, v5
	s_delay_alu instid0(VALU_DEP_2) | instskip(SKIP_1) | instid1(VALU_DEP_2)
	v_fmamk_f32 v6, v12, 0x32a5705f, v6
	v_cvt_i32_f32_e32 v5, v5
	v_add_f32_e32 v4, v4, v6
	s_delay_alu instid0(VALU_DEP_1) | instskip(SKIP_2) | instid1(VALU_DEP_1)
	v_exp_f32_e32 v4, v4
	s_waitcnt_depctr 0xfff
	v_ldexp_f32 v4, v4, v5
	v_cndmask_b32_e64 v4, 0, v4, s1
	v_cmp_nlt_f32_e64 s1, 0x42b17218, v12
	s_delay_alu instid0(VALU_DEP_1) | instskip(NEXT) | instid1(VALU_DEP_1)
	v_cndmask_b32_e64 v4, 0x7f800000, v4, s1
	v_fma_f32 v4, -v3, v4, v8
	s_delay_alu instid0(VALU_DEP_1) | instskip(SKIP_1) | instid1(VALU_DEP_2)
	v_bfe_u32 v5, v4, 16, 1
	v_cmp_o_f32_e64 s1, v4, v4
	v_add3_u32 v5, v4, v5, 0x7fff
	s_delay_alu instid0(VALU_DEP_1) | instskip(NEXT) | instid1(VALU_DEP_1)
	v_lshrrev_b32_e32 v5, 16, v5
	v_cndmask_b32_e64 v4, 0x7fc0, v5, s1
	global_store_b16 v[0:1], v4, off offset:640
	s_or_b32 exec_lo, exec_lo, s2
	s_and_saveexec_b32 s1, s0
	s_cbranch_execz .LBB342_24
.LBB342_33:
	s_waitcnt vmcnt(0)
	v_mul_f32_e32 v4, 0x3fb8aa3b, v11
	v_cmp_ngt_f32_e64 s0, 0xc2ce8ed0, v11
	s_delay_alu instid0(VALU_DEP_2) | instskip(SKIP_1) | instid1(VALU_DEP_2)
	v_rndne_f32_e32 v5, v4
	v_fma_f32 v6, 0x3fb8aa3b, v11, -v4
	v_sub_f32_e32 v4, v4, v5
	s_delay_alu instid0(VALU_DEP_2) | instskip(SKIP_1) | instid1(VALU_DEP_2)
	v_fmamk_f32 v6, v11, 0x32a5705f, v6
	v_cvt_i32_f32_e32 v5, v5
	v_add_f32_e32 v4, v4, v6
	s_delay_alu instid0(VALU_DEP_1) | instskip(SKIP_2) | instid1(VALU_DEP_1)
	v_exp_f32_e32 v4, v4
	s_waitcnt_depctr 0xfff
	v_ldexp_f32 v4, v4, v5
	v_cndmask_b32_e64 v4, 0, v4, s0
	v_cmp_nlt_f32_e64 s0, 0x42b17218, v11
	s_delay_alu instid0(VALU_DEP_1) | instskip(NEXT) | instid1(VALU_DEP_1)
	v_cndmask_b32_e64 v4, 0x7f800000, v4, s0
	v_fma_f32 v4, -v3, v4, v9
	s_delay_alu instid0(VALU_DEP_1) | instskip(SKIP_1) | instid1(VALU_DEP_2)
	v_bfe_u32 v5, v4, 16, 1
	v_cmp_o_f32_e64 s0, v4, v4
	v_add3_u32 v5, v4, v5, 0x7fff
	s_delay_alu instid0(VALU_DEP_1) | instskip(NEXT) | instid1(VALU_DEP_1)
	v_lshrrev_b32_e32 v5, 16, v5
	v_cndmask_b32_e64 v4, 0x7fc0, v5, s0
	global_store_b16 v[0:1], v4, off offset:768
	s_or_b32 exec_lo, exec_lo, s1
	s_delay_alu instid0(SALU_CYCLE_1)
	s_and_b32 exec_lo, exec_lo, vcc_lo
	s_cbranch_execnz .LBB342_25
	s_branch .LBB342_26
	.section	.rodata,"a",@progbits
	.p2align	6, 0x0
	.amdhsa_kernel _ZN12_GLOBAL__N_121softmax_warp_backwardIfN3c108BFloat16EfLi9ELb1ELb0ELi64EEEvPT0_PKT_S7_iiiPKb
		.amdhsa_group_segment_fixed_size 0
		.amdhsa_private_segment_fixed_size 0
		.amdhsa_kernarg_size 304
		.amdhsa_user_sgpr_count 15
		.amdhsa_user_sgpr_dispatch_ptr 0
		.amdhsa_user_sgpr_queue_ptr 0
		.amdhsa_user_sgpr_kernarg_segment_ptr 1
		.amdhsa_user_sgpr_dispatch_id 0
		.amdhsa_user_sgpr_private_segment_size 0
		.amdhsa_wavefront_size32 1
		.amdhsa_uses_dynamic_stack 0
		.amdhsa_enable_private_segment 0
		.amdhsa_system_sgpr_workgroup_id_x 1
		.amdhsa_system_sgpr_workgroup_id_y 0
		.amdhsa_system_sgpr_workgroup_id_z 0
		.amdhsa_system_sgpr_workgroup_info 0
		.amdhsa_system_vgpr_workitem_id 1
		.amdhsa_next_free_vgpr 23
		.amdhsa_next_free_sgpr 20
		.amdhsa_reserve_vcc 1
		.amdhsa_float_round_mode_32 0
		.amdhsa_float_round_mode_16_64 0
		.amdhsa_float_denorm_mode_32 3
		.amdhsa_float_denorm_mode_16_64 3
		.amdhsa_dx10_clamp 1
		.amdhsa_ieee_mode 1
		.amdhsa_fp16_overflow 0
		.amdhsa_workgroup_processor_mode 1
		.amdhsa_memory_ordered 1
		.amdhsa_forward_progress 0
		.amdhsa_shared_vgpr_count 0
		.amdhsa_exception_fp_ieee_invalid_op 0
		.amdhsa_exception_fp_denorm_src 0
		.amdhsa_exception_fp_ieee_div_zero 0
		.amdhsa_exception_fp_ieee_overflow 0
		.amdhsa_exception_fp_ieee_underflow 0
		.amdhsa_exception_fp_ieee_inexact 0
		.amdhsa_exception_int_div_zero 0
	.end_amdhsa_kernel
	.section	.text._ZN12_GLOBAL__N_121softmax_warp_backwardIfN3c108BFloat16EfLi9ELb1ELb0ELi64EEEvPT0_PKT_S7_iiiPKb,"axG",@progbits,_ZN12_GLOBAL__N_121softmax_warp_backwardIfN3c108BFloat16EfLi9ELb1ELb0ELi64EEEvPT0_PKT_S7_iiiPKb,comdat
.Lfunc_end342:
	.size	_ZN12_GLOBAL__N_121softmax_warp_backwardIfN3c108BFloat16EfLi9ELb1ELb0ELi64EEEvPT0_PKT_S7_iiiPKb, .Lfunc_end342-_ZN12_GLOBAL__N_121softmax_warp_backwardIfN3c108BFloat16EfLi9ELb1ELb0ELi64EEEvPT0_PKT_S7_iiiPKb
                                        ; -- End function
	.section	.AMDGPU.csdata,"",@progbits
; Kernel info:
; codeLenInByte = 2716
; NumSgprs: 22
; NumVgprs: 23
; ScratchSize: 0
; MemoryBound: 0
; FloatMode: 240
; IeeeMode: 1
; LDSByteSize: 0 bytes/workgroup (compile time only)
; SGPRBlocks: 2
; VGPRBlocks: 2
; NumSGPRsForWavesPerEU: 22
; NumVGPRsForWavesPerEU: 23
; Occupancy: 16
; WaveLimiterHint : 0
; COMPUTE_PGM_RSRC2:SCRATCH_EN: 0
; COMPUTE_PGM_RSRC2:USER_SGPR: 15
; COMPUTE_PGM_RSRC2:TRAP_HANDLER: 0
; COMPUTE_PGM_RSRC2:TGID_X_EN: 1
; COMPUTE_PGM_RSRC2:TGID_Y_EN: 0
; COMPUTE_PGM_RSRC2:TGID_Z_EN: 0
; COMPUTE_PGM_RSRC2:TIDIG_COMP_CNT: 1
	.section	.text._ZN12_GLOBAL__N_121softmax_warp_backwardIfN3c108BFloat16EfLi9ELb1ELb0ELi32EEEvPT0_PKT_S7_iiiPKb,"axG",@progbits,_ZN12_GLOBAL__N_121softmax_warp_backwardIfN3c108BFloat16EfLi9ELb1ELb0ELi32EEEvPT0_PKT_S7_iiiPKb,comdat
	.globl	_ZN12_GLOBAL__N_121softmax_warp_backwardIfN3c108BFloat16EfLi9ELb1ELb0ELi32EEEvPT0_PKT_S7_iiiPKb ; -- Begin function _ZN12_GLOBAL__N_121softmax_warp_backwardIfN3c108BFloat16EfLi9ELb1ELb0ELi32EEEvPT0_PKT_S7_iiiPKb
	.p2align	8
	.type	_ZN12_GLOBAL__N_121softmax_warp_backwardIfN3c108BFloat16EfLi9ELb1ELb0ELi32EEEvPT0_PKT_S7_iiiPKb,@function
_ZN12_GLOBAL__N_121softmax_warp_backwardIfN3c108BFloat16EfLi9ELb1ELb0ELi32EEEvPT0_PKT_S7_iiiPKb: ; @_ZN12_GLOBAL__N_121softmax_warp_backwardIfN3c108BFloat16EfLi9ELb1ELb0ELi32EEEvPT0_PKT_S7_iiiPKb
; %bb.0:
	s_clause 0x1
	s_load_b32 s2, s[0:1], 0x3c
	s_load_b128 s[20:23], s[0:1], 0x18
	v_bfe_u32 v1, v0, 10, 10
	s_clause 0x1
	s_load_b128 s[16:19], s[0:1], 0x0
	s_load_b64 s[0:1], s[0:1], 0x10
	v_mov_b32_e32 v35, 0
	v_mov_b32_e32 v37, 0
	;; [unrolled: 1-line block ×3, first 2 shown]
	s_waitcnt lgkmcnt(0)
	s_lshr_b32 s2, s2, 16
	s_delay_alu instid0(SALU_CYCLE_1) | instskip(SKIP_1) | instid1(VALU_DEP_1)
	v_mad_u64_u32 v[3:4], null, s15, s2, v[1:2]
	v_and_b32_e32 v2, 31, v0
	v_cmp_gt_i32_e64 s14, s22, v2
	s_delay_alu instid0(VALU_DEP_3) | instskip(SKIP_1) | instid1(VALU_DEP_1)
	v_mad_u64_u32 v[0:1], null, v3, s21, v[2:3]
	v_sub_nc_u32_e32 v38, s20, v3
	v_cmp_lt_i32_e64 s15, 0, v38
	s_delay_alu instid0(VALU_DEP_3) | instskip(NEXT) | instid1(VALU_DEP_1)
	v_ashrrev_i32_e32 v1, 31, v0
	v_lshlrev_b64 v[5:6], 2, v[0:1]
	s_delay_alu instid0(VALU_DEP_1) | instskip(NEXT) | instid1(VALU_DEP_2)
	v_add_co_u32 v3, vcc_lo, s18, v5
	v_add_co_ci_u32_e32 v4, vcc_lo, s19, v6, vcc_lo
	v_add_co_u32 v5, vcc_lo, s0, v5
	v_add_co_ci_u32_e32 v6, vcc_lo, s1, v6, vcc_lo
	s_and_b32 s1, s15, s14
	s_delay_alu instid0(SALU_CYCLE_1)
	s_and_saveexec_b32 s0, s1
	s_cbranch_execz .LBB343_2
; %bb.1:
	global_load_b32 v35, v[3:4], off
	global_load_b32 v37, v[5:6], off
.LBB343_2:
	s_or_b32 exec_lo, exec_lo, s0
	v_or_b32_e32 v7, 32, v2
	v_mov_b32_e32 v36, 0
	s_delay_alu instid0(VALU_DEP_2) | instskip(NEXT) | instid1(VALU_DEP_1)
	v_cmp_gt_i32_e64 s13, s22, v7
	s_and_b32 s1, s15, s13
	s_delay_alu instid0(SALU_CYCLE_1)
	s_and_saveexec_b32 s0, s1
	s_cbranch_execz .LBB343_4
; %bb.3:
	global_load_b32 v29, v[3:4], off offset:128
	global_load_b32 v36, v[5:6], off offset:128
.LBB343_4:
	s_or_b32 exec_lo, exec_lo, s0
	v_or_b32_e32 v7, 64, v2
	v_dual_mov_b32 v26, 0 :: v_dual_mov_b32 v33, 0
	v_mov_b32_e32 v34, 0
	s_delay_alu instid0(VALU_DEP_3) | instskip(NEXT) | instid1(VALU_DEP_1)
	v_cmp_gt_i32_e64 s12, s22, v7
	s_and_b32 s1, s15, s12
	s_delay_alu instid0(SALU_CYCLE_1)
	s_and_saveexec_b32 s0, s1
	s_cbranch_execz .LBB343_6
; %bb.5:
	global_load_b32 v33, v[3:4], off offset:256
	global_load_b32 v34, v[5:6], off offset:256
.LBB343_6:
	s_or_b32 exec_lo, exec_lo, s0
	v_or_b32_e32 v7, 0x60, v2
	v_mov_b32_e32 v32, 0
	s_delay_alu instid0(VALU_DEP_2) | instskip(NEXT) | instid1(VALU_DEP_1)
	v_cmp_gt_i32_e64 s11, s22, v7
	s_and_b32 s1, s15, s11
	s_delay_alu instid0(SALU_CYCLE_1)
	s_and_saveexec_b32 s0, s1
	s_cbranch_execz .LBB343_8
; %bb.7:
	global_load_b32 v26, v[3:4], off offset:384
	global_load_b32 v32, v[5:6], off offset:384
.LBB343_8:
	s_or_b32 exec_lo, exec_lo, s0
	v_or_b32_e32 v7, 0x80, v2
	v_dual_mov_b32 v22, 0 :: v_dual_mov_b32 v31, 0
	v_mov_b32_e32 v30, 0
	s_delay_alu instid0(VALU_DEP_3) | instskip(NEXT) | instid1(VALU_DEP_1)
	v_cmp_gt_i32_e64 s10, s22, v7
	s_and_b32 s1, s15, s10
	s_delay_alu instid0(SALU_CYCLE_1)
	s_and_saveexec_b32 s0, s1
	s_cbranch_execz .LBB343_10
; %bb.9:
	global_load_b32 v30, v[3:4], off offset:512
	global_load_b32 v31, v[5:6], off offset:512
.LBB343_10:
	;; [unrolled: 27-line block ×6, first 2 shown]
	s_or_b32 exec_lo, exec_lo, s0
	v_or_b32_e32 v7, 0x1a0, v2
	v_mov_b32_e32 v12, 0
	s_delay_alu instid0(VALU_DEP_2) | instskip(NEXT) | instid1(VALU_DEP_1)
	v_cmp_gt_i32_e64 s1, s22, v7
	s_and_b32 s18, s15, s1
	s_delay_alu instid0(SALU_CYCLE_1)
	s_and_saveexec_b32 s0, s18
	s_cbranch_execz .LBB343_28
; %bb.27:
	global_load_b32 v8, v[3:4], off offset:1664
	global_load_b32 v12, v[5:6], off offset:1664
.LBB343_28:
	s_or_b32 exec_lo, exec_lo, s0
	v_or_b32_e32 v7, 0x1c0, v2
	v_mov_b32_e32 v9, 0
	v_mov_b32_e32 v11, 0
	s_delay_alu instid0(VALU_DEP_3) | instskip(SKIP_1) | instid1(VALU_DEP_2)
	v_cmp_gt_i32_e64 s0, s22, v7
	v_mov_b32_e32 v7, 0
	s_and_b32 s19, s15, s0
	s_delay_alu instid0(SALU_CYCLE_1)
	s_and_saveexec_b32 s18, s19
	s_cbranch_execz .LBB343_30
; %bb.29:
	global_load_b32 v9, v[3:4], off offset:1792
	global_load_b32 v11, v[5:6], off offset:1792
.LBB343_30:
	s_or_b32 exec_lo, exec_lo, s18
	v_or_b32_e32 v2, 0x1e0, v2
	s_delay_alu instid0(VALU_DEP_1) | instskip(SKIP_2) | instid1(SALU_CYCLE_1)
	v_cmp_gt_i32_e32 vcc_lo, s22, v2
	v_mov_b32_e32 v2, 0
	s_and_b32 s18, s15, vcc_lo
	s_and_saveexec_b32 s15, s18
	s_cbranch_execz .LBB343_32
; %bb.31:
	global_load_b32 v7, v[3:4], off offset:1920
	global_load_b32 v2, v[5:6], off offset:1920
.LBB343_32:
	s_or_b32 exec_lo, exec_lo, s15
	v_mbcnt_lo_u32_b32 v4, -1, 0
	s_mov_b32 s18, exec_lo
	s_delay_alu instid0(VALU_DEP_1) | instskip(SKIP_1) | instid1(VALU_DEP_2)
	v_xor_b32_e32 v5, 16, v4
	v_xor_b32_e32 v6, 8, v4
	v_cmp_gt_i32_e64 s15, 32, v5
	s_delay_alu instid0(VALU_DEP_1) | instskip(NEXT) | instid1(VALU_DEP_3)
	v_cndmask_b32_e64 v5, v4, v5, s15
	v_cmp_gt_i32_e64 s15, 32, v6
	s_delay_alu instid0(VALU_DEP_2) | instskip(NEXT) | instid1(VALU_DEP_2)
	v_lshlrev_b32_e32 v5, 2, v5
	v_cndmask_b32_e64 v6, v4, v6, s15
	s_waitcnt vmcnt(1)
	s_delay_alu instid0(VALU_DEP_1) | instskip(NEXT) | instid1(VALU_DEP_1)
	v_dual_add_f32 v3, 0, v35 :: v_dual_lshlrev_b32 v6, 2, v6
	v_add_f32_e32 v3, v3, v29
	s_delay_alu instid0(VALU_DEP_1) | instskip(NEXT) | instid1(VALU_DEP_1)
	v_add_f32_e32 v3, v3, v33
	v_add_f32_e32 v3, v3, v26
	s_delay_alu instid0(VALU_DEP_1) | instskip(NEXT) | instid1(VALU_DEP_1)
	v_add_f32_e32 v3, v3, v30
	;; [unrolled: 3-line block ×7, first 2 shown]
	v_add_f32_e32 v3, v3, v7
	ds_bpermute_b32 v5, v5, v3
	s_waitcnt lgkmcnt(0)
	v_add_f32_e32 v3, v3, v5
	ds_bpermute_b32 v5, v6, v3
	v_xor_b32_e32 v6, 4, v4
	s_delay_alu instid0(VALU_DEP_1) | instskip(NEXT) | instid1(VALU_DEP_1)
	v_cmp_gt_i32_e64 s15, 32, v6
	v_cndmask_b32_e64 v6, v4, v6, s15
	s_waitcnt lgkmcnt(0)
	s_delay_alu instid0(VALU_DEP_1) | instskip(SKIP_2) | instid1(VALU_DEP_1)
	v_dual_add_f32 v3, v3, v5 :: v_dual_lshlrev_b32 v6, 2, v6
	ds_bpermute_b32 v5, v6, v3
	v_xor_b32_e32 v6, 2, v4
	v_cmp_gt_i32_e64 s15, 32, v6
	s_delay_alu instid0(VALU_DEP_1) | instskip(SKIP_1) | instid1(VALU_DEP_1)
	v_cndmask_b32_e64 v6, v4, v6, s15
	s_waitcnt lgkmcnt(0)
	v_dual_add_f32 v3, v3, v5 :: v_dual_lshlrev_b32 v6, 2, v6
	ds_bpermute_b32 v5, v6, v3
	v_xor_b32_e32 v6, 1, v4
	s_delay_alu instid0(VALU_DEP_1) | instskip(NEXT) | instid1(VALU_DEP_1)
	v_cmp_gt_i32_e64 s15, 32, v6
	v_cndmask_b32_e64 v4, v4, v6, s15
	s_waitcnt lgkmcnt(0)
	s_delay_alu instid0(VALU_DEP_1)
	v_dual_add_f32 v3, v3, v5 :: v_dual_lshlrev_b32 v4, 2, v4
	ds_bpermute_b32 v4, v4, v3
	v_cmpx_lt_i32_e32 0, v38
	s_cbranch_execz .LBB343_50
; %bb.33:
	v_lshlrev_b64 v[0:1], 1, v[0:1]
	s_waitcnt lgkmcnt(0)
	v_add_f32_e32 v3, v3, v4
	s_delay_alu instid0(VALU_DEP_2) | instskip(NEXT) | instid1(VALU_DEP_1)
	v_add_co_u32 v0, s15, s16, v0
	v_add_co_ci_u32_e64 v1, s15, s17, v1, s15
	s_and_saveexec_b32 s15, s14
	s_cbranch_execnz .LBB343_51
; %bb.34:
	s_or_b32 exec_lo, exec_lo, s15
	s_and_saveexec_b32 s14, s13
	s_cbranch_execnz .LBB343_52
.LBB343_35:
	s_or_b32 exec_lo, exec_lo, s14
	s_and_saveexec_b32 s13, s12
	s_cbranch_execnz .LBB343_53
.LBB343_36:
	s_or_b32 exec_lo, exec_lo, s13
	s_and_saveexec_b32 s12, s11
	s_cbranch_execnz .LBB343_54
.LBB343_37:
	s_or_b32 exec_lo, exec_lo, s12
	s_and_saveexec_b32 s11, s10
	s_cbranch_execnz .LBB343_55
.LBB343_38:
	s_or_b32 exec_lo, exec_lo, s11
	s_and_saveexec_b32 s10, s9
	s_cbranch_execnz .LBB343_56
.LBB343_39:
	s_or_b32 exec_lo, exec_lo, s10
	s_and_saveexec_b32 s9, s8
	s_cbranch_execnz .LBB343_57
.LBB343_40:
	s_or_b32 exec_lo, exec_lo, s9
	s_and_saveexec_b32 s8, s7
	s_cbranch_execnz .LBB343_58
.LBB343_41:
	s_or_b32 exec_lo, exec_lo, s8
	s_and_saveexec_b32 s7, s6
	s_cbranch_execnz .LBB343_59
.LBB343_42:
	s_or_b32 exec_lo, exec_lo, s7
	s_and_saveexec_b32 s6, s5
	s_cbranch_execnz .LBB343_60
.LBB343_43:
	s_or_b32 exec_lo, exec_lo, s6
	s_and_saveexec_b32 s5, s4
	s_cbranch_execnz .LBB343_61
.LBB343_44:
	s_or_b32 exec_lo, exec_lo, s5
	s_and_saveexec_b32 s4, s3
	s_cbranch_execnz .LBB343_62
.LBB343_45:
	s_or_b32 exec_lo, exec_lo, s4
	s_and_saveexec_b32 s3, s2
	s_cbranch_execnz .LBB343_63
.LBB343_46:
	s_or_b32 exec_lo, exec_lo, s3
	s_and_saveexec_b32 s2, s1
	s_cbranch_execnz .LBB343_64
.LBB343_47:
	s_or_b32 exec_lo, exec_lo, s2
	s_and_saveexec_b32 s1, s0
	s_cbranch_execnz .LBB343_65
.LBB343_48:
	s_or_b32 exec_lo, exec_lo, s1
	s_delay_alu instid0(SALU_CYCLE_1)
	s_and_b32 exec_lo, exec_lo, vcc_lo
	s_cbranch_execz .LBB343_50
.LBB343_49:
	s_waitcnt vmcnt(0)
	v_mul_f32_e32 v4, 0x3fb8aa3b, v2
	v_cmp_ngt_f32_e32 vcc_lo, 0xc2ce8ed0, v2
	s_delay_alu instid0(VALU_DEP_2) | instskip(SKIP_1) | instid1(VALU_DEP_2)
	v_rndne_f32_e32 v5, v4
	v_fma_f32 v6, 0x3fb8aa3b, v2, -v4
	v_sub_f32_e32 v4, v4, v5
	s_delay_alu instid0(VALU_DEP_2) | instskip(SKIP_1) | instid1(VALU_DEP_2)
	v_fmamk_f32 v6, v2, 0x32a5705f, v6
	v_cvt_i32_f32_e32 v5, v5
	v_add_f32_e32 v4, v4, v6
	s_delay_alu instid0(VALU_DEP_1) | instskip(SKIP_2) | instid1(VALU_DEP_1)
	v_exp_f32_e32 v4, v4
	s_waitcnt_depctr 0xfff
	v_ldexp_f32 v4, v4, v5
	v_cndmask_b32_e32 v4, 0, v4, vcc_lo
	v_cmp_nlt_f32_e32 vcc_lo, 0x42b17218, v2
	s_delay_alu instid0(VALU_DEP_2) | instskip(NEXT) | instid1(VALU_DEP_1)
	v_cndmask_b32_e32 v2, 0x7f800000, v4, vcc_lo
	v_fma_f32 v2, -v3, v2, v7
	s_delay_alu instid0(VALU_DEP_1) | instskip(SKIP_1) | instid1(VALU_DEP_2)
	v_bfe_u32 v3, v2, 16, 1
	v_cmp_o_f32_e32 vcc_lo, v2, v2
	v_add3_u32 v3, v2, v3, 0x7fff
	s_delay_alu instid0(VALU_DEP_1) | instskip(NEXT) | instid1(VALU_DEP_1)
	v_lshrrev_b32_e32 v3, 16, v3
	v_cndmask_b32_e32 v2, 0x7fc0, v3, vcc_lo
	global_store_b16 v[0:1], v2, off offset:960
.LBB343_50:
	s_nop 0
	s_sendmsg sendmsg(MSG_DEALLOC_VGPRS)
	s_endpgm
.LBB343_51:
	s_waitcnt vmcnt(0)
	v_mul_f32_e32 v4, 0x3fb8aa3b, v37
	v_cmp_ngt_f32_e64 s14, 0xc2ce8ed0, v37
	s_delay_alu instid0(VALU_DEP_2) | instskip(SKIP_1) | instid1(VALU_DEP_2)
	v_rndne_f32_e32 v5, v4
	v_fma_f32 v6, 0x3fb8aa3b, v37, -v4
	v_sub_f32_e32 v4, v4, v5
	s_delay_alu instid0(VALU_DEP_2) | instskip(SKIP_1) | instid1(VALU_DEP_2)
	v_fmamk_f32 v6, v37, 0x32a5705f, v6
	v_cvt_i32_f32_e32 v5, v5
	v_add_f32_e32 v4, v4, v6
	s_delay_alu instid0(VALU_DEP_1) | instskip(SKIP_2) | instid1(VALU_DEP_1)
	v_exp_f32_e32 v4, v4
	s_waitcnt_depctr 0xfff
	v_ldexp_f32 v4, v4, v5
	v_cndmask_b32_e64 v4, 0, v4, s14
	v_cmp_nlt_f32_e64 s14, 0x42b17218, v37
	s_delay_alu instid0(VALU_DEP_1) | instskip(NEXT) | instid1(VALU_DEP_1)
	v_cndmask_b32_e64 v4, 0x7f800000, v4, s14
	v_fma_f32 v4, -v3, v4, v35
	s_delay_alu instid0(VALU_DEP_1) | instskip(SKIP_1) | instid1(VALU_DEP_2)
	v_bfe_u32 v5, v4, 16, 1
	v_cmp_o_f32_e64 s14, v4, v4
	v_add3_u32 v5, v4, v5, 0x7fff
	s_delay_alu instid0(VALU_DEP_1) | instskip(NEXT) | instid1(VALU_DEP_1)
	v_lshrrev_b32_e32 v5, 16, v5
	v_cndmask_b32_e64 v4, 0x7fc0, v5, s14
	global_store_b16 v[0:1], v4, off
	s_or_b32 exec_lo, exec_lo, s15
	s_and_saveexec_b32 s14, s13
	s_cbranch_execz .LBB343_35
.LBB343_52:
	s_waitcnt vmcnt(0)
	v_mul_f32_e32 v4, 0x3fb8aa3b, v36
	v_cmp_ngt_f32_e64 s13, 0xc2ce8ed0, v36
	s_delay_alu instid0(VALU_DEP_2) | instskip(SKIP_1) | instid1(VALU_DEP_2)
	v_rndne_f32_e32 v5, v4
	v_fma_f32 v6, 0x3fb8aa3b, v36, -v4
	v_sub_f32_e32 v4, v4, v5
	s_delay_alu instid0(VALU_DEP_2) | instskip(SKIP_1) | instid1(VALU_DEP_2)
	v_fmamk_f32 v6, v36, 0x32a5705f, v6
	v_cvt_i32_f32_e32 v5, v5
	v_add_f32_e32 v4, v4, v6
	s_delay_alu instid0(VALU_DEP_1) | instskip(SKIP_2) | instid1(VALU_DEP_1)
	v_exp_f32_e32 v4, v4
	s_waitcnt_depctr 0xfff
	v_ldexp_f32 v4, v4, v5
	v_cndmask_b32_e64 v4, 0, v4, s13
	v_cmp_nlt_f32_e64 s13, 0x42b17218, v36
	s_delay_alu instid0(VALU_DEP_1) | instskip(NEXT) | instid1(VALU_DEP_1)
	v_cndmask_b32_e64 v4, 0x7f800000, v4, s13
	v_fma_f32 v4, -v3, v4, v29
	s_delay_alu instid0(VALU_DEP_1) | instskip(SKIP_1) | instid1(VALU_DEP_2)
	v_bfe_u32 v5, v4, 16, 1
	v_cmp_o_f32_e64 s13, v4, v4
	v_add3_u32 v5, v4, v5, 0x7fff
	s_delay_alu instid0(VALU_DEP_1) | instskip(NEXT) | instid1(VALU_DEP_1)
	v_lshrrev_b32_e32 v5, 16, v5
	v_cndmask_b32_e64 v4, 0x7fc0, v5, s13
	global_store_b16 v[0:1], v4, off offset:64
	s_or_b32 exec_lo, exec_lo, s14
	s_and_saveexec_b32 s13, s12
	s_cbranch_execz .LBB343_36
.LBB343_53:
	s_waitcnt vmcnt(0)
	v_mul_f32_e32 v4, 0x3fb8aa3b, v34
	v_cmp_ngt_f32_e64 s12, 0xc2ce8ed0, v34
	s_delay_alu instid0(VALU_DEP_2) | instskip(SKIP_1) | instid1(VALU_DEP_2)
	v_rndne_f32_e32 v5, v4
	v_fma_f32 v6, 0x3fb8aa3b, v34, -v4
	v_sub_f32_e32 v4, v4, v5
	s_delay_alu instid0(VALU_DEP_2) | instskip(SKIP_1) | instid1(VALU_DEP_2)
	v_fmamk_f32 v6, v34, 0x32a5705f, v6
	v_cvt_i32_f32_e32 v5, v5
	v_add_f32_e32 v4, v4, v6
	s_delay_alu instid0(VALU_DEP_1) | instskip(SKIP_2) | instid1(VALU_DEP_1)
	v_exp_f32_e32 v4, v4
	s_waitcnt_depctr 0xfff
	v_ldexp_f32 v4, v4, v5
	v_cndmask_b32_e64 v4, 0, v4, s12
	v_cmp_nlt_f32_e64 s12, 0x42b17218, v34
	s_delay_alu instid0(VALU_DEP_1) | instskip(NEXT) | instid1(VALU_DEP_1)
	v_cndmask_b32_e64 v4, 0x7f800000, v4, s12
	v_fma_f32 v4, -v3, v4, v33
	s_delay_alu instid0(VALU_DEP_1) | instskip(SKIP_1) | instid1(VALU_DEP_2)
	v_bfe_u32 v5, v4, 16, 1
	v_cmp_o_f32_e64 s12, v4, v4
	v_add3_u32 v5, v4, v5, 0x7fff
	s_delay_alu instid0(VALU_DEP_1) | instskip(NEXT) | instid1(VALU_DEP_1)
	v_lshrrev_b32_e32 v5, 16, v5
	v_cndmask_b32_e64 v4, 0x7fc0, v5, s12
	global_store_b16 v[0:1], v4, off offset:128
	s_or_b32 exec_lo, exec_lo, s13
	s_and_saveexec_b32 s12, s11
	s_cbranch_execz .LBB343_37
.LBB343_54:
	s_waitcnt vmcnt(0)
	v_mul_f32_e32 v4, 0x3fb8aa3b, v32
	v_cmp_ngt_f32_e64 s11, 0xc2ce8ed0, v32
	s_delay_alu instid0(VALU_DEP_2) | instskip(SKIP_1) | instid1(VALU_DEP_2)
	v_rndne_f32_e32 v5, v4
	v_fma_f32 v6, 0x3fb8aa3b, v32, -v4
	v_sub_f32_e32 v4, v4, v5
	s_delay_alu instid0(VALU_DEP_2) | instskip(SKIP_1) | instid1(VALU_DEP_2)
	v_fmamk_f32 v6, v32, 0x32a5705f, v6
	v_cvt_i32_f32_e32 v5, v5
	v_add_f32_e32 v4, v4, v6
	s_delay_alu instid0(VALU_DEP_1) | instskip(SKIP_2) | instid1(VALU_DEP_1)
	v_exp_f32_e32 v4, v4
	s_waitcnt_depctr 0xfff
	v_ldexp_f32 v4, v4, v5
	v_cndmask_b32_e64 v4, 0, v4, s11
	v_cmp_nlt_f32_e64 s11, 0x42b17218, v32
	s_delay_alu instid0(VALU_DEP_1) | instskip(NEXT) | instid1(VALU_DEP_1)
	v_cndmask_b32_e64 v4, 0x7f800000, v4, s11
	v_fma_f32 v4, -v3, v4, v26
	s_delay_alu instid0(VALU_DEP_1) | instskip(SKIP_1) | instid1(VALU_DEP_2)
	v_bfe_u32 v5, v4, 16, 1
	v_cmp_o_f32_e64 s11, v4, v4
	v_add3_u32 v5, v4, v5, 0x7fff
	s_delay_alu instid0(VALU_DEP_1) | instskip(NEXT) | instid1(VALU_DEP_1)
	v_lshrrev_b32_e32 v5, 16, v5
	v_cndmask_b32_e64 v4, 0x7fc0, v5, s11
	global_store_b16 v[0:1], v4, off offset:192
	s_or_b32 exec_lo, exec_lo, s12
	s_and_saveexec_b32 s11, s10
	s_cbranch_execz .LBB343_38
.LBB343_55:
	s_waitcnt vmcnt(0)
	v_mul_f32_e32 v4, 0x3fb8aa3b, v31
	v_cmp_ngt_f32_e64 s10, 0xc2ce8ed0, v31
	s_delay_alu instid0(VALU_DEP_2) | instskip(SKIP_1) | instid1(VALU_DEP_2)
	v_rndne_f32_e32 v5, v4
	v_fma_f32 v6, 0x3fb8aa3b, v31, -v4
	v_sub_f32_e32 v4, v4, v5
	s_delay_alu instid0(VALU_DEP_2) | instskip(SKIP_1) | instid1(VALU_DEP_2)
	v_fmamk_f32 v6, v31, 0x32a5705f, v6
	v_cvt_i32_f32_e32 v5, v5
	v_add_f32_e32 v4, v4, v6
	s_delay_alu instid0(VALU_DEP_1) | instskip(SKIP_2) | instid1(VALU_DEP_1)
	v_exp_f32_e32 v4, v4
	s_waitcnt_depctr 0xfff
	v_ldexp_f32 v4, v4, v5
	v_cndmask_b32_e64 v4, 0, v4, s10
	v_cmp_nlt_f32_e64 s10, 0x42b17218, v31
	s_delay_alu instid0(VALU_DEP_1) | instskip(NEXT) | instid1(VALU_DEP_1)
	v_cndmask_b32_e64 v4, 0x7f800000, v4, s10
	v_fma_f32 v4, -v3, v4, v30
	s_delay_alu instid0(VALU_DEP_1) | instskip(SKIP_1) | instid1(VALU_DEP_2)
	v_bfe_u32 v5, v4, 16, 1
	v_cmp_o_f32_e64 s10, v4, v4
	v_add3_u32 v5, v4, v5, 0x7fff
	s_delay_alu instid0(VALU_DEP_1) | instskip(NEXT) | instid1(VALU_DEP_1)
	v_lshrrev_b32_e32 v5, 16, v5
	v_cndmask_b32_e64 v4, 0x7fc0, v5, s10
	global_store_b16 v[0:1], v4, off offset:256
	s_or_b32 exec_lo, exec_lo, s11
	s_and_saveexec_b32 s10, s9
	s_cbranch_execz .LBB343_39
.LBB343_56:
	s_waitcnt vmcnt(0)
	v_mul_f32_e32 v4, 0x3fb8aa3b, v28
	v_cmp_ngt_f32_e64 s9, 0xc2ce8ed0, v28
	s_delay_alu instid0(VALU_DEP_2) | instskip(SKIP_1) | instid1(VALU_DEP_2)
	v_rndne_f32_e32 v5, v4
	v_fma_f32 v6, 0x3fb8aa3b, v28, -v4
	v_sub_f32_e32 v4, v4, v5
	s_delay_alu instid0(VALU_DEP_2) | instskip(SKIP_1) | instid1(VALU_DEP_2)
	v_fmamk_f32 v6, v28, 0x32a5705f, v6
	v_cvt_i32_f32_e32 v5, v5
	v_add_f32_e32 v4, v4, v6
	s_delay_alu instid0(VALU_DEP_1) | instskip(SKIP_2) | instid1(VALU_DEP_1)
	v_exp_f32_e32 v4, v4
	s_waitcnt_depctr 0xfff
	v_ldexp_f32 v4, v4, v5
	v_cndmask_b32_e64 v4, 0, v4, s9
	v_cmp_nlt_f32_e64 s9, 0x42b17218, v28
	s_delay_alu instid0(VALU_DEP_1) | instskip(NEXT) | instid1(VALU_DEP_1)
	v_cndmask_b32_e64 v4, 0x7f800000, v4, s9
	v_fma_f32 v4, -v3, v4, v22
	s_delay_alu instid0(VALU_DEP_1) | instskip(SKIP_1) | instid1(VALU_DEP_2)
	v_bfe_u32 v5, v4, 16, 1
	v_cmp_o_f32_e64 s9, v4, v4
	v_add3_u32 v5, v4, v5, 0x7fff
	s_delay_alu instid0(VALU_DEP_1) | instskip(NEXT) | instid1(VALU_DEP_1)
	v_lshrrev_b32_e32 v5, 16, v5
	v_cndmask_b32_e64 v4, 0x7fc0, v5, s9
	global_store_b16 v[0:1], v4, off offset:320
	s_or_b32 exec_lo, exec_lo, s10
	s_and_saveexec_b32 s9, s8
	s_cbranch_execz .LBB343_40
.LBB343_57:
	s_waitcnt vmcnt(0)
	v_mul_f32_e32 v4, 0x3fb8aa3b, v27
	v_cmp_ngt_f32_e64 s8, 0xc2ce8ed0, v27
	s_delay_alu instid0(VALU_DEP_2) | instskip(SKIP_1) | instid1(VALU_DEP_2)
	v_rndne_f32_e32 v5, v4
	v_fma_f32 v6, 0x3fb8aa3b, v27, -v4
	v_sub_f32_e32 v4, v4, v5
	s_delay_alu instid0(VALU_DEP_2) | instskip(SKIP_1) | instid1(VALU_DEP_2)
	v_fmamk_f32 v6, v27, 0x32a5705f, v6
	v_cvt_i32_f32_e32 v5, v5
	v_add_f32_e32 v4, v4, v6
	s_delay_alu instid0(VALU_DEP_1) | instskip(SKIP_2) | instid1(VALU_DEP_1)
	v_exp_f32_e32 v4, v4
	s_waitcnt_depctr 0xfff
	v_ldexp_f32 v4, v4, v5
	v_cndmask_b32_e64 v4, 0, v4, s8
	v_cmp_nlt_f32_e64 s8, 0x42b17218, v27
	s_delay_alu instid0(VALU_DEP_1) | instskip(NEXT) | instid1(VALU_DEP_1)
	v_cndmask_b32_e64 v4, 0x7f800000, v4, s8
	v_fma_f32 v4, -v3, v4, v25
	s_delay_alu instid0(VALU_DEP_1) | instskip(SKIP_1) | instid1(VALU_DEP_2)
	v_bfe_u32 v5, v4, 16, 1
	v_cmp_o_f32_e64 s8, v4, v4
	v_add3_u32 v5, v4, v5, 0x7fff
	s_delay_alu instid0(VALU_DEP_1) | instskip(NEXT) | instid1(VALU_DEP_1)
	v_lshrrev_b32_e32 v5, 16, v5
	v_cndmask_b32_e64 v4, 0x7fc0, v5, s8
	global_store_b16 v[0:1], v4, off offset:384
	s_or_b32 exec_lo, exec_lo, s9
	s_and_saveexec_b32 s8, s7
	s_cbranch_execz .LBB343_41
.LBB343_58:
	s_waitcnt vmcnt(0)
	v_mul_f32_e32 v4, 0x3fb8aa3b, v24
	v_cmp_ngt_f32_e64 s7, 0xc2ce8ed0, v24
	s_delay_alu instid0(VALU_DEP_2) | instskip(SKIP_1) | instid1(VALU_DEP_2)
	v_rndne_f32_e32 v5, v4
	v_fma_f32 v6, 0x3fb8aa3b, v24, -v4
	v_sub_f32_e32 v4, v4, v5
	s_delay_alu instid0(VALU_DEP_2) | instskip(SKIP_1) | instid1(VALU_DEP_2)
	v_fmamk_f32 v6, v24, 0x32a5705f, v6
	v_cvt_i32_f32_e32 v5, v5
	v_add_f32_e32 v4, v4, v6
	s_delay_alu instid0(VALU_DEP_1) | instskip(SKIP_2) | instid1(VALU_DEP_1)
	v_exp_f32_e32 v4, v4
	s_waitcnt_depctr 0xfff
	v_ldexp_f32 v4, v4, v5
	v_cndmask_b32_e64 v4, 0, v4, s7
	v_cmp_nlt_f32_e64 s7, 0x42b17218, v24
	s_delay_alu instid0(VALU_DEP_1) | instskip(NEXT) | instid1(VALU_DEP_1)
	v_cndmask_b32_e64 v4, 0x7f800000, v4, s7
	v_fma_f32 v4, -v3, v4, v18
	s_delay_alu instid0(VALU_DEP_1) | instskip(SKIP_1) | instid1(VALU_DEP_2)
	v_bfe_u32 v5, v4, 16, 1
	v_cmp_o_f32_e64 s7, v4, v4
	v_add3_u32 v5, v4, v5, 0x7fff
	s_delay_alu instid0(VALU_DEP_1) | instskip(NEXT) | instid1(VALU_DEP_1)
	v_lshrrev_b32_e32 v5, 16, v5
	v_cndmask_b32_e64 v4, 0x7fc0, v5, s7
	global_store_b16 v[0:1], v4, off offset:448
	s_or_b32 exec_lo, exec_lo, s8
	s_and_saveexec_b32 s7, s6
	s_cbranch_execz .LBB343_42
.LBB343_59:
	s_waitcnt vmcnt(0)
	v_mul_f32_e32 v4, 0x3fb8aa3b, v23
	v_cmp_ngt_f32_e64 s6, 0xc2ce8ed0, v23
	s_delay_alu instid0(VALU_DEP_2) | instskip(SKIP_1) | instid1(VALU_DEP_2)
	v_rndne_f32_e32 v5, v4
	v_fma_f32 v6, 0x3fb8aa3b, v23, -v4
	v_sub_f32_e32 v4, v4, v5
	s_delay_alu instid0(VALU_DEP_2) | instskip(SKIP_1) | instid1(VALU_DEP_2)
	v_fmamk_f32 v6, v23, 0x32a5705f, v6
	v_cvt_i32_f32_e32 v5, v5
	v_add_f32_e32 v4, v4, v6
	s_delay_alu instid0(VALU_DEP_1) | instskip(SKIP_2) | instid1(VALU_DEP_1)
	v_exp_f32_e32 v4, v4
	s_waitcnt_depctr 0xfff
	v_ldexp_f32 v4, v4, v5
	v_cndmask_b32_e64 v4, 0, v4, s6
	v_cmp_nlt_f32_e64 s6, 0x42b17218, v23
	s_delay_alu instid0(VALU_DEP_1) | instskip(NEXT) | instid1(VALU_DEP_1)
	v_cndmask_b32_e64 v4, 0x7f800000, v4, s6
	v_fma_f32 v4, -v3, v4, v21
	s_delay_alu instid0(VALU_DEP_1) | instskip(SKIP_1) | instid1(VALU_DEP_2)
	v_bfe_u32 v5, v4, 16, 1
	v_cmp_o_f32_e64 s6, v4, v4
	v_add3_u32 v5, v4, v5, 0x7fff
	s_delay_alu instid0(VALU_DEP_1) | instskip(NEXT) | instid1(VALU_DEP_1)
	v_lshrrev_b32_e32 v5, 16, v5
	v_cndmask_b32_e64 v4, 0x7fc0, v5, s6
	global_store_b16 v[0:1], v4, off offset:512
	s_or_b32 exec_lo, exec_lo, s7
	s_and_saveexec_b32 s6, s5
	s_cbranch_execz .LBB343_43
.LBB343_60:
	s_waitcnt vmcnt(0)
	v_mul_f32_e32 v4, 0x3fb8aa3b, v20
	v_cmp_ngt_f32_e64 s5, 0xc2ce8ed0, v20
	s_delay_alu instid0(VALU_DEP_2) | instskip(SKIP_1) | instid1(VALU_DEP_2)
	v_rndne_f32_e32 v5, v4
	v_fma_f32 v6, 0x3fb8aa3b, v20, -v4
	v_sub_f32_e32 v4, v4, v5
	s_delay_alu instid0(VALU_DEP_2) | instskip(SKIP_1) | instid1(VALU_DEP_2)
	v_fmamk_f32 v6, v20, 0x32a5705f, v6
	v_cvt_i32_f32_e32 v5, v5
	v_add_f32_e32 v4, v4, v6
	s_delay_alu instid0(VALU_DEP_1) | instskip(SKIP_2) | instid1(VALU_DEP_1)
	v_exp_f32_e32 v4, v4
	s_waitcnt_depctr 0xfff
	v_ldexp_f32 v4, v4, v5
	v_cndmask_b32_e64 v4, 0, v4, s5
	v_cmp_nlt_f32_e64 s5, 0x42b17218, v20
	s_delay_alu instid0(VALU_DEP_1) | instskip(NEXT) | instid1(VALU_DEP_1)
	v_cndmask_b32_e64 v4, 0x7f800000, v4, s5
	v_fma_f32 v4, -v3, v4, v14
	s_delay_alu instid0(VALU_DEP_1) | instskip(SKIP_1) | instid1(VALU_DEP_2)
	v_bfe_u32 v5, v4, 16, 1
	v_cmp_o_f32_e64 s5, v4, v4
	v_add3_u32 v5, v4, v5, 0x7fff
	s_delay_alu instid0(VALU_DEP_1) | instskip(NEXT) | instid1(VALU_DEP_1)
	v_lshrrev_b32_e32 v5, 16, v5
	v_cndmask_b32_e64 v4, 0x7fc0, v5, s5
	global_store_b16 v[0:1], v4, off offset:576
	s_or_b32 exec_lo, exec_lo, s6
	s_and_saveexec_b32 s5, s4
	s_cbranch_execz .LBB343_44
.LBB343_61:
	s_waitcnt vmcnt(0)
	v_mul_f32_e32 v4, 0x3fb8aa3b, v19
	v_cmp_ngt_f32_e64 s4, 0xc2ce8ed0, v19
	s_delay_alu instid0(VALU_DEP_2) | instskip(SKIP_1) | instid1(VALU_DEP_2)
	v_rndne_f32_e32 v5, v4
	v_fma_f32 v6, 0x3fb8aa3b, v19, -v4
	v_sub_f32_e32 v4, v4, v5
	s_delay_alu instid0(VALU_DEP_2) | instskip(SKIP_1) | instid1(VALU_DEP_2)
	v_fmamk_f32 v6, v19, 0x32a5705f, v6
	v_cvt_i32_f32_e32 v5, v5
	v_add_f32_e32 v4, v4, v6
	s_delay_alu instid0(VALU_DEP_1) | instskip(SKIP_2) | instid1(VALU_DEP_1)
	v_exp_f32_e32 v4, v4
	s_waitcnt_depctr 0xfff
	v_ldexp_f32 v4, v4, v5
	v_cndmask_b32_e64 v4, 0, v4, s4
	v_cmp_nlt_f32_e64 s4, 0x42b17218, v19
	s_delay_alu instid0(VALU_DEP_1) | instskip(NEXT) | instid1(VALU_DEP_1)
	v_cndmask_b32_e64 v4, 0x7f800000, v4, s4
	v_fma_f32 v4, -v3, v4, v17
	s_delay_alu instid0(VALU_DEP_1) | instskip(SKIP_1) | instid1(VALU_DEP_2)
	v_bfe_u32 v5, v4, 16, 1
	v_cmp_o_f32_e64 s4, v4, v4
	v_add3_u32 v5, v4, v5, 0x7fff
	s_delay_alu instid0(VALU_DEP_1) | instskip(NEXT) | instid1(VALU_DEP_1)
	v_lshrrev_b32_e32 v5, 16, v5
	v_cndmask_b32_e64 v4, 0x7fc0, v5, s4
	global_store_b16 v[0:1], v4, off offset:640
	s_or_b32 exec_lo, exec_lo, s5
	s_and_saveexec_b32 s4, s3
	s_cbranch_execz .LBB343_45
.LBB343_62:
	s_waitcnt vmcnt(0)
	v_mul_f32_e32 v4, 0x3fb8aa3b, v16
	v_cmp_ngt_f32_e64 s3, 0xc2ce8ed0, v16
	s_delay_alu instid0(VALU_DEP_2) | instskip(SKIP_1) | instid1(VALU_DEP_2)
	v_rndne_f32_e32 v5, v4
	v_fma_f32 v6, 0x3fb8aa3b, v16, -v4
	v_sub_f32_e32 v4, v4, v5
	s_delay_alu instid0(VALU_DEP_2) | instskip(SKIP_1) | instid1(VALU_DEP_2)
	v_fmamk_f32 v6, v16, 0x32a5705f, v6
	v_cvt_i32_f32_e32 v5, v5
	v_add_f32_e32 v4, v4, v6
	s_delay_alu instid0(VALU_DEP_1) | instskip(SKIP_2) | instid1(VALU_DEP_1)
	v_exp_f32_e32 v4, v4
	s_waitcnt_depctr 0xfff
	v_ldexp_f32 v4, v4, v5
	v_cndmask_b32_e64 v4, 0, v4, s3
	v_cmp_nlt_f32_e64 s3, 0x42b17218, v16
	s_delay_alu instid0(VALU_DEP_1) | instskip(NEXT) | instid1(VALU_DEP_1)
	v_cndmask_b32_e64 v4, 0x7f800000, v4, s3
	v_fma_f32 v4, -v3, v4, v10
	s_delay_alu instid0(VALU_DEP_1) | instskip(SKIP_1) | instid1(VALU_DEP_2)
	v_bfe_u32 v5, v4, 16, 1
	v_cmp_o_f32_e64 s3, v4, v4
	v_add3_u32 v5, v4, v5, 0x7fff
	s_delay_alu instid0(VALU_DEP_1) | instskip(NEXT) | instid1(VALU_DEP_1)
	v_lshrrev_b32_e32 v5, 16, v5
	v_cndmask_b32_e64 v4, 0x7fc0, v5, s3
	global_store_b16 v[0:1], v4, off offset:704
	s_or_b32 exec_lo, exec_lo, s4
	s_and_saveexec_b32 s3, s2
	s_cbranch_execz .LBB343_46
.LBB343_63:
	s_waitcnt vmcnt(0)
	v_mul_f32_e32 v4, 0x3fb8aa3b, v15
	v_cmp_ngt_f32_e64 s2, 0xc2ce8ed0, v15
	s_delay_alu instid0(VALU_DEP_2) | instskip(SKIP_1) | instid1(VALU_DEP_2)
	v_rndne_f32_e32 v5, v4
	v_fma_f32 v6, 0x3fb8aa3b, v15, -v4
	v_sub_f32_e32 v4, v4, v5
	s_delay_alu instid0(VALU_DEP_2) | instskip(SKIP_1) | instid1(VALU_DEP_2)
	v_fmamk_f32 v6, v15, 0x32a5705f, v6
	v_cvt_i32_f32_e32 v5, v5
	v_add_f32_e32 v4, v4, v6
	s_delay_alu instid0(VALU_DEP_1) | instskip(SKIP_2) | instid1(VALU_DEP_1)
	v_exp_f32_e32 v4, v4
	s_waitcnt_depctr 0xfff
	v_ldexp_f32 v4, v4, v5
	v_cndmask_b32_e64 v4, 0, v4, s2
	v_cmp_nlt_f32_e64 s2, 0x42b17218, v15
	s_delay_alu instid0(VALU_DEP_1) | instskip(NEXT) | instid1(VALU_DEP_1)
	v_cndmask_b32_e64 v4, 0x7f800000, v4, s2
	v_fma_f32 v4, -v3, v4, v13
	s_delay_alu instid0(VALU_DEP_1) | instskip(SKIP_1) | instid1(VALU_DEP_2)
	v_bfe_u32 v5, v4, 16, 1
	v_cmp_o_f32_e64 s2, v4, v4
	v_add3_u32 v5, v4, v5, 0x7fff
	s_delay_alu instid0(VALU_DEP_1) | instskip(NEXT) | instid1(VALU_DEP_1)
	v_lshrrev_b32_e32 v5, 16, v5
	v_cndmask_b32_e64 v4, 0x7fc0, v5, s2
	global_store_b16 v[0:1], v4, off offset:768
	s_or_b32 exec_lo, exec_lo, s3
	s_and_saveexec_b32 s2, s1
	s_cbranch_execz .LBB343_47
.LBB343_64:
	s_waitcnt vmcnt(0)
	v_mul_f32_e32 v4, 0x3fb8aa3b, v12
	v_cmp_ngt_f32_e64 s1, 0xc2ce8ed0, v12
	s_delay_alu instid0(VALU_DEP_2) | instskip(SKIP_1) | instid1(VALU_DEP_2)
	v_rndne_f32_e32 v5, v4
	v_fma_f32 v6, 0x3fb8aa3b, v12, -v4
	v_sub_f32_e32 v4, v4, v5
	s_delay_alu instid0(VALU_DEP_2) | instskip(SKIP_1) | instid1(VALU_DEP_2)
	v_fmamk_f32 v6, v12, 0x32a5705f, v6
	v_cvt_i32_f32_e32 v5, v5
	v_add_f32_e32 v4, v4, v6
	s_delay_alu instid0(VALU_DEP_1) | instskip(SKIP_2) | instid1(VALU_DEP_1)
	v_exp_f32_e32 v4, v4
	s_waitcnt_depctr 0xfff
	v_ldexp_f32 v4, v4, v5
	v_cndmask_b32_e64 v4, 0, v4, s1
	v_cmp_nlt_f32_e64 s1, 0x42b17218, v12
	s_delay_alu instid0(VALU_DEP_1) | instskip(NEXT) | instid1(VALU_DEP_1)
	v_cndmask_b32_e64 v4, 0x7f800000, v4, s1
	v_fma_f32 v4, -v3, v4, v8
	s_delay_alu instid0(VALU_DEP_1) | instskip(SKIP_1) | instid1(VALU_DEP_2)
	v_bfe_u32 v5, v4, 16, 1
	v_cmp_o_f32_e64 s1, v4, v4
	v_add3_u32 v5, v4, v5, 0x7fff
	s_delay_alu instid0(VALU_DEP_1) | instskip(NEXT) | instid1(VALU_DEP_1)
	v_lshrrev_b32_e32 v5, 16, v5
	v_cndmask_b32_e64 v4, 0x7fc0, v5, s1
	global_store_b16 v[0:1], v4, off offset:832
	s_or_b32 exec_lo, exec_lo, s2
	s_and_saveexec_b32 s1, s0
	s_cbranch_execz .LBB343_48
.LBB343_65:
	s_waitcnt vmcnt(0)
	v_mul_f32_e32 v4, 0x3fb8aa3b, v11
	v_cmp_ngt_f32_e64 s0, 0xc2ce8ed0, v11
	s_delay_alu instid0(VALU_DEP_2) | instskip(SKIP_1) | instid1(VALU_DEP_2)
	v_rndne_f32_e32 v5, v4
	v_fma_f32 v6, 0x3fb8aa3b, v11, -v4
	v_sub_f32_e32 v4, v4, v5
	s_delay_alu instid0(VALU_DEP_2) | instskip(SKIP_1) | instid1(VALU_DEP_2)
	v_fmamk_f32 v6, v11, 0x32a5705f, v6
	v_cvt_i32_f32_e32 v5, v5
	v_add_f32_e32 v4, v4, v6
	s_delay_alu instid0(VALU_DEP_1) | instskip(SKIP_2) | instid1(VALU_DEP_1)
	v_exp_f32_e32 v4, v4
	s_waitcnt_depctr 0xfff
	v_ldexp_f32 v4, v4, v5
	v_cndmask_b32_e64 v4, 0, v4, s0
	v_cmp_nlt_f32_e64 s0, 0x42b17218, v11
	s_delay_alu instid0(VALU_DEP_1) | instskip(NEXT) | instid1(VALU_DEP_1)
	v_cndmask_b32_e64 v4, 0x7f800000, v4, s0
	v_fma_f32 v4, -v3, v4, v9
	s_delay_alu instid0(VALU_DEP_1) | instskip(SKIP_1) | instid1(VALU_DEP_2)
	v_bfe_u32 v5, v4, 16, 1
	v_cmp_o_f32_e64 s0, v4, v4
	v_add3_u32 v5, v4, v5, 0x7fff
	s_delay_alu instid0(VALU_DEP_1) | instskip(NEXT) | instid1(VALU_DEP_1)
	v_lshrrev_b32_e32 v5, 16, v5
	v_cndmask_b32_e64 v4, 0x7fc0, v5, s0
	global_store_b16 v[0:1], v4, off offset:896
	s_or_b32 exec_lo, exec_lo, s1
	s_delay_alu instid0(SALU_CYCLE_1)
	s_and_b32 exec_lo, exec_lo, vcc_lo
	s_cbranch_execnz .LBB343_49
	s_branch .LBB343_50
	.section	.rodata,"a",@progbits
	.p2align	6, 0x0
	.amdhsa_kernel _ZN12_GLOBAL__N_121softmax_warp_backwardIfN3c108BFloat16EfLi9ELb1ELb0ELi32EEEvPT0_PKT_S7_iiiPKb
		.amdhsa_group_segment_fixed_size 0
		.amdhsa_private_segment_fixed_size 0
		.amdhsa_kernarg_size 304
		.amdhsa_user_sgpr_count 15
		.amdhsa_user_sgpr_dispatch_ptr 0
		.amdhsa_user_sgpr_queue_ptr 0
		.amdhsa_user_sgpr_kernarg_segment_ptr 1
		.amdhsa_user_sgpr_dispatch_id 0
		.amdhsa_user_sgpr_private_segment_size 0
		.amdhsa_wavefront_size32 1
		.amdhsa_uses_dynamic_stack 0
		.amdhsa_enable_private_segment 0
		.amdhsa_system_sgpr_workgroup_id_x 1
		.amdhsa_system_sgpr_workgroup_id_y 0
		.amdhsa_system_sgpr_workgroup_id_z 0
		.amdhsa_system_sgpr_workgroup_info 0
		.amdhsa_system_vgpr_workitem_id 1
		.amdhsa_next_free_vgpr 39
		.amdhsa_next_free_sgpr 24
		.amdhsa_reserve_vcc 1
		.amdhsa_float_round_mode_32 0
		.amdhsa_float_round_mode_16_64 0
		.amdhsa_float_denorm_mode_32 3
		.amdhsa_float_denorm_mode_16_64 3
		.amdhsa_dx10_clamp 1
		.amdhsa_ieee_mode 1
		.amdhsa_fp16_overflow 0
		.amdhsa_workgroup_processor_mode 1
		.amdhsa_memory_ordered 1
		.amdhsa_forward_progress 0
		.amdhsa_shared_vgpr_count 0
		.amdhsa_exception_fp_ieee_invalid_op 0
		.amdhsa_exception_fp_denorm_src 0
		.amdhsa_exception_fp_ieee_div_zero 0
		.amdhsa_exception_fp_ieee_overflow 0
		.amdhsa_exception_fp_ieee_underflow 0
		.amdhsa_exception_fp_ieee_inexact 0
		.amdhsa_exception_int_div_zero 0
	.end_amdhsa_kernel
	.section	.text._ZN12_GLOBAL__N_121softmax_warp_backwardIfN3c108BFloat16EfLi9ELb1ELb0ELi32EEEvPT0_PKT_S7_iiiPKb,"axG",@progbits,_ZN12_GLOBAL__N_121softmax_warp_backwardIfN3c108BFloat16EfLi9ELb1ELb0ELi32EEEvPT0_PKT_S7_iiiPKb,comdat
.Lfunc_end343:
	.size	_ZN12_GLOBAL__N_121softmax_warp_backwardIfN3c108BFloat16EfLi9ELb1ELb0ELi32EEEvPT0_PKT_S7_iiiPKb, .Lfunc_end343-_ZN12_GLOBAL__N_121softmax_warp_backwardIfN3c108BFloat16EfLi9ELb1ELb0ELi32EEEvPT0_PKT_S7_iiiPKb
                                        ; -- End function
	.section	.AMDGPU.csdata,"",@progbits
; Kernel info:
; codeLenInByte = 4956
; NumSgprs: 26
; NumVgprs: 39
; ScratchSize: 0
; MemoryBound: 0
; FloatMode: 240
; IeeeMode: 1
; LDSByteSize: 0 bytes/workgroup (compile time only)
; SGPRBlocks: 3
; VGPRBlocks: 4
; NumSGPRsForWavesPerEU: 26
; NumVGPRsForWavesPerEU: 39
; Occupancy: 16
; WaveLimiterHint : 0
; COMPUTE_PGM_RSRC2:SCRATCH_EN: 0
; COMPUTE_PGM_RSRC2:USER_SGPR: 15
; COMPUTE_PGM_RSRC2:TRAP_HANDLER: 0
; COMPUTE_PGM_RSRC2:TGID_X_EN: 1
; COMPUTE_PGM_RSRC2:TGID_Y_EN: 0
; COMPUTE_PGM_RSRC2:TGID_Z_EN: 0
; COMPUTE_PGM_RSRC2:TIDIG_COMP_CNT: 1
	.section	.text._ZN12_GLOBAL__N_121softmax_warp_backwardIfN3c108BFloat16EfLi10ELb1ELb0ELi64EEEvPT0_PKT_S7_iiiPKb,"axG",@progbits,_ZN12_GLOBAL__N_121softmax_warp_backwardIfN3c108BFloat16EfLi10ELb1ELb0ELi64EEEvPT0_PKT_S7_iiiPKb,comdat
	.globl	_ZN12_GLOBAL__N_121softmax_warp_backwardIfN3c108BFloat16EfLi10ELb1ELb0ELi64EEEvPT0_PKT_S7_iiiPKb ; -- Begin function _ZN12_GLOBAL__N_121softmax_warp_backwardIfN3c108BFloat16EfLi10ELb1ELb0ELi64EEEvPT0_PKT_S7_iiiPKb
	.p2align	8
	.type	_ZN12_GLOBAL__N_121softmax_warp_backwardIfN3c108BFloat16EfLi10ELb1ELb0ELi64EEEvPT0_PKT_S7_iiiPKb,@function
_ZN12_GLOBAL__N_121softmax_warp_backwardIfN3c108BFloat16EfLi10ELb1ELb0ELi64EEEvPT0_PKT_S7_iiiPKb: ; @_ZN12_GLOBAL__N_121softmax_warp_backwardIfN3c108BFloat16EfLi10ELb1ELb0ELi64EEEvPT0_PKT_S7_iiiPKb
; %bb.0:
	s_clause 0x1
	s_load_b32 s2, s[0:1], 0x3c
	s_load_b128 s[20:23], s[0:1], 0x18
	v_bfe_u32 v1, v0, 10, 10
	v_dual_mov_b32 v29, 0 :: v_dual_and_b32 v8, 0x3ff, v0
	s_load_b128 s[16:19], s[0:1], 0x0
	v_mov_b32_e32 v35, 0
	s_load_b64 s[0:1], s[0:1], 0x10
	s_delay_alu instid0(VALU_DEP_2) | instskip(SKIP_2) | instid1(VALU_DEP_1)
	v_dual_mov_b32 v37, 0 :: v_dual_and_b32 v6, 63, v8
	s_waitcnt lgkmcnt(0)
	s_lshr_b32 s2, s2, 16
	v_cmp_gt_i32_e64 s14, s22, v6
	v_mad_u64_u32 v[2:3], null, s15, s2, v[1:2]
	s_delay_alu instid0(VALU_DEP_1) | instskip(SKIP_1) | instid1(VALU_DEP_1)
	v_mad_u64_u32 v[0:1], null, v2, s21, v[6:7]
	v_sub_nc_u32_e32 v38, s20, v2
	v_cmp_lt_i32_e64 s15, 0, v38
	s_delay_alu instid0(VALU_DEP_3) | instskip(NEXT) | instid1(VALU_DEP_1)
	v_ashrrev_i32_e32 v1, 31, v0
	v_lshlrev_b64 v[4:5], 2, v[0:1]
	s_delay_alu instid0(VALU_DEP_1) | instskip(NEXT) | instid1(VALU_DEP_2)
	v_add_co_u32 v2, vcc_lo, s18, v4
	v_add_co_ci_u32_e32 v3, vcc_lo, s19, v5, vcc_lo
	v_add_co_u32 v4, vcc_lo, s0, v4
	v_add_co_ci_u32_e32 v5, vcc_lo, s1, v5, vcc_lo
	s_and_b32 s1, s15, s14
	s_delay_alu instid0(SALU_CYCLE_1)
	s_and_saveexec_b32 s0, s1
	s_cbranch_execz .LBB344_2
; %bb.1:
	global_load_b32 v35, v[2:3], off
	global_load_b32 v37, v[4:5], off
.LBB344_2:
	s_or_b32 exec_lo, exec_lo, s0
	v_or_b32_e32 v7, 64, v6
	v_mov_b32_e32 v36, 0
	s_delay_alu instid0(VALU_DEP_2) | instskip(NEXT) | instid1(VALU_DEP_1)
	v_cmp_gt_i32_e64 s13, s22, v7
	s_and_b32 s1, s15, s13
	s_delay_alu instid0(SALU_CYCLE_1)
	s_and_saveexec_b32 s0, s1
	s_cbranch_execz .LBB344_4
; %bb.3:
	global_load_b32 v29, v[2:3], off offset:256
	global_load_b32 v36, v[4:5], off offset:256
.LBB344_4:
	s_or_b32 exec_lo, exec_lo, s0
	v_or_b32_e32 v7, 0x80, v6
	v_dual_mov_b32 v26, 0 :: v_dual_mov_b32 v33, 0
	v_mov_b32_e32 v34, 0
	s_delay_alu instid0(VALU_DEP_3) | instskip(NEXT) | instid1(VALU_DEP_1)
	v_cmp_gt_i32_e64 s12, s22, v7
	s_and_b32 s1, s15, s12
	s_delay_alu instid0(SALU_CYCLE_1)
	s_and_saveexec_b32 s0, s1
	s_cbranch_execz .LBB344_6
; %bb.5:
	global_load_b32 v33, v[2:3], off offset:512
	global_load_b32 v34, v[4:5], off offset:512
.LBB344_6:
	s_or_b32 exec_lo, exec_lo, s0
	v_or_b32_e32 v7, 0xc0, v6
	v_mov_b32_e32 v32, 0
	s_delay_alu instid0(VALU_DEP_2) | instskip(NEXT) | instid1(VALU_DEP_1)
	v_cmp_gt_i32_e64 s11, s22, v7
	s_and_b32 s1, s15, s11
	s_delay_alu instid0(SALU_CYCLE_1)
	s_and_saveexec_b32 s0, s1
	s_cbranch_execz .LBB344_8
; %bb.7:
	global_load_b32 v26, v[2:3], off offset:768
	global_load_b32 v32, v[4:5], off offset:768
.LBB344_8:
	s_or_b32 exec_lo, exec_lo, s0
	v_or_b32_e32 v7, 0x100, v6
	v_dual_mov_b32 v22, 0 :: v_dual_mov_b32 v31, 0
	v_mov_b32_e32 v30, 0
	s_delay_alu instid0(VALU_DEP_3) | instskip(NEXT) | instid1(VALU_DEP_1)
	v_cmp_gt_i32_e64 s10, s22, v7
	s_and_b32 s1, s15, s10
	s_delay_alu instid0(SALU_CYCLE_1)
	s_and_saveexec_b32 s0, s1
	s_cbranch_execz .LBB344_10
; %bb.9:
	global_load_b32 v30, v[2:3], off offset:1024
	global_load_b32 v31, v[4:5], off offset:1024
.LBB344_10:
	;; [unrolled: 27-line block ×5, first 2 shown]
	s_or_b32 exec_lo, exec_lo, s0
	v_or_b32_e32 v7, 0x2c0, v6
	v_mov_b32_e32 v16, 0
	s_delay_alu instid0(VALU_DEP_2) | instskip(NEXT) | instid1(VALU_DEP_1)
	v_cmp_gt_i32_e64 s3, s22, v7
	s_and_b32 s1, s15, s3
	s_delay_alu instid0(SALU_CYCLE_1)
	s_and_saveexec_b32 s0, s1
	s_cbranch_execz .LBB344_24
; %bb.23:
	global_load_b32 v10, v[2:3], off offset:2816
	global_load_b32 v16, v[4:5], off offset:2816
.LBB344_24:
	s_or_b32 exec_lo, exec_lo, s0
	v_or_b32_e32 v7, 0x300, v6
	v_mov_b32_e32 v13, 0
	v_mov_b32_e32 v15, 0
	s_delay_alu instid0(VALU_DEP_3) | instskip(SKIP_1) | instid1(VALU_DEP_2)
	v_cmp_gt_i32_e64 s2, s22, v7
	v_mov_b32_e32 v7, 0
	s_and_b32 s1, s15, s2
	s_delay_alu instid0(SALU_CYCLE_1)
	s_and_saveexec_b32 s0, s1
	s_cbranch_execz .LBB344_26
; %bb.25:
	global_load_b32 v13, v[2:3], off offset:3072
	global_load_b32 v15, v[4:5], off offset:3072
.LBB344_26:
	s_or_b32 exec_lo, exec_lo, s0
	v_or_b32_e32 v9, 0x340, v6
	v_mov_b32_e32 v12, 0
	s_delay_alu instid0(VALU_DEP_2) | instskip(NEXT) | instid1(VALU_DEP_1)
	v_cmp_gt_i32_e64 s1, s22, v9
	s_and_b32 s18, s15, s1
	s_delay_alu instid0(SALU_CYCLE_1)
	s_and_saveexec_b32 s0, s18
	s_cbranch_execz .LBB344_28
; %bb.27:
	global_load_b32 v7, v[2:3], off offset:3328
	global_load_b32 v12, v[4:5], off offset:3328
.LBB344_28:
	s_or_b32 exec_lo, exec_lo, s0
	v_or_b32_e32 v6, 0x380, v6
	v_mov_b32_e32 v11, 0
	v_mov_b32_e32 v9, 0
	s_delay_alu instid0(VALU_DEP_3) | instskip(SKIP_1) | instid1(VALU_DEP_2)
	v_cmp_gt_i32_e64 s0, s22, v6
	v_mov_b32_e32 v6, 0
	s_and_b32 s19, s15, s0
	s_delay_alu instid0(SALU_CYCLE_1)
	s_and_saveexec_b32 s18, s19
	s_cbranch_execz .LBB344_30
; %bb.29:
	global_load_b32 v9, v[2:3], off offset:3584
	global_load_b32 v11, v[4:5], off offset:3584
.LBB344_30:
	s_or_b32 exec_lo, exec_lo, s18
	v_or_b32_e32 v8, 0x3c0, v8
	s_delay_alu instid0(VALU_DEP_1) | instskip(SKIP_2) | instid1(SALU_CYCLE_1)
	v_cmp_gt_i32_e32 vcc_lo, s22, v8
	v_mov_b32_e32 v8, 0
	s_and_b32 s18, s15, vcc_lo
	s_and_saveexec_b32 s15, s18
	s_cbranch_execz .LBB344_32
; %bb.31:
	global_load_b32 v6, v[2:3], off offset:3840
	global_load_b32 v8, v[4:5], off offset:3840
.LBB344_32:
	s_or_b32 exec_lo, exec_lo, s15
	v_mbcnt_lo_u32_b32 v3, -1, 0
	s_mov_b32 s18, exec_lo
	s_delay_alu instid0(VALU_DEP_1) | instskip(SKIP_1) | instid1(VALU_DEP_2)
	v_or_b32_e32 v4, 32, v3
	v_xor_b32_e32 v5, 16, v3
	v_cmp_gt_i32_e64 s15, 64, v4
	s_delay_alu instid0(VALU_DEP_1) | instskip(NEXT) | instid1(VALU_DEP_3)
	v_cndmask_b32_e64 v4, v3, v4, s15
	v_cmp_gt_i32_e64 s15, 64, v5
	s_delay_alu instid0(VALU_DEP_2) | instskip(NEXT) | instid1(VALU_DEP_2)
	v_lshlrev_b32_e32 v4, 2, v4
	v_cndmask_b32_e64 v5, v3, v5, s15
	s_waitcnt vmcnt(1)
	s_delay_alu instid0(VALU_DEP_1) | instskip(NEXT) | instid1(VALU_DEP_1)
	v_dual_add_f32 v2, 0, v35 :: v_dual_lshlrev_b32 v5, 2, v5
	v_add_f32_e32 v2, v2, v29
	s_delay_alu instid0(VALU_DEP_1) | instskip(NEXT) | instid1(VALU_DEP_1)
	v_add_f32_e32 v2, v2, v33
	v_add_f32_e32 v2, v2, v26
	s_delay_alu instid0(VALU_DEP_1) | instskip(NEXT) | instid1(VALU_DEP_1)
	v_add_f32_e32 v2, v2, v30
	;; [unrolled: 3-line block ×7, first 2 shown]
	v_add_f32_e32 v2, v2, v6
	ds_bpermute_b32 v4, v4, v2
	s_waitcnt lgkmcnt(0)
	v_add_f32_e32 v2, v2, v4
	ds_bpermute_b32 v4, v5, v2
	v_xor_b32_e32 v5, 8, v3
	s_delay_alu instid0(VALU_DEP_1) | instskip(NEXT) | instid1(VALU_DEP_1)
	v_cmp_gt_i32_e64 s15, 64, v5
	v_cndmask_b32_e64 v5, v3, v5, s15
	s_waitcnt lgkmcnt(0)
	s_delay_alu instid0(VALU_DEP_1) | instskip(SKIP_2) | instid1(VALU_DEP_1)
	v_dual_add_f32 v2, v2, v4 :: v_dual_lshlrev_b32 v5, 2, v5
	ds_bpermute_b32 v4, v5, v2
	v_xor_b32_e32 v5, 4, v3
	v_cmp_gt_i32_e64 s15, 64, v5
	s_delay_alu instid0(VALU_DEP_1) | instskip(SKIP_1) | instid1(VALU_DEP_1)
	v_cndmask_b32_e64 v5, v3, v5, s15
	s_waitcnt lgkmcnt(0)
	v_dual_add_f32 v2, v2, v4 :: v_dual_lshlrev_b32 v5, 2, v5
	ds_bpermute_b32 v4, v5, v2
	v_xor_b32_e32 v5, 2, v3
	s_delay_alu instid0(VALU_DEP_1) | instskip(NEXT) | instid1(VALU_DEP_1)
	v_cmp_gt_i32_e64 s15, 64, v5
	v_cndmask_b32_e64 v5, v3, v5, s15
	s_waitcnt lgkmcnt(0)
	s_delay_alu instid0(VALU_DEP_1) | instskip(SKIP_2) | instid1(VALU_DEP_1)
	v_dual_add_f32 v2, v2, v4 :: v_dual_lshlrev_b32 v5, 2, v5
	ds_bpermute_b32 v4, v5, v2
	v_xor_b32_e32 v5, 1, v3
	v_cmp_gt_i32_e64 s15, 64, v5
	s_delay_alu instid0(VALU_DEP_1) | instskip(SKIP_1) | instid1(VALU_DEP_1)
	v_cndmask_b32_e64 v3, v3, v5, s15
	s_waitcnt lgkmcnt(0)
	v_dual_add_f32 v2, v2, v4 :: v_dual_lshlrev_b32 v3, 2, v3
	ds_bpermute_b32 v3, v3, v2
	v_cmpx_lt_i32_e32 0, v38
	s_cbranch_execz .LBB344_50
; %bb.33:
	v_lshlrev_b64 v[0:1], 1, v[0:1]
	s_waitcnt lgkmcnt(0)
	v_add_f32_e32 v2, v2, v3
	s_delay_alu instid0(VALU_DEP_2) | instskip(NEXT) | instid1(VALU_DEP_1)
	v_add_co_u32 v0, s15, s16, v0
	v_add_co_ci_u32_e64 v1, s15, s17, v1, s15
	s_and_saveexec_b32 s15, s14
	s_cbranch_execnz .LBB344_51
; %bb.34:
	s_or_b32 exec_lo, exec_lo, s15
	s_and_saveexec_b32 s14, s13
	s_cbranch_execnz .LBB344_52
.LBB344_35:
	s_or_b32 exec_lo, exec_lo, s14
	s_and_saveexec_b32 s13, s12
	s_cbranch_execnz .LBB344_53
.LBB344_36:
	s_or_b32 exec_lo, exec_lo, s13
	s_and_saveexec_b32 s12, s11
	s_cbranch_execnz .LBB344_54
.LBB344_37:
	s_or_b32 exec_lo, exec_lo, s12
	s_and_saveexec_b32 s11, s10
	s_cbranch_execnz .LBB344_55
.LBB344_38:
	s_or_b32 exec_lo, exec_lo, s11
	s_and_saveexec_b32 s10, s9
	s_cbranch_execnz .LBB344_56
.LBB344_39:
	s_or_b32 exec_lo, exec_lo, s10
	s_and_saveexec_b32 s9, s8
	s_cbranch_execnz .LBB344_57
.LBB344_40:
	s_or_b32 exec_lo, exec_lo, s9
	s_and_saveexec_b32 s8, s7
	s_cbranch_execnz .LBB344_58
.LBB344_41:
	s_or_b32 exec_lo, exec_lo, s8
	s_and_saveexec_b32 s7, s6
	s_cbranch_execnz .LBB344_59
.LBB344_42:
	s_or_b32 exec_lo, exec_lo, s7
	s_and_saveexec_b32 s6, s5
	s_cbranch_execnz .LBB344_60
.LBB344_43:
	s_or_b32 exec_lo, exec_lo, s6
	s_and_saveexec_b32 s5, s4
	s_cbranch_execnz .LBB344_61
.LBB344_44:
	s_or_b32 exec_lo, exec_lo, s5
	s_and_saveexec_b32 s4, s3
	s_cbranch_execnz .LBB344_62
.LBB344_45:
	s_or_b32 exec_lo, exec_lo, s4
	s_and_saveexec_b32 s3, s2
	s_cbranch_execnz .LBB344_63
.LBB344_46:
	s_or_b32 exec_lo, exec_lo, s3
	s_and_saveexec_b32 s2, s1
	s_cbranch_execnz .LBB344_64
.LBB344_47:
	s_or_b32 exec_lo, exec_lo, s2
	s_and_saveexec_b32 s1, s0
	s_cbranch_execnz .LBB344_65
.LBB344_48:
	s_or_b32 exec_lo, exec_lo, s1
	s_delay_alu instid0(SALU_CYCLE_1)
	s_and_b32 exec_lo, exec_lo, vcc_lo
	s_cbranch_execz .LBB344_50
.LBB344_49:
	s_waitcnt vmcnt(0)
	v_mul_f32_e32 v3, 0x3fb8aa3b, v8
	v_cmp_ngt_f32_e32 vcc_lo, 0xc2ce8ed0, v8
	s_delay_alu instid0(VALU_DEP_2) | instskip(SKIP_1) | instid1(VALU_DEP_2)
	v_rndne_f32_e32 v4, v3
	v_fma_f32 v5, 0x3fb8aa3b, v8, -v3
	v_sub_f32_e32 v3, v3, v4
	s_delay_alu instid0(VALU_DEP_2) | instskip(SKIP_1) | instid1(VALU_DEP_2)
	v_fmamk_f32 v5, v8, 0x32a5705f, v5
	v_cvt_i32_f32_e32 v4, v4
	v_add_f32_e32 v3, v3, v5
	s_delay_alu instid0(VALU_DEP_1) | instskip(SKIP_2) | instid1(VALU_DEP_1)
	v_exp_f32_e32 v3, v3
	s_waitcnt_depctr 0xfff
	v_ldexp_f32 v3, v3, v4
	v_cndmask_b32_e32 v3, 0, v3, vcc_lo
	v_cmp_nlt_f32_e32 vcc_lo, 0x42b17218, v8
	s_delay_alu instid0(VALU_DEP_2) | instskip(NEXT) | instid1(VALU_DEP_1)
	v_cndmask_b32_e32 v3, 0x7f800000, v3, vcc_lo
	v_fma_f32 v2, -v2, v3, v6
	s_delay_alu instid0(VALU_DEP_1) | instskip(SKIP_1) | instid1(VALU_DEP_2)
	v_bfe_u32 v3, v2, 16, 1
	v_cmp_o_f32_e32 vcc_lo, v2, v2
	v_add3_u32 v3, v2, v3, 0x7fff
	s_delay_alu instid0(VALU_DEP_1) | instskip(NEXT) | instid1(VALU_DEP_1)
	v_lshrrev_b32_e32 v3, 16, v3
	v_cndmask_b32_e32 v2, 0x7fc0, v3, vcc_lo
	global_store_b16 v[0:1], v2, off offset:1920
.LBB344_50:
	s_nop 0
	s_sendmsg sendmsg(MSG_DEALLOC_VGPRS)
	s_endpgm
.LBB344_51:
	s_waitcnt vmcnt(0)
	v_mul_f32_e32 v3, 0x3fb8aa3b, v37
	v_cmp_ngt_f32_e64 s14, 0xc2ce8ed0, v37
	s_delay_alu instid0(VALU_DEP_2) | instskip(SKIP_1) | instid1(VALU_DEP_2)
	v_rndne_f32_e32 v4, v3
	v_fma_f32 v5, 0x3fb8aa3b, v37, -v3
	v_sub_f32_e32 v3, v3, v4
	s_delay_alu instid0(VALU_DEP_2) | instskip(SKIP_1) | instid1(VALU_DEP_2)
	v_fmamk_f32 v5, v37, 0x32a5705f, v5
	v_cvt_i32_f32_e32 v4, v4
	v_add_f32_e32 v3, v3, v5
	s_delay_alu instid0(VALU_DEP_1) | instskip(SKIP_2) | instid1(VALU_DEP_1)
	v_exp_f32_e32 v3, v3
	s_waitcnt_depctr 0xfff
	v_ldexp_f32 v3, v3, v4
	v_cndmask_b32_e64 v3, 0, v3, s14
	v_cmp_nlt_f32_e64 s14, 0x42b17218, v37
	s_delay_alu instid0(VALU_DEP_1) | instskip(NEXT) | instid1(VALU_DEP_1)
	v_cndmask_b32_e64 v3, 0x7f800000, v3, s14
	v_fma_f32 v3, -v2, v3, v35
	s_delay_alu instid0(VALU_DEP_1) | instskip(SKIP_1) | instid1(VALU_DEP_2)
	v_bfe_u32 v4, v3, 16, 1
	v_cmp_o_f32_e64 s14, v3, v3
	v_add3_u32 v4, v3, v4, 0x7fff
	s_delay_alu instid0(VALU_DEP_1) | instskip(NEXT) | instid1(VALU_DEP_1)
	v_lshrrev_b32_e32 v4, 16, v4
	v_cndmask_b32_e64 v3, 0x7fc0, v4, s14
	global_store_b16 v[0:1], v3, off
	s_or_b32 exec_lo, exec_lo, s15
	s_and_saveexec_b32 s14, s13
	s_cbranch_execz .LBB344_35
.LBB344_52:
	s_waitcnt vmcnt(0)
	v_mul_f32_e32 v3, 0x3fb8aa3b, v36
	v_cmp_ngt_f32_e64 s13, 0xc2ce8ed0, v36
	s_delay_alu instid0(VALU_DEP_2) | instskip(SKIP_1) | instid1(VALU_DEP_2)
	v_rndne_f32_e32 v4, v3
	v_fma_f32 v5, 0x3fb8aa3b, v36, -v3
	v_sub_f32_e32 v3, v3, v4
	s_delay_alu instid0(VALU_DEP_2) | instskip(SKIP_1) | instid1(VALU_DEP_2)
	v_fmamk_f32 v5, v36, 0x32a5705f, v5
	v_cvt_i32_f32_e32 v4, v4
	v_add_f32_e32 v3, v3, v5
	s_delay_alu instid0(VALU_DEP_1) | instskip(SKIP_2) | instid1(VALU_DEP_1)
	v_exp_f32_e32 v3, v3
	s_waitcnt_depctr 0xfff
	v_ldexp_f32 v3, v3, v4
	v_cndmask_b32_e64 v3, 0, v3, s13
	v_cmp_nlt_f32_e64 s13, 0x42b17218, v36
	s_delay_alu instid0(VALU_DEP_1) | instskip(NEXT) | instid1(VALU_DEP_1)
	v_cndmask_b32_e64 v3, 0x7f800000, v3, s13
	v_fma_f32 v3, -v2, v3, v29
	s_delay_alu instid0(VALU_DEP_1) | instskip(SKIP_1) | instid1(VALU_DEP_2)
	v_bfe_u32 v4, v3, 16, 1
	v_cmp_o_f32_e64 s13, v3, v3
	v_add3_u32 v4, v3, v4, 0x7fff
	s_delay_alu instid0(VALU_DEP_1) | instskip(NEXT) | instid1(VALU_DEP_1)
	v_lshrrev_b32_e32 v4, 16, v4
	v_cndmask_b32_e64 v3, 0x7fc0, v4, s13
	global_store_b16 v[0:1], v3, off offset:128
	s_or_b32 exec_lo, exec_lo, s14
	s_and_saveexec_b32 s13, s12
	s_cbranch_execz .LBB344_36
.LBB344_53:
	s_waitcnt vmcnt(0)
	v_mul_f32_e32 v3, 0x3fb8aa3b, v34
	v_cmp_ngt_f32_e64 s12, 0xc2ce8ed0, v34
	s_delay_alu instid0(VALU_DEP_2) | instskip(SKIP_1) | instid1(VALU_DEP_2)
	v_rndne_f32_e32 v4, v3
	v_fma_f32 v5, 0x3fb8aa3b, v34, -v3
	v_sub_f32_e32 v3, v3, v4
	s_delay_alu instid0(VALU_DEP_2) | instskip(SKIP_1) | instid1(VALU_DEP_2)
	v_fmamk_f32 v5, v34, 0x32a5705f, v5
	v_cvt_i32_f32_e32 v4, v4
	v_add_f32_e32 v3, v3, v5
	s_delay_alu instid0(VALU_DEP_1) | instskip(SKIP_2) | instid1(VALU_DEP_1)
	v_exp_f32_e32 v3, v3
	s_waitcnt_depctr 0xfff
	v_ldexp_f32 v3, v3, v4
	v_cndmask_b32_e64 v3, 0, v3, s12
	v_cmp_nlt_f32_e64 s12, 0x42b17218, v34
	s_delay_alu instid0(VALU_DEP_1) | instskip(NEXT) | instid1(VALU_DEP_1)
	v_cndmask_b32_e64 v3, 0x7f800000, v3, s12
	v_fma_f32 v3, -v2, v3, v33
	s_delay_alu instid0(VALU_DEP_1) | instskip(SKIP_1) | instid1(VALU_DEP_2)
	v_bfe_u32 v4, v3, 16, 1
	v_cmp_o_f32_e64 s12, v3, v3
	v_add3_u32 v4, v3, v4, 0x7fff
	s_delay_alu instid0(VALU_DEP_1) | instskip(NEXT) | instid1(VALU_DEP_1)
	v_lshrrev_b32_e32 v4, 16, v4
	v_cndmask_b32_e64 v3, 0x7fc0, v4, s12
	global_store_b16 v[0:1], v3, off offset:256
	s_or_b32 exec_lo, exec_lo, s13
	s_and_saveexec_b32 s12, s11
	s_cbranch_execz .LBB344_37
.LBB344_54:
	s_waitcnt vmcnt(0)
	v_mul_f32_e32 v3, 0x3fb8aa3b, v32
	v_cmp_ngt_f32_e64 s11, 0xc2ce8ed0, v32
	s_delay_alu instid0(VALU_DEP_2) | instskip(SKIP_1) | instid1(VALU_DEP_2)
	v_rndne_f32_e32 v4, v3
	v_fma_f32 v5, 0x3fb8aa3b, v32, -v3
	v_sub_f32_e32 v3, v3, v4
	s_delay_alu instid0(VALU_DEP_2) | instskip(SKIP_1) | instid1(VALU_DEP_2)
	v_fmamk_f32 v5, v32, 0x32a5705f, v5
	v_cvt_i32_f32_e32 v4, v4
	v_add_f32_e32 v3, v3, v5
	s_delay_alu instid0(VALU_DEP_1) | instskip(SKIP_2) | instid1(VALU_DEP_1)
	v_exp_f32_e32 v3, v3
	s_waitcnt_depctr 0xfff
	v_ldexp_f32 v3, v3, v4
	v_cndmask_b32_e64 v3, 0, v3, s11
	v_cmp_nlt_f32_e64 s11, 0x42b17218, v32
	s_delay_alu instid0(VALU_DEP_1) | instskip(NEXT) | instid1(VALU_DEP_1)
	v_cndmask_b32_e64 v3, 0x7f800000, v3, s11
	v_fma_f32 v3, -v2, v3, v26
	s_delay_alu instid0(VALU_DEP_1) | instskip(SKIP_1) | instid1(VALU_DEP_2)
	v_bfe_u32 v4, v3, 16, 1
	v_cmp_o_f32_e64 s11, v3, v3
	v_add3_u32 v4, v3, v4, 0x7fff
	s_delay_alu instid0(VALU_DEP_1) | instskip(NEXT) | instid1(VALU_DEP_1)
	v_lshrrev_b32_e32 v4, 16, v4
	v_cndmask_b32_e64 v3, 0x7fc0, v4, s11
	global_store_b16 v[0:1], v3, off offset:384
	s_or_b32 exec_lo, exec_lo, s12
	s_and_saveexec_b32 s11, s10
	s_cbranch_execz .LBB344_38
.LBB344_55:
	s_waitcnt vmcnt(0)
	v_mul_f32_e32 v3, 0x3fb8aa3b, v31
	v_cmp_ngt_f32_e64 s10, 0xc2ce8ed0, v31
	s_delay_alu instid0(VALU_DEP_2) | instskip(SKIP_1) | instid1(VALU_DEP_2)
	v_rndne_f32_e32 v4, v3
	v_fma_f32 v5, 0x3fb8aa3b, v31, -v3
	v_sub_f32_e32 v3, v3, v4
	s_delay_alu instid0(VALU_DEP_2) | instskip(SKIP_1) | instid1(VALU_DEP_2)
	v_fmamk_f32 v5, v31, 0x32a5705f, v5
	v_cvt_i32_f32_e32 v4, v4
	v_add_f32_e32 v3, v3, v5
	s_delay_alu instid0(VALU_DEP_1) | instskip(SKIP_2) | instid1(VALU_DEP_1)
	v_exp_f32_e32 v3, v3
	s_waitcnt_depctr 0xfff
	v_ldexp_f32 v3, v3, v4
	v_cndmask_b32_e64 v3, 0, v3, s10
	v_cmp_nlt_f32_e64 s10, 0x42b17218, v31
	s_delay_alu instid0(VALU_DEP_1) | instskip(NEXT) | instid1(VALU_DEP_1)
	v_cndmask_b32_e64 v3, 0x7f800000, v3, s10
	v_fma_f32 v3, -v2, v3, v30
	s_delay_alu instid0(VALU_DEP_1) | instskip(SKIP_1) | instid1(VALU_DEP_2)
	v_bfe_u32 v4, v3, 16, 1
	v_cmp_o_f32_e64 s10, v3, v3
	v_add3_u32 v4, v3, v4, 0x7fff
	s_delay_alu instid0(VALU_DEP_1) | instskip(NEXT) | instid1(VALU_DEP_1)
	v_lshrrev_b32_e32 v4, 16, v4
	v_cndmask_b32_e64 v3, 0x7fc0, v4, s10
	global_store_b16 v[0:1], v3, off offset:512
	s_or_b32 exec_lo, exec_lo, s11
	s_and_saveexec_b32 s10, s9
	s_cbranch_execz .LBB344_39
.LBB344_56:
	s_waitcnt vmcnt(0)
	v_mul_f32_e32 v3, 0x3fb8aa3b, v28
	v_cmp_ngt_f32_e64 s9, 0xc2ce8ed0, v28
	s_delay_alu instid0(VALU_DEP_2) | instskip(SKIP_1) | instid1(VALU_DEP_2)
	v_rndne_f32_e32 v4, v3
	v_fma_f32 v5, 0x3fb8aa3b, v28, -v3
	v_sub_f32_e32 v3, v3, v4
	s_delay_alu instid0(VALU_DEP_2) | instskip(SKIP_1) | instid1(VALU_DEP_2)
	v_fmamk_f32 v5, v28, 0x32a5705f, v5
	v_cvt_i32_f32_e32 v4, v4
	v_add_f32_e32 v3, v3, v5
	s_delay_alu instid0(VALU_DEP_1) | instskip(SKIP_2) | instid1(VALU_DEP_1)
	v_exp_f32_e32 v3, v3
	s_waitcnt_depctr 0xfff
	v_ldexp_f32 v3, v3, v4
	v_cndmask_b32_e64 v3, 0, v3, s9
	v_cmp_nlt_f32_e64 s9, 0x42b17218, v28
	s_delay_alu instid0(VALU_DEP_1) | instskip(NEXT) | instid1(VALU_DEP_1)
	v_cndmask_b32_e64 v3, 0x7f800000, v3, s9
	v_fma_f32 v3, -v2, v3, v22
	s_delay_alu instid0(VALU_DEP_1) | instskip(SKIP_1) | instid1(VALU_DEP_2)
	v_bfe_u32 v4, v3, 16, 1
	v_cmp_o_f32_e64 s9, v3, v3
	v_add3_u32 v4, v3, v4, 0x7fff
	s_delay_alu instid0(VALU_DEP_1) | instskip(NEXT) | instid1(VALU_DEP_1)
	v_lshrrev_b32_e32 v4, 16, v4
	v_cndmask_b32_e64 v3, 0x7fc0, v4, s9
	global_store_b16 v[0:1], v3, off offset:640
	s_or_b32 exec_lo, exec_lo, s10
	s_and_saveexec_b32 s9, s8
	s_cbranch_execz .LBB344_40
.LBB344_57:
	s_waitcnt vmcnt(0)
	v_mul_f32_e32 v3, 0x3fb8aa3b, v27
	v_cmp_ngt_f32_e64 s8, 0xc2ce8ed0, v27
	s_delay_alu instid0(VALU_DEP_2) | instskip(SKIP_1) | instid1(VALU_DEP_2)
	v_rndne_f32_e32 v4, v3
	v_fma_f32 v5, 0x3fb8aa3b, v27, -v3
	v_sub_f32_e32 v3, v3, v4
	s_delay_alu instid0(VALU_DEP_2) | instskip(SKIP_1) | instid1(VALU_DEP_2)
	v_fmamk_f32 v5, v27, 0x32a5705f, v5
	v_cvt_i32_f32_e32 v4, v4
	v_add_f32_e32 v3, v3, v5
	s_delay_alu instid0(VALU_DEP_1) | instskip(SKIP_2) | instid1(VALU_DEP_1)
	v_exp_f32_e32 v3, v3
	s_waitcnt_depctr 0xfff
	v_ldexp_f32 v3, v3, v4
	v_cndmask_b32_e64 v3, 0, v3, s8
	v_cmp_nlt_f32_e64 s8, 0x42b17218, v27
	s_delay_alu instid0(VALU_DEP_1) | instskip(NEXT) | instid1(VALU_DEP_1)
	v_cndmask_b32_e64 v3, 0x7f800000, v3, s8
	v_fma_f32 v3, -v2, v3, v25
	s_delay_alu instid0(VALU_DEP_1) | instskip(SKIP_1) | instid1(VALU_DEP_2)
	v_bfe_u32 v4, v3, 16, 1
	v_cmp_o_f32_e64 s8, v3, v3
	v_add3_u32 v4, v3, v4, 0x7fff
	s_delay_alu instid0(VALU_DEP_1) | instskip(NEXT) | instid1(VALU_DEP_1)
	v_lshrrev_b32_e32 v4, 16, v4
	v_cndmask_b32_e64 v3, 0x7fc0, v4, s8
	global_store_b16 v[0:1], v3, off offset:768
	s_or_b32 exec_lo, exec_lo, s9
	s_and_saveexec_b32 s8, s7
	s_cbranch_execz .LBB344_41
.LBB344_58:
	s_waitcnt vmcnt(0)
	v_mul_f32_e32 v3, 0x3fb8aa3b, v24
	v_cmp_ngt_f32_e64 s7, 0xc2ce8ed0, v24
	s_delay_alu instid0(VALU_DEP_2) | instskip(SKIP_1) | instid1(VALU_DEP_2)
	v_rndne_f32_e32 v4, v3
	v_fma_f32 v5, 0x3fb8aa3b, v24, -v3
	v_sub_f32_e32 v3, v3, v4
	s_delay_alu instid0(VALU_DEP_2) | instskip(SKIP_1) | instid1(VALU_DEP_2)
	v_fmamk_f32 v5, v24, 0x32a5705f, v5
	v_cvt_i32_f32_e32 v4, v4
	v_add_f32_e32 v3, v3, v5
	s_delay_alu instid0(VALU_DEP_1) | instskip(SKIP_2) | instid1(VALU_DEP_1)
	v_exp_f32_e32 v3, v3
	s_waitcnt_depctr 0xfff
	v_ldexp_f32 v3, v3, v4
	v_cndmask_b32_e64 v3, 0, v3, s7
	v_cmp_nlt_f32_e64 s7, 0x42b17218, v24
	s_delay_alu instid0(VALU_DEP_1) | instskip(NEXT) | instid1(VALU_DEP_1)
	v_cndmask_b32_e64 v3, 0x7f800000, v3, s7
	v_fma_f32 v3, -v2, v3, v18
	s_delay_alu instid0(VALU_DEP_1) | instskip(SKIP_1) | instid1(VALU_DEP_2)
	v_bfe_u32 v4, v3, 16, 1
	v_cmp_o_f32_e64 s7, v3, v3
	v_add3_u32 v4, v3, v4, 0x7fff
	s_delay_alu instid0(VALU_DEP_1) | instskip(NEXT) | instid1(VALU_DEP_1)
	v_lshrrev_b32_e32 v4, 16, v4
	v_cndmask_b32_e64 v3, 0x7fc0, v4, s7
	global_store_b16 v[0:1], v3, off offset:896
	s_or_b32 exec_lo, exec_lo, s8
	s_and_saveexec_b32 s7, s6
	s_cbranch_execz .LBB344_42
.LBB344_59:
	s_waitcnt vmcnt(0)
	v_mul_f32_e32 v3, 0x3fb8aa3b, v23
	v_cmp_ngt_f32_e64 s6, 0xc2ce8ed0, v23
	s_delay_alu instid0(VALU_DEP_2) | instskip(SKIP_1) | instid1(VALU_DEP_2)
	v_rndne_f32_e32 v4, v3
	v_fma_f32 v5, 0x3fb8aa3b, v23, -v3
	v_sub_f32_e32 v3, v3, v4
	s_delay_alu instid0(VALU_DEP_2) | instskip(SKIP_1) | instid1(VALU_DEP_2)
	v_fmamk_f32 v5, v23, 0x32a5705f, v5
	v_cvt_i32_f32_e32 v4, v4
	v_add_f32_e32 v3, v3, v5
	s_delay_alu instid0(VALU_DEP_1) | instskip(SKIP_2) | instid1(VALU_DEP_1)
	v_exp_f32_e32 v3, v3
	s_waitcnt_depctr 0xfff
	v_ldexp_f32 v3, v3, v4
	v_cndmask_b32_e64 v3, 0, v3, s6
	v_cmp_nlt_f32_e64 s6, 0x42b17218, v23
	s_delay_alu instid0(VALU_DEP_1) | instskip(NEXT) | instid1(VALU_DEP_1)
	v_cndmask_b32_e64 v3, 0x7f800000, v3, s6
	v_fma_f32 v3, -v2, v3, v21
	s_delay_alu instid0(VALU_DEP_1) | instskip(SKIP_1) | instid1(VALU_DEP_2)
	v_bfe_u32 v4, v3, 16, 1
	v_cmp_o_f32_e64 s6, v3, v3
	v_add3_u32 v4, v3, v4, 0x7fff
	s_delay_alu instid0(VALU_DEP_1) | instskip(NEXT) | instid1(VALU_DEP_1)
	v_lshrrev_b32_e32 v4, 16, v4
	v_cndmask_b32_e64 v3, 0x7fc0, v4, s6
	global_store_b16 v[0:1], v3, off offset:1024
	s_or_b32 exec_lo, exec_lo, s7
	s_and_saveexec_b32 s6, s5
	s_cbranch_execz .LBB344_43
.LBB344_60:
	s_waitcnt vmcnt(0)
	v_mul_f32_e32 v3, 0x3fb8aa3b, v20
	v_cmp_ngt_f32_e64 s5, 0xc2ce8ed0, v20
	s_delay_alu instid0(VALU_DEP_2) | instskip(SKIP_1) | instid1(VALU_DEP_2)
	v_rndne_f32_e32 v4, v3
	v_fma_f32 v5, 0x3fb8aa3b, v20, -v3
	v_sub_f32_e32 v3, v3, v4
	s_delay_alu instid0(VALU_DEP_2) | instskip(SKIP_1) | instid1(VALU_DEP_2)
	v_fmamk_f32 v5, v20, 0x32a5705f, v5
	v_cvt_i32_f32_e32 v4, v4
	v_add_f32_e32 v3, v3, v5
	s_delay_alu instid0(VALU_DEP_1) | instskip(SKIP_2) | instid1(VALU_DEP_1)
	v_exp_f32_e32 v3, v3
	s_waitcnt_depctr 0xfff
	v_ldexp_f32 v3, v3, v4
	v_cndmask_b32_e64 v3, 0, v3, s5
	v_cmp_nlt_f32_e64 s5, 0x42b17218, v20
	s_delay_alu instid0(VALU_DEP_1) | instskip(NEXT) | instid1(VALU_DEP_1)
	v_cndmask_b32_e64 v3, 0x7f800000, v3, s5
	v_fma_f32 v3, -v2, v3, v14
	s_delay_alu instid0(VALU_DEP_1) | instskip(SKIP_1) | instid1(VALU_DEP_2)
	v_bfe_u32 v4, v3, 16, 1
	v_cmp_o_f32_e64 s5, v3, v3
	v_add3_u32 v4, v3, v4, 0x7fff
	s_delay_alu instid0(VALU_DEP_1) | instskip(NEXT) | instid1(VALU_DEP_1)
	v_lshrrev_b32_e32 v4, 16, v4
	v_cndmask_b32_e64 v3, 0x7fc0, v4, s5
	global_store_b16 v[0:1], v3, off offset:1152
	s_or_b32 exec_lo, exec_lo, s6
	s_and_saveexec_b32 s5, s4
	s_cbranch_execz .LBB344_44
.LBB344_61:
	s_waitcnt vmcnt(0)
	v_mul_f32_e32 v3, 0x3fb8aa3b, v19
	v_cmp_ngt_f32_e64 s4, 0xc2ce8ed0, v19
	s_delay_alu instid0(VALU_DEP_2) | instskip(SKIP_1) | instid1(VALU_DEP_2)
	v_rndne_f32_e32 v4, v3
	v_fma_f32 v5, 0x3fb8aa3b, v19, -v3
	v_sub_f32_e32 v3, v3, v4
	s_delay_alu instid0(VALU_DEP_2) | instskip(SKIP_1) | instid1(VALU_DEP_2)
	v_fmamk_f32 v5, v19, 0x32a5705f, v5
	v_cvt_i32_f32_e32 v4, v4
	v_add_f32_e32 v3, v3, v5
	s_delay_alu instid0(VALU_DEP_1) | instskip(SKIP_2) | instid1(VALU_DEP_1)
	v_exp_f32_e32 v3, v3
	s_waitcnt_depctr 0xfff
	v_ldexp_f32 v3, v3, v4
	v_cndmask_b32_e64 v3, 0, v3, s4
	v_cmp_nlt_f32_e64 s4, 0x42b17218, v19
	s_delay_alu instid0(VALU_DEP_1) | instskip(NEXT) | instid1(VALU_DEP_1)
	v_cndmask_b32_e64 v3, 0x7f800000, v3, s4
	v_fma_f32 v3, -v2, v3, v17
	s_delay_alu instid0(VALU_DEP_1) | instskip(SKIP_1) | instid1(VALU_DEP_2)
	v_bfe_u32 v4, v3, 16, 1
	v_cmp_o_f32_e64 s4, v3, v3
	v_add3_u32 v4, v3, v4, 0x7fff
	s_delay_alu instid0(VALU_DEP_1) | instskip(NEXT) | instid1(VALU_DEP_1)
	v_lshrrev_b32_e32 v4, 16, v4
	v_cndmask_b32_e64 v3, 0x7fc0, v4, s4
	global_store_b16 v[0:1], v3, off offset:1280
	s_or_b32 exec_lo, exec_lo, s5
	s_and_saveexec_b32 s4, s3
	s_cbranch_execz .LBB344_45
.LBB344_62:
	s_waitcnt vmcnt(0)
	v_mul_f32_e32 v3, 0x3fb8aa3b, v16
	v_cmp_ngt_f32_e64 s3, 0xc2ce8ed0, v16
	s_delay_alu instid0(VALU_DEP_2) | instskip(SKIP_1) | instid1(VALU_DEP_2)
	v_rndne_f32_e32 v4, v3
	v_fma_f32 v5, 0x3fb8aa3b, v16, -v3
	v_sub_f32_e32 v3, v3, v4
	s_delay_alu instid0(VALU_DEP_2) | instskip(SKIP_1) | instid1(VALU_DEP_2)
	v_fmamk_f32 v5, v16, 0x32a5705f, v5
	v_cvt_i32_f32_e32 v4, v4
	v_add_f32_e32 v3, v3, v5
	s_delay_alu instid0(VALU_DEP_1) | instskip(SKIP_2) | instid1(VALU_DEP_1)
	v_exp_f32_e32 v3, v3
	s_waitcnt_depctr 0xfff
	v_ldexp_f32 v3, v3, v4
	v_cndmask_b32_e64 v3, 0, v3, s3
	v_cmp_nlt_f32_e64 s3, 0x42b17218, v16
	s_delay_alu instid0(VALU_DEP_1) | instskip(NEXT) | instid1(VALU_DEP_1)
	v_cndmask_b32_e64 v3, 0x7f800000, v3, s3
	v_fma_f32 v3, -v2, v3, v10
	s_delay_alu instid0(VALU_DEP_1) | instskip(SKIP_1) | instid1(VALU_DEP_2)
	v_bfe_u32 v4, v3, 16, 1
	v_cmp_o_f32_e64 s3, v3, v3
	v_add3_u32 v4, v3, v4, 0x7fff
	s_delay_alu instid0(VALU_DEP_1) | instskip(NEXT) | instid1(VALU_DEP_1)
	v_lshrrev_b32_e32 v4, 16, v4
	v_cndmask_b32_e64 v3, 0x7fc0, v4, s3
	global_store_b16 v[0:1], v3, off offset:1408
	s_or_b32 exec_lo, exec_lo, s4
	s_and_saveexec_b32 s3, s2
	s_cbranch_execz .LBB344_46
.LBB344_63:
	s_waitcnt vmcnt(0)
	v_mul_f32_e32 v3, 0x3fb8aa3b, v15
	v_cmp_ngt_f32_e64 s2, 0xc2ce8ed0, v15
	s_delay_alu instid0(VALU_DEP_2) | instskip(SKIP_1) | instid1(VALU_DEP_2)
	v_rndne_f32_e32 v4, v3
	v_fma_f32 v5, 0x3fb8aa3b, v15, -v3
	v_sub_f32_e32 v3, v3, v4
	s_delay_alu instid0(VALU_DEP_2) | instskip(SKIP_1) | instid1(VALU_DEP_2)
	v_fmamk_f32 v5, v15, 0x32a5705f, v5
	v_cvt_i32_f32_e32 v4, v4
	v_add_f32_e32 v3, v3, v5
	s_delay_alu instid0(VALU_DEP_1) | instskip(SKIP_2) | instid1(VALU_DEP_1)
	v_exp_f32_e32 v3, v3
	s_waitcnt_depctr 0xfff
	v_ldexp_f32 v3, v3, v4
	v_cndmask_b32_e64 v3, 0, v3, s2
	v_cmp_nlt_f32_e64 s2, 0x42b17218, v15
	s_delay_alu instid0(VALU_DEP_1) | instskip(NEXT) | instid1(VALU_DEP_1)
	v_cndmask_b32_e64 v3, 0x7f800000, v3, s2
	v_fma_f32 v3, -v2, v3, v13
	s_delay_alu instid0(VALU_DEP_1) | instskip(SKIP_1) | instid1(VALU_DEP_2)
	v_bfe_u32 v4, v3, 16, 1
	v_cmp_o_f32_e64 s2, v3, v3
	v_add3_u32 v4, v3, v4, 0x7fff
	s_delay_alu instid0(VALU_DEP_1) | instskip(NEXT) | instid1(VALU_DEP_1)
	v_lshrrev_b32_e32 v4, 16, v4
	v_cndmask_b32_e64 v3, 0x7fc0, v4, s2
	global_store_b16 v[0:1], v3, off offset:1536
	s_or_b32 exec_lo, exec_lo, s3
	s_and_saveexec_b32 s2, s1
	s_cbranch_execz .LBB344_47
.LBB344_64:
	s_waitcnt vmcnt(0)
	v_mul_f32_e32 v3, 0x3fb8aa3b, v12
	v_cmp_ngt_f32_e64 s1, 0xc2ce8ed0, v12
	s_delay_alu instid0(VALU_DEP_2) | instskip(SKIP_1) | instid1(VALU_DEP_2)
	v_rndne_f32_e32 v4, v3
	v_fma_f32 v5, 0x3fb8aa3b, v12, -v3
	v_sub_f32_e32 v3, v3, v4
	s_delay_alu instid0(VALU_DEP_2) | instskip(SKIP_1) | instid1(VALU_DEP_2)
	v_fmamk_f32 v5, v12, 0x32a5705f, v5
	v_cvt_i32_f32_e32 v4, v4
	v_add_f32_e32 v3, v3, v5
	s_delay_alu instid0(VALU_DEP_1) | instskip(SKIP_2) | instid1(VALU_DEP_1)
	v_exp_f32_e32 v3, v3
	s_waitcnt_depctr 0xfff
	v_ldexp_f32 v3, v3, v4
	v_cndmask_b32_e64 v3, 0, v3, s1
	v_cmp_nlt_f32_e64 s1, 0x42b17218, v12
	s_delay_alu instid0(VALU_DEP_1) | instskip(NEXT) | instid1(VALU_DEP_1)
	v_cndmask_b32_e64 v3, 0x7f800000, v3, s1
	v_fma_f32 v3, -v2, v3, v7
	s_delay_alu instid0(VALU_DEP_1) | instskip(SKIP_1) | instid1(VALU_DEP_2)
	v_bfe_u32 v4, v3, 16, 1
	v_cmp_o_f32_e64 s1, v3, v3
	v_add3_u32 v4, v3, v4, 0x7fff
	s_delay_alu instid0(VALU_DEP_1) | instskip(NEXT) | instid1(VALU_DEP_1)
	v_lshrrev_b32_e32 v4, 16, v4
	v_cndmask_b32_e64 v3, 0x7fc0, v4, s1
	global_store_b16 v[0:1], v3, off offset:1664
	s_or_b32 exec_lo, exec_lo, s2
	s_and_saveexec_b32 s1, s0
	s_cbranch_execz .LBB344_48
.LBB344_65:
	s_waitcnt vmcnt(0)
	v_mul_f32_e32 v3, 0x3fb8aa3b, v11
	v_cmp_ngt_f32_e64 s0, 0xc2ce8ed0, v11
	s_delay_alu instid0(VALU_DEP_2) | instskip(SKIP_1) | instid1(VALU_DEP_2)
	v_rndne_f32_e32 v4, v3
	v_fma_f32 v5, 0x3fb8aa3b, v11, -v3
	v_sub_f32_e32 v3, v3, v4
	s_delay_alu instid0(VALU_DEP_2) | instskip(SKIP_1) | instid1(VALU_DEP_2)
	v_fmamk_f32 v5, v11, 0x32a5705f, v5
	v_cvt_i32_f32_e32 v4, v4
	v_add_f32_e32 v3, v3, v5
	s_delay_alu instid0(VALU_DEP_1) | instskip(SKIP_2) | instid1(VALU_DEP_1)
	v_exp_f32_e32 v3, v3
	s_waitcnt_depctr 0xfff
	v_ldexp_f32 v3, v3, v4
	v_cndmask_b32_e64 v3, 0, v3, s0
	v_cmp_nlt_f32_e64 s0, 0x42b17218, v11
	s_delay_alu instid0(VALU_DEP_1) | instskip(NEXT) | instid1(VALU_DEP_1)
	v_cndmask_b32_e64 v3, 0x7f800000, v3, s0
	v_fma_f32 v3, -v2, v3, v9
	s_delay_alu instid0(VALU_DEP_1) | instskip(SKIP_1) | instid1(VALU_DEP_2)
	v_bfe_u32 v4, v3, 16, 1
	v_cmp_o_f32_e64 s0, v3, v3
	v_add3_u32 v4, v3, v4, 0x7fff
	s_delay_alu instid0(VALU_DEP_1) | instskip(NEXT) | instid1(VALU_DEP_1)
	v_lshrrev_b32_e32 v4, 16, v4
	v_cndmask_b32_e64 v3, 0x7fc0, v4, s0
	global_store_b16 v[0:1], v3, off offset:1792
	s_or_b32 exec_lo, exec_lo, s1
	s_delay_alu instid0(SALU_CYCLE_1)
	s_and_b32 exec_lo, exec_lo, vcc_lo
	s_cbranch_execnz .LBB344_49
	s_branch .LBB344_50
	.section	.rodata,"a",@progbits
	.p2align	6, 0x0
	.amdhsa_kernel _ZN12_GLOBAL__N_121softmax_warp_backwardIfN3c108BFloat16EfLi10ELb1ELb0ELi64EEEvPT0_PKT_S7_iiiPKb
		.amdhsa_group_segment_fixed_size 0
		.amdhsa_private_segment_fixed_size 0
		.amdhsa_kernarg_size 304
		.amdhsa_user_sgpr_count 15
		.amdhsa_user_sgpr_dispatch_ptr 0
		.amdhsa_user_sgpr_queue_ptr 0
		.amdhsa_user_sgpr_kernarg_segment_ptr 1
		.amdhsa_user_sgpr_dispatch_id 0
		.amdhsa_user_sgpr_private_segment_size 0
		.amdhsa_wavefront_size32 1
		.amdhsa_uses_dynamic_stack 0
		.amdhsa_enable_private_segment 0
		.amdhsa_system_sgpr_workgroup_id_x 1
		.amdhsa_system_sgpr_workgroup_id_y 0
		.amdhsa_system_sgpr_workgroup_id_z 0
		.amdhsa_system_sgpr_workgroup_info 0
		.amdhsa_system_vgpr_workitem_id 1
		.amdhsa_next_free_vgpr 39
		.amdhsa_next_free_sgpr 24
		.amdhsa_reserve_vcc 1
		.amdhsa_float_round_mode_32 0
		.amdhsa_float_round_mode_16_64 0
		.amdhsa_float_denorm_mode_32 3
		.amdhsa_float_denorm_mode_16_64 3
		.amdhsa_dx10_clamp 1
		.amdhsa_ieee_mode 1
		.amdhsa_fp16_overflow 0
		.amdhsa_workgroup_processor_mode 1
		.amdhsa_memory_ordered 1
		.amdhsa_forward_progress 0
		.amdhsa_shared_vgpr_count 0
		.amdhsa_exception_fp_ieee_invalid_op 0
		.amdhsa_exception_fp_denorm_src 0
		.amdhsa_exception_fp_ieee_div_zero 0
		.amdhsa_exception_fp_ieee_overflow 0
		.amdhsa_exception_fp_ieee_underflow 0
		.amdhsa_exception_fp_ieee_inexact 0
		.amdhsa_exception_int_div_zero 0
	.end_amdhsa_kernel
	.section	.text._ZN12_GLOBAL__N_121softmax_warp_backwardIfN3c108BFloat16EfLi10ELb1ELb0ELi64EEEvPT0_PKT_S7_iiiPKb,"axG",@progbits,_ZN12_GLOBAL__N_121softmax_warp_backwardIfN3c108BFloat16EfLi10ELb1ELb0ELi64EEEvPT0_PKT_S7_iiiPKb,comdat
.Lfunc_end344:
	.size	_ZN12_GLOBAL__N_121softmax_warp_backwardIfN3c108BFloat16EfLi10ELb1ELb0ELi64EEEvPT0_PKT_S7_iiiPKb, .Lfunc_end344-_ZN12_GLOBAL__N_121softmax_warp_backwardIfN3c108BFloat16EfLi10ELb1ELb0ELi64EEEvPT0_PKT_S7_iiiPKb
                                        ; -- End function
	.section	.AMDGPU.csdata,"",@progbits
; Kernel info:
; codeLenInByte = 5008
; NumSgprs: 26
; NumVgprs: 39
; ScratchSize: 0
; MemoryBound: 0
; FloatMode: 240
; IeeeMode: 1
; LDSByteSize: 0 bytes/workgroup (compile time only)
; SGPRBlocks: 3
; VGPRBlocks: 4
; NumSGPRsForWavesPerEU: 26
; NumVGPRsForWavesPerEU: 39
; Occupancy: 16
; WaveLimiterHint : 0
; COMPUTE_PGM_RSRC2:SCRATCH_EN: 0
; COMPUTE_PGM_RSRC2:USER_SGPR: 15
; COMPUTE_PGM_RSRC2:TRAP_HANDLER: 0
; COMPUTE_PGM_RSRC2:TGID_X_EN: 1
; COMPUTE_PGM_RSRC2:TGID_Y_EN: 0
; COMPUTE_PGM_RSRC2:TGID_Z_EN: 0
; COMPUTE_PGM_RSRC2:TIDIG_COMP_CNT: 1
	.section	.text._ZN12_GLOBAL__N_121softmax_warp_backwardIfN3c108BFloat16EfLi10ELb1ELb0ELi32EEEvPT0_PKT_S7_iiiPKb,"axG",@progbits,_ZN12_GLOBAL__N_121softmax_warp_backwardIfN3c108BFloat16EfLi10ELb1ELb0ELi32EEEvPT0_PKT_S7_iiiPKb,comdat
	.globl	_ZN12_GLOBAL__N_121softmax_warp_backwardIfN3c108BFloat16EfLi10ELb1ELb0ELi32EEEvPT0_PKT_S7_iiiPKb ; -- Begin function _ZN12_GLOBAL__N_121softmax_warp_backwardIfN3c108BFloat16EfLi10ELb1ELb0ELi32EEEvPT0_PKT_S7_iiiPKb
	.p2align	8
	.type	_ZN12_GLOBAL__N_121softmax_warp_backwardIfN3c108BFloat16EfLi10ELb1ELb0ELi32EEEvPT0_PKT_S7_iiiPKb,@function
_ZN12_GLOBAL__N_121softmax_warp_backwardIfN3c108BFloat16EfLi10ELb1ELb0ELi32EEEvPT0_PKT_S7_iiiPKb: ; @_ZN12_GLOBAL__N_121softmax_warp_backwardIfN3c108BFloat16EfLi10ELb1ELb0ELi32EEEvPT0_PKT_S7_iiiPKb
; %bb.0:
	s_clause 0x1
	s_load_b32 s2, s[0:1], 0x3c
	s_load_b128 s[40:43], s[0:1], 0x18
	v_bfe_u32 v1, v0, 10, 10
	v_dual_mov_b32 v61, 0 :: v_dual_and_b32 v8, 0x3ff, v0
	s_load_b128 s[36:39], s[0:1], 0x0
	v_mov_b32_e32 v67, 0
	s_load_b64 s[0:1], s[0:1], 0x10
	s_delay_alu instid0(VALU_DEP_2) | instskip(SKIP_2) | instid1(VALU_DEP_1)
	v_dual_mov_b32 v69, 0 :: v_dual_and_b32 v6, 31, v8
	s_waitcnt lgkmcnt(0)
	s_lshr_b32 s2, s2, 16
	v_cmp_gt_i32_e64 s30, s42, v6
	v_mad_u64_u32 v[2:3], null, s15, s2, v[1:2]
	s_delay_alu instid0(VALU_DEP_1) | instskip(SKIP_1) | instid1(VALU_DEP_1)
	v_mad_u64_u32 v[0:1], null, v2, s41, v[6:7]
	v_sub_nc_u32_e32 v70, s40, v2
	v_cmp_lt_i32_e64 s31, 0, v70
	s_delay_alu instid0(VALU_DEP_3) | instskip(NEXT) | instid1(VALU_DEP_1)
	v_ashrrev_i32_e32 v1, 31, v0
	v_lshlrev_b64 v[4:5], 2, v[0:1]
	s_delay_alu instid0(VALU_DEP_1) | instskip(NEXT) | instid1(VALU_DEP_2)
	v_add_co_u32 v2, vcc_lo, s38, v4
	v_add_co_ci_u32_e32 v3, vcc_lo, s39, v5, vcc_lo
	v_add_co_u32 v4, vcc_lo, s0, v4
	v_add_co_ci_u32_e32 v5, vcc_lo, s1, v5, vcc_lo
	s_and_b32 s1, s31, s30
	s_delay_alu instid0(SALU_CYCLE_1)
	s_and_saveexec_b32 s0, s1
	s_cbranch_execz .LBB345_2
; %bb.1:
	global_load_b32 v67, v[2:3], off
	global_load_b32 v69, v[4:5], off
.LBB345_2:
	s_or_b32 exec_lo, exec_lo, s0
	v_or_b32_e32 v7, 32, v6
	v_mov_b32_e32 v68, 0
	s_delay_alu instid0(VALU_DEP_2) | instskip(NEXT) | instid1(VALU_DEP_1)
	v_cmp_gt_i32_e64 s29, s42, v7
	s_and_b32 s1, s31, s29
	s_delay_alu instid0(SALU_CYCLE_1)
	s_and_saveexec_b32 s0, s1
	s_cbranch_execz .LBB345_4
; %bb.3:
	global_load_b32 v61, v[2:3], off offset:128
	global_load_b32 v68, v[4:5], off offset:128
.LBB345_4:
	s_or_b32 exec_lo, exec_lo, s0
	v_or_b32_e32 v7, 64, v6
	v_dual_mov_b32 v58, 0 :: v_dual_mov_b32 v65, 0
	v_mov_b32_e32 v66, 0
	s_delay_alu instid0(VALU_DEP_3) | instskip(NEXT) | instid1(VALU_DEP_1)
	v_cmp_gt_i32_e64 s28, s42, v7
	s_and_b32 s1, s31, s28
	s_delay_alu instid0(SALU_CYCLE_1)
	s_and_saveexec_b32 s0, s1
	s_cbranch_execz .LBB345_6
; %bb.5:
	global_load_b32 v65, v[2:3], off offset:256
	global_load_b32 v66, v[4:5], off offset:256
.LBB345_6:
	s_or_b32 exec_lo, exec_lo, s0
	v_or_b32_e32 v7, 0x60, v6
	v_mov_b32_e32 v64, 0
	s_delay_alu instid0(VALU_DEP_2) | instskip(NEXT) | instid1(VALU_DEP_1)
	v_cmp_gt_i32_e64 s27, s42, v7
	s_and_b32 s1, s31, s27
	s_delay_alu instid0(SALU_CYCLE_1)
	s_and_saveexec_b32 s0, s1
	s_cbranch_execz .LBB345_8
; %bb.7:
	global_load_b32 v58, v[2:3], off offset:384
	global_load_b32 v64, v[4:5], off offset:384
.LBB345_8:
	s_or_b32 exec_lo, exec_lo, s0
	v_or_b32_e32 v7, 0x80, v6
	v_dual_mov_b32 v54, 0 :: v_dual_mov_b32 v63, 0
	v_mov_b32_e32 v62, 0
	s_delay_alu instid0(VALU_DEP_3) | instskip(NEXT) | instid1(VALU_DEP_1)
	v_cmp_gt_i32_e64 s26, s42, v7
	s_and_b32 s1, s31, s26
	s_delay_alu instid0(SALU_CYCLE_1)
	s_and_saveexec_b32 s0, s1
	s_cbranch_execz .LBB345_10
; %bb.9:
	global_load_b32 v62, v[2:3], off offset:512
	global_load_b32 v63, v[4:5], off offset:512
.LBB345_10:
	;; [unrolled: 27-line block ×13, first 2 shown]
	s_or_b32 exec_lo, exec_lo, s0
	v_or_b32_e32 v7, 0x360, v6
	v_mov_b32_e32 v16, 0
	s_delay_alu instid0(VALU_DEP_2) | instskip(NEXT) | instid1(VALU_DEP_1)
	v_cmp_gt_i32_e64 s3, s42, v7
	s_and_b32 s1, s31, s3
	s_delay_alu instid0(SALU_CYCLE_1)
	s_and_saveexec_b32 s0, s1
	s_cbranch_execz .LBB345_56
; %bb.55:
	global_load_b32 v10, v[2:3], off offset:3456
	global_load_b32 v16, v[4:5], off offset:3456
.LBB345_56:
	s_or_b32 exec_lo, exec_lo, s0
	v_or_b32_e32 v7, 0x380, v6
	v_mov_b32_e32 v13, 0
	v_mov_b32_e32 v15, 0
	s_delay_alu instid0(VALU_DEP_3) | instskip(SKIP_1) | instid1(VALU_DEP_2)
	v_cmp_gt_i32_e64 s2, s42, v7
	v_mov_b32_e32 v7, 0
	s_and_b32 s1, s31, s2
	s_delay_alu instid0(SALU_CYCLE_1)
	s_and_saveexec_b32 s0, s1
	s_cbranch_execz .LBB345_58
; %bb.57:
	global_load_b32 v13, v[2:3], off offset:3584
	global_load_b32 v15, v[4:5], off offset:3584
.LBB345_58:
	s_or_b32 exec_lo, exec_lo, s0
	v_or_b32_e32 v9, 0x3a0, v6
	v_mov_b32_e32 v12, 0
	s_delay_alu instid0(VALU_DEP_2) | instskip(NEXT) | instid1(VALU_DEP_1)
	v_cmp_gt_i32_e64 s1, s42, v9
	s_and_b32 s33, s31, s1
	s_delay_alu instid0(SALU_CYCLE_1)
	s_and_saveexec_b32 s0, s33
	s_cbranch_execz .LBB345_60
; %bb.59:
	global_load_b32 v7, v[2:3], off offset:3712
	global_load_b32 v12, v[4:5], off offset:3712
.LBB345_60:
	s_or_b32 exec_lo, exec_lo, s0
	v_or_b32_e32 v6, 0x3c0, v6
	v_mov_b32_e32 v11, 0
	v_mov_b32_e32 v9, 0
	s_delay_alu instid0(VALU_DEP_3) | instskip(SKIP_1) | instid1(VALU_DEP_2)
	v_cmp_gt_i32_e64 s0, s42, v6
	v_mov_b32_e32 v6, 0
	s_and_b32 s34, s31, s0
	s_delay_alu instid0(SALU_CYCLE_1)
	s_and_saveexec_b32 s33, s34
	s_cbranch_execz .LBB345_62
; %bb.61:
	global_load_b32 v9, v[2:3], off offset:3840
	global_load_b32 v11, v[4:5], off offset:3840
.LBB345_62:
	s_or_b32 exec_lo, exec_lo, s33
	v_or_b32_e32 v8, 0x3e0, v8
	s_delay_alu instid0(VALU_DEP_1) | instskip(SKIP_2) | instid1(SALU_CYCLE_1)
	v_cmp_gt_i32_e32 vcc_lo, s42, v8
	v_mov_b32_e32 v8, 0
	s_and_b32 s33, s31, vcc_lo
	s_and_saveexec_b32 s31, s33
	s_cbranch_execz .LBB345_64
; %bb.63:
	global_load_b32 v6, v[2:3], off offset:3968
	global_load_b32 v8, v[4:5], off offset:3968
.LBB345_64:
	s_or_b32 exec_lo, exec_lo, s31
	v_mbcnt_lo_u32_b32 v3, -1, 0
	s_mov_b32 s33, exec_lo
	s_delay_alu instid0(VALU_DEP_1) | instskip(SKIP_1) | instid1(VALU_DEP_2)
	v_xor_b32_e32 v4, 16, v3
	v_xor_b32_e32 v5, 8, v3
	v_cmp_gt_i32_e64 s31, 32, v4
	s_delay_alu instid0(VALU_DEP_1) | instskip(NEXT) | instid1(VALU_DEP_3)
	v_cndmask_b32_e64 v4, v3, v4, s31
	v_cmp_gt_i32_e64 s31, 32, v5
	s_delay_alu instid0(VALU_DEP_2) | instskip(NEXT) | instid1(VALU_DEP_2)
	v_lshlrev_b32_e32 v4, 2, v4
	v_cndmask_b32_e64 v5, v3, v5, s31
	s_waitcnt vmcnt(1)
	s_delay_alu instid0(VALU_DEP_1) | instskip(NEXT) | instid1(VALU_DEP_1)
	v_dual_add_f32 v2, 0, v67 :: v_dual_lshlrev_b32 v5, 2, v5
	v_add_f32_e32 v2, v2, v61
	s_delay_alu instid0(VALU_DEP_1) | instskip(NEXT) | instid1(VALU_DEP_1)
	v_add_f32_e32 v2, v2, v65
	v_add_f32_e32 v2, v2, v58
	s_delay_alu instid0(VALU_DEP_1) | instskip(NEXT) | instid1(VALU_DEP_1)
	v_add_f32_e32 v2, v2, v62
	;; [unrolled: 3-line block ×15, first 2 shown]
	v_add_f32_e32 v2, v2, v6
	ds_bpermute_b32 v4, v4, v2
	s_waitcnt lgkmcnt(0)
	v_add_f32_e32 v2, v2, v4
	ds_bpermute_b32 v4, v5, v2
	v_xor_b32_e32 v5, 4, v3
	s_delay_alu instid0(VALU_DEP_1) | instskip(NEXT) | instid1(VALU_DEP_1)
	v_cmp_gt_i32_e64 s31, 32, v5
	v_cndmask_b32_e64 v5, v3, v5, s31
	s_waitcnt lgkmcnt(0)
	s_delay_alu instid0(VALU_DEP_1) | instskip(SKIP_2) | instid1(VALU_DEP_1)
	v_dual_add_f32 v2, v2, v4 :: v_dual_lshlrev_b32 v5, 2, v5
	ds_bpermute_b32 v4, v5, v2
	v_xor_b32_e32 v5, 2, v3
	v_cmp_gt_i32_e64 s31, 32, v5
	s_delay_alu instid0(VALU_DEP_1) | instskip(SKIP_1) | instid1(VALU_DEP_1)
	v_cndmask_b32_e64 v5, v3, v5, s31
	s_waitcnt lgkmcnt(0)
	v_dual_add_f32 v2, v2, v4 :: v_dual_lshlrev_b32 v5, 2, v5
	ds_bpermute_b32 v4, v5, v2
	v_xor_b32_e32 v5, 1, v3
	s_delay_alu instid0(VALU_DEP_1) | instskip(NEXT) | instid1(VALU_DEP_1)
	v_cmp_gt_i32_e64 s31, 32, v5
	v_cndmask_b32_e64 v3, v3, v5, s31
	s_waitcnt lgkmcnt(0)
	s_delay_alu instid0(VALU_DEP_1)
	v_dual_add_f32 v2, v2, v4 :: v_dual_lshlrev_b32 v3, 2, v3
	ds_bpermute_b32 v3, v3, v2
	v_cmpx_lt_i32_e32 0, v70
	s_cbranch_execz .LBB345_98
; %bb.65:
	v_lshlrev_b64 v[0:1], 1, v[0:1]
	s_waitcnt lgkmcnt(0)
	v_add_f32_e32 v2, v2, v3
	s_delay_alu instid0(VALU_DEP_2) | instskip(NEXT) | instid1(VALU_DEP_1)
	v_add_co_u32 v0, s31, s36, v0
	v_add_co_ci_u32_e64 v1, s31, s37, v1, s31
	s_and_saveexec_b32 s31, s30
	s_cbranch_execnz .LBB345_99
; %bb.66:
	s_or_b32 exec_lo, exec_lo, s31
	s_and_saveexec_b32 s30, s29
	s_cbranch_execnz .LBB345_100
.LBB345_67:
	s_or_b32 exec_lo, exec_lo, s30
	s_and_saveexec_b32 s29, s28
	s_cbranch_execnz .LBB345_101
.LBB345_68:
	s_or_b32 exec_lo, exec_lo, s29
	s_and_saveexec_b32 s28, s27
	s_cbranch_execnz .LBB345_102
.LBB345_69:
	s_or_b32 exec_lo, exec_lo, s28
	s_and_saveexec_b32 s27, s26
	s_cbranch_execnz .LBB345_103
.LBB345_70:
	s_or_b32 exec_lo, exec_lo, s27
	s_and_saveexec_b32 s26, s25
	s_cbranch_execnz .LBB345_104
.LBB345_71:
	s_or_b32 exec_lo, exec_lo, s26
	s_and_saveexec_b32 s25, s24
	s_cbranch_execnz .LBB345_105
.LBB345_72:
	s_or_b32 exec_lo, exec_lo, s25
	s_and_saveexec_b32 s24, s23
	s_cbranch_execnz .LBB345_106
.LBB345_73:
	s_or_b32 exec_lo, exec_lo, s24
	s_and_saveexec_b32 s23, s22
	s_cbranch_execnz .LBB345_107
.LBB345_74:
	s_or_b32 exec_lo, exec_lo, s23
	s_and_saveexec_b32 s22, s21
	s_cbranch_execnz .LBB345_108
.LBB345_75:
	s_or_b32 exec_lo, exec_lo, s22
	s_and_saveexec_b32 s21, s20
	s_cbranch_execnz .LBB345_109
.LBB345_76:
	s_or_b32 exec_lo, exec_lo, s21
	s_and_saveexec_b32 s20, s19
	s_cbranch_execnz .LBB345_110
.LBB345_77:
	s_or_b32 exec_lo, exec_lo, s20
	s_and_saveexec_b32 s19, s18
	s_cbranch_execnz .LBB345_111
.LBB345_78:
	s_or_b32 exec_lo, exec_lo, s19
	s_and_saveexec_b32 s18, s17
	s_cbranch_execnz .LBB345_112
.LBB345_79:
	s_or_b32 exec_lo, exec_lo, s18
	s_and_saveexec_b32 s17, s16
	s_cbranch_execnz .LBB345_113
.LBB345_80:
	s_or_b32 exec_lo, exec_lo, s17
	s_and_saveexec_b32 s16, s15
	s_cbranch_execnz .LBB345_114
.LBB345_81:
	s_or_b32 exec_lo, exec_lo, s16
	s_and_saveexec_b32 s15, s14
	s_cbranch_execnz .LBB345_115
.LBB345_82:
	s_or_b32 exec_lo, exec_lo, s15
	s_and_saveexec_b32 s14, s13
	s_cbranch_execnz .LBB345_116
.LBB345_83:
	s_or_b32 exec_lo, exec_lo, s14
	s_and_saveexec_b32 s13, s12
	s_cbranch_execnz .LBB345_117
.LBB345_84:
	s_or_b32 exec_lo, exec_lo, s13
	s_and_saveexec_b32 s12, s11
	s_cbranch_execnz .LBB345_118
.LBB345_85:
	s_or_b32 exec_lo, exec_lo, s12
	s_and_saveexec_b32 s11, s10
	s_cbranch_execnz .LBB345_119
.LBB345_86:
	s_or_b32 exec_lo, exec_lo, s11
	s_and_saveexec_b32 s10, s9
	s_cbranch_execnz .LBB345_120
.LBB345_87:
	s_or_b32 exec_lo, exec_lo, s10
	s_and_saveexec_b32 s9, s8
	s_cbranch_execnz .LBB345_121
.LBB345_88:
	s_or_b32 exec_lo, exec_lo, s9
	s_and_saveexec_b32 s8, s7
	s_cbranch_execnz .LBB345_122
.LBB345_89:
	s_or_b32 exec_lo, exec_lo, s8
	s_and_saveexec_b32 s7, s6
	s_cbranch_execnz .LBB345_123
.LBB345_90:
	s_or_b32 exec_lo, exec_lo, s7
	s_and_saveexec_b32 s6, s5
	s_cbranch_execnz .LBB345_124
.LBB345_91:
	s_or_b32 exec_lo, exec_lo, s6
	s_and_saveexec_b32 s5, s4
	s_cbranch_execnz .LBB345_125
.LBB345_92:
	s_or_b32 exec_lo, exec_lo, s5
	s_and_saveexec_b32 s4, s3
	s_cbranch_execnz .LBB345_126
.LBB345_93:
	s_or_b32 exec_lo, exec_lo, s4
	s_and_saveexec_b32 s3, s2
	s_cbranch_execnz .LBB345_127
.LBB345_94:
	s_or_b32 exec_lo, exec_lo, s3
	s_and_saveexec_b32 s2, s1
	s_cbranch_execnz .LBB345_128
.LBB345_95:
	s_or_b32 exec_lo, exec_lo, s2
	s_and_saveexec_b32 s1, s0
	s_cbranch_execnz .LBB345_129
.LBB345_96:
	s_or_b32 exec_lo, exec_lo, s1
	s_delay_alu instid0(SALU_CYCLE_1)
	s_and_b32 exec_lo, exec_lo, vcc_lo
	s_cbranch_execz .LBB345_98
.LBB345_97:
	s_waitcnt vmcnt(0)
	v_mul_f32_e32 v3, 0x3fb8aa3b, v8
	v_cmp_ngt_f32_e32 vcc_lo, 0xc2ce8ed0, v8
	s_delay_alu instid0(VALU_DEP_2) | instskip(SKIP_1) | instid1(VALU_DEP_2)
	v_rndne_f32_e32 v4, v3
	v_fma_f32 v5, 0x3fb8aa3b, v8, -v3
	v_sub_f32_e32 v3, v3, v4
	s_delay_alu instid0(VALU_DEP_2) | instskip(SKIP_1) | instid1(VALU_DEP_2)
	v_fmamk_f32 v5, v8, 0x32a5705f, v5
	v_cvt_i32_f32_e32 v4, v4
	v_add_f32_e32 v3, v3, v5
	s_delay_alu instid0(VALU_DEP_1) | instskip(SKIP_2) | instid1(VALU_DEP_1)
	v_exp_f32_e32 v3, v3
	s_waitcnt_depctr 0xfff
	v_ldexp_f32 v3, v3, v4
	v_cndmask_b32_e32 v3, 0, v3, vcc_lo
	v_cmp_nlt_f32_e32 vcc_lo, 0x42b17218, v8
	s_delay_alu instid0(VALU_DEP_2) | instskip(NEXT) | instid1(VALU_DEP_1)
	v_cndmask_b32_e32 v3, 0x7f800000, v3, vcc_lo
	v_fma_f32 v2, -v2, v3, v6
	s_delay_alu instid0(VALU_DEP_1) | instskip(SKIP_1) | instid1(VALU_DEP_2)
	v_bfe_u32 v3, v2, 16, 1
	v_cmp_o_f32_e32 vcc_lo, v2, v2
	v_add3_u32 v3, v2, v3, 0x7fff
	s_delay_alu instid0(VALU_DEP_1) | instskip(NEXT) | instid1(VALU_DEP_1)
	v_lshrrev_b32_e32 v3, 16, v3
	v_cndmask_b32_e32 v2, 0x7fc0, v3, vcc_lo
	global_store_b16 v[0:1], v2, off offset:1984
.LBB345_98:
	s_nop 0
	s_sendmsg sendmsg(MSG_DEALLOC_VGPRS)
	s_endpgm
.LBB345_99:
	s_waitcnt vmcnt(0)
	v_mul_f32_e32 v3, 0x3fb8aa3b, v69
	v_cmp_ngt_f32_e64 s30, 0xc2ce8ed0, v69
	s_delay_alu instid0(VALU_DEP_2) | instskip(SKIP_1) | instid1(VALU_DEP_2)
	v_rndne_f32_e32 v4, v3
	v_fma_f32 v5, 0x3fb8aa3b, v69, -v3
	v_sub_f32_e32 v3, v3, v4
	s_delay_alu instid0(VALU_DEP_2) | instskip(SKIP_1) | instid1(VALU_DEP_2)
	v_fmamk_f32 v5, v69, 0x32a5705f, v5
	v_cvt_i32_f32_e32 v4, v4
	v_add_f32_e32 v3, v3, v5
	s_delay_alu instid0(VALU_DEP_1) | instskip(SKIP_2) | instid1(VALU_DEP_1)
	v_exp_f32_e32 v3, v3
	s_waitcnt_depctr 0xfff
	v_ldexp_f32 v3, v3, v4
	v_cndmask_b32_e64 v3, 0, v3, s30
	v_cmp_nlt_f32_e64 s30, 0x42b17218, v69
	s_delay_alu instid0(VALU_DEP_1) | instskip(NEXT) | instid1(VALU_DEP_1)
	v_cndmask_b32_e64 v3, 0x7f800000, v3, s30
	v_fma_f32 v3, -v2, v3, v67
	s_delay_alu instid0(VALU_DEP_1) | instskip(SKIP_1) | instid1(VALU_DEP_2)
	v_bfe_u32 v4, v3, 16, 1
	v_cmp_o_f32_e64 s30, v3, v3
	v_add3_u32 v4, v3, v4, 0x7fff
	s_delay_alu instid0(VALU_DEP_1) | instskip(NEXT) | instid1(VALU_DEP_1)
	v_lshrrev_b32_e32 v4, 16, v4
	v_cndmask_b32_e64 v3, 0x7fc0, v4, s30
	global_store_b16 v[0:1], v3, off
	s_or_b32 exec_lo, exec_lo, s31
	s_and_saveexec_b32 s30, s29
	s_cbranch_execz .LBB345_67
.LBB345_100:
	s_waitcnt vmcnt(0)
	v_mul_f32_e32 v3, 0x3fb8aa3b, v68
	v_cmp_ngt_f32_e64 s29, 0xc2ce8ed0, v68
	s_delay_alu instid0(VALU_DEP_2) | instskip(SKIP_1) | instid1(VALU_DEP_2)
	v_rndne_f32_e32 v4, v3
	v_fma_f32 v5, 0x3fb8aa3b, v68, -v3
	v_sub_f32_e32 v3, v3, v4
	s_delay_alu instid0(VALU_DEP_2) | instskip(SKIP_1) | instid1(VALU_DEP_2)
	v_fmamk_f32 v5, v68, 0x32a5705f, v5
	v_cvt_i32_f32_e32 v4, v4
	v_add_f32_e32 v3, v3, v5
	s_delay_alu instid0(VALU_DEP_1) | instskip(SKIP_2) | instid1(VALU_DEP_1)
	v_exp_f32_e32 v3, v3
	s_waitcnt_depctr 0xfff
	v_ldexp_f32 v3, v3, v4
	v_cndmask_b32_e64 v3, 0, v3, s29
	v_cmp_nlt_f32_e64 s29, 0x42b17218, v68
	s_delay_alu instid0(VALU_DEP_1) | instskip(NEXT) | instid1(VALU_DEP_1)
	v_cndmask_b32_e64 v3, 0x7f800000, v3, s29
	v_fma_f32 v3, -v2, v3, v61
	s_delay_alu instid0(VALU_DEP_1) | instskip(SKIP_1) | instid1(VALU_DEP_2)
	v_bfe_u32 v4, v3, 16, 1
	v_cmp_o_f32_e64 s29, v3, v3
	v_add3_u32 v4, v3, v4, 0x7fff
	s_delay_alu instid0(VALU_DEP_1) | instskip(NEXT) | instid1(VALU_DEP_1)
	v_lshrrev_b32_e32 v4, 16, v4
	v_cndmask_b32_e64 v3, 0x7fc0, v4, s29
	global_store_b16 v[0:1], v3, off offset:64
	s_or_b32 exec_lo, exec_lo, s30
	s_and_saveexec_b32 s29, s28
	s_cbranch_execz .LBB345_68
.LBB345_101:
	s_waitcnt vmcnt(0)
	v_mul_f32_e32 v3, 0x3fb8aa3b, v66
	v_cmp_ngt_f32_e64 s28, 0xc2ce8ed0, v66
	s_delay_alu instid0(VALU_DEP_2) | instskip(SKIP_1) | instid1(VALU_DEP_2)
	v_rndne_f32_e32 v4, v3
	v_fma_f32 v5, 0x3fb8aa3b, v66, -v3
	v_sub_f32_e32 v3, v3, v4
	s_delay_alu instid0(VALU_DEP_2) | instskip(SKIP_1) | instid1(VALU_DEP_2)
	v_fmamk_f32 v5, v66, 0x32a5705f, v5
	v_cvt_i32_f32_e32 v4, v4
	v_add_f32_e32 v3, v3, v5
	s_delay_alu instid0(VALU_DEP_1) | instskip(SKIP_2) | instid1(VALU_DEP_1)
	v_exp_f32_e32 v3, v3
	s_waitcnt_depctr 0xfff
	v_ldexp_f32 v3, v3, v4
	v_cndmask_b32_e64 v3, 0, v3, s28
	v_cmp_nlt_f32_e64 s28, 0x42b17218, v66
	s_delay_alu instid0(VALU_DEP_1) | instskip(NEXT) | instid1(VALU_DEP_1)
	v_cndmask_b32_e64 v3, 0x7f800000, v3, s28
	v_fma_f32 v3, -v2, v3, v65
	s_delay_alu instid0(VALU_DEP_1) | instskip(SKIP_1) | instid1(VALU_DEP_2)
	v_bfe_u32 v4, v3, 16, 1
	v_cmp_o_f32_e64 s28, v3, v3
	v_add3_u32 v4, v3, v4, 0x7fff
	s_delay_alu instid0(VALU_DEP_1) | instskip(NEXT) | instid1(VALU_DEP_1)
	v_lshrrev_b32_e32 v4, 16, v4
	v_cndmask_b32_e64 v3, 0x7fc0, v4, s28
	global_store_b16 v[0:1], v3, off offset:128
	s_or_b32 exec_lo, exec_lo, s29
	s_and_saveexec_b32 s28, s27
	s_cbranch_execz .LBB345_69
.LBB345_102:
	s_waitcnt vmcnt(0)
	v_mul_f32_e32 v3, 0x3fb8aa3b, v64
	v_cmp_ngt_f32_e64 s27, 0xc2ce8ed0, v64
	s_delay_alu instid0(VALU_DEP_2) | instskip(SKIP_1) | instid1(VALU_DEP_2)
	v_rndne_f32_e32 v4, v3
	v_fma_f32 v5, 0x3fb8aa3b, v64, -v3
	v_sub_f32_e32 v3, v3, v4
	s_delay_alu instid0(VALU_DEP_2) | instskip(SKIP_1) | instid1(VALU_DEP_2)
	v_fmamk_f32 v5, v64, 0x32a5705f, v5
	v_cvt_i32_f32_e32 v4, v4
	v_add_f32_e32 v3, v3, v5
	s_delay_alu instid0(VALU_DEP_1) | instskip(SKIP_2) | instid1(VALU_DEP_1)
	v_exp_f32_e32 v3, v3
	s_waitcnt_depctr 0xfff
	v_ldexp_f32 v3, v3, v4
	v_cndmask_b32_e64 v3, 0, v3, s27
	v_cmp_nlt_f32_e64 s27, 0x42b17218, v64
	s_delay_alu instid0(VALU_DEP_1) | instskip(NEXT) | instid1(VALU_DEP_1)
	v_cndmask_b32_e64 v3, 0x7f800000, v3, s27
	v_fma_f32 v3, -v2, v3, v58
	s_delay_alu instid0(VALU_DEP_1) | instskip(SKIP_1) | instid1(VALU_DEP_2)
	v_bfe_u32 v4, v3, 16, 1
	v_cmp_o_f32_e64 s27, v3, v3
	v_add3_u32 v4, v3, v4, 0x7fff
	s_delay_alu instid0(VALU_DEP_1) | instskip(NEXT) | instid1(VALU_DEP_1)
	v_lshrrev_b32_e32 v4, 16, v4
	v_cndmask_b32_e64 v3, 0x7fc0, v4, s27
	global_store_b16 v[0:1], v3, off offset:192
	s_or_b32 exec_lo, exec_lo, s28
	s_and_saveexec_b32 s27, s26
	s_cbranch_execz .LBB345_70
.LBB345_103:
	s_waitcnt vmcnt(0)
	v_mul_f32_e32 v3, 0x3fb8aa3b, v63
	v_cmp_ngt_f32_e64 s26, 0xc2ce8ed0, v63
	s_delay_alu instid0(VALU_DEP_2) | instskip(SKIP_1) | instid1(VALU_DEP_2)
	v_rndne_f32_e32 v4, v3
	v_fma_f32 v5, 0x3fb8aa3b, v63, -v3
	v_sub_f32_e32 v3, v3, v4
	s_delay_alu instid0(VALU_DEP_2) | instskip(SKIP_1) | instid1(VALU_DEP_2)
	v_fmamk_f32 v5, v63, 0x32a5705f, v5
	v_cvt_i32_f32_e32 v4, v4
	v_add_f32_e32 v3, v3, v5
	s_delay_alu instid0(VALU_DEP_1) | instskip(SKIP_2) | instid1(VALU_DEP_1)
	v_exp_f32_e32 v3, v3
	s_waitcnt_depctr 0xfff
	v_ldexp_f32 v3, v3, v4
	v_cndmask_b32_e64 v3, 0, v3, s26
	v_cmp_nlt_f32_e64 s26, 0x42b17218, v63
	s_delay_alu instid0(VALU_DEP_1) | instskip(NEXT) | instid1(VALU_DEP_1)
	v_cndmask_b32_e64 v3, 0x7f800000, v3, s26
	v_fma_f32 v3, -v2, v3, v62
	s_delay_alu instid0(VALU_DEP_1) | instskip(SKIP_1) | instid1(VALU_DEP_2)
	v_bfe_u32 v4, v3, 16, 1
	v_cmp_o_f32_e64 s26, v3, v3
	v_add3_u32 v4, v3, v4, 0x7fff
	s_delay_alu instid0(VALU_DEP_1) | instskip(NEXT) | instid1(VALU_DEP_1)
	v_lshrrev_b32_e32 v4, 16, v4
	v_cndmask_b32_e64 v3, 0x7fc0, v4, s26
	global_store_b16 v[0:1], v3, off offset:256
	s_or_b32 exec_lo, exec_lo, s27
	s_and_saveexec_b32 s26, s25
	s_cbranch_execz .LBB345_71
.LBB345_104:
	s_waitcnt vmcnt(0)
	v_mul_f32_e32 v3, 0x3fb8aa3b, v60
	v_cmp_ngt_f32_e64 s25, 0xc2ce8ed0, v60
	s_delay_alu instid0(VALU_DEP_2) | instskip(SKIP_1) | instid1(VALU_DEP_2)
	v_rndne_f32_e32 v4, v3
	v_fma_f32 v5, 0x3fb8aa3b, v60, -v3
	v_sub_f32_e32 v3, v3, v4
	s_delay_alu instid0(VALU_DEP_2) | instskip(SKIP_1) | instid1(VALU_DEP_2)
	v_fmamk_f32 v5, v60, 0x32a5705f, v5
	v_cvt_i32_f32_e32 v4, v4
	v_add_f32_e32 v3, v3, v5
	s_delay_alu instid0(VALU_DEP_1) | instskip(SKIP_2) | instid1(VALU_DEP_1)
	v_exp_f32_e32 v3, v3
	s_waitcnt_depctr 0xfff
	v_ldexp_f32 v3, v3, v4
	v_cndmask_b32_e64 v3, 0, v3, s25
	v_cmp_nlt_f32_e64 s25, 0x42b17218, v60
	s_delay_alu instid0(VALU_DEP_1) | instskip(NEXT) | instid1(VALU_DEP_1)
	v_cndmask_b32_e64 v3, 0x7f800000, v3, s25
	v_fma_f32 v3, -v2, v3, v54
	s_delay_alu instid0(VALU_DEP_1) | instskip(SKIP_1) | instid1(VALU_DEP_2)
	v_bfe_u32 v4, v3, 16, 1
	v_cmp_o_f32_e64 s25, v3, v3
	v_add3_u32 v4, v3, v4, 0x7fff
	s_delay_alu instid0(VALU_DEP_1) | instskip(NEXT) | instid1(VALU_DEP_1)
	v_lshrrev_b32_e32 v4, 16, v4
	v_cndmask_b32_e64 v3, 0x7fc0, v4, s25
	global_store_b16 v[0:1], v3, off offset:320
	s_or_b32 exec_lo, exec_lo, s26
	s_and_saveexec_b32 s25, s24
	s_cbranch_execz .LBB345_72
.LBB345_105:
	s_waitcnt vmcnt(0)
	v_mul_f32_e32 v3, 0x3fb8aa3b, v59
	v_cmp_ngt_f32_e64 s24, 0xc2ce8ed0, v59
	s_delay_alu instid0(VALU_DEP_2) | instskip(SKIP_1) | instid1(VALU_DEP_2)
	v_rndne_f32_e32 v4, v3
	v_fma_f32 v5, 0x3fb8aa3b, v59, -v3
	v_sub_f32_e32 v3, v3, v4
	s_delay_alu instid0(VALU_DEP_2) | instskip(SKIP_1) | instid1(VALU_DEP_2)
	v_fmamk_f32 v5, v59, 0x32a5705f, v5
	v_cvt_i32_f32_e32 v4, v4
	v_add_f32_e32 v3, v3, v5
	s_delay_alu instid0(VALU_DEP_1) | instskip(SKIP_2) | instid1(VALU_DEP_1)
	v_exp_f32_e32 v3, v3
	s_waitcnt_depctr 0xfff
	v_ldexp_f32 v3, v3, v4
	v_cndmask_b32_e64 v3, 0, v3, s24
	v_cmp_nlt_f32_e64 s24, 0x42b17218, v59
	s_delay_alu instid0(VALU_DEP_1) | instskip(NEXT) | instid1(VALU_DEP_1)
	v_cndmask_b32_e64 v3, 0x7f800000, v3, s24
	v_fma_f32 v3, -v2, v3, v57
	s_delay_alu instid0(VALU_DEP_1) | instskip(SKIP_1) | instid1(VALU_DEP_2)
	v_bfe_u32 v4, v3, 16, 1
	v_cmp_o_f32_e64 s24, v3, v3
	v_add3_u32 v4, v3, v4, 0x7fff
	s_delay_alu instid0(VALU_DEP_1) | instskip(NEXT) | instid1(VALU_DEP_1)
	v_lshrrev_b32_e32 v4, 16, v4
	v_cndmask_b32_e64 v3, 0x7fc0, v4, s24
	global_store_b16 v[0:1], v3, off offset:384
	s_or_b32 exec_lo, exec_lo, s25
	s_and_saveexec_b32 s24, s23
	s_cbranch_execz .LBB345_73
.LBB345_106:
	s_waitcnt vmcnt(0)
	v_mul_f32_e32 v3, 0x3fb8aa3b, v56
	v_cmp_ngt_f32_e64 s23, 0xc2ce8ed0, v56
	s_delay_alu instid0(VALU_DEP_2) | instskip(SKIP_1) | instid1(VALU_DEP_2)
	v_rndne_f32_e32 v4, v3
	v_fma_f32 v5, 0x3fb8aa3b, v56, -v3
	v_sub_f32_e32 v3, v3, v4
	s_delay_alu instid0(VALU_DEP_2) | instskip(SKIP_1) | instid1(VALU_DEP_2)
	v_fmamk_f32 v5, v56, 0x32a5705f, v5
	v_cvt_i32_f32_e32 v4, v4
	v_add_f32_e32 v3, v3, v5
	s_delay_alu instid0(VALU_DEP_1) | instskip(SKIP_2) | instid1(VALU_DEP_1)
	v_exp_f32_e32 v3, v3
	s_waitcnt_depctr 0xfff
	v_ldexp_f32 v3, v3, v4
	v_cndmask_b32_e64 v3, 0, v3, s23
	v_cmp_nlt_f32_e64 s23, 0x42b17218, v56
	s_delay_alu instid0(VALU_DEP_1) | instskip(NEXT) | instid1(VALU_DEP_1)
	v_cndmask_b32_e64 v3, 0x7f800000, v3, s23
	v_fma_f32 v3, -v2, v3, v50
	s_delay_alu instid0(VALU_DEP_1) | instskip(SKIP_1) | instid1(VALU_DEP_2)
	v_bfe_u32 v4, v3, 16, 1
	v_cmp_o_f32_e64 s23, v3, v3
	v_add3_u32 v4, v3, v4, 0x7fff
	s_delay_alu instid0(VALU_DEP_1) | instskip(NEXT) | instid1(VALU_DEP_1)
	v_lshrrev_b32_e32 v4, 16, v4
	v_cndmask_b32_e64 v3, 0x7fc0, v4, s23
	global_store_b16 v[0:1], v3, off offset:448
	s_or_b32 exec_lo, exec_lo, s24
	s_and_saveexec_b32 s23, s22
	s_cbranch_execz .LBB345_74
.LBB345_107:
	s_waitcnt vmcnt(0)
	v_mul_f32_e32 v3, 0x3fb8aa3b, v55
	v_cmp_ngt_f32_e64 s22, 0xc2ce8ed0, v55
	s_delay_alu instid0(VALU_DEP_2) | instskip(SKIP_1) | instid1(VALU_DEP_2)
	v_rndne_f32_e32 v4, v3
	v_fma_f32 v5, 0x3fb8aa3b, v55, -v3
	v_sub_f32_e32 v3, v3, v4
	s_delay_alu instid0(VALU_DEP_2) | instskip(SKIP_1) | instid1(VALU_DEP_2)
	v_fmamk_f32 v5, v55, 0x32a5705f, v5
	v_cvt_i32_f32_e32 v4, v4
	v_add_f32_e32 v3, v3, v5
	s_delay_alu instid0(VALU_DEP_1) | instskip(SKIP_2) | instid1(VALU_DEP_1)
	v_exp_f32_e32 v3, v3
	s_waitcnt_depctr 0xfff
	v_ldexp_f32 v3, v3, v4
	v_cndmask_b32_e64 v3, 0, v3, s22
	v_cmp_nlt_f32_e64 s22, 0x42b17218, v55
	s_delay_alu instid0(VALU_DEP_1) | instskip(NEXT) | instid1(VALU_DEP_1)
	v_cndmask_b32_e64 v3, 0x7f800000, v3, s22
	v_fma_f32 v3, -v2, v3, v53
	s_delay_alu instid0(VALU_DEP_1) | instskip(SKIP_1) | instid1(VALU_DEP_2)
	v_bfe_u32 v4, v3, 16, 1
	v_cmp_o_f32_e64 s22, v3, v3
	v_add3_u32 v4, v3, v4, 0x7fff
	s_delay_alu instid0(VALU_DEP_1) | instskip(NEXT) | instid1(VALU_DEP_1)
	v_lshrrev_b32_e32 v4, 16, v4
	v_cndmask_b32_e64 v3, 0x7fc0, v4, s22
	global_store_b16 v[0:1], v3, off offset:512
	s_or_b32 exec_lo, exec_lo, s23
	s_and_saveexec_b32 s22, s21
	s_cbranch_execz .LBB345_75
.LBB345_108:
	s_waitcnt vmcnt(0)
	v_mul_f32_e32 v3, 0x3fb8aa3b, v52
	v_cmp_ngt_f32_e64 s21, 0xc2ce8ed0, v52
	s_delay_alu instid0(VALU_DEP_2) | instskip(SKIP_1) | instid1(VALU_DEP_2)
	v_rndne_f32_e32 v4, v3
	v_fma_f32 v5, 0x3fb8aa3b, v52, -v3
	v_sub_f32_e32 v3, v3, v4
	s_delay_alu instid0(VALU_DEP_2) | instskip(SKIP_1) | instid1(VALU_DEP_2)
	v_fmamk_f32 v5, v52, 0x32a5705f, v5
	v_cvt_i32_f32_e32 v4, v4
	v_add_f32_e32 v3, v3, v5
	s_delay_alu instid0(VALU_DEP_1) | instskip(SKIP_2) | instid1(VALU_DEP_1)
	v_exp_f32_e32 v3, v3
	s_waitcnt_depctr 0xfff
	v_ldexp_f32 v3, v3, v4
	v_cndmask_b32_e64 v3, 0, v3, s21
	v_cmp_nlt_f32_e64 s21, 0x42b17218, v52
	s_delay_alu instid0(VALU_DEP_1) | instskip(NEXT) | instid1(VALU_DEP_1)
	v_cndmask_b32_e64 v3, 0x7f800000, v3, s21
	v_fma_f32 v3, -v2, v3, v46
	s_delay_alu instid0(VALU_DEP_1) | instskip(SKIP_1) | instid1(VALU_DEP_2)
	v_bfe_u32 v4, v3, 16, 1
	v_cmp_o_f32_e64 s21, v3, v3
	v_add3_u32 v4, v3, v4, 0x7fff
	s_delay_alu instid0(VALU_DEP_1) | instskip(NEXT) | instid1(VALU_DEP_1)
	v_lshrrev_b32_e32 v4, 16, v4
	v_cndmask_b32_e64 v3, 0x7fc0, v4, s21
	global_store_b16 v[0:1], v3, off offset:576
	s_or_b32 exec_lo, exec_lo, s22
	s_and_saveexec_b32 s21, s20
	s_cbranch_execz .LBB345_76
.LBB345_109:
	s_waitcnt vmcnt(0)
	v_mul_f32_e32 v3, 0x3fb8aa3b, v51
	v_cmp_ngt_f32_e64 s20, 0xc2ce8ed0, v51
	s_delay_alu instid0(VALU_DEP_2) | instskip(SKIP_1) | instid1(VALU_DEP_2)
	v_rndne_f32_e32 v4, v3
	v_fma_f32 v5, 0x3fb8aa3b, v51, -v3
	v_sub_f32_e32 v3, v3, v4
	s_delay_alu instid0(VALU_DEP_2) | instskip(SKIP_1) | instid1(VALU_DEP_2)
	v_fmamk_f32 v5, v51, 0x32a5705f, v5
	v_cvt_i32_f32_e32 v4, v4
	v_add_f32_e32 v3, v3, v5
	s_delay_alu instid0(VALU_DEP_1) | instskip(SKIP_2) | instid1(VALU_DEP_1)
	v_exp_f32_e32 v3, v3
	s_waitcnt_depctr 0xfff
	v_ldexp_f32 v3, v3, v4
	v_cndmask_b32_e64 v3, 0, v3, s20
	v_cmp_nlt_f32_e64 s20, 0x42b17218, v51
	s_delay_alu instid0(VALU_DEP_1) | instskip(NEXT) | instid1(VALU_DEP_1)
	v_cndmask_b32_e64 v3, 0x7f800000, v3, s20
	v_fma_f32 v3, -v2, v3, v49
	s_delay_alu instid0(VALU_DEP_1) | instskip(SKIP_1) | instid1(VALU_DEP_2)
	v_bfe_u32 v4, v3, 16, 1
	v_cmp_o_f32_e64 s20, v3, v3
	v_add3_u32 v4, v3, v4, 0x7fff
	s_delay_alu instid0(VALU_DEP_1) | instskip(NEXT) | instid1(VALU_DEP_1)
	v_lshrrev_b32_e32 v4, 16, v4
	v_cndmask_b32_e64 v3, 0x7fc0, v4, s20
	global_store_b16 v[0:1], v3, off offset:640
	s_or_b32 exec_lo, exec_lo, s21
	s_and_saveexec_b32 s20, s19
	s_cbranch_execz .LBB345_77
.LBB345_110:
	s_waitcnt vmcnt(0)
	v_mul_f32_e32 v3, 0x3fb8aa3b, v48
	v_cmp_ngt_f32_e64 s19, 0xc2ce8ed0, v48
	s_delay_alu instid0(VALU_DEP_2) | instskip(SKIP_1) | instid1(VALU_DEP_2)
	v_rndne_f32_e32 v4, v3
	v_fma_f32 v5, 0x3fb8aa3b, v48, -v3
	v_sub_f32_e32 v3, v3, v4
	s_delay_alu instid0(VALU_DEP_2) | instskip(SKIP_1) | instid1(VALU_DEP_2)
	v_fmamk_f32 v5, v48, 0x32a5705f, v5
	v_cvt_i32_f32_e32 v4, v4
	v_add_f32_e32 v3, v3, v5
	s_delay_alu instid0(VALU_DEP_1) | instskip(SKIP_2) | instid1(VALU_DEP_1)
	v_exp_f32_e32 v3, v3
	s_waitcnt_depctr 0xfff
	v_ldexp_f32 v3, v3, v4
	v_cndmask_b32_e64 v3, 0, v3, s19
	v_cmp_nlt_f32_e64 s19, 0x42b17218, v48
	s_delay_alu instid0(VALU_DEP_1) | instskip(NEXT) | instid1(VALU_DEP_1)
	v_cndmask_b32_e64 v3, 0x7f800000, v3, s19
	v_fma_f32 v3, -v2, v3, v42
	s_delay_alu instid0(VALU_DEP_1) | instskip(SKIP_1) | instid1(VALU_DEP_2)
	v_bfe_u32 v4, v3, 16, 1
	v_cmp_o_f32_e64 s19, v3, v3
	v_add3_u32 v4, v3, v4, 0x7fff
	s_delay_alu instid0(VALU_DEP_1) | instskip(NEXT) | instid1(VALU_DEP_1)
	v_lshrrev_b32_e32 v4, 16, v4
	v_cndmask_b32_e64 v3, 0x7fc0, v4, s19
	global_store_b16 v[0:1], v3, off offset:704
	s_or_b32 exec_lo, exec_lo, s20
	s_and_saveexec_b32 s19, s18
	s_cbranch_execz .LBB345_78
.LBB345_111:
	s_waitcnt vmcnt(0)
	v_mul_f32_e32 v3, 0x3fb8aa3b, v47
	v_cmp_ngt_f32_e64 s18, 0xc2ce8ed0, v47
	s_delay_alu instid0(VALU_DEP_2) | instskip(SKIP_1) | instid1(VALU_DEP_2)
	v_rndne_f32_e32 v4, v3
	v_fma_f32 v5, 0x3fb8aa3b, v47, -v3
	v_sub_f32_e32 v3, v3, v4
	s_delay_alu instid0(VALU_DEP_2) | instskip(SKIP_1) | instid1(VALU_DEP_2)
	v_fmamk_f32 v5, v47, 0x32a5705f, v5
	v_cvt_i32_f32_e32 v4, v4
	v_add_f32_e32 v3, v3, v5
	s_delay_alu instid0(VALU_DEP_1) | instskip(SKIP_2) | instid1(VALU_DEP_1)
	v_exp_f32_e32 v3, v3
	s_waitcnt_depctr 0xfff
	v_ldexp_f32 v3, v3, v4
	v_cndmask_b32_e64 v3, 0, v3, s18
	v_cmp_nlt_f32_e64 s18, 0x42b17218, v47
	s_delay_alu instid0(VALU_DEP_1) | instskip(NEXT) | instid1(VALU_DEP_1)
	v_cndmask_b32_e64 v3, 0x7f800000, v3, s18
	v_fma_f32 v3, -v2, v3, v45
	s_delay_alu instid0(VALU_DEP_1) | instskip(SKIP_1) | instid1(VALU_DEP_2)
	v_bfe_u32 v4, v3, 16, 1
	v_cmp_o_f32_e64 s18, v3, v3
	v_add3_u32 v4, v3, v4, 0x7fff
	s_delay_alu instid0(VALU_DEP_1) | instskip(NEXT) | instid1(VALU_DEP_1)
	v_lshrrev_b32_e32 v4, 16, v4
	v_cndmask_b32_e64 v3, 0x7fc0, v4, s18
	global_store_b16 v[0:1], v3, off offset:768
	s_or_b32 exec_lo, exec_lo, s19
	s_and_saveexec_b32 s18, s17
	s_cbranch_execz .LBB345_79
.LBB345_112:
	s_waitcnt vmcnt(0)
	v_mul_f32_e32 v3, 0x3fb8aa3b, v44
	v_cmp_ngt_f32_e64 s17, 0xc2ce8ed0, v44
	s_delay_alu instid0(VALU_DEP_2) | instskip(SKIP_1) | instid1(VALU_DEP_2)
	v_rndne_f32_e32 v4, v3
	v_fma_f32 v5, 0x3fb8aa3b, v44, -v3
	v_sub_f32_e32 v3, v3, v4
	s_delay_alu instid0(VALU_DEP_2) | instskip(SKIP_1) | instid1(VALU_DEP_2)
	v_fmamk_f32 v5, v44, 0x32a5705f, v5
	v_cvt_i32_f32_e32 v4, v4
	v_add_f32_e32 v3, v3, v5
	s_delay_alu instid0(VALU_DEP_1) | instskip(SKIP_2) | instid1(VALU_DEP_1)
	v_exp_f32_e32 v3, v3
	s_waitcnt_depctr 0xfff
	v_ldexp_f32 v3, v3, v4
	v_cndmask_b32_e64 v3, 0, v3, s17
	v_cmp_nlt_f32_e64 s17, 0x42b17218, v44
	s_delay_alu instid0(VALU_DEP_1) | instskip(NEXT) | instid1(VALU_DEP_1)
	v_cndmask_b32_e64 v3, 0x7f800000, v3, s17
	v_fma_f32 v3, -v2, v3, v38
	s_delay_alu instid0(VALU_DEP_1) | instskip(SKIP_1) | instid1(VALU_DEP_2)
	v_bfe_u32 v4, v3, 16, 1
	v_cmp_o_f32_e64 s17, v3, v3
	v_add3_u32 v4, v3, v4, 0x7fff
	s_delay_alu instid0(VALU_DEP_1) | instskip(NEXT) | instid1(VALU_DEP_1)
	v_lshrrev_b32_e32 v4, 16, v4
	v_cndmask_b32_e64 v3, 0x7fc0, v4, s17
	global_store_b16 v[0:1], v3, off offset:832
	s_or_b32 exec_lo, exec_lo, s18
	s_and_saveexec_b32 s17, s16
	s_cbranch_execz .LBB345_80
.LBB345_113:
	s_waitcnt vmcnt(0)
	v_mul_f32_e32 v3, 0x3fb8aa3b, v43
	v_cmp_ngt_f32_e64 s16, 0xc2ce8ed0, v43
	s_delay_alu instid0(VALU_DEP_2) | instskip(SKIP_1) | instid1(VALU_DEP_2)
	v_rndne_f32_e32 v4, v3
	v_fma_f32 v5, 0x3fb8aa3b, v43, -v3
	v_sub_f32_e32 v3, v3, v4
	s_delay_alu instid0(VALU_DEP_2) | instskip(SKIP_1) | instid1(VALU_DEP_2)
	v_fmamk_f32 v5, v43, 0x32a5705f, v5
	v_cvt_i32_f32_e32 v4, v4
	v_add_f32_e32 v3, v3, v5
	s_delay_alu instid0(VALU_DEP_1) | instskip(SKIP_2) | instid1(VALU_DEP_1)
	v_exp_f32_e32 v3, v3
	s_waitcnt_depctr 0xfff
	v_ldexp_f32 v3, v3, v4
	v_cndmask_b32_e64 v3, 0, v3, s16
	v_cmp_nlt_f32_e64 s16, 0x42b17218, v43
	s_delay_alu instid0(VALU_DEP_1) | instskip(NEXT) | instid1(VALU_DEP_1)
	v_cndmask_b32_e64 v3, 0x7f800000, v3, s16
	v_fma_f32 v3, -v2, v3, v41
	s_delay_alu instid0(VALU_DEP_1) | instskip(SKIP_1) | instid1(VALU_DEP_2)
	v_bfe_u32 v4, v3, 16, 1
	v_cmp_o_f32_e64 s16, v3, v3
	v_add3_u32 v4, v3, v4, 0x7fff
	s_delay_alu instid0(VALU_DEP_1) | instskip(NEXT) | instid1(VALU_DEP_1)
	v_lshrrev_b32_e32 v4, 16, v4
	v_cndmask_b32_e64 v3, 0x7fc0, v4, s16
	global_store_b16 v[0:1], v3, off offset:896
	s_or_b32 exec_lo, exec_lo, s17
	s_and_saveexec_b32 s16, s15
	s_cbranch_execz .LBB345_81
.LBB345_114:
	s_waitcnt vmcnt(0)
	v_mul_f32_e32 v3, 0x3fb8aa3b, v40
	v_cmp_ngt_f32_e64 s15, 0xc2ce8ed0, v40
	s_delay_alu instid0(VALU_DEP_2) | instskip(SKIP_1) | instid1(VALU_DEP_2)
	v_rndne_f32_e32 v4, v3
	v_fma_f32 v5, 0x3fb8aa3b, v40, -v3
	v_sub_f32_e32 v3, v3, v4
	s_delay_alu instid0(VALU_DEP_2) | instskip(SKIP_1) | instid1(VALU_DEP_2)
	v_fmamk_f32 v5, v40, 0x32a5705f, v5
	v_cvt_i32_f32_e32 v4, v4
	v_add_f32_e32 v3, v3, v5
	s_delay_alu instid0(VALU_DEP_1) | instskip(SKIP_2) | instid1(VALU_DEP_1)
	v_exp_f32_e32 v3, v3
	s_waitcnt_depctr 0xfff
	v_ldexp_f32 v3, v3, v4
	v_cndmask_b32_e64 v3, 0, v3, s15
	v_cmp_nlt_f32_e64 s15, 0x42b17218, v40
	s_delay_alu instid0(VALU_DEP_1) | instskip(NEXT) | instid1(VALU_DEP_1)
	v_cndmask_b32_e64 v3, 0x7f800000, v3, s15
	v_fma_f32 v3, -v2, v3, v34
	s_delay_alu instid0(VALU_DEP_1) | instskip(SKIP_1) | instid1(VALU_DEP_2)
	v_bfe_u32 v4, v3, 16, 1
	v_cmp_o_f32_e64 s15, v3, v3
	v_add3_u32 v4, v3, v4, 0x7fff
	s_delay_alu instid0(VALU_DEP_1) | instskip(NEXT) | instid1(VALU_DEP_1)
	v_lshrrev_b32_e32 v4, 16, v4
	v_cndmask_b32_e64 v3, 0x7fc0, v4, s15
	global_store_b16 v[0:1], v3, off offset:960
	s_or_b32 exec_lo, exec_lo, s16
	s_and_saveexec_b32 s15, s14
	s_cbranch_execz .LBB345_82
.LBB345_115:
	s_waitcnt vmcnt(0)
	v_mul_f32_e32 v3, 0x3fb8aa3b, v39
	v_cmp_ngt_f32_e64 s14, 0xc2ce8ed0, v39
	s_delay_alu instid0(VALU_DEP_2) | instskip(SKIP_1) | instid1(VALU_DEP_2)
	v_rndne_f32_e32 v4, v3
	v_fma_f32 v5, 0x3fb8aa3b, v39, -v3
	v_sub_f32_e32 v3, v3, v4
	s_delay_alu instid0(VALU_DEP_2) | instskip(SKIP_1) | instid1(VALU_DEP_2)
	v_fmamk_f32 v5, v39, 0x32a5705f, v5
	v_cvt_i32_f32_e32 v4, v4
	v_add_f32_e32 v3, v3, v5
	s_delay_alu instid0(VALU_DEP_1) | instskip(SKIP_2) | instid1(VALU_DEP_1)
	v_exp_f32_e32 v3, v3
	s_waitcnt_depctr 0xfff
	v_ldexp_f32 v3, v3, v4
	v_cndmask_b32_e64 v3, 0, v3, s14
	v_cmp_nlt_f32_e64 s14, 0x42b17218, v39
	s_delay_alu instid0(VALU_DEP_1) | instskip(NEXT) | instid1(VALU_DEP_1)
	v_cndmask_b32_e64 v3, 0x7f800000, v3, s14
	v_fma_f32 v3, -v2, v3, v37
	s_delay_alu instid0(VALU_DEP_1) | instskip(SKIP_1) | instid1(VALU_DEP_2)
	v_bfe_u32 v4, v3, 16, 1
	v_cmp_o_f32_e64 s14, v3, v3
	v_add3_u32 v4, v3, v4, 0x7fff
	s_delay_alu instid0(VALU_DEP_1) | instskip(NEXT) | instid1(VALU_DEP_1)
	v_lshrrev_b32_e32 v4, 16, v4
	v_cndmask_b32_e64 v3, 0x7fc0, v4, s14
	global_store_b16 v[0:1], v3, off offset:1024
	s_or_b32 exec_lo, exec_lo, s15
	s_and_saveexec_b32 s14, s13
	s_cbranch_execz .LBB345_83
.LBB345_116:
	s_waitcnt vmcnt(0)
	v_mul_f32_e32 v3, 0x3fb8aa3b, v36
	v_cmp_ngt_f32_e64 s13, 0xc2ce8ed0, v36
	s_delay_alu instid0(VALU_DEP_2) | instskip(SKIP_1) | instid1(VALU_DEP_2)
	v_rndne_f32_e32 v4, v3
	v_fma_f32 v5, 0x3fb8aa3b, v36, -v3
	v_sub_f32_e32 v3, v3, v4
	s_delay_alu instid0(VALU_DEP_2) | instskip(SKIP_1) | instid1(VALU_DEP_2)
	v_fmamk_f32 v5, v36, 0x32a5705f, v5
	v_cvt_i32_f32_e32 v4, v4
	v_add_f32_e32 v3, v3, v5
	s_delay_alu instid0(VALU_DEP_1) | instskip(SKIP_2) | instid1(VALU_DEP_1)
	v_exp_f32_e32 v3, v3
	s_waitcnt_depctr 0xfff
	v_ldexp_f32 v3, v3, v4
	v_cndmask_b32_e64 v3, 0, v3, s13
	v_cmp_nlt_f32_e64 s13, 0x42b17218, v36
	s_delay_alu instid0(VALU_DEP_1) | instskip(NEXT) | instid1(VALU_DEP_1)
	v_cndmask_b32_e64 v3, 0x7f800000, v3, s13
	v_fma_f32 v3, -v2, v3, v30
	s_delay_alu instid0(VALU_DEP_1) | instskip(SKIP_1) | instid1(VALU_DEP_2)
	v_bfe_u32 v4, v3, 16, 1
	v_cmp_o_f32_e64 s13, v3, v3
	v_add3_u32 v4, v3, v4, 0x7fff
	s_delay_alu instid0(VALU_DEP_1) | instskip(NEXT) | instid1(VALU_DEP_1)
	v_lshrrev_b32_e32 v4, 16, v4
	v_cndmask_b32_e64 v3, 0x7fc0, v4, s13
	global_store_b16 v[0:1], v3, off offset:1088
	s_or_b32 exec_lo, exec_lo, s14
	s_and_saveexec_b32 s13, s12
	s_cbranch_execz .LBB345_84
.LBB345_117:
	s_waitcnt vmcnt(0)
	v_mul_f32_e32 v3, 0x3fb8aa3b, v35
	v_cmp_ngt_f32_e64 s12, 0xc2ce8ed0, v35
	s_delay_alu instid0(VALU_DEP_2) | instskip(SKIP_1) | instid1(VALU_DEP_2)
	v_rndne_f32_e32 v4, v3
	v_fma_f32 v5, 0x3fb8aa3b, v35, -v3
	v_sub_f32_e32 v3, v3, v4
	s_delay_alu instid0(VALU_DEP_2) | instskip(SKIP_1) | instid1(VALU_DEP_2)
	v_fmamk_f32 v5, v35, 0x32a5705f, v5
	v_cvt_i32_f32_e32 v4, v4
	v_add_f32_e32 v3, v3, v5
	s_delay_alu instid0(VALU_DEP_1) | instskip(SKIP_2) | instid1(VALU_DEP_1)
	v_exp_f32_e32 v3, v3
	s_waitcnt_depctr 0xfff
	v_ldexp_f32 v3, v3, v4
	v_cndmask_b32_e64 v3, 0, v3, s12
	v_cmp_nlt_f32_e64 s12, 0x42b17218, v35
	s_delay_alu instid0(VALU_DEP_1) | instskip(NEXT) | instid1(VALU_DEP_1)
	v_cndmask_b32_e64 v3, 0x7f800000, v3, s12
	v_fma_f32 v3, -v2, v3, v33
	s_delay_alu instid0(VALU_DEP_1) | instskip(SKIP_1) | instid1(VALU_DEP_2)
	v_bfe_u32 v4, v3, 16, 1
	v_cmp_o_f32_e64 s12, v3, v3
	v_add3_u32 v4, v3, v4, 0x7fff
	s_delay_alu instid0(VALU_DEP_1) | instskip(NEXT) | instid1(VALU_DEP_1)
	v_lshrrev_b32_e32 v4, 16, v4
	v_cndmask_b32_e64 v3, 0x7fc0, v4, s12
	global_store_b16 v[0:1], v3, off offset:1152
	s_or_b32 exec_lo, exec_lo, s13
	s_and_saveexec_b32 s12, s11
	s_cbranch_execz .LBB345_85
.LBB345_118:
	s_waitcnt vmcnt(0)
	v_mul_f32_e32 v3, 0x3fb8aa3b, v32
	v_cmp_ngt_f32_e64 s11, 0xc2ce8ed0, v32
	s_delay_alu instid0(VALU_DEP_2) | instskip(SKIP_1) | instid1(VALU_DEP_2)
	v_rndne_f32_e32 v4, v3
	v_fma_f32 v5, 0x3fb8aa3b, v32, -v3
	v_sub_f32_e32 v3, v3, v4
	s_delay_alu instid0(VALU_DEP_2) | instskip(SKIP_1) | instid1(VALU_DEP_2)
	v_fmamk_f32 v5, v32, 0x32a5705f, v5
	v_cvt_i32_f32_e32 v4, v4
	v_add_f32_e32 v3, v3, v5
	s_delay_alu instid0(VALU_DEP_1) | instskip(SKIP_2) | instid1(VALU_DEP_1)
	v_exp_f32_e32 v3, v3
	s_waitcnt_depctr 0xfff
	v_ldexp_f32 v3, v3, v4
	v_cndmask_b32_e64 v3, 0, v3, s11
	v_cmp_nlt_f32_e64 s11, 0x42b17218, v32
	s_delay_alu instid0(VALU_DEP_1) | instskip(NEXT) | instid1(VALU_DEP_1)
	v_cndmask_b32_e64 v3, 0x7f800000, v3, s11
	v_fma_f32 v3, -v2, v3, v26
	s_delay_alu instid0(VALU_DEP_1) | instskip(SKIP_1) | instid1(VALU_DEP_2)
	v_bfe_u32 v4, v3, 16, 1
	v_cmp_o_f32_e64 s11, v3, v3
	v_add3_u32 v4, v3, v4, 0x7fff
	s_delay_alu instid0(VALU_DEP_1) | instskip(NEXT) | instid1(VALU_DEP_1)
	v_lshrrev_b32_e32 v4, 16, v4
	v_cndmask_b32_e64 v3, 0x7fc0, v4, s11
	global_store_b16 v[0:1], v3, off offset:1216
	s_or_b32 exec_lo, exec_lo, s12
	s_and_saveexec_b32 s11, s10
	s_cbranch_execz .LBB345_86
.LBB345_119:
	s_waitcnt vmcnt(0)
	v_mul_f32_e32 v3, 0x3fb8aa3b, v31
	v_cmp_ngt_f32_e64 s10, 0xc2ce8ed0, v31
	s_delay_alu instid0(VALU_DEP_2) | instskip(SKIP_1) | instid1(VALU_DEP_2)
	v_rndne_f32_e32 v4, v3
	v_fma_f32 v5, 0x3fb8aa3b, v31, -v3
	v_sub_f32_e32 v3, v3, v4
	s_delay_alu instid0(VALU_DEP_2) | instskip(SKIP_1) | instid1(VALU_DEP_2)
	v_fmamk_f32 v5, v31, 0x32a5705f, v5
	v_cvt_i32_f32_e32 v4, v4
	v_add_f32_e32 v3, v3, v5
	s_delay_alu instid0(VALU_DEP_1) | instskip(SKIP_2) | instid1(VALU_DEP_1)
	v_exp_f32_e32 v3, v3
	s_waitcnt_depctr 0xfff
	v_ldexp_f32 v3, v3, v4
	v_cndmask_b32_e64 v3, 0, v3, s10
	v_cmp_nlt_f32_e64 s10, 0x42b17218, v31
	s_delay_alu instid0(VALU_DEP_1) | instskip(NEXT) | instid1(VALU_DEP_1)
	v_cndmask_b32_e64 v3, 0x7f800000, v3, s10
	v_fma_f32 v3, -v2, v3, v29
	s_delay_alu instid0(VALU_DEP_1) | instskip(SKIP_1) | instid1(VALU_DEP_2)
	v_bfe_u32 v4, v3, 16, 1
	v_cmp_o_f32_e64 s10, v3, v3
	v_add3_u32 v4, v3, v4, 0x7fff
	s_delay_alu instid0(VALU_DEP_1) | instskip(NEXT) | instid1(VALU_DEP_1)
	v_lshrrev_b32_e32 v4, 16, v4
	v_cndmask_b32_e64 v3, 0x7fc0, v4, s10
	global_store_b16 v[0:1], v3, off offset:1280
	s_or_b32 exec_lo, exec_lo, s11
	s_and_saveexec_b32 s10, s9
	s_cbranch_execz .LBB345_87
.LBB345_120:
	s_waitcnt vmcnt(0)
	v_mul_f32_e32 v3, 0x3fb8aa3b, v28
	v_cmp_ngt_f32_e64 s9, 0xc2ce8ed0, v28
	s_delay_alu instid0(VALU_DEP_2) | instskip(SKIP_1) | instid1(VALU_DEP_2)
	v_rndne_f32_e32 v4, v3
	v_fma_f32 v5, 0x3fb8aa3b, v28, -v3
	v_sub_f32_e32 v3, v3, v4
	s_delay_alu instid0(VALU_DEP_2) | instskip(SKIP_1) | instid1(VALU_DEP_2)
	v_fmamk_f32 v5, v28, 0x32a5705f, v5
	v_cvt_i32_f32_e32 v4, v4
	v_add_f32_e32 v3, v3, v5
	s_delay_alu instid0(VALU_DEP_1) | instskip(SKIP_2) | instid1(VALU_DEP_1)
	v_exp_f32_e32 v3, v3
	s_waitcnt_depctr 0xfff
	v_ldexp_f32 v3, v3, v4
	v_cndmask_b32_e64 v3, 0, v3, s9
	v_cmp_nlt_f32_e64 s9, 0x42b17218, v28
	s_delay_alu instid0(VALU_DEP_1) | instskip(NEXT) | instid1(VALU_DEP_1)
	v_cndmask_b32_e64 v3, 0x7f800000, v3, s9
	v_fma_f32 v3, -v2, v3, v22
	s_delay_alu instid0(VALU_DEP_1) | instskip(SKIP_1) | instid1(VALU_DEP_2)
	v_bfe_u32 v4, v3, 16, 1
	v_cmp_o_f32_e64 s9, v3, v3
	v_add3_u32 v4, v3, v4, 0x7fff
	s_delay_alu instid0(VALU_DEP_1) | instskip(NEXT) | instid1(VALU_DEP_1)
	v_lshrrev_b32_e32 v4, 16, v4
	v_cndmask_b32_e64 v3, 0x7fc0, v4, s9
	global_store_b16 v[0:1], v3, off offset:1344
	s_or_b32 exec_lo, exec_lo, s10
	s_and_saveexec_b32 s9, s8
	s_cbranch_execz .LBB345_88
.LBB345_121:
	s_waitcnt vmcnt(0)
	v_mul_f32_e32 v3, 0x3fb8aa3b, v27
	v_cmp_ngt_f32_e64 s8, 0xc2ce8ed0, v27
	s_delay_alu instid0(VALU_DEP_2) | instskip(SKIP_1) | instid1(VALU_DEP_2)
	v_rndne_f32_e32 v4, v3
	v_fma_f32 v5, 0x3fb8aa3b, v27, -v3
	v_sub_f32_e32 v3, v3, v4
	s_delay_alu instid0(VALU_DEP_2) | instskip(SKIP_1) | instid1(VALU_DEP_2)
	v_fmamk_f32 v5, v27, 0x32a5705f, v5
	v_cvt_i32_f32_e32 v4, v4
	v_add_f32_e32 v3, v3, v5
	s_delay_alu instid0(VALU_DEP_1) | instskip(SKIP_2) | instid1(VALU_DEP_1)
	v_exp_f32_e32 v3, v3
	s_waitcnt_depctr 0xfff
	v_ldexp_f32 v3, v3, v4
	v_cndmask_b32_e64 v3, 0, v3, s8
	v_cmp_nlt_f32_e64 s8, 0x42b17218, v27
	s_delay_alu instid0(VALU_DEP_1) | instskip(NEXT) | instid1(VALU_DEP_1)
	v_cndmask_b32_e64 v3, 0x7f800000, v3, s8
	v_fma_f32 v3, -v2, v3, v25
	s_delay_alu instid0(VALU_DEP_1) | instskip(SKIP_1) | instid1(VALU_DEP_2)
	v_bfe_u32 v4, v3, 16, 1
	v_cmp_o_f32_e64 s8, v3, v3
	v_add3_u32 v4, v3, v4, 0x7fff
	s_delay_alu instid0(VALU_DEP_1) | instskip(NEXT) | instid1(VALU_DEP_1)
	v_lshrrev_b32_e32 v4, 16, v4
	v_cndmask_b32_e64 v3, 0x7fc0, v4, s8
	global_store_b16 v[0:1], v3, off offset:1408
	s_or_b32 exec_lo, exec_lo, s9
	s_and_saveexec_b32 s8, s7
	s_cbranch_execz .LBB345_89
.LBB345_122:
	s_waitcnt vmcnt(0)
	v_mul_f32_e32 v3, 0x3fb8aa3b, v24
	v_cmp_ngt_f32_e64 s7, 0xc2ce8ed0, v24
	s_delay_alu instid0(VALU_DEP_2) | instskip(SKIP_1) | instid1(VALU_DEP_2)
	v_rndne_f32_e32 v4, v3
	v_fma_f32 v5, 0x3fb8aa3b, v24, -v3
	v_sub_f32_e32 v3, v3, v4
	s_delay_alu instid0(VALU_DEP_2) | instskip(SKIP_1) | instid1(VALU_DEP_2)
	v_fmamk_f32 v5, v24, 0x32a5705f, v5
	v_cvt_i32_f32_e32 v4, v4
	v_add_f32_e32 v3, v3, v5
	s_delay_alu instid0(VALU_DEP_1) | instskip(SKIP_2) | instid1(VALU_DEP_1)
	v_exp_f32_e32 v3, v3
	s_waitcnt_depctr 0xfff
	v_ldexp_f32 v3, v3, v4
	v_cndmask_b32_e64 v3, 0, v3, s7
	v_cmp_nlt_f32_e64 s7, 0x42b17218, v24
	s_delay_alu instid0(VALU_DEP_1) | instskip(NEXT) | instid1(VALU_DEP_1)
	v_cndmask_b32_e64 v3, 0x7f800000, v3, s7
	v_fma_f32 v3, -v2, v3, v18
	s_delay_alu instid0(VALU_DEP_1) | instskip(SKIP_1) | instid1(VALU_DEP_2)
	v_bfe_u32 v4, v3, 16, 1
	v_cmp_o_f32_e64 s7, v3, v3
	v_add3_u32 v4, v3, v4, 0x7fff
	s_delay_alu instid0(VALU_DEP_1) | instskip(NEXT) | instid1(VALU_DEP_1)
	v_lshrrev_b32_e32 v4, 16, v4
	v_cndmask_b32_e64 v3, 0x7fc0, v4, s7
	global_store_b16 v[0:1], v3, off offset:1472
	s_or_b32 exec_lo, exec_lo, s8
	s_and_saveexec_b32 s7, s6
	s_cbranch_execz .LBB345_90
.LBB345_123:
	s_waitcnt vmcnt(0)
	v_mul_f32_e32 v3, 0x3fb8aa3b, v23
	v_cmp_ngt_f32_e64 s6, 0xc2ce8ed0, v23
	s_delay_alu instid0(VALU_DEP_2) | instskip(SKIP_1) | instid1(VALU_DEP_2)
	v_rndne_f32_e32 v4, v3
	v_fma_f32 v5, 0x3fb8aa3b, v23, -v3
	v_sub_f32_e32 v3, v3, v4
	s_delay_alu instid0(VALU_DEP_2) | instskip(SKIP_1) | instid1(VALU_DEP_2)
	v_fmamk_f32 v5, v23, 0x32a5705f, v5
	v_cvt_i32_f32_e32 v4, v4
	v_add_f32_e32 v3, v3, v5
	s_delay_alu instid0(VALU_DEP_1) | instskip(SKIP_2) | instid1(VALU_DEP_1)
	v_exp_f32_e32 v3, v3
	s_waitcnt_depctr 0xfff
	v_ldexp_f32 v3, v3, v4
	v_cndmask_b32_e64 v3, 0, v3, s6
	v_cmp_nlt_f32_e64 s6, 0x42b17218, v23
	s_delay_alu instid0(VALU_DEP_1) | instskip(NEXT) | instid1(VALU_DEP_1)
	v_cndmask_b32_e64 v3, 0x7f800000, v3, s6
	v_fma_f32 v3, -v2, v3, v21
	s_delay_alu instid0(VALU_DEP_1) | instskip(SKIP_1) | instid1(VALU_DEP_2)
	v_bfe_u32 v4, v3, 16, 1
	v_cmp_o_f32_e64 s6, v3, v3
	v_add3_u32 v4, v3, v4, 0x7fff
	s_delay_alu instid0(VALU_DEP_1) | instskip(NEXT) | instid1(VALU_DEP_1)
	v_lshrrev_b32_e32 v4, 16, v4
	v_cndmask_b32_e64 v3, 0x7fc0, v4, s6
	global_store_b16 v[0:1], v3, off offset:1536
	s_or_b32 exec_lo, exec_lo, s7
	s_and_saveexec_b32 s6, s5
	s_cbranch_execz .LBB345_91
.LBB345_124:
	s_waitcnt vmcnt(0)
	v_mul_f32_e32 v3, 0x3fb8aa3b, v20
	v_cmp_ngt_f32_e64 s5, 0xc2ce8ed0, v20
	s_delay_alu instid0(VALU_DEP_2) | instskip(SKIP_1) | instid1(VALU_DEP_2)
	v_rndne_f32_e32 v4, v3
	v_fma_f32 v5, 0x3fb8aa3b, v20, -v3
	v_sub_f32_e32 v3, v3, v4
	s_delay_alu instid0(VALU_DEP_2) | instskip(SKIP_1) | instid1(VALU_DEP_2)
	v_fmamk_f32 v5, v20, 0x32a5705f, v5
	v_cvt_i32_f32_e32 v4, v4
	v_add_f32_e32 v3, v3, v5
	s_delay_alu instid0(VALU_DEP_1) | instskip(SKIP_2) | instid1(VALU_DEP_1)
	v_exp_f32_e32 v3, v3
	s_waitcnt_depctr 0xfff
	v_ldexp_f32 v3, v3, v4
	v_cndmask_b32_e64 v3, 0, v3, s5
	v_cmp_nlt_f32_e64 s5, 0x42b17218, v20
	s_delay_alu instid0(VALU_DEP_1) | instskip(NEXT) | instid1(VALU_DEP_1)
	v_cndmask_b32_e64 v3, 0x7f800000, v3, s5
	v_fma_f32 v3, -v2, v3, v14
	s_delay_alu instid0(VALU_DEP_1) | instskip(SKIP_1) | instid1(VALU_DEP_2)
	v_bfe_u32 v4, v3, 16, 1
	v_cmp_o_f32_e64 s5, v3, v3
	v_add3_u32 v4, v3, v4, 0x7fff
	s_delay_alu instid0(VALU_DEP_1) | instskip(NEXT) | instid1(VALU_DEP_1)
	v_lshrrev_b32_e32 v4, 16, v4
	v_cndmask_b32_e64 v3, 0x7fc0, v4, s5
	global_store_b16 v[0:1], v3, off offset:1600
	s_or_b32 exec_lo, exec_lo, s6
	s_and_saveexec_b32 s5, s4
	s_cbranch_execz .LBB345_92
.LBB345_125:
	s_waitcnt vmcnt(0)
	v_mul_f32_e32 v3, 0x3fb8aa3b, v19
	v_cmp_ngt_f32_e64 s4, 0xc2ce8ed0, v19
	s_delay_alu instid0(VALU_DEP_2) | instskip(SKIP_1) | instid1(VALU_DEP_2)
	v_rndne_f32_e32 v4, v3
	v_fma_f32 v5, 0x3fb8aa3b, v19, -v3
	v_sub_f32_e32 v3, v3, v4
	s_delay_alu instid0(VALU_DEP_2) | instskip(SKIP_1) | instid1(VALU_DEP_2)
	v_fmamk_f32 v5, v19, 0x32a5705f, v5
	v_cvt_i32_f32_e32 v4, v4
	v_add_f32_e32 v3, v3, v5
	s_delay_alu instid0(VALU_DEP_1) | instskip(SKIP_2) | instid1(VALU_DEP_1)
	v_exp_f32_e32 v3, v3
	s_waitcnt_depctr 0xfff
	v_ldexp_f32 v3, v3, v4
	v_cndmask_b32_e64 v3, 0, v3, s4
	v_cmp_nlt_f32_e64 s4, 0x42b17218, v19
	s_delay_alu instid0(VALU_DEP_1) | instskip(NEXT) | instid1(VALU_DEP_1)
	v_cndmask_b32_e64 v3, 0x7f800000, v3, s4
	v_fma_f32 v3, -v2, v3, v17
	s_delay_alu instid0(VALU_DEP_1) | instskip(SKIP_1) | instid1(VALU_DEP_2)
	v_bfe_u32 v4, v3, 16, 1
	v_cmp_o_f32_e64 s4, v3, v3
	v_add3_u32 v4, v3, v4, 0x7fff
	s_delay_alu instid0(VALU_DEP_1) | instskip(NEXT) | instid1(VALU_DEP_1)
	v_lshrrev_b32_e32 v4, 16, v4
	v_cndmask_b32_e64 v3, 0x7fc0, v4, s4
	global_store_b16 v[0:1], v3, off offset:1664
	s_or_b32 exec_lo, exec_lo, s5
	s_and_saveexec_b32 s4, s3
	s_cbranch_execz .LBB345_93
.LBB345_126:
	s_waitcnt vmcnt(0)
	v_mul_f32_e32 v3, 0x3fb8aa3b, v16
	v_cmp_ngt_f32_e64 s3, 0xc2ce8ed0, v16
	s_delay_alu instid0(VALU_DEP_2) | instskip(SKIP_1) | instid1(VALU_DEP_2)
	v_rndne_f32_e32 v4, v3
	v_fma_f32 v5, 0x3fb8aa3b, v16, -v3
	v_sub_f32_e32 v3, v3, v4
	s_delay_alu instid0(VALU_DEP_2) | instskip(SKIP_1) | instid1(VALU_DEP_2)
	v_fmamk_f32 v5, v16, 0x32a5705f, v5
	v_cvt_i32_f32_e32 v4, v4
	v_add_f32_e32 v3, v3, v5
	s_delay_alu instid0(VALU_DEP_1) | instskip(SKIP_2) | instid1(VALU_DEP_1)
	v_exp_f32_e32 v3, v3
	s_waitcnt_depctr 0xfff
	v_ldexp_f32 v3, v3, v4
	v_cndmask_b32_e64 v3, 0, v3, s3
	v_cmp_nlt_f32_e64 s3, 0x42b17218, v16
	s_delay_alu instid0(VALU_DEP_1) | instskip(NEXT) | instid1(VALU_DEP_1)
	v_cndmask_b32_e64 v3, 0x7f800000, v3, s3
	v_fma_f32 v3, -v2, v3, v10
	s_delay_alu instid0(VALU_DEP_1) | instskip(SKIP_1) | instid1(VALU_DEP_2)
	v_bfe_u32 v4, v3, 16, 1
	v_cmp_o_f32_e64 s3, v3, v3
	v_add3_u32 v4, v3, v4, 0x7fff
	s_delay_alu instid0(VALU_DEP_1) | instskip(NEXT) | instid1(VALU_DEP_1)
	v_lshrrev_b32_e32 v4, 16, v4
	v_cndmask_b32_e64 v3, 0x7fc0, v4, s3
	global_store_b16 v[0:1], v3, off offset:1728
	s_or_b32 exec_lo, exec_lo, s4
	s_and_saveexec_b32 s3, s2
	s_cbranch_execz .LBB345_94
.LBB345_127:
	s_waitcnt vmcnt(0)
	v_mul_f32_e32 v3, 0x3fb8aa3b, v15
	v_cmp_ngt_f32_e64 s2, 0xc2ce8ed0, v15
	s_delay_alu instid0(VALU_DEP_2) | instskip(SKIP_1) | instid1(VALU_DEP_2)
	v_rndne_f32_e32 v4, v3
	v_fma_f32 v5, 0x3fb8aa3b, v15, -v3
	v_sub_f32_e32 v3, v3, v4
	s_delay_alu instid0(VALU_DEP_2) | instskip(SKIP_1) | instid1(VALU_DEP_2)
	v_fmamk_f32 v5, v15, 0x32a5705f, v5
	v_cvt_i32_f32_e32 v4, v4
	v_add_f32_e32 v3, v3, v5
	s_delay_alu instid0(VALU_DEP_1) | instskip(SKIP_2) | instid1(VALU_DEP_1)
	v_exp_f32_e32 v3, v3
	s_waitcnt_depctr 0xfff
	v_ldexp_f32 v3, v3, v4
	v_cndmask_b32_e64 v3, 0, v3, s2
	v_cmp_nlt_f32_e64 s2, 0x42b17218, v15
	s_delay_alu instid0(VALU_DEP_1) | instskip(NEXT) | instid1(VALU_DEP_1)
	v_cndmask_b32_e64 v3, 0x7f800000, v3, s2
	v_fma_f32 v3, -v2, v3, v13
	s_delay_alu instid0(VALU_DEP_1) | instskip(SKIP_1) | instid1(VALU_DEP_2)
	v_bfe_u32 v4, v3, 16, 1
	v_cmp_o_f32_e64 s2, v3, v3
	v_add3_u32 v4, v3, v4, 0x7fff
	s_delay_alu instid0(VALU_DEP_1) | instskip(NEXT) | instid1(VALU_DEP_1)
	v_lshrrev_b32_e32 v4, 16, v4
	v_cndmask_b32_e64 v3, 0x7fc0, v4, s2
	global_store_b16 v[0:1], v3, off offset:1792
	s_or_b32 exec_lo, exec_lo, s3
	s_and_saveexec_b32 s2, s1
	s_cbranch_execz .LBB345_95
.LBB345_128:
	s_waitcnt vmcnt(0)
	v_mul_f32_e32 v3, 0x3fb8aa3b, v12
	v_cmp_ngt_f32_e64 s1, 0xc2ce8ed0, v12
	s_delay_alu instid0(VALU_DEP_2) | instskip(SKIP_1) | instid1(VALU_DEP_2)
	v_rndne_f32_e32 v4, v3
	v_fma_f32 v5, 0x3fb8aa3b, v12, -v3
	v_sub_f32_e32 v3, v3, v4
	s_delay_alu instid0(VALU_DEP_2) | instskip(SKIP_1) | instid1(VALU_DEP_2)
	v_fmamk_f32 v5, v12, 0x32a5705f, v5
	v_cvt_i32_f32_e32 v4, v4
	v_add_f32_e32 v3, v3, v5
	s_delay_alu instid0(VALU_DEP_1) | instskip(SKIP_2) | instid1(VALU_DEP_1)
	v_exp_f32_e32 v3, v3
	s_waitcnt_depctr 0xfff
	v_ldexp_f32 v3, v3, v4
	v_cndmask_b32_e64 v3, 0, v3, s1
	v_cmp_nlt_f32_e64 s1, 0x42b17218, v12
	s_delay_alu instid0(VALU_DEP_1) | instskip(NEXT) | instid1(VALU_DEP_1)
	v_cndmask_b32_e64 v3, 0x7f800000, v3, s1
	v_fma_f32 v3, -v2, v3, v7
	s_delay_alu instid0(VALU_DEP_1) | instskip(SKIP_1) | instid1(VALU_DEP_2)
	v_bfe_u32 v4, v3, 16, 1
	v_cmp_o_f32_e64 s1, v3, v3
	v_add3_u32 v4, v3, v4, 0x7fff
	s_delay_alu instid0(VALU_DEP_1) | instskip(NEXT) | instid1(VALU_DEP_1)
	v_lshrrev_b32_e32 v4, 16, v4
	v_cndmask_b32_e64 v3, 0x7fc0, v4, s1
	global_store_b16 v[0:1], v3, off offset:1856
	s_or_b32 exec_lo, exec_lo, s2
	s_and_saveexec_b32 s1, s0
	s_cbranch_execz .LBB345_96
.LBB345_129:
	s_waitcnt vmcnt(0)
	v_mul_f32_e32 v3, 0x3fb8aa3b, v11
	v_cmp_ngt_f32_e64 s0, 0xc2ce8ed0, v11
	s_delay_alu instid0(VALU_DEP_2) | instskip(SKIP_1) | instid1(VALU_DEP_2)
	v_rndne_f32_e32 v4, v3
	v_fma_f32 v5, 0x3fb8aa3b, v11, -v3
	v_sub_f32_e32 v3, v3, v4
	s_delay_alu instid0(VALU_DEP_2) | instskip(SKIP_1) | instid1(VALU_DEP_2)
	v_fmamk_f32 v5, v11, 0x32a5705f, v5
	v_cvt_i32_f32_e32 v4, v4
	v_add_f32_e32 v3, v3, v5
	s_delay_alu instid0(VALU_DEP_1) | instskip(SKIP_2) | instid1(VALU_DEP_1)
	v_exp_f32_e32 v3, v3
	s_waitcnt_depctr 0xfff
	v_ldexp_f32 v3, v3, v4
	v_cndmask_b32_e64 v3, 0, v3, s0
	v_cmp_nlt_f32_e64 s0, 0x42b17218, v11
	s_delay_alu instid0(VALU_DEP_1) | instskip(NEXT) | instid1(VALU_DEP_1)
	v_cndmask_b32_e64 v3, 0x7f800000, v3, s0
	v_fma_f32 v3, -v2, v3, v9
	s_delay_alu instid0(VALU_DEP_1) | instskip(SKIP_1) | instid1(VALU_DEP_2)
	v_bfe_u32 v4, v3, 16, 1
	v_cmp_o_f32_e64 s0, v3, v3
	v_add3_u32 v4, v3, v4, 0x7fff
	s_delay_alu instid0(VALU_DEP_1) | instskip(NEXT) | instid1(VALU_DEP_1)
	v_lshrrev_b32_e32 v4, 16, v4
	v_cndmask_b32_e64 v3, 0x7fc0, v4, s0
	global_store_b16 v[0:1], v3, off offset:1920
	s_or_b32 exec_lo, exec_lo, s1
	s_delay_alu instid0(SALU_CYCLE_1)
	s_and_b32 exec_lo, exec_lo, vcc_lo
	s_cbranch_execnz .LBB345_97
	s_branch .LBB345_98
	.section	.rodata,"a",@progbits
	.p2align	6, 0x0
	.amdhsa_kernel _ZN12_GLOBAL__N_121softmax_warp_backwardIfN3c108BFloat16EfLi10ELb1ELb0ELi32EEEvPT0_PKT_S7_iiiPKb
		.amdhsa_group_segment_fixed_size 0
		.amdhsa_private_segment_fixed_size 0
		.amdhsa_kernarg_size 304
		.amdhsa_user_sgpr_count 15
		.amdhsa_user_sgpr_dispatch_ptr 0
		.amdhsa_user_sgpr_queue_ptr 0
		.amdhsa_user_sgpr_kernarg_segment_ptr 1
		.amdhsa_user_sgpr_dispatch_id 0
		.amdhsa_user_sgpr_private_segment_size 0
		.amdhsa_wavefront_size32 1
		.amdhsa_uses_dynamic_stack 0
		.amdhsa_enable_private_segment 0
		.amdhsa_system_sgpr_workgroup_id_x 1
		.amdhsa_system_sgpr_workgroup_id_y 0
		.amdhsa_system_sgpr_workgroup_id_z 0
		.amdhsa_system_sgpr_workgroup_info 0
		.amdhsa_system_vgpr_workitem_id 1
		.amdhsa_next_free_vgpr 71
		.amdhsa_next_free_sgpr 44
		.amdhsa_reserve_vcc 1
		.amdhsa_float_round_mode_32 0
		.amdhsa_float_round_mode_16_64 0
		.amdhsa_float_denorm_mode_32 3
		.amdhsa_float_denorm_mode_16_64 3
		.amdhsa_dx10_clamp 1
		.amdhsa_ieee_mode 1
		.amdhsa_fp16_overflow 0
		.amdhsa_workgroup_processor_mode 1
		.amdhsa_memory_ordered 1
		.amdhsa_forward_progress 0
		.amdhsa_shared_vgpr_count 0
		.amdhsa_exception_fp_ieee_invalid_op 0
		.amdhsa_exception_fp_denorm_src 0
		.amdhsa_exception_fp_ieee_div_zero 0
		.amdhsa_exception_fp_ieee_overflow 0
		.amdhsa_exception_fp_ieee_underflow 0
		.amdhsa_exception_fp_ieee_inexact 0
		.amdhsa_exception_int_div_zero 0
	.end_amdhsa_kernel
	.section	.text._ZN12_GLOBAL__N_121softmax_warp_backwardIfN3c108BFloat16EfLi10ELb1ELb0ELi32EEEvPT0_PKT_S7_iiiPKb,"axG",@progbits,_ZN12_GLOBAL__N_121softmax_warp_backwardIfN3c108BFloat16EfLi10ELb1ELb0ELi32EEEvPT0_PKT_S7_iiiPKb,comdat
.Lfunc_end345:
	.size	_ZN12_GLOBAL__N_121softmax_warp_backwardIfN3c108BFloat16EfLi10ELb1ELb0ELi32EEEvPT0_PKT_S7_iiiPKb, .Lfunc_end345-_ZN12_GLOBAL__N_121softmax_warp_backwardIfN3c108BFloat16EfLi10ELb1ELb0ELi32EEEvPT0_PKT_S7_iiiPKb
                                        ; -- End function
	.section	.AMDGPU.csdata,"",@progbits
; Kernel info:
; codeLenInByte = 9536
; NumSgprs: 46
; NumVgprs: 71
; ScratchSize: 0
; MemoryBound: 0
; FloatMode: 240
; IeeeMode: 1
; LDSByteSize: 0 bytes/workgroup (compile time only)
; SGPRBlocks: 5
; VGPRBlocks: 8
; NumSGPRsForWavesPerEU: 46
; NumVGPRsForWavesPerEU: 71
; Occupancy: 16
; WaveLimiterHint : 0
; COMPUTE_PGM_RSRC2:SCRATCH_EN: 0
; COMPUTE_PGM_RSRC2:USER_SGPR: 15
; COMPUTE_PGM_RSRC2:TRAP_HANDLER: 0
; COMPUTE_PGM_RSRC2:TGID_X_EN: 1
; COMPUTE_PGM_RSRC2:TGID_Y_EN: 0
; COMPUTE_PGM_RSRC2:TGID_Z_EN: 0
; COMPUTE_PGM_RSRC2:TIDIG_COMP_CNT: 1
	.section	.text._ZN2at6native12_GLOBAL__N_124cunn_SoftMaxBackwardSmemILi4EN3c108BFloat16EffNS1_26LogSoftMaxBackwardEpilogueEEEvPT0_PKT2_SA_l,"axG",@progbits,_ZN2at6native12_GLOBAL__N_124cunn_SoftMaxBackwardSmemILi4EN3c108BFloat16EffNS1_26LogSoftMaxBackwardEpilogueEEEvPT0_PKT2_SA_l,comdat
	.globl	_ZN2at6native12_GLOBAL__N_124cunn_SoftMaxBackwardSmemILi4EN3c108BFloat16EffNS1_26LogSoftMaxBackwardEpilogueEEEvPT0_PKT2_SA_l ; -- Begin function _ZN2at6native12_GLOBAL__N_124cunn_SoftMaxBackwardSmemILi4EN3c108BFloat16EffNS1_26LogSoftMaxBackwardEpilogueEEEvPT0_PKT2_SA_l
	.p2align	8
	.type	_ZN2at6native12_GLOBAL__N_124cunn_SoftMaxBackwardSmemILi4EN3c108BFloat16EffNS1_26LogSoftMaxBackwardEpilogueEEEvPT0_PKT2_SA_l,@function
_ZN2at6native12_GLOBAL__N_124cunn_SoftMaxBackwardSmemILi4EN3c108BFloat16EffNS1_26LogSoftMaxBackwardEpilogueEEEvPT0_PKT2_SA_l: ; @_ZN2at6native12_GLOBAL__N_124cunn_SoftMaxBackwardSmemILi4EN3c108BFloat16EffNS1_26LogSoftMaxBackwardEpilogueEEEvPT0_PKT2_SA_l
; %bb.0:
	s_load_b256 s[4:11], s[0:1], 0x0
	v_dual_mov_b32 v2, 0 :: v_dual_lshlrev_b32 v1, 2, v0
	v_lshl_add_u32 v5, v0, 4, 0
	s_waitcnt lgkmcnt(0)
	s_delay_alu instid0(VALU_DEP_2)
	v_cmp_gt_i64_e32 vcc_lo, s[10:11], v[1:2]
	s_mul_i32 s2, s15, s11
	s_mul_hi_u32 s3, s15, s10
	s_mul_i32 s12, s15, s10
	s_add_i32 s13, s3, s2
	s_and_saveexec_b32 s3, vcc_lo
	s_cbranch_execz .LBB346_4
; %bb.1:
	s_load_b32 s2, s[0:1], 0x2c
	s_lshl_b64 s[14:15], s[12:13], 2
	v_lshl_add_u32 v6, v0, 4, 0
	s_add_u32 s8, s8, s14
	s_addc_u32 s9, s9, s15
	v_dual_mov_b32 v2, 0 :: v_dual_mov_b32 v3, v0
	s_mov_b32 s15, 0
	s_waitcnt lgkmcnt(0)
	s_and_b32 s14, s2, 0xffff
	s_delay_alu instid0(SALU_CYCLE_1)
	v_add_lshl_u32 v1, v0, s14, 2
	s_lshl_b32 s16, s14, 2
	s_lshl_b32 s17, s14, 4
	.p2align	6
.LBB346_2:                              ; =>This Inner Loop Header: Depth=1
	v_ashrrev_i32_e32 v4, 31, v3
	s_delay_alu instid0(VALU_DEP_1) | instskip(SKIP_1) | instid1(VALU_DEP_2)
	v_lshlrev_b64 v[7:8], 4, v[3:4]
	v_add_nc_u32_e32 v3, s14, v3
	v_add_co_u32 v7, s2, s8, v7
	s_delay_alu instid0(VALU_DEP_1)
	v_add_co_ci_u32_e64 v8, s2, s9, v8, s2
	global_load_b128 v[7:10], v[7:8], off
	s_waitcnt vmcnt(0)
	v_add_f32_e32 v2, v2, v7
	ds_store_b128 v6, v[7:10]
	v_add_nc_u32_e32 v6, s17, v6
	v_add_f32_e32 v4, v2, v8
	v_ashrrev_i32_e32 v2, 31, v1
	s_delay_alu instid0(VALU_DEP_2) | instskip(NEXT) | instid1(VALU_DEP_2)
	v_add_f32_e32 v4, v4, v9
	v_cmp_le_i64_e64 s2, s[10:11], v[1:2]
	s_delay_alu instid0(VALU_DEP_2) | instskip(NEXT) | instid1(VALU_DEP_2)
	v_dual_add_f32 v2, v4, v10 :: v_dual_add_nc_u32 v1, s16, v1
	s_or_b32 s15, s2, s15
	s_delay_alu instid0(SALU_CYCLE_1)
	s_and_not1_b32 exec_lo, exec_lo, s15
	s_cbranch_execnz .LBB346_2
; %bb.3:
	s_or_b32 exec_lo, exec_lo, s15
.LBB346_4:
	s_delay_alu instid0(SALU_CYCLE_1)
	s_or_b32 exec_lo, exec_lo, s3
	v_mbcnt_lo_u32_b32 v6, -1, 0
	s_lshl_b32 s3, s10, 2
	s_mov_b32 s8, exec_lo
	s_add_i32 s3, s3, 0
	s_waitcnt lgkmcnt(0)
	v_cmp_gt_u32_e64 s2, 16, v6
	s_barrier
	buffer_gl0_inv
	v_cndmask_b32_e64 v1, 0, 1, s2
	v_cmp_gt_u32_e64 s2, 24, v6
	s_delay_alu instid0(VALU_DEP_2) | instskip(NEXT) | instid1(VALU_DEP_2)
	v_lshlrev_b32_e32 v1, 4, v1
	v_cndmask_b32_e64 v3, 0, 1, s2
	v_cmp_gt_u32_e64 s2, 28, v6
	s_delay_alu instid0(VALU_DEP_3) | instskip(NEXT) | instid1(VALU_DEP_3)
	v_add_lshl_u32 v1, v1, v6, 2
	v_lshlrev_b32_e32 v3, 3, v3
	ds_bpermute_b32 v4, v1, v2
	v_add_lshl_u32 v3, v3, v6, 2
	s_waitcnt lgkmcnt(0)
	v_add_f32_e32 v4, v2, v4
	v_cndmask_b32_e64 v2, 0, 1, s2
	v_cmp_gt_u32_e64 s2, 30, v6
	ds_bpermute_b32 v7, v3, v4
	s_waitcnt lgkmcnt(0)
	v_dual_add_f32 v7, v4, v7 :: v_dual_lshlrev_b32 v2, 2, v2
	s_delay_alu instid0(VALU_DEP_1) | instskip(SKIP_4) | instid1(VALU_DEP_1)
	v_add_lshl_u32 v2, v2, v6, 2
	v_cndmask_b32_e64 v4, 0, 1, s2
	v_cmp_ne_u32_e64 s2, 31, v6
	ds_bpermute_b32 v8, v2, v7
	v_lshlrev_b32_e32 v4, 1, v4
	v_add_lshl_u32 v4, v4, v6, 2
	v_add_co_ci_u32_e64 v6, s2, 0, v6, s2
	s_waitcnt lgkmcnt(0)
	s_delay_alu instid0(VALU_DEP_1)
	v_dual_add_f32 v7, v7, v8 :: v_dual_lshlrev_b32 v6, 2, v6
	ds_bpermute_b32 v8, v4, v7
	s_waitcnt lgkmcnt(0)
	v_add_f32_e32 v8, v7, v8
	v_and_b32_e32 v7, 31, v0
	ds_bpermute_b32 v9, v6, v8
	v_cmpx_eq_u32_e32 0, v7
	s_cbranch_execz .LBB346_6
; %bb.5:
	v_lshrrev_b32_e32 v10, 3, v0
	s_waitcnt lgkmcnt(0)
	v_add_f32_e32 v8, v8, v9
	s_delay_alu instid0(VALU_DEP_2)
	v_add_nc_u32_e32 v10, s3, v10
	ds_store_b32 v10, v8
.LBB346_6:
	s_or_b32 exec_lo, exec_lo, s8
	s_waitcnt lgkmcnt(0)
	s_barrier
	buffer_gl0_inv
	s_load_b32 s1, s[0:1], 0x2c
	v_mov_b32_e32 v8, 0
	s_mov_b32 s2, exec_lo
	s_waitcnt lgkmcnt(0)
	s_bfe_u32 s0, s1, 0xb0005
	s_delay_alu instid0(SALU_CYCLE_1)
	v_cmpx_gt_u32_e64 s0, v0
	s_cbranch_execz .LBB346_8
; %bb.7:
	v_lshl_add_u32 v7, v7, 2, s3
	ds_load_b32 v8, v7
.LBB346_8:
	s_or_b32 exec_lo, exec_lo, s2
	s_delay_alu instid0(SALU_CYCLE_1)
	s_mov_b32 s2, exec_lo
	v_cmpx_gt_u32_e32 32, v0
	s_cbranch_execz .LBB346_10
; %bb.9:
	s_waitcnt lgkmcnt(0)
	ds_bpermute_b32 v1, v1, v8
	s_waitcnt lgkmcnt(0)
	v_add_f32_e32 v1, v8, v1
	ds_bpermute_b32 v3, v3, v1
	s_waitcnt lgkmcnt(0)
	v_add_f32_e32 v1, v1, v3
	;; [unrolled: 3-line block ×5, first 2 shown]
.LBB346_10:
	s_or_b32 exec_lo, exec_lo, s2
	s_delay_alu instid0(SALU_CYCLE_1)
	s_mov_b32 s2, exec_lo
	v_cmpx_eq_u32_e32 0, v0
	s_cbranch_execz .LBB346_12
; %bb.11:
	v_mov_b32_e32 v1, s3
	s_waitcnt lgkmcnt(0)
	ds_store_b32 v1, v8
.LBB346_12:
	s_or_b32 exec_lo, exec_lo, s2
	s_waitcnt lgkmcnt(0)
	s_barrier
	buffer_gl0_inv
	s_and_saveexec_b32 s0, vcc_lo
	s_cbranch_execz .LBB346_15
; %bb.13:
	v_mov_b32_e32 v1, s3
	s_lshl_b64 s[2:3], s[12:13], 1
	s_and_b32 s8, s1, 0xffff
	s_add_u32 s4, s4, s2
	s_addc_u32 s5, s5, s3
	ds_load_b32 v4, v1
	s_lshl_b64 s[0:1], s[12:13], 2
	v_add_lshl_u32 v2, v0, s8, 2
	s_add_u32 s6, s6, s0
	s_addc_u32 s7, s7, s1
	s_lshl_b32 s9, s8, 2
	s_mov_b32 s12, 0
	s_lshl_b32 s13, s8, 4
.LBB346_14:                             ; =>This Inner Loop Header: Depth=1
	v_ashrrev_i32_e32 v1, 31, v0
	ds_load_b128 v[10:13], v5
	v_ashrrev_i32_e32 v3, 31, v2
	v_lshlrev_b64 v[6:7], 4, v[0:1]
	v_lshlrev_b64 v[14:15], 3, v[0:1]
	s_delay_alu instid0(VALU_DEP_2) | instskip(NEXT) | instid1(VALU_DEP_3)
	v_add_co_u32 v6, vcc_lo, s6, v6
	v_add_co_ci_u32_e32 v7, vcc_lo, s7, v7, vcc_lo
	v_cmp_le_i64_e32 vcc_lo, s[10:11], v[2:3]
	v_add_nc_u32_e32 v2, s9, v2
	global_load_b128 v[6:9], v[6:7], off
	v_add_nc_u32_e32 v5, s13, v5
	v_add_nc_u32_e32 v0, s8, v0
	s_or_b32 s12, vcc_lo, s12
	s_waitcnt vmcnt(0)
	v_dual_mul_f32 v1, 0x3fb8aa3b, v6 :: v_dual_mul_f32 v16, 0x3fb8aa3b, v8
	v_cmp_ngt_f32_e64 s0, 0xc2ce8ed0, v7
	v_cmp_ngt_f32_e64 s1, 0xc2ce8ed0, v8
	;; [unrolled: 1-line block ×3, first 2 shown]
	s_delay_alu instid0(VALU_DEP_4)
	v_fma_f32 v18, 0x3fb8aa3b, v6, -v1
	v_rndne_f32_e32 v23, v16
	v_mul_f32_e32 v17, 0x3fb8aa3b, v9
	v_fma_f32 v22, 0x3fb8aa3b, v8, -v16
	v_rndne_f32_e32 v19, v1
	v_fmac_f32_e32 v18, 0x32a5705f, v6
	v_sub_f32_e32 v16, v16, v23
	v_rndne_f32_e32 v25, v17
	v_fma_f32 v24, 0x3fb8aa3b, v9, -v17
	v_dual_sub_f32 v1, v1, v19 :: v_dual_fmac_f32 v22, 0x32a5705f, v8
	v_cvt_i32_f32_e32 v23, v23
	s_delay_alu instid0(VALU_DEP_4) | instskip(SKIP_1) | instid1(VALU_DEP_4)
	v_sub_f32_e32 v17, v17, v25
	v_mul_f32_e32 v3, 0x3fb8aa3b, v7
	v_dual_fmac_f32 v24, 0x32a5705f, v9 :: v_dual_add_f32 v1, v1, v18
	v_add_f32_e32 v16, v16, v22
	v_cvt_i32_f32_e32 v25, v25
	s_delay_alu instid0(VALU_DEP_4) | instskip(SKIP_4) | instid1(VALU_DEP_2)
	v_fma_f32 v20, 0x3fb8aa3b, v7, -v3
	v_rndne_f32_e32 v21, v3
	v_add_f32_e32 v17, v17, v24
	v_exp_f32_e32 v16, v16
	v_exp_f32_e32 v1, v1
	v_dual_fmac_f32 v20, 0x32a5705f, v7 :: v_dual_sub_f32 v3, v3, v21
	s_delay_alu instid0(VALU_DEP_2) | instskip(SKIP_4) | instid1(TRANS32_DEP_3)
	v_exp_f32_e32 v17, v17
	v_cvt_i32_f32_e32 v21, v21
	v_cvt_i32_f32_e32 v19, v19
	v_cmp_ngt_f32_e64 s3, 0xc2ce8ed0, v6
	v_add_f32_e32 v3, v3, v20
	v_ldexp_f32 v16, v16, v23
	s_delay_alu instid0(TRANS32_DEP_2) | instid1(VALU_DEP_4)
	v_ldexp_f32 v1, v1, v19
	s_delay_alu instid0(VALU_DEP_3) | instskip(NEXT) | instid1(TRANS32_DEP_2)
	v_exp_f32_e32 v3, v3
	v_ldexp_f32 v17, v17, v25
	s_delay_alu instid0(VALU_DEP_2) | instskip(SKIP_1) | instid1(VALU_DEP_1)
	v_cndmask_b32_e64 v1, 0, v1, s3
	v_cmp_nlt_f32_e64 s3, 0x42b17218, v6
	v_cndmask_b32_e64 v1, 0x7f800000, v1, s3
	s_waitcnt_depctr 0xfff
	v_ldexp_f32 v3, v3, v21
	s_waitcnt lgkmcnt(0)
	v_fma_f32 v1, -v4, v1, v10
	s_delay_alu instid0(VALU_DEP_2)
	v_cndmask_b32_e64 v3, 0, v3, s0
	v_cmp_nlt_f32_e64 s0, 0x42b17218, v7
	v_cndmask_b32_e64 v7, 0, v16, s1
	v_cmp_nlt_f32_e64 s1, 0x42b17218, v8
	;; [unrolled: 2-line block ×3, first 2 shown]
	v_cndmask_b32_e64 v3, 0x7f800000, v3, s0
	s_delay_alu instid0(VALU_DEP_4) | instskip(SKIP_1) | instid1(VALU_DEP_4)
	v_cndmask_b32_e64 v7, 0x7f800000, v7, s1
	v_cmp_o_f32_e64 s1, v1, v1
	v_cndmask_b32_e64 v6, 0x7f800000, v8, s2
	s_delay_alu instid0(VALU_DEP_4) | instskip(SKIP_2) | instid1(VALU_DEP_4)
	v_fma_f32 v3, -v4, v3, v11
	v_bfe_u32 v8, v1, 16, 1
	v_fma_f32 v7, -v4, v7, v12
	v_fma_f32 v6, -v4, v6, v13
	s_delay_alu instid0(VALU_DEP_4) | instskip(NEXT) | instid1(VALU_DEP_4)
	v_bfe_u32 v9, v3, 16, 1
	v_add3_u32 v8, v1, v8, 0x7fff
	s_delay_alu instid0(VALU_DEP_4)
	v_bfe_u32 v11, v7, 16, 1
	v_cmp_o_f32_e64 s0, v7, v7
	v_bfe_u32 v10, v6, 16, 1
	v_add3_u32 v9, v3, v9, 0x7fff
	v_cmp_o_f32_e64 s2, v6, v6
	v_add3_u32 v11, v7, v11, 0x7fff
	v_lshrrev_b32_e32 v8, 16, v8
	v_add3_u32 v10, v6, v10, 0x7fff
	v_and_b32_e32 v9, 0xffff0000, v9
	s_delay_alu instid0(VALU_DEP_4) | instskip(NEXT) | instid1(VALU_DEP_4)
	v_lshrrev_b32_e32 v11, 16, v11
	v_cndmask_b32_e64 v8, 0x7fc0, v8, s1
	s_delay_alu instid0(VALU_DEP_4) | instskip(NEXT) | instid1(VALU_DEP_3)
	v_and_b32_e32 v10, 0xffff0000, v10
	v_cndmask_b32_e64 v6, 0x7fc0, v11, s0
	v_cmp_o_f32_e64 s0, v3, v3
	s_delay_alu instid0(VALU_DEP_3) | instskip(NEXT) | instid1(VALU_DEP_2)
	v_cndmask_b32_e64 v1, 0x7fc00000, v10, s2
	v_cndmask_b32_e64 v3, 0x7fc00000, v9, s0
	s_delay_alu instid0(VALU_DEP_2) | instskip(SKIP_1) | instid1(VALU_DEP_1)
	v_or_b32_e32 v1, v1, v6
	v_add_co_u32 v6, s0, s4, v14
	v_add_co_ci_u32_e64 v7, s0, s5, v15, s0
	s_delay_alu instid0(VALU_DEP_4) | instskip(NEXT) | instid1(VALU_DEP_4)
	v_or3_b32 v8, 0, v3, v8
	v_or3_b32 v9, v1, 0, 0
	global_store_b64 v[6:7], v[8:9], off
	s_and_not1_b32 exec_lo, exec_lo, s12
	s_cbranch_execnz .LBB346_14
.LBB346_15:
	s_nop 0
	s_sendmsg sendmsg(MSG_DEALLOC_VGPRS)
	s_endpgm
	.section	.rodata,"a",@progbits
	.p2align	6, 0x0
	.amdhsa_kernel _ZN2at6native12_GLOBAL__N_124cunn_SoftMaxBackwardSmemILi4EN3c108BFloat16EffNS1_26LogSoftMaxBackwardEpilogueEEEvPT0_PKT2_SA_l
		.amdhsa_group_segment_fixed_size 0
		.amdhsa_private_segment_fixed_size 0
		.amdhsa_kernarg_size 288
		.amdhsa_user_sgpr_count 15
		.amdhsa_user_sgpr_dispatch_ptr 0
		.amdhsa_user_sgpr_queue_ptr 0
		.amdhsa_user_sgpr_kernarg_segment_ptr 1
		.amdhsa_user_sgpr_dispatch_id 0
		.amdhsa_user_sgpr_private_segment_size 0
		.amdhsa_wavefront_size32 1
		.amdhsa_uses_dynamic_stack 0
		.amdhsa_enable_private_segment 0
		.amdhsa_system_sgpr_workgroup_id_x 1
		.amdhsa_system_sgpr_workgroup_id_y 0
		.amdhsa_system_sgpr_workgroup_id_z 0
		.amdhsa_system_sgpr_workgroup_info 0
		.amdhsa_system_vgpr_workitem_id 0
		.amdhsa_next_free_vgpr 26
		.amdhsa_next_free_sgpr 18
		.amdhsa_reserve_vcc 1
		.amdhsa_float_round_mode_32 0
		.amdhsa_float_round_mode_16_64 0
		.amdhsa_float_denorm_mode_32 3
		.amdhsa_float_denorm_mode_16_64 3
		.amdhsa_dx10_clamp 1
		.amdhsa_ieee_mode 1
		.amdhsa_fp16_overflow 0
		.amdhsa_workgroup_processor_mode 1
		.amdhsa_memory_ordered 1
		.amdhsa_forward_progress 0
		.amdhsa_shared_vgpr_count 0
		.amdhsa_exception_fp_ieee_invalid_op 0
		.amdhsa_exception_fp_denorm_src 0
		.amdhsa_exception_fp_ieee_div_zero 0
		.amdhsa_exception_fp_ieee_overflow 0
		.amdhsa_exception_fp_ieee_underflow 0
		.amdhsa_exception_fp_ieee_inexact 0
		.amdhsa_exception_int_div_zero 0
	.end_amdhsa_kernel
	.section	.text._ZN2at6native12_GLOBAL__N_124cunn_SoftMaxBackwardSmemILi4EN3c108BFloat16EffNS1_26LogSoftMaxBackwardEpilogueEEEvPT0_PKT2_SA_l,"axG",@progbits,_ZN2at6native12_GLOBAL__N_124cunn_SoftMaxBackwardSmemILi4EN3c108BFloat16EffNS1_26LogSoftMaxBackwardEpilogueEEEvPT0_PKT2_SA_l,comdat
.Lfunc_end346:
	.size	_ZN2at6native12_GLOBAL__N_124cunn_SoftMaxBackwardSmemILi4EN3c108BFloat16EffNS1_26LogSoftMaxBackwardEpilogueEEEvPT0_PKT2_SA_l, .Lfunc_end346-_ZN2at6native12_GLOBAL__N_124cunn_SoftMaxBackwardSmemILi4EN3c108BFloat16EffNS1_26LogSoftMaxBackwardEpilogueEEEvPT0_PKT2_SA_l
                                        ; -- End function
	.section	.AMDGPU.csdata,"",@progbits
; Kernel info:
; codeLenInByte = 1704
; NumSgprs: 20
; NumVgprs: 26
; ScratchSize: 0
; MemoryBound: 0
; FloatMode: 240
; IeeeMode: 1
; LDSByteSize: 0 bytes/workgroup (compile time only)
; SGPRBlocks: 2
; VGPRBlocks: 3
; NumSGPRsForWavesPerEU: 20
; NumVGPRsForWavesPerEU: 26
; Occupancy: 16
; WaveLimiterHint : 0
; COMPUTE_PGM_RSRC2:SCRATCH_EN: 0
; COMPUTE_PGM_RSRC2:USER_SGPR: 15
; COMPUTE_PGM_RSRC2:TRAP_HANDLER: 0
; COMPUTE_PGM_RSRC2:TGID_X_EN: 1
; COMPUTE_PGM_RSRC2:TGID_Y_EN: 0
; COMPUTE_PGM_RSRC2:TGID_Z_EN: 0
; COMPUTE_PGM_RSRC2:TIDIG_COMP_CNT: 0
	.section	.text._ZN2at6native12_GLOBAL__N_120cunn_SoftMaxBackwardILi4EN3c108BFloat16EffNS1_26LogSoftMaxBackwardEpilogueEEEvPT0_PKT2_SA_l,"axG",@progbits,_ZN2at6native12_GLOBAL__N_120cunn_SoftMaxBackwardILi4EN3c108BFloat16EffNS1_26LogSoftMaxBackwardEpilogueEEEvPT0_PKT2_SA_l,comdat
	.globl	_ZN2at6native12_GLOBAL__N_120cunn_SoftMaxBackwardILi4EN3c108BFloat16EffNS1_26LogSoftMaxBackwardEpilogueEEEvPT0_PKT2_SA_l ; -- Begin function _ZN2at6native12_GLOBAL__N_120cunn_SoftMaxBackwardILi4EN3c108BFloat16EffNS1_26LogSoftMaxBackwardEpilogueEEEvPT0_PKT2_SA_l
	.p2align	8
	.type	_ZN2at6native12_GLOBAL__N_120cunn_SoftMaxBackwardILi4EN3c108BFloat16EffNS1_26LogSoftMaxBackwardEpilogueEEEvPT0_PKT2_SA_l,@function
_ZN2at6native12_GLOBAL__N_120cunn_SoftMaxBackwardILi4EN3c108BFloat16EffNS1_26LogSoftMaxBackwardEpilogueEEEvPT0_PKT2_SA_l: ; @_ZN2at6native12_GLOBAL__N_120cunn_SoftMaxBackwardILi4EN3c108BFloat16EffNS1_26LogSoftMaxBackwardEpilogueEEEvPT0_PKT2_SA_l
; %bb.0:
	s_load_b256 s[4:11], s[0:1], 0x0
	s_mov_b32 s29, 0
	s_waitcnt lgkmcnt(0)
	s_mul_i32 s2, s15, s11
	s_mul_hi_u32 s3, s15, s10
	s_mul_i32 s18, s15, s10
	s_add_i32 s19, s3, s2
	v_cmp_lt_i64_e64 s14, 0x7ffffffe, s[10:11]
	s_lshl_b64 s[26:27], s[18:19], 2
	s_delay_alu instid0(SALU_CYCLE_1) | instskip(SKIP_2) | instid1(SALU_CYCLE_1)
	s_add_u32 s12, s8, s26
	s_addc_u32 s13, s9, s27
	s_bfe_u32 s28, s12, 0x20002
	s_cmp_lg_u32 s28, 0
	s_cselect_b32 s24, -1, 0
	s_and_b32 vcc_lo, exec_lo, s14
	s_cbranch_vccz .LBB347_16
; %bb.1:
	v_mov_b32_e32 v1, 0
	s_and_b32 vcc_lo, exec_lo, s24
	s_cbranch_vccz .LBB347_39
; %bb.2:
	s_lshl_b32 s2, s28, 2
	s_delay_alu instid0(VALU_DEP_1)
	v_mov_b32_e32 v8, v1
	s_sub_u32 s20, s12, s2
	s_mov_b32 s22, 0
	s_subb_u32 s21, s13, 0
	s_mov_b32 s2, exec_lo
	v_cmpx_le_u64_e64 s[28:29], v[0:1]
	s_cbranch_execz .LBB347_4
; %bb.3:
	v_lshlrev_b32_e32 v2, 2, v0
	global_load_b32 v2, v2, s[20:21]
	s_waitcnt vmcnt(0)
	v_add_f32_e32 v8, 0, v2
.LBB347_4:
	s_or_b32 exec_lo, exec_lo, s2
	s_load_b32 s16, s[0:1], 0x2c
	s_add_u32 s17, s28, s10
	s_addc_u32 s23, 0, s11
	s_add_u32 s2, s0, 32
	s_addc_u32 s3, s1, 0
	s_waitcnt lgkmcnt(0)
	s_and_b32 s25, s16, 0xffff
	s_delay_alu instid0(SALU_CYCLE_1) | instskip(SKIP_2) | instid1(SALU_CYCLE_1)
	s_sub_u32 s16, s17, s25
	s_subb_u32 s17, s23, 0
	s_lshl_b32 s23, s25, 2
	s_add_u32 s20, s20, s23
	s_addc_u32 s21, s21, 0
	s_and_b32 vcc_lo, exec_lo, s22
	s_cbranch_vccz .LBB347_6
.LBB347_5:
	v_mov_b32_e32 v8, 0
	s_add_u32 s2, s0, 32
	s_addc_u32 s3, s1, 0
	s_mov_b64 s[16:17], s[10:11]
	s_mov_b64 s[20:21], s[12:13]
.LBB347_6:
	s_load_b32 s22, s[2:3], 0x0
	v_mov_b32_e32 v2, 0
	s_mov_b32 s23, s17
	s_waitcnt lgkmcnt(0)
	s_cmp_lt_u32 s15, s22
	s_cselect_b32 s22, 12, 18
	s_delay_alu instid0(SALU_CYCLE_1)
	s_add_u32 s2, s2, s22
	s_addc_u32 s3, s3, 0
	s_mov_b32 s22, 0
	global_load_u16 v2, v2, s[2:3]
	s_waitcnt vmcnt(0)
	v_readfirstlane_b32 s2, v2
	v_and_b32_e32 v9, 0xffff, v2
	s_delay_alu instid0(VALU_DEP_2) | instskip(NEXT) | instid1(SALU_CYCLE_1)
	s_and_b32 s2, 0xffff, s2
	s_lshl_b32 s3, s2, 2
	s_cmp_lg_u64 s[22:23], 0
	s_cbranch_scc0 .LBB347_40
; %bb.7:
	v_cvt_f32_u32_e32 v2, s3
	s_sub_u32 s25, 0, s3
	s_subb_u32 s30, 0, 0
	s_delay_alu instid0(VALU_DEP_1) | instskip(NEXT) | instid1(VALU_DEP_1)
	v_fmamk_f32 v2, 0, 0x4f800000, v2
	v_rcp_f32_e32 v2, v2
	s_waitcnt_depctr 0xfff
	v_mul_f32_e32 v2, 0x5f7ffffc, v2
	s_delay_alu instid0(VALU_DEP_1) | instskip(NEXT) | instid1(VALU_DEP_1)
	v_mul_f32_e32 v3, 0x2f800000, v2
	v_trunc_f32_e32 v3, v3
	s_delay_alu instid0(VALU_DEP_1) | instskip(SKIP_1) | instid1(VALU_DEP_2)
	v_fmamk_f32 v2, v3, 0xcf800000, v2
	v_cvt_u32_f32_e32 v3, v3
	v_cvt_u32_f32_e32 v2, v2
	s_delay_alu instid0(VALU_DEP_2) | instskip(NEXT) | instid1(VALU_DEP_2)
	v_readfirstlane_b32 s2, v3
	v_readfirstlane_b32 s23, v2
	s_delay_alu instid0(VALU_DEP_2) | instskip(NEXT) | instid1(VALU_DEP_1)
	s_mul_i32 s31, s25, s2
	s_mul_hi_u32 s34, s25, s23
	s_mul_i32 s33, s30, s23
	s_add_i32 s31, s34, s31
	s_mul_i32 s35, s25, s23
	s_add_i32 s31, s31, s33
	s_mul_hi_u32 s34, s23, s35
	s_mul_hi_u32 s36, s2, s35
	s_mul_i32 s33, s2, s35
	s_mul_hi_u32 s35, s23, s31
	s_mul_i32 s23, s23, s31
	s_mul_hi_u32 s37, s2, s31
	s_add_u32 s23, s34, s23
	s_addc_u32 s34, 0, s35
	s_add_u32 s23, s23, s33
	s_mul_i32 s31, s2, s31
	s_addc_u32 s23, s34, s36
	s_addc_u32 s33, s37, 0
	s_add_u32 s23, s23, s31
	s_addc_u32 s31, 0, s33
	v_add_co_u32 v2, s23, v2, s23
	s_delay_alu instid0(VALU_DEP_1) | instskip(SKIP_1) | instid1(VALU_DEP_1)
	s_cmp_lg_u32 s23, 0
	s_addc_u32 s2, s2, s31
	v_readfirstlane_b32 s23, v2
	s_mul_i32 s31, s25, s2
	s_delay_alu instid0(VALU_DEP_1)
	s_mul_hi_u32 s33, s25, s23
	s_mul_i32 s30, s30, s23
	s_add_i32 s31, s33, s31
	s_mul_i32 s25, s25, s23
	s_add_i32 s31, s31, s30
	s_mul_hi_u32 s33, s2, s25
	s_mul_i32 s34, s2, s25
	s_mul_hi_u32 s25, s23, s25
	s_mul_hi_u32 s35, s23, s31
	s_mul_i32 s23, s23, s31
	s_mul_hi_u32 s30, s2, s31
	s_add_u32 s23, s25, s23
	s_addc_u32 s25, 0, s35
	s_add_u32 s23, s23, s34
	s_mul_i32 s31, s2, s31
	s_addc_u32 s23, s25, s33
	s_addc_u32 s25, s30, 0
	s_add_u32 s23, s23, s31
	s_addc_u32 s25, 0, s25
	v_add_co_u32 v2, s23, v2, s23
	s_delay_alu instid0(VALU_DEP_1) | instskip(SKIP_1) | instid1(VALU_DEP_1)
	s_cmp_lg_u32 s23, 0
	s_addc_u32 s2, s2, s25
	v_readfirstlane_b32 s23, v2
	s_mul_i32 s30, s16, s2
	s_mul_hi_u32 s25, s16, s2
	s_mul_hi_u32 s31, s17, s2
	s_mul_i32 s2, s17, s2
	s_mul_hi_u32 s33, s16, s23
	s_mul_hi_u32 s34, s17, s23
	s_mul_i32 s23, s17, s23
	s_add_u32 s30, s33, s30
	s_addc_u32 s25, 0, s25
	s_add_u32 s23, s30, s23
	s_addc_u32 s23, s25, s34
	s_addc_u32 s25, s31, 0
	s_add_u32 s2, s23, s2
	s_addc_u32 s23, 0, s25
	s_mul_hi_u32 s25, s3, s2
	s_mul_i32 s2, s3, s2
	s_mul_i32 s23, s3, s23
	v_sub_co_u32 v2, s2, s16, s2
	s_add_i32 s25, s25, s23
	s_cmp_lg_u32 s2, 0
	s_delay_alu instid0(VALU_DEP_1) | instskip(SKIP_2) | instid1(VALU_DEP_1)
	v_sub_co_u32 v3, s2, v2, s3
	s_subb_u32 s23, s17, s25
	s_cmp_lg_u32 s2, 0
	v_cmp_le_u32_e32 vcc_lo, s3, v3
	v_sub_co_u32 v4, s2, v3, s3
	s_subb_u32 s25, s23, 0
	s_cmp_lg_u32 s2, 0
	v_cndmask_b32_e64 v5, 0, -1, vcc_lo
	s_subb_u32 s2, s25, 0
	s_cmp_eq_u32 s25, 0
	v_mov_b32_e32 v7, s2
	s_cselect_b32 vcc_lo, -1, 0
	s_cmp_eq_u32 s23, 0
	v_cndmask_b32_e32 v5, -1, v5, vcc_lo
	v_cmp_le_u32_e32 vcc_lo, s3, v2
	s_cselect_b32 s2, -1, 0
	v_cndmask_b32_e64 v6, 0, -1, vcc_lo
	s_delay_alu instid0(VALU_DEP_3) | instskip(NEXT) | instid1(VALU_DEP_2)
	v_cmp_ne_u32_e32 vcc_lo, 0, v5
	v_cndmask_b32_e64 v5, -1, v6, s2
	v_cndmask_b32_e32 v6, s25, v7, vcc_lo
	v_cndmask_b32_e32 v4, v3, v4, vcc_lo
	s_delay_alu instid0(VALU_DEP_3) | instskip(NEXT) | instid1(VALU_DEP_2)
	v_cmp_ne_u32_e32 vcc_lo, 0, v5
	v_cndmask_b32_e32 v2, v2, v4, vcc_lo
	s_delay_alu instid0(VALU_DEP_4)
	v_cndmask_b32_e32 v3, s23, v6, vcc_lo
	s_and_not1_b32 vcc_lo, exec_lo, s22
	s_cbranch_vccnz .LBB347_9
.LBB347_8:
	v_cvt_f32_u32_e32 v2, s3
	s_sub_i32 s2, 0, s3
	s_delay_alu instid0(VALU_DEP_1) | instskip(SKIP_2) | instid1(VALU_DEP_1)
	v_rcp_iflag_f32_e32 v2, v2
	s_waitcnt_depctr 0xfff
	v_mul_f32_e32 v2, 0x4f7ffffe, v2
	v_cvt_u32_f32_e32 v2, v2
	s_delay_alu instid0(VALU_DEP_1) | instskip(NEXT) | instid1(VALU_DEP_1)
	v_mul_lo_u32 v3, s2, v2
	v_mul_hi_u32 v3, v2, v3
	s_delay_alu instid0(VALU_DEP_1) | instskip(NEXT) | instid1(VALU_DEP_1)
	v_add_nc_u32_e32 v2, v2, v3
	v_mul_hi_u32 v2, s16, v2
	s_delay_alu instid0(VALU_DEP_1) | instskip(NEXT) | instid1(VALU_DEP_1)
	v_mul_lo_u32 v2, v2, s3
	v_sub_nc_u32_e32 v2, s16, v2
	s_delay_alu instid0(VALU_DEP_1) | instskip(SKIP_1) | instid1(VALU_DEP_2)
	v_subrev_nc_u32_e32 v3, s3, v2
	v_cmp_le_u32_e32 vcc_lo, s3, v2
	v_cndmask_b32_e32 v2, v2, v3, vcc_lo
	s_delay_alu instid0(VALU_DEP_1) | instskip(SKIP_1) | instid1(VALU_DEP_2)
	v_subrev_nc_u32_e32 v3, s3, v2
	v_cmp_le_u32_e32 vcc_lo, s3, v2
	v_dual_cndmask_b32 v2, v2, v3 :: v_dual_mov_b32 v3, 0
.LBB347_9:
	v_dual_mov_b32 v7, v1 :: v_dual_lshlrev_b32 v4, 4, v0
	s_delay_alu instid0(VALU_DEP_2) | instskip(NEXT) | instid1(VALU_DEP_3)
	v_sub_co_u32 v2, vcc_lo, s16, v2
	v_sub_co_ci_u32_e32 v3, vcc_lo, s17, v3, vcc_lo
	s_delay_alu instid0(VALU_DEP_3) | instskip(NEXT) | instid1(VALU_DEP_1)
	v_add_co_u32 v4, s2, v4, s20
	v_add_co_ci_u32_e64 v5, null, 0, s21, s2
	v_lshlrev_b32_e32 v10, 4, v9
	s_delay_alu instid0(VALU_DEP_3) | instskip(NEXT) | instid1(VALU_DEP_3)
	v_add_co_u32 v4, vcc_lo, v4, 8
	v_add_co_ci_u32_e32 v5, vcc_lo, 0, v5, vcc_lo
	v_mov_b32_e32 v6, v0
	s_mov_b32 s3, 0
	.p2align	6
.LBB347_10:                             ; =>This Inner Loop Header: Depth=1
	global_load_b128 v[11:14], v[4:5], off offset:-8
	v_add_co_u32 v6, vcc_lo, v6, v9
	v_add_co_ci_u32_e32 v7, vcc_lo, 0, v7, vcc_lo
	v_add_co_u32 v4, s2, v4, v10
	s_delay_alu instid0(VALU_DEP_1) | instskip(NEXT) | instid1(VALU_DEP_3)
	v_add_co_ci_u32_e64 v5, s2, 0, v5, s2
	v_lshlrev_b64 v[15:16], 2, v[6:7]
	s_delay_alu instid0(VALU_DEP_1) | instskip(SKIP_3) | instid1(VALU_DEP_1)
	v_cmp_ge_i64_e32 vcc_lo, v[15:16], v[2:3]
	s_or_b32 s3, vcc_lo, s3
	s_waitcnt vmcnt(0)
	v_add_f32_e32 v1, v8, v11
	v_add_f32_e32 v1, v1, v12
	s_delay_alu instid0(VALU_DEP_1) | instskip(NEXT) | instid1(VALU_DEP_1)
	v_add_f32_e32 v1, v1, v13
	v_add_f32_e32 v8, v1, v14
	s_and_not1_b32 exec_lo, exec_lo, s3
	s_cbranch_execnz .LBB347_10
; %bb.11:
	s_or_b32 exec_lo, exec_lo, s3
	v_add_co_u32 v1, vcc_lo, v2, v0
	v_add_co_ci_u32_e32 v2, vcc_lo, 0, v3, vcc_lo
	s_mov_b32 s2, exec_lo
	s_delay_alu instid0(VALU_DEP_1)
	v_cmpx_gt_i64_e64 s[16:17], v[1:2]
	s_cbranch_execz .LBB347_15
; %bb.12:
	s_mov_b32 s3, 0
.LBB347_13:                             ; =>This Inner Loop Header: Depth=1
	v_lshlrev_b64 v[3:4], 2, v[1:2]
	s_delay_alu instid0(VALU_DEP_1) | instskip(NEXT) | instid1(VALU_DEP_2)
	v_add_co_u32 v3, vcc_lo, s20, v3
	v_add_co_ci_u32_e32 v4, vcc_lo, s21, v4, vcc_lo
	v_add_co_u32 v1, vcc_lo, v1, v9
	v_add_co_ci_u32_e32 v2, vcc_lo, 0, v2, vcc_lo
	global_load_b32 v3, v[3:4], off
	v_cmp_le_i64_e32 vcc_lo, s[16:17], v[1:2]
	s_or_b32 s3, vcc_lo, s3
	s_waitcnt vmcnt(0)
	v_add_f32_e32 v8, v8, v3
	s_and_not1_b32 exec_lo, exec_lo, s3
	s_cbranch_execnz .LBB347_13
; %bb.14:
	s_or_b32 exec_lo, exec_lo, s3
.LBB347_15:
	s_delay_alu instid0(SALU_CYCLE_1)
	s_or_b32 exec_lo, exec_lo, s2
	s_branch .LBB347_31
.LBB347_16:
                                        ; implicit-def: $vgpr8
	s_cbranch_execz .LBB347_31
; %bb.17:
	s_and_b32 vcc_lo, exec_lo, s24
	s_cbranch_vccz .LBB347_41
; %bb.18:
	s_lshl_b64 s[2:3], s[28:29], 2
	v_cmp_le_u32_e32 vcc_lo, s28, v0
	s_sub_u32 s20, s12, s2
	s_subb_u32 s21, s13, s3
	s_add_i32 s3, s28, s10
	v_mov_b32_e32 v8, 0
	v_cmp_gt_i32_e64 s2, s3, v0
	s_delay_alu instid0(VALU_DEP_1) | instskip(NEXT) | instid1(SALU_CYCLE_1)
	s_and_b32 s16, vcc_lo, s2
	s_and_saveexec_b32 s2, s16
	s_cbranch_execz .LBB347_20
; %bb.19:
	v_lshlrev_b32_e32 v1, 2, v0
	global_load_b32 v1, v1, s[20:21]
	s_waitcnt vmcnt(0)
	v_add_f32_e32 v8, 0, v1
.LBB347_20:
	s_or_b32 exec_lo, exec_lo, s2
	s_load_b32 s2, s[0:1], 0x2c
	s_add_u32 s16, s0, 32
	s_addc_u32 s17, s1, 0
	s_waitcnt lgkmcnt(0)
	s_and_b32 s2, s2, 0xffff
	s_delay_alu instid0(SALU_CYCLE_1) | instskip(SKIP_1) | instid1(SALU_CYCLE_1)
	v_sub_nc_u32_e64 v1, s3, s2 clamp
	s_lshl_b32 s2, s2, 2
	s_add_u32 s2, s20, s2
	s_addc_u32 s3, s21, 0
	s_delay_alu instid0(VALU_DEP_1)
	v_readfirstlane_b32 s22, v1
	s_branch .LBB347_22
.LBB347_21:
	v_mov_b32_e32 v8, 0
	s_add_u32 s16, s0, 32
	s_addc_u32 s17, s1, 0
	s_mov_b32 s22, s10
	s_mov_b64 s[2:3], s[12:13]
.LBB347_22:
	s_load_b32 s20, s[16:17], 0x0
	v_mov_b32_e32 v1, 0
	s_waitcnt lgkmcnt(0)
	s_cmp_lt_u32 s15, s20
	s_cselect_b32 s20, 12, 18
	s_delay_alu instid0(SALU_CYCLE_1) | instskip(SKIP_4) | instid1(VALU_DEP_1)
	s_add_u32 s16, s16, s20
	s_addc_u32 s17, s17, 0
	global_load_u16 v3, v1, s[16:17]
	s_waitcnt vmcnt(0)
	v_readfirstlane_b32 s16, v3
	s_lshl_b32 s16, s16, 2
	s_delay_alu instid0(SALU_CYCLE_1) | instskip(SKIP_1) | instid1(VALU_DEP_1)
	v_cvt_f32_u32_e32 v1, s16
	s_sub_i32 s20, 0, s16
	v_rcp_iflag_f32_e32 v1, v1
	s_waitcnt_depctr 0xfff
	v_mul_f32_e32 v1, 0x4f7ffffe, v1
	s_delay_alu instid0(VALU_DEP_1) | instskip(NEXT) | instid1(VALU_DEP_1)
	v_cvt_u32_f32_e32 v1, v1
	v_readfirstlane_b32 s17, v1
	v_lshlrev_b32_e32 v1, 2, v0
	s_delay_alu instid0(VALU_DEP_2) | instskip(NEXT) | instid1(SALU_CYCLE_1)
	s_mul_i32 s20, s20, s17
	s_mul_hi_u32 s20, s17, s20
	s_delay_alu instid0(SALU_CYCLE_1) | instskip(NEXT) | instid1(SALU_CYCLE_1)
	s_add_i32 s17, s17, s20
	s_mul_hi_u32 s17, s22, s17
	s_delay_alu instid0(SALU_CYCLE_1) | instskip(NEXT) | instid1(SALU_CYCLE_1)
	s_mul_i32 s17, s17, s16
	s_sub_i32 s17, s22, s17
	s_delay_alu instid0(SALU_CYCLE_1) | instskip(SKIP_2) | instid1(SALU_CYCLE_1)
	s_sub_i32 s20, s17, s16
	s_cmp_ge_u32 s17, s16
	s_cselect_b32 s17, s20, s17
	s_sub_i32 s20, s17, s16
	s_cmp_ge_u32 s17, s16
	s_cselect_b32 s16, s20, s17
	s_mov_b32 s20, 0
	s_sub_i32 s16, s22, s16
	s_mov_b32 s17, exec_lo
	v_cmpx_gt_i32_e64 s16, v1
	s_cbranch_execz .LBB347_26
; %bb.23:
	v_mov_b32_e32 v1, v0
	.p2align	6
.LBB347_24:                             ; =>This Inner Loop Header: Depth=1
	s_delay_alu instid0(VALU_DEP_1) | instskip(NEXT) | instid1(VALU_DEP_1)
	v_ashrrev_i32_e32 v2, 31, v1
	v_lshlrev_b64 v[4:5], 4, v[1:2]
	v_add_nc_u32_e32 v1, v1, v3
	s_delay_alu instid0(VALU_DEP_2) | instskip(NEXT) | instid1(VALU_DEP_3)
	v_add_co_u32 v4, vcc_lo, s2, v4
	v_add_co_ci_u32_e32 v5, vcc_lo, s3, v5, vcc_lo
	global_load_b128 v[4:7], v[4:5], off
	s_waitcnt vmcnt(0)
	v_add_f32_e32 v2, v8, v4
	v_lshlrev_b32_e32 v4, 2, v1
	s_delay_alu instid0(VALU_DEP_2) | instskip(NEXT) | instid1(VALU_DEP_2)
	v_add_f32_e32 v2, v2, v5
	v_cmp_le_i32_e32 vcc_lo, s16, v4
	s_delay_alu instid0(VALU_DEP_2) | instskip(SKIP_1) | instid1(VALU_DEP_1)
	v_add_f32_e32 v2, v2, v6
	s_or_b32 s20, vcc_lo, s20
	v_add_f32_e32 v8, v2, v7
	s_and_not1_b32 exec_lo, exec_lo, s20
	s_cbranch_execnz .LBB347_24
; %bb.25:
	s_or_b32 exec_lo, exec_lo, s20
.LBB347_26:
	s_delay_alu instid0(SALU_CYCLE_1) | instskip(SKIP_2) | instid1(VALU_DEP_1)
	s_or_b32 exec_lo, exec_lo, s17
	v_add_nc_u32_e32 v1, s16, v0
	s_mov_b32 s16, exec_lo
	v_cmpx_gt_i32_e64 s22, v1
	s_cbranch_execz .LBB347_30
; %bb.27:
	s_mov_b32 s17, 0
.LBB347_28:                             ; =>This Inner Loop Header: Depth=1
	v_ashrrev_i32_e32 v2, 31, v1
	s_delay_alu instid0(VALU_DEP_1) | instskip(NEXT) | instid1(VALU_DEP_1)
	v_lshlrev_b64 v[4:5], 2, v[1:2]
	v_add_co_u32 v4, vcc_lo, s2, v4
	s_delay_alu instid0(VALU_DEP_2) | instskip(SKIP_3) | instid1(VALU_DEP_1)
	v_add_co_ci_u32_e32 v5, vcc_lo, s3, v5, vcc_lo
	global_load_b32 v2, v[4:5], off
	s_waitcnt vmcnt(0)
	v_dual_add_f32 v8, v8, v2 :: v_dual_add_nc_u32 v1, v1, v3
	v_cmp_le_i32_e32 vcc_lo, s22, v1
	s_or_b32 s17, vcc_lo, s17
	s_delay_alu instid0(SALU_CYCLE_1)
	s_and_not1_b32 exec_lo, exec_lo, s17
	s_cbranch_execnz .LBB347_28
; %bb.29:
	s_or_b32 exec_lo, exec_lo, s17
.LBB347_30:
	s_delay_alu instid0(SALU_CYCLE_1)
	s_or_b32 exec_lo, exec_lo, s16
.LBB347_31:
	v_lshl_add_u32 v1, v0, 2, 0
	s_barrier
	buffer_gl0_inv
	s_add_u32 s16, s0, 32
	ds_store_b32 v1, v8
	s_waitcnt lgkmcnt(0)
	s_barrier
	buffer_gl0_inv
	s_load_b32 s2, s[0:1], 0x2c
	s_addc_u32 s17, s1, 0
	s_waitcnt lgkmcnt(0)
	s_bfe_u32 s0, s2, 0xb0005
	s_delay_alu instid0(SALU_CYCLE_1) | instskip(NEXT) | instid1(SALU_CYCLE_1)
	s_min_u32 s1, s0, 32
	v_cmp_gt_u32_e32 vcc_lo, s1, v0
	s_and_saveexec_b32 s1, vcc_lo
	s_cbranch_execz .LBB347_33
; %bb.32:
	v_mad_u32_u24 v10, 0x7c, v0, v1
	ds_load_2addr_b32 v[2:3], v10 offset1:1
	ds_load_2addr_b32 v[4:5], v10 offset0:2 offset1:3
	ds_load_2addr_b32 v[6:7], v10 offset0:4 offset1:5
	;; [unrolled: 1-line block ×3, first 2 shown]
	s_waitcnt lgkmcnt(3)
	v_add_f32_e32 v2, 0, v2
	s_delay_alu instid0(VALU_DEP_1) | instskip(SKIP_1) | instid1(VALU_DEP_1)
	v_add_f32_e32 v2, v2, v3
	s_waitcnt lgkmcnt(2)
	v_add_f32_e32 v2, v2, v4
	s_delay_alu instid0(VALU_DEP_1) | instskip(SKIP_1) | instid1(VALU_DEP_1)
	v_add_f32_e32 v2, v2, v5
	s_waitcnt lgkmcnt(1)
	v_add_f32_e32 v4, v2, v6
	ds_load_2addr_b32 v[2:3], v10 offset0:8 offset1:9
	v_add_f32_e32 v4, v4, v7
	s_waitcnt lgkmcnt(1)
	s_delay_alu instid0(VALU_DEP_1)
	v_add_f32_e32 v6, v4, v8
	ds_load_2addr_b32 v[4:5], v10 offset0:10 offset1:11
	v_add_f32_e32 v11, v6, v9
	ds_load_2addr_b32 v[6:7], v10 offset0:12 offset1:13
	ds_load_2addr_b32 v[8:9], v10 offset0:14 offset1:15
	s_waitcnt lgkmcnt(3)
	v_add_f32_e32 v2, v11, v2
	s_delay_alu instid0(VALU_DEP_1) | instskip(SKIP_1) | instid1(VALU_DEP_1)
	v_add_f32_e32 v2, v2, v3
	s_waitcnt lgkmcnt(2)
	v_add_f32_e32 v2, v2, v4
	s_delay_alu instid0(VALU_DEP_1) | instskip(SKIP_1) | instid1(VALU_DEP_1)
	v_add_f32_e32 v2, v2, v5
	s_waitcnt lgkmcnt(1)
	v_add_f32_e32 v4, v2, v6
	ds_load_2addr_b32 v[2:3], v10 offset0:16 offset1:17
	v_add_f32_e32 v4, v4, v7
	s_waitcnt lgkmcnt(1)
	s_delay_alu instid0(VALU_DEP_1)
	v_add_f32_e32 v6, v4, v8
	ds_load_2addr_b32 v[4:5], v10 offset0:18 offset1:19
	v_add_f32_e32 v11, v6, v9
	ds_load_2addr_b32 v[6:7], v10 offset0:20 offset1:21
	ds_load_2addr_b32 v[8:9], v10 offset0:22 offset1:23
	;; [unrolled: 19-line block ×3, first 2 shown]
	s_waitcnt lgkmcnt(3)
	v_add_f32_e32 v2, v11, v2
	s_delay_alu instid0(VALU_DEP_1) | instskip(SKIP_1) | instid1(VALU_DEP_1)
	v_add_f32_e32 v2, v2, v3
	s_waitcnt lgkmcnt(2)
	v_add_f32_e32 v2, v2, v4
	s_delay_alu instid0(VALU_DEP_1) | instskip(SKIP_1) | instid1(VALU_DEP_1)
	v_add_f32_e32 v2, v2, v5
	;; [unrolled: 4-line block ×3, first 2 shown]
	s_waitcnt lgkmcnt(0)
	v_add_f32_e32 v2, v2, v8
	s_delay_alu instid0(VALU_DEP_1)
	v_add_f32_e32 v2, v2, v9
	ds_store_b32 v1, v2
.LBB347_33:
	s_or_b32 exec_lo, exec_lo, s1
	s_and_b32 s22, s2, 0xffff
	s_mov_b32 s1, exec_lo
	s_waitcnt lgkmcnt(0)
	s_barrier
	buffer_gl0_inv
	v_cmpx_eq_u32_e32 0, v0
	s_cbranch_execz .LBB347_46
; %bb.34:
	v_mov_b32_e32 v1, 0
	s_cmp_lt_u32 s22, 32
	s_cbranch_scc1 .LBB347_45
; %bb.35:
	v_mov_b32_e32 v1, 0
	s_add_i32 s2, s0, -1
	s_delay_alu instid0(SALU_CYCLE_1)
	s_cmp_lt_u32 s2, 7
	s_cbranch_scc1 .LBB347_42
; %bb.36:
	s_and_b32 s2, s0, 0x7f8
	s_mov_b32 s3, 0
	s_mov_b32 s20, 0
	.p2align	6
.LBB347_37:                             ; =>This Inner Loop Header: Depth=1
	s_delay_alu instid0(SALU_CYCLE_1)
	v_mov_b32_e32 v8, s20
	s_add_i32 s3, s3, 8
	s_add_i32 s20, s20, 32
	s_cmp_eq_u32 s2, s3
	ds_load_2addr_b32 v[2:3], v8 offset1:1
	ds_load_2addr_b32 v[4:5], v8 offset0:2 offset1:3
	ds_load_2addr_b32 v[6:7], v8 offset0:4 offset1:5
	;; [unrolled: 1-line block ×3, first 2 shown]
	s_waitcnt lgkmcnt(3)
	v_add_f32_e32 v1, v1, v2
	s_delay_alu instid0(VALU_DEP_1) | instskip(SKIP_1) | instid1(VALU_DEP_1)
	v_add_f32_e32 v1, v1, v3
	s_waitcnt lgkmcnt(2)
	v_add_f32_e32 v1, v1, v4
	s_delay_alu instid0(VALU_DEP_1) | instskip(SKIP_1) | instid1(VALU_DEP_1)
	v_add_f32_e32 v1, v1, v5
	;; [unrolled: 4-line block ×3, first 2 shown]
	s_waitcnt lgkmcnt(0)
	v_add_f32_e32 v1, v1, v8
	s_delay_alu instid0(VALU_DEP_1)
	v_add_f32_e32 v1, v1, v9
	s_cbranch_scc0 .LBB347_37
; %bb.38:
	s_and_b32 s0, s0, 7
	s_delay_alu instid0(SALU_CYCLE_1)
	s_cmp_eq_u32 s0, 0
	s_cbranch_scc0 .LBB347_43
	s_branch .LBB347_45
.LBB347_39:
                                        ; implicit-def: $sgpr20_sgpr21
                                        ; implicit-def: $sgpr16_sgpr17
                                        ; implicit-def: $vgpr8
                                        ; implicit-def: $sgpr2_sgpr3
	s_cbranch_execnz .LBB347_5
	s_branch .LBB347_6
.LBB347_40:
                                        ; implicit-def: $vgpr2_vgpr3
	s_branch .LBB347_8
.LBB347_41:
                                        ; implicit-def: $sgpr2_sgpr3
                                        ; implicit-def: $sgpr22
                                        ; implicit-def: $vgpr8
                                        ; implicit-def: $sgpr16_sgpr17
	s_cbranch_execnz .LBB347_21
	s_branch .LBB347_22
.LBB347_42:
	s_mov_b32 s2, 0
	s_and_b32 s0, s0, 7
	s_delay_alu instid0(SALU_CYCLE_1)
	s_cmp_eq_u32 s0, 0
	s_cbranch_scc1 .LBB347_45
.LBB347_43:
	s_lshl_b32 s2, s2, 2
	s_delay_alu instid0(SALU_CYCLE_1)
	s_add_i32 s2, s2, 0
.LBB347_44:                             ; =>This Inner Loop Header: Depth=1
	s_delay_alu instid0(SALU_CYCLE_1)
	v_mov_b32_e32 v2, s2
	s_add_i32 s0, s0, -1
	s_add_i32 s2, s2, 4
	s_cmp_lg_u32 s0, 0
	ds_load_b32 v2, v2
	s_waitcnt lgkmcnt(0)
	v_add_f32_e32 v1, v1, v2
	s_cbranch_scc1 .LBB347_44
.LBB347_45:
	v_mov_b32_e32 v2, 0
	ds_store_b32 v2, v1
.LBB347_46:
	s_or_b32 exec_lo, exec_lo, s1
	v_mov_b32_e32 v1, 0
	s_waitcnt lgkmcnt(0)
	s_barrier
	buffer_gl0_inv
	s_lshl_b64 s[30:31], s[18:19], 1
	ds_load_b32 v10, v1
	s_add_u32 s18, s4, s30
	s_addc_u32 s19, s5, s31
	s_add_u32 s20, s6, s26
	s_mov_b32 s25, 0
	s_addc_u32 s21, s7, s27
	s_bfe_u32 s24, s18, 0x30001
	s_bfe_u32 s0, s20, 0x20002
	s_mov_b32 s1, s25
	s_delay_alu instid0(SALU_CYCLE_1) | instskip(SKIP_3) | instid1(SALU_CYCLE_1)
	s_cmp_eq_u64 s[24:25], s[0:1]
	s_cselect_b32 s0, -1, 0
	s_cmp_eq_u64 s[24:25], s[28:29]
	s_cselect_b32 s1, -1, 0
	s_and_b32 s0, s0, s1
	s_delay_alu instid0(SALU_CYCLE_1)
	s_and_not1_b32 vcc_lo, exec_lo, s0
	s_mov_b32 s0, -1
	s_cbranch_vccz .LBB347_65
; %bb.47:
	s_and_b32 vcc_lo, exec_lo, s14
	s_cbranch_vccz .LBB347_56
; %bb.48:
	s_lshl_b32 s23, s22, 2
	s_mov_b32 s40, 0
	v_cvt_f32_u32_e32 v1, s23
	s_sub_i32 s1, 0, s23
	s_mov_b32 s33, exec_lo
	s_delay_alu instid0(VALU_DEP_1) | instskip(SKIP_2) | instid1(VALU_DEP_1)
	v_rcp_iflag_f32_e32 v1, v1
	s_waitcnt_depctr 0xfff
	v_mul_f32_e32 v1, 0x4f7ffffe, v1
	v_cvt_u32_f32_e32 v1, v1
	s_delay_alu instid0(VALU_DEP_1) | instskip(SKIP_1) | instid1(VALU_DEP_2)
	v_readfirstlane_b32 s0, v1
	v_mov_b32_e32 v1, 0
	s_mul_i32 s1, s1, s0
	s_delay_alu instid0(VALU_DEP_1) | instskip(SKIP_1) | instid1(SALU_CYCLE_1)
	v_dual_mov_b32 v3, v1 :: v_dual_mov_b32 v2, v0
	s_mul_hi_u32 s1, s0, s1
	s_add_i32 s0, s0, s1
	s_delay_alu instid0(SALU_CYCLE_1) | instskip(NEXT) | instid1(SALU_CYCLE_1)
	s_mul_hi_u32 s0, s10, s0
	s_mul_i32 s0, s0, s23
	s_delay_alu instid0(SALU_CYCLE_1) | instskip(NEXT) | instid1(SALU_CYCLE_1)
	s_sub_i32 s0, s10, s0
	s_sub_i32 s1, s0, s23
	s_cmp_ge_u32 s0, s23
	s_cselect_b32 s0, s1, s0
	s_delay_alu instid0(SALU_CYCLE_1) | instskip(SKIP_3) | instid1(SALU_CYCLE_1)
	s_sub_i32 s1, s0, s23
	s_cmp_ge_u32 s0, s23
	s_cselect_b32 s0, s1, s0
	s_bfe_i64 s[28:29], s[10:11], 0x200000
	s_sub_u32 s34, s28, s0
	s_subb_u32 s35, s29, 0
	s_delay_alu instid0(SALU_CYCLE_1)
	v_cmpx_gt_i64_e64 s[34:35], v[0:1]
	s_cbranch_execz .LBB347_52
; %bb.49:
	s_lshl_b32 s41, s22, 1
	s_lshl_b32 s42, s22, 4
	s_add_u32 s0, s26, s23
	s_addc_u32 s1, s27, 0
	s_add_u32 s43, s6, s0
	s_addc_u32 s44, s7, s1
	s_lshl_b32 s45, s22, 3
	s_mul_i32 s36, s22, 12
	s_add_u32 s2, s26, s45
	s_addc_u32 s3, s27, 0
	s_add_u32 s46, s6, s2
	s_addc_u32 s47, s7, s3
	;; [unrolled: 2-line block ×5, first 2 shown]
	s_add_u32 s52, s8, s2
	v_lshlrev_b64 v[2:3], 1, v[0:1]
	s_addc_u32 s53, s9, s3
	s_add_u32 s54, s8, s36
	s_addc_u32 s55, s9, s37
	s_add_u32 s0, s4, s30
	s_addc_u32 s1, s5, s31
	v_add_co_u32 v6, vcc_lo, s0, v2
	v_lshlrev_b64 v[4:5], 2, v[0:1]
	v_add_co_ci_u32_e32 v7, vcc_lo, s1, v3, vcc_lo
	v_dual_mov_b32 v3, v1 :: v_dual_mov_b32 v2, v0
	s_mul_i32 s56, s22, 6
	s_mov_b64 s[36:37], s[12:13]
	s_mov_b64 s[38:39], s[20:21]
.LBB347_50:                             ; =>This Inner Loop Header: Depth=1
	s_delay_alu instid0(SALU_CYCLE_1)
	v_add_co_u32 v8, vcc_lo, s38, v4
	v_add_co_ci_u32_e32 v9, vcc_lo, s39, v5, vcc_lo
	v_add_co_u32 v11, vcc_lo, s43, v4
	v_add_co_ci_u32_e32 v12, vcc_lo, s44, v5, vcc_lo
	;; [unrolled: 2-line block ×4, first 2 shown]
	global_load_b32 v1, v[8:9], off
	global_load_b32 v17, v[11:12], off
	;; [unrolled: 1-line block ×4, first 2 shown]
	v_add_co_u32 v8, vcc_lo, s36, v4
	v_add_co_ci_u32_e32 v9, vcc_lo, s37, v5, vcc_lo
	v_add_co_u32 v11, vcc_lo, s50, v4
	v_add_co_ci_u32_e32 v12, vcc_lo, s51, v5, vcc_lo
	;; [unrolled: 2-line block ×4, first 2 shown]
	global_load_b32 v20, v[8:9], off
	global_load_b32 v21, v[11:12], off
	;; [unrolled: 1-line block ×4, first 2 shown]
	v_add_co_u32 v8, vcc_lo, v6, s41
	v_add_co_ci_u32_e32 v9, vcc_lo, 0, v7, vcc_lo
	v_add_co_u32 v11, vcc_lo, v6, s23
	v_add_co_ci_u32_e32 v12, vcc_lo, 0, v7, vcc_lo
	v_add_co_u32 v13, vcc_lo, v6, s56
	s_add_u32 s38, s38, s42
	s_addc_u32 s39, s39, 0
	v_add_co_ci_u32_e32 v14, vcc_lo, 0, v7, vcc_lo
	s_add_u32 s43, s43, s42
	v_add_co_u32 v2, vcc_lo, v2, s23
	s_addc_u32 s44, s44, 0
	s_add_u32 s46, s46, s42
	v_add_co_ci_u32_e32 v3, vcc_lo, 0, v3, vcc_lo
	s_addc_u32 s47, s47, 0
	s_add_u32 s48, s48, s42
	s_addc_u32 s49, s49, 0
	s_add_u32 s36, s36, s42
	s_addc_u32 s37, s37, 0
	v_cmp_le_i64_e32 vcc_lo, s[34:35], v[2:3]
	s_add_u32 s50, s50, s42
	s_addc_u32 s51, s51, 0
	s_add_u32 s52, s52, s42
	s_addc_u32 s53, s53, 0
	;; [unrolled: 2-line block ×3, first 2 shown]
	s_or_b32 s40, vcc_lo, s40
	s_waitcnt vmcnt(7)
	v_mul_f32_e32 v16, 0x3fb8aa3b, v1
	s_waitcnt vmcnt(5)
	v_dual_mul_f32 v23, 0x3fb8aa3b, v17 :: v_dual_mul_f32 v24, 0x3fb8aa3b, v18
	s_waitcnt vmcnt(4)
	v_mul_f32_e32 v25, 0x3fb8aa3b, v19
	v_cmp_ngt_f32_e64 s3, 0xc2ce8ed0, v1
	v_fma_f32 v26, 0x3fb8aa3b, v1, -v16
	v_rndne_f32_e32 v27, v16
	v_fma_f32 v30, 0x3fb8aa3b, v18, -v24
	v_fma_f32 v32, 0x3fb8aa3b, v19, -v25
	v_rndne_f32_e32 v33, v25
	v_fma_f32 v28, 0x3fb8aa3b, v17, -v23
	v_rndne_f32_e32 v29, v23
	v_fmac_f32_e32 v30, 0x32a5705f, v18
	s_delay_alu instid0(VALU_DEP_4) | instskip(SKIP_1) | instid1(VALU_DEP_4)
	v_dual_fmac_f32 v32, 0x32a5705f, v19 :: v_dual_sub_f32 v25, v25, v33
	v_rndne_f32_e32 v31, v24
	v_dual_sub_f32 v16, v16, v27 :: v_dual_sub_f32 v23, v23, v29
	s_delay_alu instid0(VALU_DEP_3) | instskip(SKIP_1) | instid1(VALU_DEP_4)
	v_dual_fmac_f32 v28, 0x32a5705f, v17 :: v_dual_add_f32 v25, v25, v32
	v_fmac_f32_e32 v26, 0x32a5705f, v1
	v_sub_f32_e32 v24, v24, v31
	v_cvt_i32_f32_e32 v27, v27
	s_delay_alu instid0(VALU_DEP_4)
	v_add_f32_e32 v23, v23, v28
	v_exp_f32_e32 v25, v25
	v_add_f32_e32 v16, v16, v26
	v_add_f32_e32 v24, v24, v30
	v_cvt_i32_f32_e32 v29, v29
	v_exp_f32_e32 v23, v23
	v_cvt_i32_f32_e32 v31, v31
	v_exp_f32_e32 v16, v16
	v_exp_f32_e32 v24, v24
	v_cvt_i32_f32_e32 v33, v33
	v_cmp_ngt_f32_e64 s0, 0xc2ce8ed0, v17
	v_cmp_ngt_f32_e64 s1, 0xc2ce8ed0, v18
	;; [unrolled: 1-line block ×3, first 2 shown]
	s_delay_alu instid0(VALU_DEP_4) | instskip(NEXT) | instid1(TRANS32_DEP_3)
	v_ldexp_f32 v25, v25, v33
	v_ldexp_f32 v23, v23, v29
	s_delay_alu instid0(TRANS32_DEP_2) | instskip(NEXT) | instid1(TRANS32_DEP_1)
	v_ldexp_f32 v16, v16, v27
	v_ldexp_f32 v24, v24, v31
	s_delay_alu instid0(VALU_DEP_3) | instskip(SKIP_1) | instid1(VALU_DEP_4)
	v_cndmask_b32_e64 v23, 0, v23, s0
	v_cmp_nlt_f32_e64 s0, 0x42b17218, v17
	v_cndmask_b32_e64 v16, 0, v16, s3
	v_cmp_nlt_f32_e64 s3, 0x42b17218, v1
	;; [unrolled: 2-line block ×4, first 2 shown]
	v_cndmask_b32_e64 v1, 0x7f800000, v16, s3
	v_cndmask_b32_e64 v16, 0x7f800000, v23, s0
	;; [unrolled: 1-line block ×3, first 2 shown]
	s_delay_alu instid0(VALU_DEP_4)
	v_cndmask_b32_e64 v18, 0x7f800000, v18, s2
	s_waitcnt vmcnt(3) lgkmcnt(0)
	v_fma_f32 v1, -v10, v1, v20
	s_waitcnt vmcnt(2)
	v_fma_f32 v16, -v10, v16, v21
	s_waitcnt vmcnt(1)
	;; [unrolled: 2-line block ×3, first 2 shown]
	v_fma_f32 v15, -v10, v18, v15
	v_bfe_u32 v18, v1, 16, 1
	v_bfe_u32 v19, v16, 16, 1
	;; [unrolled: 1-line block ×3, first 2 shown]
	v_cmp_o_f32_e64 s3, v1, v1
	v_bfe_u32 v21, v15, 16, 1
	v_add3_u32 v18, v1, v18, 0x7fff
	v_add3_u32 v19, v16, v19, 0x7fff
	;; [unrolled: 1-line block ×3, first 2 shown]
	v_cmp_o_f32_e64 s0, v16, v16
	v_add3_u32 v21, v15, v21, 0x7fff
	v_lshrrev_b32_e32 v18, 16, v18
	v_lshrrev_b32_e32 v19, 16, v19
	;; [unrolled: 1-line block ×3, first 2 shown]
	v_cmp_o_f32_e64 s1, v17, v17
	v_lshrrev_b32_e32 v17, 16, v21
	v_cndmask_b32_e64 v1, 0x7fc0, v18, s3
	v_cmp_o_f32_e64 s2, v15, v15
	v_cndmask_b32_e64 v15, 0x7fc0, v19, s0
	v_cndmask_b32_e64 v16, 0x7fc0, v16, s1
	global_store_b16 v[6:7], v1, off
	v_add_co_u32 v6, s0, v6, s45
	s_delay_alu instid0(VALU_DEP_1)
	v_add_co_ci_u32_e64 v7, s0, 0, v7, s0
	v_cndmask_b32_e64 v17, 0x7fc0, v17, s2
	s_clause 0x2
	global_store_b16 v[8:9], v15, off
	global_store_b16 v[11:12], v16, off
	global_store_b16 v[13:14], v17, off
	s_and_not1_b32 exec_lo, exec_lo, s40
	s_cbranch_execnz .LBB347_50
; %bb.51:
	s_or_b32 exec_lo, exec_lo, s40
.LBB347_52:
	s_delay_alu instid0(SALU_CYCLE_1) | instskip(NEXT) | instid1(SALU_CYCLE_1)
	s_or_b32 exec_lo, exec_lo, s33
	s_mov_b32 s1, exec_lo
	v_cmpx_gt_i64_e64 s[28:29], v[2:3]
	s_cbranch_execz .LBB347_55
; %bb.53:
	v_lshlrev_b64 v[4:5], 2, v[2:3]
	v_lshlrev_b64 v[7:8], 1, v[2:3]
	s_add_u32 s0, s4, s30
	s_addc_u32 s2, s5, s31
	s_lshl_b32 s3, s22, 1
	s_delay_alu instid0(VALU_DEP_2)
	v_add_co_u32 v1, vcc_lo, s26, v4
	v_add_co_ci_u32_e32 v6, vcc_lo, s27, v5, vcc_lo
	v_add_co_u32 v4, vcc_lo, s0, v7
	v_add_co_ci_u32_e32 v5, vcc_lo, s2, v8, vcc_lo
	s_mov_b32 s2, 0
.LBB347_54:                             ; =>This Inner Loop Header: Depth=1
	v_add_co_u32 v7, vcc_lo, s6, v1
	v_add_co_ci_u32_e32 v8, vcc_lo, s7, v6, vcc_lo
	global_load_b32 v9, v[7:8], off
	v_add_co_u32 v7, vcc_lo, s8, v1
	v_add_co_ci_u32_e32 v8, vcc_lo, s9, v6, vcc_lo
	v_add_co_u32 v2, vcc_lo, v2, s22
	v_add_co_ci_u32_e32 v3, vcc_lo, 0, v3, vcc_lo
	global_load_b32 v7, v[7:8], off
	v_add_co_u32 v1, vcc_lo, v1, s23
	v_add_co_ci_u32_e32 v6, vcc_lo, 0, v6, vcc_lo
	v_cmp_le_i64_e32 vcc_lo, s[28:29], v[2:3]
	s_or_b32 s2, vcc_lo, s2
	s_waitcnt vmcnt(1)
	v_mul_f32_e32 v8, 0x3fb8aa3b, v9
	v_cmp_ngt_f32_e64 s0, 0xc2ce8ed0, v9
	s_delay_alu instid0(VALU_DEP_2) | instskip(SKIP_1) | instid1(VALU_DEP_1)
	v_fma_f32 v11, 0x3fb8aa3b, v9, -v8
	v_rndne_f32_e32 v12, v8
	v_dual_fmac_f32 v11, 0x32a5705f, v9 :: v_dual_sub_f32 v8, v8, v12
	s_delay_alu instid0(VALU_DEP_1) | instskip(SKIP_1) | instid1(VALU_DEP_2)
	v_add_f32_e32 v8, v8, v11
	v_cvt_i32_f32_e32 v11, v12
	v_exp_f32_e32 v8, v8
	s_waitcnt_depctr 0xfff
	v_ldexp_f32 v8, v8, v11
	s_delay_alu instid0(VALU_DEP_1) | instskip(SKIP_1) | instid1(VALU_DEP_1)
	v_cndmask_b32_e64 v8, 0, v8, s0
	v_cmp_nlt_f32_e64 s0, 0x42b17218, v9
	v_cndmask_b32_e64 v8, 0x7f800000, v8, s0
	s_waitcnt vmcnt(0) lgkmcnt(0)
	s_delay_alu instid0(VALU_DEP_1) | instskip(NEXT) | instid1(VALU_DEP_1)
	v_fma_f32 v7, -v10, v8, v7
	v_bfe_u32 v8, v7, 16, 1
	v_cmp_o_f32_e64 s0, v7, v7
	s_delay_alu instid0(VALU_DEP_2) | instskip(NEXT) | instid1(VALU_DEP_1)
	v_add3_u32 v8, v7, v8, 0x7fff
	v_lshrrev_b32_e32 v8, 16, v8
	s_delay_alu instid0(VALU_DEP_1) | instskip(SKIP_2) | instid1(VALU_DEP_1)
	v_cndmask_b32_e64 v7, 0x7fc0, v8, s0
	global_store_b16 v[4:5], v7, off
	v_add_co_u32 v4, s0, v4, s3
	v_add_co_ci_u32_e64 v5, s0, 0, v5, s0
	s_and_not1_b32 exec_lo, exec_lo, s2
	s_cbranch_execnz .LBB347_54
.LBB347_55:
	s_or_b32 exec_lo, exec_lo, s1
	s_mov_b32 s0, 0
.LBB347_56:
	s_delay_alu instid0(SALU_CYCLE_1)
	s_and_b32 vcc_lo, exec_lo, s0
	s_cbranch_vccz .LBB347_92
; %bb.57:
	s_lshl_b32 s0, s22, 2
	s_mov_b32 s6, 0
	v_cvt_f32_u32_e32 v1, s0
	s_sub_i32 s2, 0, s0
	s_mov_b32 s4, exec_lo
	s_delay_alu instid0(VALU_DEP_1) | instskip(SKIP_2) | instid1(VALU_DEP_1)
	v_rcp_iflag_f32_e32 v1, v1
	s_waitcnt_depctr 0xfff
	v_mul_f32_e32 v1, 0x4f7ffffe, v1
	v_cvt_u32_f32_e32 v1, v1
	s_delay_alu instid0(VALU_DEP_1) | instskip(SKIP_1) | instid1(VALU_DEP_2)
	v_readfirstlane_b32 s1, v1
	v_mov_b32_e32 v1, v0
	s_mul_i32 s2, s2, s1
	s_delay_alu instid0(SALU_CYCLE_1) | instskip(NEXT) | instid1(SALU_CYCLE_1)
	s_mul_hi_u32 s2, s1, s2
	s_add_i32 s1, s1, s2
	s_delay_alu instid0(SALU_CYCLE_1) | instskip(NEXT) | instid1(SALU_CYCLE_1)
	s_mul_hi_u32 s1, s10, s1
	s_mul_i32 s1, s1, s0
	s_delay_alu instid0(SALU_CYCLE_1) | instskip(NEXT) | instid1(SALU_CYCLE_1)
	s_sub_i32 s1, s10, s1
	s_sub_i32 s2, s1, s0
	s_cmp_ge_u32 s1, s0
	s_cselect_b32 s1, s2, s1
	s_delay_alu instid0(SALU_CYCLE_1) | instskip(SKIP_2) | instid1(SALU_CYCLE_1)
	s_sub_i32 s2, s1, s0
	s_cmp_ge_u32 s1, s0
	s_cselect_b32 s0, s2, s1
	s_sub_i32 s5, s10, s0
	s_delay_alu instid0(SALU_CYCLE_1)
	v_cmpx_gt_i32_e64 s5, v0
	s_cbranch_execz .LBB347_61
; %bb.58:
	v_dual_mov_b32 v2, 0 :: v_dual_mov_b32 v1, v0
	s_lshl_b32 s7, s22, 1
	s_mul_i32 s8, s22, 3
	s_add_i32 s9, s22, s22
.LBB347_59:                             ; =>This Inner Loop Header: Depth=1
	s_delay_alu instid0(VALU_DEP_1) | instskip(SKIP_3) | instid1(VALU_DEP_4)
	v_lshlrev_b64 v[11:12], 2, v[1:2]
	v_dual_mov_b32 v4, v2 :: v_dual_add_nc_u32 v3, s22, v1
	v_dual_mov_b32 v6, v2 :: v_dual_add_nc_u32 v5, s7, v1
	;; [unrolled: 1-line block ×3, first 2 shown]
	v_add_co_u32 v19, vcc_lo, s20, v11
	s_delay_alu instid0(VALU_DEP_4)
	v_lshlrev_b64 v[13:14], 2, v[3:4]
	v_add_co_ci_u32_e32 v20, vcc_lo, s21, v12, vcc_lo
	v_lshlrev_b64 v[15:16], 2, v[5:6]
	v_lshlrev_b64 v[17:18], 2, v[7:8]
	global_load_b32 v25, v[19:20], off
	v_add_co_u32 v19, vcc_lo, s20, v13
	v_add_co_ci_u32_e32 v20, vcc_lo, s21, v14, vcc_lo
	v_add_co_u32 v21, vcc_lo, s20, v15
	v_add_co_ci_u32_e32 v22, vcc_lo, s21, v16, vcc_lo
	;; [unrolled: 2-line block ×3, first 2 shown]
	s_clause 0x2
	global_load_b32 v19, v[19:20], off
	global_load_b32 v20, v[21:22], off
	global_load_b32 v21, v[23:24], off
	v_add_co_u32 v11, vcc_lo, s12, v11
	v_add_co_ci_u32_e32 v12, vcc_lo, s13, v12, vcc_lo
	v_add_co_u32 v13, vcc_lo, s12, v13
	v_add_co_ci_u32_e32 v14, vcc_lo, s13, v14, vcc_lo
	;; [unrolled: 2-line block ×4, first 2 shown]
	s_clause 0x3
	global_load_b32 v22, v[11:12], off
	global_load_b32 v23, v[13:14], off
	;; [unrolled: 1-line block ×4, first 2 shown]
	v_lshlrev_b64 v[11:12], 1, v[1:2]
	v_lshlrev_b64 v[13:14], 1, v[3:4]
	;; [unrolled: 1-line block ×4, first 2 shown]
	v_add3_u32 v1, s9, s22, v3
	v_add_co_u32 v8, vcc_lo, s18, v11
	v_add_co_u32 v11, s0, s18, v13
	v_add_co_ci_u32_e32 v9, vcc_lo, s19, v12, vcc_lo
	v_add_co_ci_u32_e64 v12, s0, s19, v14, s0
	v_add_co_u32 v3, s0, s18, v4
	s_delay_alu instid0(VALU_DEP_1) | instskip(SKIP_1) | instid1(VALU_DEP_1)
	v_add_co_ci_u32_e64 v4, s0, s19, v5, s0
	v_add_co_u32 v5, s0, s18, v6
	v_add_co_ci_u32_e64 v6, s0, s19, v7, s0
	v_cmp_le_i32_e32 vcc_lo, s5, v1
	s_or_b32 s6, vcc_lo, s6
	s_waitcnt vmcnt(7)
	v_mul_f32_e32 v7, 0x3fb8aa3b, v25
	v_cmp_ngt_f32_e64 s0, 0xc2ce8ed0, v25
	v_cmp_nlt_f32_e64 s3, 0x42b17218, v25
	s_waitcnt vmcnt(5)
	v_dual_mul_f32 v17, 0x3fb8aa3b, v19 :: v_dual_mul_f32 v18, 0x3fb8aa3b, v20
	s_waitcnt vmcnt(4)
	v_mul_f32_e32 v24, 0x3fb8aa3b, v21
	v_fma_f32 v13, 0x3fb8aa3b, v25, -v7
	v_rndne_f32_e32 v14, v7
	v_fma_f32 v26, 0x3fb8aa3b, v19, -v17
	v_rndne_f32_e32 v27, v17
	v_fma_f32 v28, 0x3fb8aa3b, v20, -v18
	v_fmac_f32_e32 v13, 0x32a5705f, v25
	v_sub_f32_e32 v7, v7, v14
	v_rndne_f32_e32 v29, v18
	v_fma_f32 v30, 0x3fb8aa3b, v21, -v24
	v_fmac_f32_e32 v28, 0x32a5705f, v20
	v_rndne_f32_e32 v31, v24
	v_dual_fmac_f32 v26, 0x32a5705f, v19 :: v_dual_add_f32 v7, v7, v13
	v_dual_sub_f32 v13, v17, v27 :: v_dual_sub_f32 v18, v18, v29
	v_fmac_f32_e32 v30, 0x32a5705f, v21
	s_delay_alu instid0(VALU_DEP_4) | instskip(NEXT) | instid1(VALU_DEP_4)
	v_sub_f32_e32 v24, v24, v31
	v_exp_f32_e32 v7, v7
	s_delay_alu instid0(VALU_DEP_3) | instskip(SKIP_1) | instid1(VALU_DEP_3)
	v_dual_add_f32 v13, v13, v26 :: v_dual_add_f32 v18, v18, v28
	v_cvt_i32_f32_e32 v14, v14
	v_add_f32_e32 v24, v24, v30
	v_cvt_i32_f32_e32 v17, v27
	s_delay_alu instid0(VALU_DEP_4)
	v_exp_f32_e32 v13, v13
	v_exp_f32_e32 v18, v18
	v_cvt_i32_f32_e32 v27, v29
	v_exp_f32_e32 v24, v24
	v_cvt_i32_f32_e32 v29, v31
	v_ldexp_f32 v7, v7, v14
	v_cmp_ngt_f32_e64 s2, 0xc2ce8ed0, v21
	v_cmp_ngt_f32_e64 s1, 0xc2ce8ed0, v20
	s_delay_alu instid0(VALU_DEP_3) | instskip(NEXT) | instid1(TRANS32_DEP_3)
	v_cndmask_b32_e64 v7, 0, v7, s0
	v_ldexp_f32 v13, v13, v17
	v_cmp_ngt_f32_e64 s0, 0xc2ce8ed0, v19
	s_delay_alu instid0(TRANS32_DEP_1) | instskip(SKIP_2) | instid1(VALU_DEP_4)
	v_ldexp_f32 v17, v24, v29
	v_ldexp_f32 v14, v18, v27
	v_cndmask_b32_e64 v7, 0x7f800000, v7, s3
	v_cndmask_b32_e64 v13, 0, v13, s0
	s_delay_alu instid0(VALU_DEP_4)
	v_cndmask_b32_e64 v17, 0, v17, s2
	v_cmp_nlt_f32_e64 s2, 0x42b17218, v19
	v_cndmask_b32_e64 v14, 0, v14, s1
	v_cmp_nlt_f32_e64 s0, 0x42b17218, v20
	v_cmp_nlt_f32_e64 s1, 0x42b17218, v21
	s_waitcnt vmcnt(3) lgkmcnt(0)
	v_fma_f32 v7, -v10, v7, v22
	v_cndmask_b32_e64 v13, 0x7f800000, v13, s2
	v_cndmask_b32_e64 v14, 0x7f800000, v14, s0
	;; [unrolled: 1-line block ×3, first 2 shown]
	s_delay_alu instid0(VALU_DEP_4)
	v_bfe_u32 v18, v7, 16, 1
	s_waitcnt vmcnt(2)
	v_fma_f32 v13, -v10, v13, v23
	v_cmp_o_f32_e64 s0, v7, v7
	s_waitcnt vmcnt(1)
	v_fma_f32 v14, -v10, v14, v15
	s_waitcnt vmcnt(0)
	v_fma_f32 v15, -v10, v17, v16
	v_add3_u32 v16, v7, v18, 0x7fff
	v_bfe_u32 v17, v13, 16, 1
	v_cmp_o_f32_e64 s2, v13, v13
	v_bfe_u32 v18, v14, 16, 1
	v_bfe_u32 v19, v15, 16, 1
	v_lshrrev_b32_e32 v16, 16, v16
	v_add3_u32 v17, v13, v17, 0x7fff
	v_cmp_o_f32_e64 s1, v15, v15
	v_add3_u32 v18, v14, v18, 0x7fff
	v_add3_u32 v19, v15, v19, 0x7fff
	v_cndmask_b32_e64 v7, 0x7fc0, v16, s0
	v_lshrrev_b32_e32 v16, 16, v17
	v_cmp_o_f32_e64 s0, v14, v14
	v_lshrrev_b32_e32 v17, 16, v18
	v_lshrrev_b32_e32 v14, 16, v19
	s_delay_alu instid0(VALU_DEP_4) | instskip(NEXT) | instid1(VALU_DEP_3)
	v_cndmask_b32_e64 v13, 0x7fc0, v16, s2
	v_cndmask_b32_e64 v15, 0x7fc0, v17, s0
	s_delay_alu instid0(VALU_DEP_3)
	v_cndmask_b32_e64 v14, 0x7fc0, v14, s1
	s_clause 0x3
	global_store_b16 v[8:9], v7, off
	global_store_b16 v[11:12], v13, off
	;; [unrolled: 1-line block ×4, first 2 shown]
	s_and_not1_b32 exec_lo, exec_lo, s6
	s_cbranch_execnz .LBB347_59
; %bb.60:
	s_or_b32 exec_lo, exec_lo, s6
.LBB347_61:
	s_delay_alu instid0(SALU_CYCLE_1) | instskip(NEXT) | instid1(SALU_CYCLE_1)
	s_or_b32 exec_lo, exec_lo, s4
	s_mov_b32 s1, exec_lo
	v_cmpx_gt_i32_e64 s10, v1
	s_cbranch_execz .LBB347_64
; %bb.62:
	s_mov_b32 s2, 0
.LBB347_63:                             ; =>This Inner Loop Header: Depth=1
	v_ashrrev_i32_e32 v2, 31, v1
	s_delay_alu instid0(VALU_DEP_1) | instskip(NEXT) | instid1(VALU_DEP_1)
	v_lshlrev_b64 v[3:4], 2, v[1:2]
	v_add_co_u32 v5, vcc_lo, s20, v3
	s_delay_alu instid0(VALU_DEP_2)
	v_add_co_ci_u32_e32 v6, vcc_lo, s21, v4, vcc_lo
	v_add_co_u32 v3, vcc_lo, s12, v3
	v_add_co_ci_u32_e32 v4, vcc_lo, s13, v4, vcc_lo
	global_load_b32 v5, v[5:6], off
	global_load_b32 v3, v[3:4], off
	s_waitcnt vmcnt(1)
	v_mul_f32_e32 v4, 0x3fb8aa3b, v5
	v_cmp_ngt_f32_e32 vcc_lo, 0xc2ce8ed0, v5
	s_delay_alu instid0(VALU_DEP_2) | instskip(SKIP_1) | instid1(VALU_DEP_2)
	v_fma_f32 v6, 0x3fb8aa3b, v5, -v4
	v_rndne_f32_e32 v7, v4
	v_fmac_f32_e32 v6, 0x32a5705f, v5
	s_delay_alu instid0(VALU_DEP_2) | instskip(NEXT) | instid1(VALU_DEP_1)
	v_sub_f32_e32 v4, v4, v7
	v_add_f32_e32 v4, v4, v6
	v_cvt_i32_f32_e32 v6, v7
	s_delay_alu instid0(VALU_DEP_2) | instskip(SKIP_2) | instid1(VALU_DEP_1)
	v_exp_f32_e32 v4, v4
	s_waitcnt_depctr 0xfff
	v_ldexp_f32 v4, v4, v6
	v_cndmask_b32_e32 v4, 0, v4, vcc_lo
	v_cmp_nlt_f32_e32 vcc_lo, 0x42b17218, v5
	s_delay_alu instid0(VALU_DEP_2) | instskip(SKIP_1) | instid1(VALU_DEP_1)
	v_cndmask_b32_e32 v4, 0x7f800000, v4, vcc_lo
	s_waitcnt vmcnt(0) lgkmcnt(0)
	v_fma_f32 v4, -v10, v4, v3
	s_delay_alu instid0(VALU_DEP_1) | instskip(SKIP_1) | instid1(VALU_DEP_2)
	v_bfe_u32 v3, v4, 16, 1
	v_cmp_o_f32_e64 s0, v4, v4
	v_add3_u32 v5, v4, v3, 0x7fff
	v_lshlrev_b64 v[2:3], 1, v[1:2]
	v_add_nc_u32_e32 v1, s22, v1
	s_delay_alu instid0(VALU_DEP_3) | instskip(NEXT) | instid1(VALU_DEP_2)
	v_lshrrev_b32_e32 v5, 16, v5
	v_cmp_le_i32_e32 vcc_lo, s10, v1
	s_delay_alu instid0(VALU_DEP_2) | instskip(SKIP_1) | instid1(VALU_DEP_1)
	v_cndmask_b32_e64 v4, 0x7fc0, v5, s0
	v_add_co_u32 v2, s0, s18, v2
	v_add_co_ci_u32_e64 v3, s0, s19, v3, s0
	s_or_b32 s2, vcc_lo, s2
	global_store_b16 v[2:3], v4, off
	s_and_not1_b32 exec_lo, exec_lo, s2
	s_cbranch_execnz .LBB347_63
.LBB347_64:
	s_or_b32 exec_lo, exec_lo, s1
	s_mov_b32 s0, 0
.LBB347_65:
	s_delay_alu instid0(SALU_CYCLE_1)
	s_and_not1_b32 vcc_lo, exec_lo, s0
	s_cbranch_vccnz .LBB347_93
.LBB347_66:
	s_cmp_lg_u64 s[24:25], 0
	s_mov_b32 s1, -1
	s_cselect_b32 s33, -1, 0
	s_and_b32 vcc_lo, exec_lo, s14
	v_cndmask_b32_e64 v1, 0, 1, s33
	s_delay_alu instid0(VALU_DEP_1)
	v_cmp_ne_u32_e64 s0, 1, v1
	s_cbranch_vccz .LBB347_81
; %bb.67:
	v_mov_b32_e32 v1, 0
	s_delay_alu instid0(VALU_DEP_2)
	s_and_b32 vcc_lo, exec_lo, s0
	s_mov_b64 s[4:5], s[10:11]
	s_mov_b64 s[26:27], s[18:19]
	s_mov_b64 s[6:7], s[20:21]
	s_mov_b64 s[8:9], s[12:13]
	s_cbranch_vccnz .LBB347_71
; %bb.68:
	s_lshl_b32 s0, s24, 1
	s_mov_b32 s23, 0
	s_sub_u32 s0, s18, s0
	s_subb_u32 s1, s19, 0
	s_lshl_b32 s2, s24, 2
	s_mov_b32 s4, exec_lo
	s_sub_u32 s6, s20, s2
	s_subb_u32 s7, s21, 0
	s_sub_u32 s2, s12, s2
	s_subb_u32 s3, s13, 0
	v_cmpx_le_u64_e64 s[24:25], v[0:1]
	s_cbranch_execz .LBB347_70
; %bb.69:
	v_lshlrev_b64 v[2:3], 2, v[0:1]
	s_delay_alu instid0(VALU_DEP_1) | instskip(NEXT) | instid1(VALU_DEP_2)
	v_add_co_u32 v4, vcc_lo, s6, v2
	v_add_co_ci_u32_e32 v5, vcc_lo, s7, v3, vcc_lo
	v_add_co_u32 v2, vcc_lo, s2, v2
	v_add_co_ci_u32_e32 v3, vcc_lo, s3, v3, vcc_lo
	global_load_b32 v4, v[4:5], off
	global_load_b32 v2, v[2:3], off
	s_waitcnt vmcnt(1)
	v_mul_f32_e32 v3, 0x3fb8aa3b, v4
	v_cmp_ngt_f32_e32 vcc_lo, 0xc2ce8ed0, v4
	s_delay_alu instid0(VALU_DEP_2) | instskip(SKIP_1) | instid1(VALU_DEP_2)
	v_fma_f32 v5, 0x3fb8aa3b, v4, -v3
	v_rndne_f32_e32 v6, v3
	v_fmamk_f32 v5, v4, 0x32a5705f, v5
	s_delay_alu instid0(VALU_DEP_2) | instskip(NEXT) | instid1(VALU_DEP_1)
	v_sub_f32_e32 v3, v3, v6
	v_add_f32_e32 v3, v3, v5
	v_cvt_i32_f32_e32 v5, v6
	s_delay_alu instid0(VALU_DEP_2) | instskip(SKIP_2) | instid1(VALU_DEP_1)
	v_exp_f32_e32 v3, v3
	s_waitcnt_depctr 0xfff
	v_ldexp_f32 v3, v3, v5
	v_cndmask_b32_e32 v3, 0, v3, vcc_lo
	v_cmp_nlt_f32_e32 vcc_lo, 0x42b17218, v4
	s_delay_alu instid0(VALU_DEP_2) | instskip(SKIP_1) | instid1(VALU_DEP_1)
	v_cndmask_b32_e32 v3, 0x7f800000, v3, vcc_lo
	s_waitcnt vmcnt(0) lgkmcnt(0)
	v_fma_f32 v4, -v10, v3, v2
	s_delay_alu instid0(VALU_DEP_1) | instskip(SKIP_1) | instid1(VALU_DEP_2)
	v_bfe_u32 v2, v4, 16, 1
	v_cmp_o_f32_e32 vcc_lo, v4, v4
	v_add3_u32 v2, v4, v2, 0x7fff
	s_delay_alu instid0(VALU_DEP_1) | instskip(SKIP_1) | instid1(VALU_DEP_2)
	v_lshrrev_b32_e32 v5, 16, v2
	v_lshlrev_b64 v[2:3], 1, v[0:1]
	v_cndmask_b32_e32 v4, 0x7fc0, v5, vcc_lo
	s_delay_alu instid0(VALU_DEP_2) | instskip(NEXT) | instid1(VALU_DEP_3)
	v_add_co_u32 v2, vcc_lo, s0, v2
	v_add_co_ci_u32_e32 v3, vcc_lo, s1, v3, vcc_lo
	global_store_b16 v[2:3], v4, off
.LBB347_70:
	s_or_b32 exec_lo, exec_lo, s4
	s_add_u32 s4, s24, s10
	s_addc_u32 s5, 0, s11
	s_delay_alu instid0(SALU_CYCLE_1) | instskip(NEXT) | instid1(VALU_DEP_1)
	v_cmp_lt_i64_e64 s8, s[4:5], s[22:23]
	s_and_b32 s8, s8, exec_lo
	s_cselect_b32 s8, s4, s22
	s_cselect_b32 s9, s5, 0
	s_sub_u32 s4, s4, s8
	s_subb_u32 s5, s5, s9
	s_lshl_b32 s8, s22, 1
	s_delay_alu instid0(SALU_CYCLE_1) | instskip(SKIP_2) | instid1(SALU_CYCLE_1)
	s_add_u32 s26, s0, s8
	s_addc_u32 s27, s1, 0
	s_lshl_b32 s0, s22, 2
	s_add_u32 s6, s6, s0
	s_addc_u32 s7, s7, 0
	s_add_u32 s8, s2, s0
	s_addc_u32 s9, s3, 0
.LBB347_71:
	s_load_b32 s0, s[16:17], 0x0
	v_mov_b32_e32 v2, 0
	s_mov_b32 s2, 0
	s_mov_b32 s3, s5
	s_waitcnt lgkmcnt(0)
	s_cmp_lt_u32 s15, s0
	s_cselect_b32 s0, 12, 18
	s_delay_alu instid0(SALU_CYCLE_1) | instskip(SKIP_4) | instid1(VALU_DEP_1)
	s_add_u32 s0, s16, s0
	s_addc_u32 s1, s17, 0
	global_load_u16 v2, v2, s[0:1]
	s_waitcnt vmcnt(0)
	v_readfirstlane_b32 s0, v2
	s_and_b32 s11, s0, 0xffff
	s_delay_alu instid0(SALU_CYCLE_1)
	s_lshl_b32 s14, s11, 2
	s_cmp_lg_u64 s[2:3], 0
	s_cbranch_scc0 .LBB347_94
; %bb.72:
	v_cvt_f32_ubyte0_e32 v2, 0
	v_cvt_f32_u32_e32 v3, s14
	s_sub_u32 s3, 0, s14
	s_subb_u32 s23, 0, 0
	s_delay_alu instid0(VALU_DEP_1) | instskip(NEXT) | instid1(VALU_DEP_1)
	v_fmamk_f32 v2, v2, 0x4f800000, v3
	v_rcp_f32_e32 v2, v2
	s_waitcnt_depctr 0xfff
	v_mul_f32_e32 v2, 0x5f7ffffc, v2
	s_delay_alu instid0(VALU_DEP_1) | instskip(NEXT) | instid1(VALU_DEP_1)
	v_mul_f32_e32 v3, 0x2f800000, v2
	v_trunc_f32_e32 v3, v3
	s_delay_alu instid0(VALU_DEP_1) | instskip(SKIP_1) | instid1(VALU_DEP_2)
	v_fmamk_f32 v2, v3, 0xcf800000, v2
	v_cvt_u32_f32_e32 v3, v3
	v_cvt_u32_f32_e32 v2, v2
	s_delay_alu instid0(VALU_DEP_2) | instskip(NEXT) | instid1(VALU_DEP_2)
	v_readfirstlane_b32 s0, v3
	v_readfirstlane_b32 s1, v2
	s_delay_alu instid0(VALU_DEP_2) | instskip(NEXT) | instid1(VALU_DEP_1)
	s_mul_i32 s25, s3, s0
	s_mul_hi_u32 s29, s3, s1
	s_mul_i32 s28, s23, s1
	s_add_i32 s25, s29, s25
	s_mul_i32 s30, s3, s1
	s_add_i32 s25, s25, s28
	s_mul_hi_u32 s29, s1, s30
	s_mul_hi_u32 s31, s0, s30
	s_mul_i32 s28, s0, s30
	s_mul_hi_u32 s30, s1, s25
	s_mul_i32 s1, s1, s25
	s_mul_hi_u32 s34, s0, s25
	s_add_u32 s1, s29, s1
	s_addc_u32 s29, 0, s30
	s_add_u32 s1, s1, s28
	s_mul_i32 s25, s0, s25
	s_addc_u32 s1, s29, s31
	s_addc_u32 s28, s34, 0
	s_add_u32 s1, s1, s25
	s_addc_u32 s25, 0, s28
	v_add_co_u32 v2, s1, v2, s1
	s_delay_alu instid0(VALU_DEP_1) | instskip(SKIP_1) | instid1(VALU_DEP_1)
	s_cmp_lg_u32 s1, 0
	s_addc_u32 s0, s0, s25
	v_readfirstlane_b32 s1, v2
	s_mul_i32 s25, s3, s0
	s_delay_alu instid0(VALU_DEP_1)
	s_mul_hi_u32 s28, s3, s1
	s_mul_i32 s23, s23, s1
	s_add_i32 s25, s28, s25
	s_mul_i32 s3, s3, s1
	s_add_i32 s25, s25, s23
	s_mul_hi_u32 s28, s0, s3
	s_mul_i32 s29, s0, s3
	s_mul_hi_u32 s3, s1, s3
	s_mul_hi_u32 s30, s1, s25
	s_mul_i32 s1, s1, s25
	s_mul_hi_u32 s23, s0, s25
	s_add_u32 s1, s3, s1
	s_addc_u32 s3, 0, s30
	s_add_u32 s1, s1, s29
	s_mul_i32 s25, s0, s25
	s_addc_u32 s1, s3, s28
	s_addc_u32 s3, s23, 0
	s_add_u32 s1, s1, s25
	s_addc_u32 s3, 0, s3
	v_add_co_u32 v2, s1, v2, s1
	s_delay_alu instid0(VALU_DEP_1) | instskip(SKIP_2) | instid1(VALU_DEP_1)
	s_cmp_lg_u32 s1, 0
	s_addc_u32 s3, s0, s3
	s_ashr_i32 s28, s5, 31
	v_readfirstlane_b32 s23, v2
	s_add_u32 s0, s4, s28
	s_mov_b32 s29, s28
	s_addc_u32 s1, s5, s28
	s_delay_alu instid0(SALU_CYCLE_1) | instskip(NEXT) | instid1(SALU_CYCLE_1)
	s_xor_b64 s[0:1], s[0:1], s[28:29]
	s_mul_i32 s29, s0, s3
	s_mul_hi_u32 s30, s0, s23
	s_mul_hi_u32 s25, s0, s3
	;; [unrolled: 1-line block ×3, first 2 shown]
	s_mul_i32 s23, s1, s23
	s_add_u32 s29, s30, s29
	s_addc_u32 s25, 0, s25
	s_mul_hi_u32 s31, s1, s3
	s_add_u32 s23, s29, s23
	s_mul_i32 s3, s1, s3
	s_addc_u32 s23, s25, s34
	s_addc_u32 s25, s31, 0
	s_add_u32 s3, s23, s3
	s_addc_u32 s23, 0, s25
	s_mul_hi_u32 s25, s14, s3
	s_mul_i32 s3, s14, s3
	s_mul_i32 s23, s14, s23
	v_sub_co_u32 v2, s0, s0, s3
	s_add_i32 s25, s25, s23
	s_cmp_lg_u32 s0, 0
	s_delay_alu instid0(VALU_DEP_1) | instskip(SKIP_2) | instid1(VALU_DEP_1)
	v_sub_co_u32 v3, s0, v2, s14
	s_subb_u32 s1, s1, s25
	s_cmp_lg_u32 s0, 0
	v_cmp_le_u32_e32 vcc_lo, s14, v3
	v_sub_co_u32 v4, s0, v3, s14
	s_subb_u32 s3, s1, 0
	s_cmp_lg_u32 s0, 0
	v_cndmask_b32_e64 v5, 0, -1, vcc_lo
	s_subb_u32 s0, s3, 0
	s_cmp_eq_u32 s3, 0
	v_mov_b32_e32 v7, s0
	s_cselect_b32 vcc_lo, -1, 0
	s_cmp_eq_u32 s1, 0
	v_cndmask_b32_e32 v5, -1, v5, vcc_lo
	v_cmp_le_u32_e32 vcc_lo, s14, v2
	s_cselect_b32 s0, -1, 0
	v_cndmask_b32_e64 v6, 0, -1, vcc_lo
	s_delay_alu instid0(VALU_DEP_3) | instskip(NEXT) | instid1(VALU_DEP_2)
	v_cmp_ne_u32_e32 vcc_lo, 0, v5
	v_cndmask_b32_e64 v5, -1, v6, s0
	v_cndmask_b32_e32 v6, s3, v7, vcc_lo
	v_cndmask_b32_e32 v3, v3, v4, vcc_lo
	s_delay_alu instid0(VALU_DEP_3) | instskip(NEXT) | instid1(VALU_DEP_2)
	v_cmp_ne_u32_e32 vcc_lo, 0, v5
	v_cndmask_b32_e32 v2, v2, v3, vcc_lo
	s_delay_alu instid0(VALU_DEP_4) | instskip(NEXT) | instid1(VALU_DEP_2)
	v_cndmask_b32_e32 v4, s1, v6, vcc_lo
	v_xor_b32_e32 v2, s28, v2
	s_delay_alu instid0(VALU_DEP_2) | instskip(NEXT) | instid1(VALU_DEP_2)
	v_xor_b32_e32 v3, s28, v4
	v_sub_co_u32 v2, vcc_lo, v2, s28
	s_delay_alu instid0(VALU_DEP_2)
	v_subrev_co_ci_u32_e32 v3, vcc_lo, s28, v3, vcc_lo
	s_and_not1_b32 vcc_lo, exec_lo, s2
	s_cbranch_vccnz .LBB347_74
.LBB347_73:
	v_cvt_f32_u32_e32 v2, s14
	s_sub_i32 s0, 0, s14
	s_delay_alu instid0(VALU_DEP_1) | instskip(SKIP_2) | instid1(VALU_DEP_1)
	v_rcp_iflag_f32_e32 v2, v2
	s_waitcnt_depctr 0xfff
	v_mul_f32_e32 v2, 0x4f7ffffe, v2
	v_cvt_u32_f32_e32 v2, v2
	s_delay_alu instid0(VALU_DEP_1) | instskip(NEXT) | instid1(VALU_DEP_1)
	v_mul_lo_u32 v3, s0, v2
	v_mul_hi_u32 v3, v2, v3
	s_delay_alu instid0(VALU_DEP_1) | instskip(NEXT) | instid1(VALU_DEP_1)
	v_add_nc_u32_e32 v2, v2, v3
	v_mul_hi_u32 v2, s4, v2
	s_delay_alu instid0(VALU_DEP_1) | instskip(NEXT) | instid1(VALU_DEP_1)
	v_mul_lo_u32 v2, v2, s14
	v_sub_nc_u32_e32 v2, s4, v2
	s_delay_alu instid0(VALU_DEP_1) | instskip(SKIP_1) | instid1(VALU_DEP_2)
	v_subrev_nc_u32_e32 v3, s14, v2
	v_cmp_le_u32_e32 vcc_lo, s14, v2
	v_cndmask_b32_e32 v2, v2, v3, vcc_lo
	s_delay_alu instid0(VALU_DEP_1) | instskip(SKIP_1) | instid1(VALU_DEP_2)
	v_subrev_nc_u32_e32 v3, s14, v2
	v_cmp_le_u32_e32 vcc_lo, s14, v2
	v_dual_cndmask_b32 v2, v2, v3 :: v_dual_mov_b32 v3, 0
.LBB347_74:
	s_delay_alu instid0(VALU_DEP_1) | instskip(SKIP_1) | instid1(VALU_DEP_3)
	v_sub_co_u32 v2, vcc_lo, s4, v2
	v_lshlrev_b64 v[4:5], 2, v[0:1]
	v_sub_co_ci_u32_e32 v3, vcc_lo, s5, v3, vcc_lo
	s_mov_b32 s23, exec_lo
	s_delay_alu instid0(VALU_DEP_1)
	v_cmpx_lt_i64_e64 v[4:5], v[2:3]
	s_cbranch_execz .LBB347_77
; %bb.75:
	v_lshlrev_b64 v[4:5], 3, v[0:1]
	v_lshlrev_b64 v[6:7], 4, v[0:1]
	v_dual_mov_b32 v9, v1 :: v_dual_mov_b32 v8, v0
	s_lshl_b32 s25, s11, 3
	s_mov_b32 s34, 0
	s_delay_alu instid0(VALU_DEP_3)
	v_add_co_u32 v4, vcc_lo, s26, v4
	v_add_co_ci_u32_e32 v5, vcc_lo, s27, v5, vcc_lo
	s_lshl_b32 s35, s11, 4
	s_mov_b64 s[28:29], s[8:9]
	s_mov_b64 s[30:31], s[6:7]
.LBB347_76:                             ; =>This Inner Loop Header: Depth=1
	s_delay_alu instid0(SALU_CYCLE_1)
	v_add_co_u32 v11, vcc_lo, s30, v6
	v_add_co_ci_u32_e32 v12, vcc_lo, s31, v7, vcc_lo
	v_add_co_u32 v15, vcc_lo, s28, v6
	v_add_co_ci_u32_e32 v16, vcc_lo, s29, v7, vcc_lo
	global_load_b128 v[11:14], v[11:12], off
	v_add_co_u32 v8, vcc_lo, v8, s11
	global_load_b128 v[15:18], v[15:16], off
	v_add_co_ci_u32_e32 v9, vcc_lo, 0, v9, vcc_lo
	s_add_u32 s30, s30, s35
	s_addc_u32 s31, s31, 0
	s_add_u32 s28, s28, s35
	s_delay_alu instid0(VALU_DEP_1) | instskip(SKIP_1) | instid1(VALU_DEP_1)
	v_lshlrev_b64 v[19:20], 2, v[8:9]
	s_addc_u32 s29, s29, 0
	v_cmp_ge_i64_e32 vcc_lo, v[19:20], v[2:3]
	s_or_b32 s34, vcc_lo, s34
	s_waitcnt vmcnt(1)
	v_dual_mul_f32 v1, 0x3fb8aa3b, v11 :: v_dual_mul_f32 v20, 0x3fb8aa3b, v13
	v_mul_f32_e32 v21, 0x3fb8aa3b, v14
	v_cmp_ngt_f32_e64 s0, 0xc2ce8ed0, v12
	v_cmp_ngt_f32_e64 s3, 0xc2ce8ed0, v11
	s_delay_alu instid0(VALU_DEP_4)
	v_fma_f32 v22, 0x3fb8aa3b, v11, -v1
	v_rndne_f32_e32 v27, v20
	v_mul_f32_e32 v19, 0x3fb8aa3b, v12
	v_rndne_f32_e32 v23, v1
	v_fma_f32 v26, 0x3fb8aa3b, v13, -v20
	v_fma_f32 v28, 0x3fb8aa3b, v14, -v21
	v_sub_f32_e32 v20, v20, v27
	v_fma_f32 v24, 0x3fb8aa3b, v12, -v19
	v_rndne_f32_e32 v25, v19
	v_rndne_f32_e32 v29, v21
	v_fmac_f32_e32 v22, 0x32a5705f, v11
	s_delay_alu instid0(VALU_DEP_4) | instskip(NEXT) | instid1(VALU_DEP_4)
	v_dual_sub_f32 v1, v1, v23 :: v_dual_fmac_f32 v24, 0x32a5705f, v12
	v_sub_f32_e32 v19, v19, v25
	v_fmac_f32_e32 v26, 0x32a5705f, v13
	v_dual_fmac_f32 v28, 0x32a5705f, v14 :: v_dual_sub_f32 v21, v21, v29
	s_delay_alu instid0(VALU_DEP_4) | instskip(NEXT) | instid1(VALU_DEP_3)
	v_add_f32_e32 v1, v1, v22
	v_dual_add_f32 v19, v19, v24 :: v_dual_add_f32 v20, v20, v26
	v_cvt_i32_f32_e32 v23, v23
	s_delay_alu instid0(VALU_DEP_4) | instskip(NEXT) | instid1(VALU_DEP_4)
	v_add_f32_e32 v21, v21, v28
	v_exp_f32_e32 v1, v1
	s_delay_alu instid0(VALU_DEP_3)
	v_exp_f32_e32 v19, v19
	v_cvt_i32_f32_e32 v25, v25
	v_exp_f32_e32 v20, v20
	v_exp_f32_e32 v21, v21
	v_cvt_i32_f32_e32 v27, v27
	v_cvt_i32_f32_e32 v29, v29
	v_cmp_ngt_f32_e64 s1, 0xc2ce8ed0, v13
	v_cmp_ngt_f32_e64 s2, 0xc2ce8ed0, v14
	v_ldexp_f32 v1, v1, v23
	s_delay_alu instid0(TRANS32_DEP_3) | instskip(NEXT) | instid1(TRANS32_DEP_2)
	v_ldexp_f32 v19, v19, v25
	v_ldexp_f32 v20, v20, v27
	s_delay_alu instid0(TRANS32_DEP_1) | instskip(NEXT) | instid1(VALU_DEP_4)
	v_ldexp_f32 v21, v21, v29
	v_cndmask_b32_e64 v1, 0, v1, s3
	s_delay_alu instid0(VALU_DEP_4)
	v_cndmask_b32_e64 v19, 0, v19, s0
	v_cmp_nlt_f32_e64 s0, 0x42b17218, v12
	v_cmp_nlt_f32_e64 s3, 0x42b17218, v11
	v_cndmask_b32_e64 v12, 0, v20, s1
	v_cmp_nlt_f32_e64 s1, 0x42b17218, v13
	v_cndmask_b32_e64 v13, 0, v21, s2
	;; [unrolled: 2-line block ×3, first 2 shown]
	v_cndmask_b32_e64 v11, 0x7f800000, v19, s0
	v_cndmask_b32_e64 v12, 0x7f800000, v12, s1
	s_delay_alu instid0(VALU_DEP_4)
	v_cndmask_b32_e64 v13, 0x7f800000, v13, s2
	s_waitcnt vmcnt(0)
	v_fma_f32 v1, -v10, v1, v15
	v_fma_f32 v11, -v10, v11, v16
	v_fma_f32 v12, -v10, v12, v17
	v_fma_f32 v13, -v10, v13, v18
	s_delay_alu instid0(VALU_DEP_4) | instskip(NEXT) | instid1(VALU_DEP_4)
	v_bfe_u32 v14, v1, 16, 1
	v_bfe_u32 v15, v11, 16, 1
	s_delay_alu instid0(VALU_DEP_4)
	v_bfe_u32 v16, v12, 16, 1
	v_cmp_o_f32_e64 s2, v1, v1
	v_bfe_u32 v17, v13, 16, 1
	v_add3_u32 v14, v1, v14, 0x7fff
	v_add3_u32 v15, v11, v15, 0x7fff
	;; [unrolled: 1-line block ×3, first 2 shown]
	v_cmp_o_f32_e64 s3, v11, v11
	v_add3_u32 v17, v13, v17, 0x7fff
	v_lshrrev_b32_e32 v14, 16, v14
	v_and_b32_e32 v15, 0xffff0000, v15
	v_lshrrev_b32_e32 v16, 16, v16
	v_cmp_o_f32_e64 s0, v13, v13
	v_and_b32_e32 v17, 0xffff0000, v17
	v_cmp_o_f32_e64 s1, v12, v12
	v_cndmask_b32_e64 v1, 0x7fc00000, v15, s3
	v_cndmask_b32_e64 v11, 0x7fc0, v14, s2
	s_delay_alu instid0(VALU_DEP_4) | instskip(NEXT) | instid1(VALU_DEP_4)
	v_cndmask_b32_e64 v12, 0x7fc00000, v17, s0
	v_cndmask_b32_e64 v13, 0x7fc0, v16, s1
	s_delay_alu instid0(VALU_DEP_3) | instskip(NEXT) | instid1(VALU_DEP_2)
	v_or_b32_e32 v1, v1, v11
	v_or3_b32 v12, 0, v13, v12
	s_delay_alu instid0(VALU_DEP_2) | instskip(SKIP_2) | instid1(VALU_DEP_1)
	v_or3_b32 v11, v1, 0, 0
	global_store_b64 v[4:5], v[11:12], off
	v_add_co_u32 v4, s0, v4, s25
	v_add_co_ci_u32_e64 v5, s0, 0, v5, s0
	s_and_not1_b32 exec_lo, exec_lo, s34
	s_cbranch_execnz .LBB347_76
.LBB347_77:
	s_or_b32 exec_lo, exec_lo, s23
	v_add_co_u32 v1, vcc_lo, v2, v0
	v_add_co_ci_u32_e32 v2, vcc_lo, 0, v3, vcc_lo
	s_mov_b32 s1, exec_lo
	s_delay_alu instid0(VALU_DEP_1)
	v_cmpx_gt_i64_e64 s[4:5], v[1:2]
	s_cbranch_execz .LBB347_80
; %bb.78:
	v_lshlrev_b64 v[5:6], 1, v[1:2]
	v_lshlrev_b64 v[3:4], 2, v[1:2]
	s_lshl_b32 s2, s11, 1
	s_mov_b32 s3, 0
	s_delay_alu instid0(VALU_DEP_2) | instskip(NEXT) | instid1(VALU_DEP_3)
	v_add_co_u32 v5, vcc_lo, s26, v5
	v_add_co_ci_u32_e32 v6, vcc_lo, s27, v6, vcc_lo
.LBB347_79:                             ; =>This Inner Loop Header: Depth=1
	s_delay_alu instid0(VALU_DEP_3)
	v_add_co_u32 v7, vcc_lo, s6, v3
	v_add_co_ci_u32_e32 v8, vcc_lo, s7, v4, vcc_lo
	global_load_b32 v9, v[7:8], off
	v_add_co_u32 v7, vcc_lo, s8, v3
	v_add_co_ci_u32_e32 v8, vcc_lo, s9, v4, vcc_lo
	v_add_co_u32 v1, vcc_lo, v1, s11
	v_add_co_ci_u32_e32 v2, vcc_lo, 0, v2, vcc_lo
	global_load_b32 v7, v[7:8], off
	v_add_co_u32 v3, vcc_lo, v3, s14
	v_add_co_ci_u32_e32 v4, vcc_lo, 0, v4, vcc_lo
	v_cmp_le_i64_e32 vcc_lo, s[4:5], v[1:2]
	s_or_b32 s3, vcc_lo, s3
	s_waitcnt vmcnt(1)
	v_mul_f32_e32 v8, 0x3fb8aa3b, v9
	v_cmp_ngt_f32_e64 s0, 0xc2ce8ed0, v9
	s_delay_alu instid0(VALU_DEP_2) | instskip(SKIP_1) | instid1(VALU_DEP_1)
	v_fma_f32 v11, 0x3fb8aa3b, v9, -v8
	v_rndne_f32_e32 v12, v8
	v_dual_fmac_f32 v11, 0x32a5705f, v9 :: v_dual_sub_f32 v8, v8, v12
	s_delay_alu instid0(VALU_DEP_1) | instskip(SKIP_1) | instid1(VALU_DEP_2)
	v_add_f32_e32 v8, v8, v11
	v_cvt_i32_f32_e32 v11, v12
	v_exp_f32_e32 v8, v8
	s_waitcnt_depctr 0xfff
	v_ldexp_f32 v8, v8, v11
	s_delay_alu instid0(VALU_DEP_1) | instskip(SKIP_1) | instid1(VALU_DEP_1)
	v_cndmask_b32_e64 v8, 0, v8, s0
	v_cmp_nlt_f32_e64 s0, 0x42b17218, v9
	v_cndmask_b32_e64 v8, 0x7f800000, v8, s0
	s_waitcnt vmcnt(0)
	s_delay_alu instid0(VALU_DEP_1) | instskip(NEXT) | instid1(VALU_DEP_1)
	v_fma_f32 v7, -v10, v8, v7
	v_bfe_u32 v8, v7, 16, 1
	v_cmp_o_f32_e64 s0, v7, v7
	s_delay_alu instid0(VALU_DEP_2) | instskip(NEXT) | instid1(VALU_DEP_1)
	v_add3_u32 v8, v7, v8, 0x7fff
	v_lshrrev_b32_e32 v8, 16, v8
	s_delay_alu instid0(VALU_DEP_1) | instskip(SKIP_2) | instid1(VALU_DEP_1)
	v_cndmask_b32_e64 v7, 0x7fc0, v8, s0
	global_store_b16 v[5:6], v7, off
	v_add_co_u32 v5, s0, v5, s2
	v_add_co_ci_u32_e64 v6, s0, 0, v6, s0
	s_and_not1_b32 exec_lo, exec_lo, s3
	s_cbranch_execnz .LBB347_79
.LBB347_80:
	s_or_b32 exec_lo, exec_lo, s1
	s_mov_b32 s1, 0
.LBB347_81:
	s_delay_alu instid0(SALU_CYCLE_1)
	s_and_b32 vcc_lo, exec_lo, s1
	s_cbranch_vccz .LBB347_93
; %bb.82:
	s_and_not1_b32 vcc_lo, exec_lo, s33
	s_cbranch_vccnz .LBB347_86
; %bb.83:
	s_lshl_b32 s0, s24, 1
	s_mov_b32 s6, exec_lo
	s_sub_u32 s3, s18, s0
	s_subb_u32 s4, s19, 0
	s_lshl_b32 s1, s24, 2
	s_delay_alu instid0(SALU_CYCLE_1)
	s_sub_u32 s0, s20, s1
	s_subb_u32 s5, s21, 0
	s_sub_u32 s1, s12, s1
	s_subb_u32 s2, s13, 0
	v_cmpx_le_u32_e64 s24, v0
	s_cbranch_execz .LBB347_85
; %bb.84:
	v_mov_b32_e32 v1, 0
	s_delay_alu instid0(VALU_DEP_1) | instskip(NEXT) | instid1(VALU_DEP_1)
	v_lshlrev_b64 v[2:3], 2, v[0:1]
	v_add_co_u32 v4, vcc_lo, s0, v2
	s_delay_alu instid0(VALU_DEP_2)
	v_add_co_ci_u32_e32 v5, vcc_lo, s5, v3, vcc_lo
	v_add_co_u32 v2, vcc_lo, s1, v2
	v_add_co_ci_u32_e32 v3, vcc_lo, s2, v3, vcc_lo
	global_load_b32 v4, v[4:5], off
	global_load_b32 v2, v[2:3], off
	s_waitcnt vmcnt(1)
	v_mul_f32_e32 v3, 0x3fb8aa3b, v4
	v_cmp_ngt_f32_e32 vcc_lo, 0xc2ce8ed0, v4
	s_delay_alu instid0(VALU_DEP_2) | instskip(SKIP_1) | instid1(VALU_DEP_2)
	v_fma_f32 v5, 0x3fb8aa3b, v4, -v3
	v_rndne_f32_e32 v6, v3
	v_fmamk_f32 v5, v4, 0x32a5705f, v5
	s_delay_alu instid0(VALU_DEP_2) | instskip(NEXT) | instid1(VALU_DEP_1)
	v_sub_f32_e32 v3, v3, v6
	v_add_f32_e32 v3, v3, v5
	v_cvt_i32_f32_e32 v5, v6
	s_delay_alu instid0(VALU_DEP_2) | instskip(SKIP_2) | instid1(VALU_DEP_1)
	v_exp_f32_e32 v3, v3
	s_waitcnt_depctr 0xfff
	v_ldexp_f32 v3, v3, v5
	v_cndmask_b32_e32 v3, 0, v3, vcc_lo
	v_cmp_nlt_f32_e32 vcc_lo, 0x42b17218, v4
	s_delay_alu instid0(VALU_DEP_2) | instskip(SKIP_1) | instid1(VALU_DEP_1)
	v_cndmask_b32_e32 v3, 0x7f800000, v3, vcc_lo
	s_waitcnt vmcnt(0) lgkmcnt(0)
	v_fma_f32 v3, -v10, v3, v2
	s_delay_alu instid0(VALU_DEP_1) | instskip(SKIP_1) | instid1(VALU_DEP_2)
	v_bfe_u32 v2, v3, 16, 1
	v_cmp_o_f32_e32 vcc_lo, v3, v3
	v_add3_u32 v2, v3, v2, 0x7fff
	s_delay_alu instid0(VALU_DEP_1) | instskip(SKIP_1) | instid1(VALU_DEP_2)
	v_lshrrev_b32_e32 v4, 16, v2
	v_lshlrev_b64 v[1:2], 1, v[0:1]
	v_cndmask_b32_e32 v3, 0x7fc0, v4, vcc_lo
	s_delay_alu instid0(VALU_DEP_2) | instskip(NEXT) | instid1(VALU_DEP_3)
	v_add_co_u32 v1, vcc_lo, s3, v1
	v_add_co_ci_u32_e32 v2, vcc_lo, s4, v2, vcc_lo
	global_store_b16 v[1:2], v3, off
.LBB347_85:
	s_or_b32 exec_lo, exec_lo, s6
	s_add_i32 s6, s24, s10
	s_lshl_b32 s7, s22, 1
	v_sub_nc_u32_e64 v1, s6, s22 clamp
	s_add_u32 s18, s3, s7
	s_addc_u32 s19, s4, 0
	s_lshl_b32 s3, s22, 2
	s_delay_alu instid0(SALU_CYCLE_1)
	s_add_u32 s20, s0, s3
	v_readfirstlane_b32 s10, v1
	s_addc_u32 s21, s5, 0
	s_add_u32 s12, s1, s3
	s_addc_u32 s13, s2, 0
.LBB347_86:
	s_load_b32 s0, s[16:17], 0x0
	v_mov_b32_e32 v1, 0
	s_waitcnt lgkmcnt(0)
	s_cmp_lt_u32 s15, s0
	s_cselect_b32 s0, 12, 18
	s_delay_alu instid0(SALU_CYCLE_1) | instskip(SKIP_4) | instid1(VALU_DEP_1)
	s_add_u32 s0, s16, s0
	s_addc_u32 s1, s17, 0
	global_load_u16 v3, v1, s[0:1]
	s_waitcnt vmcnt(0)
	v_readfirstlane_b32 s0, v3
	s_lshl_b32 s0, s0, 2
	s_delay_alu instid0(SALU_CYCLE_1) | instskip(SKIP_1) | instid1(VALU_DEP_1)
	v_cvt_f32_u32_e32 v1, s0
	s_sub_i32 s2, 0, s0
	v_rcp_iflag_f32_e32 v1, v1
	s_waitcnt_depctr 0xfff
	v_mul_f32_e32 v1, 0x4f7ffffe, v1
	s_delay_alu instid0(VALU_DEP_1) | instskip(NEXT) | instid1(VALU_DEP_1)
	v_cvt_u32_f32_e32 v1, v1
	v_readfirstlane_b32 s1, v1
	v_lshlrev_b32_e32 v1, 2, v0
	s_delay_alu instid0(VALU_DEP_2) | instskip(NEXT) | instid1(SALU_CYCLE_1)
	s_mul_i32 s2, s2, s1
	s_mul_hi_u32 s2, s1, s2
	s_delay_alu instid0(SALU_CYCLE_1) | instskip(NEXT) | instid1(SALU_CYCLE_1)
	s_add_i32 s1, s1, s2
	s_mul_hi_u32 s1, s10, s1
	s_delay_alu instid0(SALU_CYCLE_1) | instskip(NEXT) | instid1(SALU_CYCLE_1)
	s_mul_i32 s1, s1, s0
	s_sub_i32 s1, s10, s1
	s_delay_alu instid0(SALU_CYCLE_1) | instskip(SKIP_2) | instid1(SALU_CYCLE_1)
	s_sub_i32 s2, s1, s0
	s_cmp_ge_u32 s1, s0
	s_cselect_b32 s1, s2, s1
	s_sub_i32 s2, s1, s0
	s_cmp_ge_u32 s1, s0
	s_cselect_b32 s0, s2, s1
	s_mov_b32 s2, 0
	s_sub_i32 s0, s10, s0
	s_mov_b32 s1, exec_lo
	v_cmpx_gt_i32_e64 s0, v1
	s_cbranch_execz .LBB347_89
; %bb.87:
	v_mov_b32_e32 v1, v0
.LBB347_88:                             ; =>This Inner Loop Header: Depth=1
	s_delay_alu instid0(VALU_DEP_1) | instskip(NEXT) | instid1(VALU_DEP_1)
	v_ashrrev_i32_e32 v2, 31, v1
	v_lshlrev_b64 v[8:9], 4, v[1:2]
	s_delay_alu instid0(VALU_DEP_1) | instskip(NEXT) | instid1(VALU_DEP_2)
	v_add_co_u32 v4, vcc_lo, s20, v8
	v_add_co_ci_u32_e32 v5, vcc_lo, s21, v9, vcc_lo
	v_add_co_u32 v8, vcc_lo, s12, v8
	v_add_co_ci_u32_e32 v9, vcc_lo, s13, v9, vcc_lo
	global_load_b128 v[4:7], v[4:5], off
	global_load_b128 v[11:14], v[8:9], off
	s_waitcnt vmcnt(1)
	v_dual_mul_f32 v8, 0x3fb8aa3b, v4 :: v_dual_mul_f32 v9, 0x3fb8aa3b, v5
	v_dual_mul_f32 v15, 0x3fb8aa3b, v6 :: v_dual_mul_f32 v16, 0x3fb8aa3b, v7
	v_cmp_ngt_f32_e32 vcc_lo, 0xc2ce8ed0, v4
	s_delay_alu instid0(VALU_DEP_3) | instskip(SKIP_4) | instid1(VALU_DEP_4)
	v_fma_f32 v17, 0x3fb8aa3b, v4, -v8
	v_rndne_f32_e32 v18, v8
	v_rndne_f32_e32 v20, v9
	v_fma_f32 v19, 0x3fb8aa3b, v5, -v9
	v_fma_f32 v21, 0x3fb8aa3b, v6, -v15
	v_dual_fmac_f32 v17, 0x32a5705f, v4 :: v_dual_sub_f32 v8, v8, v18
	s_delay_alu instid0(VALU_DEP_4)
	v_sub_f32_e32 v9, v9, v20
	v_rndne_f32_e32 v22, v15
	v_fma_f32 v23, 0x3fb8aa3b, v7, -v16
	v_rndne_f32_e32 v24, v16
	v_add_f32_e32 v8, v8, v17
	v_cvt_i32_f32_e32 v17, v18
	v_fmac_f32_e32 v19, 0x32a5705f, v5
	s_delay_alu instid0(VALU_DEP_4) | instskip(NEXT) | instid1(VALU_DEP_4)
	v_dual_fmac_f32 v23, 0x32a5705f, v7 :: v_dual_sub_f32 v16, v16, v24
	v_exp_f32_e32 v8, v8
	v_fmac_f32_e32 v21, 0x32a5705f, v6
	v_cvt_i32_f32_e32 v18, v20
	v_cvt_i32_f32_e32 v20, v24
	v_add_f32_e32 v16, v16, v23
	s_delay_alu instid0(VALU_DEP_1) | instskip(SKIP_2) | instid1(VALU_DEP_1)
	v_exp_f32_e32 v16, v16
	s_waitcnt_depctr 0xfff
	v_ldexp_f32 v8, v8, v17
	v_dual_sub_f32 v15, v15, v22 :: v_dual_cndmask_b32 v8, 0, v8
	v_add_f32_e32 v9, v9, v19
	s_delay_alu instid0(VALU_DEP_2)
	v_add_f32_e32 v15, v15, v21
	v_cvt_i32_f32_e32 v19, v22
	v_cmp_ngt_f32_e32 vcc_lo, 0xc2ce8ed0, v5
	v_ldexp_f32 v16, v16, v20
	v_exp_f32_e32 v9, v9
	v_exp_f32_e32 v15, v15
	s_waitcnt_depctr 0xfff
	v_ldexp_f32 v9, v9, v18
	v_ldexp_f32 v15, v15, v19
	s_delay_alu instid0(VALU_DEP_2) | instskip(SKIP_1) | instid1(VALU_DEP_3)
	v_cndmask_b32_e32 v9, 0, v9, vcc_lo
	v_cmp_ngt_f32_e32 vcc_lo, 0xc2ce8ed0, v6
	v_cndmask_b32_e32 v15, 0, v15, vcc_lo
	v_cmp_ngt_f32_e32 vcc_lo, 0xc2ce8ed0, v7
	v_cndmask_b32_e32 v16, 0, v16, vcc_lo
	v_cmp_nlt_f32_e32 vcc_lo, 0x42b17218, v4
	v_cndmask_b32_e32 v4, 0x7f800000, v8, vcc_lo
	v_cmp_nlt_f32_e32 vcc_lo, 0x42b17218, v5
	;; [unrolled: 2-line block ×3, first 2 shown]
	s_waitcnt vmcnt(0)
	v_fma_f32 v9, -v10, v4, v11
	s_delay_alu instid0(VALU_DEP_3)
	v_fma_f32 v8, -v10, v5, v12
	v_cndmask_b32_e32 v6, 0x7f800000, v15, vcc_lo
	v_cmp_nlt_f32_e32 vcc_lo, 0x42b17218, v7
	v_lshlrev_b64 v[4:5], 3, v[1:2]
	v_bfe_u32 v11, v9, 16, 1
	v_bfe_u32 v2, v8, 16, 1
	v_fma_f32 v6, -v10, v6, v13
	v_cndmask_b32_e32 v7, 0x7f800000, v16, vcc_lo
	v_cmp_o_f32_e32 vcc_lo, v8, v8
	v_add3_u32 v11, v9, v11, 0x7fff
	v_add3_u32 v2, v8, v2, 0x7fff
	v_bfe_u32 v12, v6, 16, 1
	v_fma_f32 v7, -v10, v7, v14
	s_delay_alu instid0(VALU_DEP_4) | instskip(NEXT) | instid1(VALU_DEP_4)
	v_lshrrev_b32_e32 v11, 16, v11
	v_and_b32_e32 v2, 0xffff0000, v2
	v_add_nc_u32_e32 v1, v1, v3
	s_delay_alu instid0(VALU_DEP_4) | instskip(SKIP_1) | instid1(VALU_DEP_4)
	v_bfe_u32 v13, v7, 16, 1
	v_add3_u32 v12, v6, v12, 0x7fff
	v_cndmask_b32_e32 v2, 0x7fc00000, v2, vcc_lo
	v_cmp_o_f32_e32 vcc_lo, v9, v9
	s_delay_alu instid0(VALU_DEP_4) | instskip(NEXT) | instid1(VALU_DEP_4)
	v_add3_u32 v13, v7, v13, 0x7fff
	v_lshrrev_b32_e32 v12, 16, v12
	v_lshlrev_b32_e32 v14, 2, v1
	v_cndmask_b32_e32 v8, 0x7fc0, v11, vcc_lo
	s_delay_alu instid0(VALU_DEP_4) | instskip(SKIP_1) | instid1(VALU_DEP_3)
	v_and_b32_e32 v13, 0xffff0000, v13
	v_cmp_o_f32_e32 vcc_lo, v7, v7
	v_or_b32_e32 v2, v2, v8
	s_delay_alu instid0(VALU_DEP_3)
	v_cndmask_b32_e32 v7, 0x7fc00000, v13, vcc_lo
	v_cmp_o_f32_e32 vcc_lo, v6, v6
	v_cndmask_b32_e32 v6, 0x7fc0, v12, vcc_lo
	v_add_co_u32 v4, vcc_lo, s18, v4
	v_add_co_ci_u32_e32 v5, vcc_lo, s19, v5, vcc_lo
	v_cmp_le_i32_e32 vcc_lo, s0, v14
	s_delay_alu instid0(VALU_DEP_4)
	v_or3_b32 v7, 0, v6, v7
	v_or3_b32 v6, v2, 0, 0
	s_or_b32 s2, vcc_lo, s2
	global_store_b64 v[4:5], v[6:7], off
	s_and_not1_b32 exec_lo, exec_lo, s2
	s_cbranch_execnz .LBB347_88
.LBB347_89:
	s_or_b32 exec_lo, exec_lo, s1
	v_add_nc_u32_e32 v0, s0, v0
	s_mov_b32 s0, exec_lo
	s_delay_alu instid0(VALU_DEP_1)
	v_cmpx_gt_i32_e64 s10, v0
	s_cbranch_execz .LBB347_93
; %bb.90:
	s_mov_b32 s1, 0
.LBB347_91:                             ; =>This Inner Loop Header: Depth=1
	v_ashrrev_i32_e32 v1, 31, v0
	s_delay_alu instid0(VALU_DEP_1) | instskip(NEXT) | instid1(VALU_DEP_1)
	v_lshlrev_b64 v[4:5], 2, v[0:1]
	v_add_co_u32 v6, vcc_lo, s20, v4
	s_delay_alu instid0(VALU_DEP_2)
	v_add_co_ci_u32_e32 v7, vcc_lo, s21, v5, vcc_lo
	v_add_co_u32 v4, vcc_lo, s12, v4
	v_add_co_ci_u32_e32 v5, vcc_lo, s13, v5, vcc_lo
	global_load_b32 v2, v[6:7], off
	global_load_b32 v4, v[4:5], off
	s_waitcnt vmcnt(1)
	v_mul_f32_e32 v5, 0x3fb8aa3b, v2
	v_cmp_ngt_f32_e32 vcc_lo, 0xc2ce8ed0, v2
	s_delay_alu instid0(VALU_DEP_2) | instskip(SKIP_1) | instid1(VALU_DEP_1)
	v_fma_f32 v6, 0x3fb8aa3b, v2, -v5
	v_rndne_f32_e32 v7, v5
	v_dual_fmac_f32 v6, 0x32a5705f, v2 :: v_dual_sub_f32 v5, v5, v7
	s_delay_alu instid0(VALU_DEP_1) | instskip(SKIP_1) | instid1(VALU_DEP_2)
	v_add_f32_e32 v5, v5, v6
	v_cvt_i32_f32_e32 v6, v7
	v_exp_f32_e32 v5, v5
	s_waitcnt_depctr 0xfff
	v_ldexp_f32 v5, v5, v6
	s_delay_alu instid0(VALU_DEP_1) | instskip(SKIP_1) | instid1(VALU_DEP_2)
	v_cndmask_b32_e32 v5, 0, v5, vcc_lo
	v_cmp_nlt_f32_e32 vcc_lo, 0x42b17218, v2
	v_cndmask_b32_e32 v2, 0x7f800000, v5, vcc_lo
	s_waitcnt vmcnt(0)
	s_delay_alu instid0(VALU_DEP_1) | instskip(NEXT) | instid1(VALU_DEP_1)
	v_fma_f32 v4, -v10, v2, v4
	v_bfe_u32 v2, v4, 16, 1
	v_cmp_o_f32_e64 s0, v4, v4
	s_delay_alu instid0(VALU_DEP_2) | instskip(SKIP_2) | instid1(VALU_DEP_3)
	v_add3_u32 v5, v4, v2, 0x7fff
	v_lshlrev_b64 v[1:2], 1, v[0:1]
	v_add_nc_u32_e32 v0, v0, v3
	v_lshrrev_b32_e32 v5, 16, v5
	s_delay_alu instid0(VALU_DEP_2) | instskip(NEXT) | instid1(VALU_DEP_2)
	v_cmp_le_i32_e32 vcc_lo, s10, v0
	v_cndmask_b32_e64 v4, 0x7fc0, v5, s0
	v_add_co_u32 v1, s0, s18, v1
	s_delay_alu instid0(VALU_DEP_1)
	v_add_co_ci_u32_e64 v2, s0, s19, v2, s0
	s_or_b32 s1, vcc_lo, s1
	global_store_b16 v[1:2], v4, off
	s_and_not1_b32 exec_lo, exec_lo, s1
	s_cbranch_execnz .LBB347_91
	s_branch .LBB347_93
.LBB347_92:
	s_cbranch_execz .LBB347_66
.LBB347_93:
	s_nop 0
	s_sendmsg sendmsg(MSG_DEALLOC_VGPRS)
	s_endpgm
.LBB347_94:
                                        ; implicit-def: $vgpr2_vgpr3
	s_branch .LBB347_73
	.section	.rodata,"a",@progbits
	.p2align	6, 0x0
	.amdhsa_kernel _ZN2at6native12_GLOBAL__N_120cunn_SoftMaxBackwardILi4EN3c108BFloat16EffNS1_26LogSoftMaxBackwardEpilogueEEEvPT0_PKT2_SA_l
		.amdhsa_group_segment_fixed_size 0
		.amdhsa_private_segment_fixed_size 0
		.amdhsa_kernarg_size 288
		.amdhsa_user_sgpr_count 15
		.amdhsa_user_sgpr_dispatch_ptr 0
		.amdhsa_user_sgpr_queue_ptr 0
		.amdhsa_user_sgpr_kernarg_segment_ptr 1
		.amdhsa_user_sgpr_dispatch_id 0
		.amdhsa_user_sgpr_private_segment_size 0
		.amdhsa_wavefront_size32 1
		.amdhsa_uses_dynamic_stack 0
		.amdhsa_enable_private_segment 0
		.amdhsa_system_sgpr_workgroup_id_x 1
		.amdhsa_system_sgpr_workgroup_id_y 0
		.amdhsa_system_sgpr_workgroup_id_z 0
		.amdhsa_system_sgpr_workgroup_info 0
		.amdhsa_system_vgpr_workitem_id 0
		.amdhsa_next_free_vgpr 34
		.amdhsa_next_free_sgpr 57
		.amdhsa_reserve_vcc 1
		.amdhsa_float_round_mode_32 0
		.amdhsa_float_round_mode_16_64 0
		.amdhsa_float_denorm_mode_32 3
		.amdhsa_float_denorm_mode_16_64 3
		.amdhsa_dx10_clamp 1
		.amdhsa_ieee_mode 1
		.amdhsa_fp16_overflow 0
		.amdhsa_workgroup_processor_mode 1
		.amdhsa_memory_ordered 1
		.amdhsa_forward_progress 0
		.amdhsa_shared_vgpr_count 0
		.amdhsa_exception_fp_ieee_invalid_op 0
		.amdhsa_exception_fp_denorm_src 0
		.amdhsa_exception_fp_ieee_div_zero 0
		.amdhsa_exception_fp_ieee_overflow 0
		.amdhsa_exception_fp_ieee_underflow 0
		.amdhsa_exception_fp_ieee_inexact 0
		.amdhsa_exception_int_div_zero 0
	.end_amdhsa_kernel
	.section	.text._ZN2at6native12_GLOBAL__N_120cunn_SoftMaxBackwardILi4EN3c108BFloat16EffNS1_26LogSoftMaxBackwardEpilogueEEEvPT0_PKT2_SA_l,"axG",@progbits,_ZN2at6native12_GLOBAL__N_120cunn_SoftMaxBackwardILi4EN3c108BFloat16EffNS1_26LogSoftMaxBackwardEpilogueEEEvPT0_PKT2_SA_l,comdat
.Lfunc_end347:
	.size	_ZN2at6native12_GLOBAL__N_120cunn_SoftMaxBackwardILi4EN3c108BFloat16EffNS1_26LogSoftMaxBackwardEpilogueEEEvPT0_PKT2_SA_l, .Lfunc_end347-_ZN2at6native12_GLOBAL__N_120cunn_SoftMaxBackwardILi4EN3c108BFloat16EffNS1_26LogSoftMaxBackwardEpilogueEEEvPT0_PKT2_SA_l
                                        ; -- End function
	.section	.AMDGPU.csdata,"",@progbits
; Kernel info:
; codeLenInByte = 10232
; NumSgprs: 59
; NumVgprs: 34
; ScratchSize: 0
; MemoryBound: 0
; FloatMode: 240
; IeeeMode: 1
; LDSByteSize: 0 bytes/workgroup (compile time only)
; SGPRBlocks: 7
; VGPRBlocks: 4
; NumSGPRsForWavesPerEU: 59
; NumVGPRsForWavesPerEU: 34
; Occupancy: 16
; WaveLimiterHint : 0
; COMPUTE_PGM_RSRC2:SCRATCH_EN: 0
; COMPUTE_PGM_RSRC2:USER_SGPR: 15
; COMPUTE_PGM_RSRC2:TRAP_HANDLER: 0
; COMPUTE_PGM_RSRC2:TGID_X_EN: 1
; COMPUTE_PGM_RSRC2:TGID_Y_EN: 0
; COMPUTE_PGM_RSRC2:TGID_Z_EN: 0
; COMPUTE_PGM_RSRC2:TIDIG_COMP_CNT: 0
	.section	.text._ZN2at6native12_GLOBAL__N_127cunn_SpatialSoftMaxBackwardIdddNS1_26LogSoftMaxBackwardEpilogueEEEvPT_PKT1_S8_jjj,"axG",@progbits,_ZN2at6native12_GLOBAL__N_127cunn_SpatialSoftMaxBackwardIdddNS1_26LogSoftMaxBackwardEpilogueEEEvPT_PKT1_S8_jjj,comdat
	.globl	_ZN2at6native12_GLOBAL__N_127cunn_SpatialSoftMaxBackwardIdddNS1_26LogSoftMaxBackwardEpilogueEEEvPT_PKT1_S8_jjj ; -- Begin function _ZN2at6native12_GLOBAL__N_127cunn_SpatialSoftMaxBackwardIdddNS1_26LogSoftMaxBackwardEpilogueEEEvPT_PKT1_S8_jjj
	.p2align	8
	.type	_ZN2at6native12_GLOBAL__N_127cunn_SpatialSoftMaxBackwardIdddNS1_26LogSoftMaxBackwardEpilogueEEEvPT_PKT1_S8_jjj,@function
_ZN2at6native12_GLOBAL__N_127cunn_SpatialSoftMaxBackwardIdddNS1_26LogSoftMaxBackwardEpilogueEEEvPT_PKT1_S8_jjj: ; @_ZN2at6native12_GLOBAL__N_127cunn_SpatialSoftMaxBackwardIdddNS1_26LogSoftMaxBackwardEpilogueEEEvPT_PKT1_S8_jjj
; %bb.0:
	s_load_b128 s[4:7], s[0:1], 0x18
	s_waitcnt lgkmcnt(0)
	s_cmp_ge_u32 s14, s4
	s_cbranch_scc1 .LBB348_26
; %bb.1:
	s_clause 0x3
	s_load_b32 s2, s[0:1], 0x34
	s_load_b64 s[12:13], s[0:1], 0x28
	s_load_b128 s[8:11], s[0:1], 0x0
	s_load_b64 s[16:17], s[0:1], 0x10
	v_and_b32_e32 v5, 0x3ff, v0
	s_add_u32 s18, s0, 40
	s_mul_i32 s0, s14, s5
	v_bfe_u32 v4, v0, 10, 10
	s_addc_u32 s19, s1, 0
	v_dual_mov_b32 v1, 0 :: v_dual_add_nc_u32 v0, s0, v5
	s_mul_i32 s1, s0, s6
	v_cmp_gt_u32_e64 s0, s5, v5
	s_mov_b32 s20, 0x652b82fe
	s_delay_alu instid0(VALU_DEP_2)
	v_mul_lo_u32 v0, s6, v0
	s_mov_b32 s22, 0xfefa39ef
	s_mov_b32 s24, 0x3b39803f
	;; [unrolled: 1-line block ×5, first 2 shown]
	s_waitcnt lgkmcnt(0)
	s_lshr_b32 s2, s2, 16
	s_cmp_lg_u32 s5, 0
	s_mul_i32 s15, s15, s2
	s_mov_b32 s34, 0x7c89e6b0
	v_add_nc_u32_e32 v6, s15, v4
	v_add3_u32 v7, s15, s1, v4
	v_add3_u32 v8, v4, v0, s15
	s_mul_i32 s15, s12, s6
	s_mov_b32 s36, 0x14761f6e
	v_cmp_gt_u32_e64 s1, s6, v6
	s_mov_b32 s38, 0x1852b7b0
	s_mov_b32 s40, 0x11122322
	;; [unrolled: 1-line block ×9, first 2 shown]
	s_cselect_b32 s3, -1, 0
	s_mov_b32 s29, 0x3e5ade15
	s_mov_b32 s31, 0x3ec71dee
	;; [unrolled: 1-line block ×9, first 2 shown]
	s_mul_i32 s7, s13, s2
	s_mul_i32 s13, s15, s5
	s_branch .LBB348_3
.LBB348_2:                              ;   in Loop: Header=BB348_3 Depth=1
	s_or_b32 exec_lo, exec_lo, s15
	v_add_nc_u32_e32 v7, s13, v7
	v_add_nc_u32_e32 v8, s13, v8
	s_add_i32 s14, s12, s14
	s_delay_alu instid0(SALU_CYCLE_1)
	s_cmp_ge_u32 s14, s4
	s_cbranch_scc1 .LBB348_26
.LBB348_3:                              ; =>This Loop Header: Depth=1
                                        ;     Child Loop BB348_7 Depth 2
                                        ;       Child Loop BB348_10 Depth 3
                                        ;       Child Loop BB348_12 Depth 3
	;; [unrolled: 1-line block ×5, first 2 shown]
	s_and_saveexec_b32 s15, s1
	s_cbranch_execz .LBB348_2
; %bb.4:                                ;   in Loop: Header=BB348_3 Depth=1
	s_load_b32 s2, s[18:19], 0xc
	v_mov_b32_e32 v9, v8
	v_mov_b32_e32 v11, v7
	;; [unrolled: 1-line block ×3, first 2 shown]
	s_mov_b32 s50, 0
	s_waitcnt lgkmcnt(0)
	s_and_b32 s33, s2, 0xffff
	s_delay_alu instid0(SALU_CYCLE_1) | instskip(SKIP_3) | instid1(VALU_DEP_1)
	v_mul_u32_u24_e32 v0, s33, v4
	s_cmp_lt_u32 s33, 2
	s_mul_i32 s49, s6, s33
	s_cselect_b32 s48, -1, 0
	v_lshl_add_u32 v10, v0, 3, 0
	s_delay_alu instid0(VALU_DEP_1)
	v_lshl_add_u32 v12, v5, 3, v10
	s_branch .LBB348_7
.LBB348_5:                              ;   in Loop: Header=BB348_7 Depth=2
	s_or_b32 exec_lo, exec_lo, s51
.LBB348_6:                              ;   in Loop: Header=BB348_7 Depth=2
	v_add_nc_u32_e32 v13, s7, v13
	v_add_nc_u32_e32 v11, s7, v11
	;; [unrolled: 1-line block ×3, first 2 shown]
	s_delay_alu instid0(VALU_DEP_3) | instskip(SKIP_1) | instid1(SALU_CYCLE_1)
	v_cmp_le_u32_e32 vcc_lo, s6, v13
	s_or_b32 s50, vcc_lo, s50
	s_and_not1_b32 exec_lo, exec_lo, s50
	s_cbranch_execz .LBB348_2
.LBB348_7:                              ;   Parent Loop BB348_3 Depth=1
                                        ; =>  This Loop Header: Depth=2
                                        ;       Child Loop BB348_10 Depth 3
                                        ;       Child Loop BB348_12 Depth 3
	;; [unrolled: 1-line block ×5, first 2 shown]
	s_and_not1_b32 vcc_lo, exec_lo, s48
	s_mov_b32 s2, -1
	s_cbranch_vccnz .LBB348_14
; %bb.8:                                ;   in Loop: Header=BB348_7 Depth=2
	v_mov_b32_e32 v2, 0
	v_mov_b32_e32 v3, 0
	s_and_not1_b32 vcc_lo, exec_lo, s3
	s_cbranch_vccnz .LBB348_11
; %bb.9:                                ;   in Loop: Header=BB348_7 Depth=2
	v_mov_b32_e32 v0, v11
	s_mov_b32 s2, s5
.LBB348_10:                             ;   Parent Loop BB348_3 Depth=1
                                        ;     Parent Loop BB348_7 Depth=2
                                        ; =>    This Inner Loop Header: Depth=3
	s_delay_alu instid0(VALU_DEP_1) | instskip(SKIP_2) | instid1(SALU_CYCLE_1)
	v_lshlrev_b64 v[14:15], 3, v[0:1]
	v_add_nc_u32_e32 v0, s6, v0
	s_add_i32 s2, s2, -1
	s_cmp_eq_u32 s2, 0
	s_delay_alu instid0(VALU_DEP_2) | instskip(NEXT) | instid1(VALU_DEP_3)
	v_add_co_u32 v14, vcc_lo, s16, v14
	v_add_co_ci_u32_e32 v15, vcc_lo, s17, v15, vcc_lo
	global_load_b64 v[14:15], v[14:15], off
	s_waitcnt vmcnt(0)
	v_add_f64 v[2:3], v[2:3], v[14:15]
	s_cbranch_scc0 .LBB348_10
.LBB348_11:                             ;   in Loop: Header=BB348_7 Depth=2
	v_mov_b32_e32 v0, v11
	s_and_not1_b32 vcc_lo, exec_lo, s3
	s_mov_b32 s51, s5
	s_cbranch_vccnz .LBB348_13
.LBB348_12:                             ;   Parent Loop BB348_3 Depth=1
                                        ;     Parent Loop BB348_7 Depth=2
                                        ; =>    This Inner Loop Header: Depth=3
	s_delay_alu instid0(VALU_DEP_1) | instskip(SKIP_2) | instid1(VALU_DEP_2)
	v_lshlrev_b64 v[14:15], 3, v[0:1]
	v_add_nc_u32_e32 v0, s6, v0
	s_add_i32 s51, s51, -1
	v_add_co_u32 v16, vcc_lo, s10, v14
	s_delay_alu instid0(VALU_DEP_3)
	v_add_co_ci_u32_e32 v17, vcc_lo, s11, v15, vcc_lo
	v_add_co_u32 v24, vcc_lo, s16, v14
	v_add_co_ci_u32_e32 v25, vcc_lo, s17, v15, vcc_lo
	global_load_b64 v[16:17], v[16:17], off
	global_load_b64 v[24:25], v[24:25], off
	s_waitcnt vmcnt(1)
	v_mul_f64 v[18:19], v[16:17], s[20:21]
	v_cmp_nlt_f64_e32 vcc_lo, 0x40900000, v[16:17]
	v_cmp_ngt_f64_e64 s2, 0xc090cc00, v[16:17]
	s_delay_alu instid0(VALU_DEP_3) | instskip(NEXT) | instid1(VALU_DEP_1)
	v_rndne_f64_e32 v[18:19], v[18:19]
	v_fma_f64 v[20:21], v[18:19], s[22:23], v[16:17]
	v_cvt_i32_f64_e32 v26, v[18:19]
	s_delay_alu instid0(VALU_DEP_2) | instskip(NEXT) | instid1(VALU_DEP_1)
	v_fma_f64 v[20:21], v[18:19], s[24:25], v[20:21]
	v_fma_f64 v[22:23], v[20:21], s[28:29], s[26:27]
	s_delay_alu instid0(VALU_DEP_1) | instskip(NEXT) | instid1(VALU_DEP_1)
	v_fma_f64 v[22:23], v[20:21], v[22:23], s[30:31]
	v_fma_f64 v[22:23], v[20:21], v[22:23], s[34:35]
	s_delay_alu instid0(VALU_DEP_1) | instskip(NEXT) | instid1(VALU_DEP_1)
	;; [unrolled: 3-line block ×5, first 2 shown]
	v_fma_f64 v[22:23], v[20:21], v[22:23], 1.0
	v_fma_f64 v[18:19], v[20:21], v[22:23], 1.0
	s_delay_alu instid0(VALU_DEP_1) | instskip(NEXT) | instid1(VALU_DEP_1)
	v_ldexp_f64 v[18:19], v[18:19], v26
	v_cndmask_b32_e32 v19, 0x7ff00000, v19, vcc_lo
	s_and_b32 vcc_lo, s2, vcc_lo
	s_cmp_lg_u32 s51, 0
	s_delay_alu instid0(VALU_DEP_2) | instskip(SKIP_4) | instid1(VALU_DEP_2)
	v_cndmask_b32_e32 v16, 0, v18, vcc_lo
	v_add_co_u32 v14, vcc_lo, s8, v14
	v_cndmask_b32_e64 v17, 0, v19, s2
	v_add_co_ci_u32_e32 v15, vcc_lo, s9, v15, vcc_lo
	s_waitcnt vmcnt(0)
	v_fma_f64 v[16:17], -v[2:3], v[16:17], v[24:25]
	global_store_b64 v[14:15], v[16:17], off
	s_cbranch_scc1 .LBB348_12
.LBB348_13:                             ;   in Loop: Header=BB348_7 Depth=2
	s_mov_b32 s2, 0
.LBB348_14:                             ;   in Loop: Header=BB348_7 Depth=2
	s_delay_alu instid0(SALU_CYCLE_1)
	s_and_b32 vcc_lo, exec_lo, s2
	s_cbranch_vccz .LBB348_6
; %bb.15:                               ;   in Loop: Header=BB348_7 Depth=2
	v_mov_b32_e32 v2, 0
	v_mov_b32_e32 v3, 0
	s_and_saveexec_b32 s2, s0
	s_cbranch_execz .LBB348_19
; %bb.16:                               ;   in Loop: Header=BB348_7 Depth=2
	v_mov_b32_e32 v2, 0
	v_dual_mov_b32 v3, 0 :: v_dual_mov_b32 v0, v9
	v_mov_b32_e32 v14, v5
	s_mov_b32 s51, 0
.LBB348_17:                             ;   Parent Loop BB348_3 Depth=1
                                        ;     Parent Loop BB348_7 Depth=2
                                        ; =>    This Inner Loop Header: Depth=3
	s_delay_alu instid0(VALU_DEP_2) | instskip(NEXT) | instid1(VALU_DEP_2)
	v_lshlrev_b64 v[15:16], 3, v[0:1]
	v_add_nc_u32_e32 v14, s33, v14
	v_add_nc_u32_e32 v0, s49, v0
	s_delay_alu instid0(VALU_DEP_3) | instskip(NEXT) | instid1(VALU_DEP_4)
	v_add_co_u32 v15, vcc_lo, s16, v15
	v_add_co_ci_u32_e32 v16, vcc_lo, s17, v16, vcc_lo
	s_delay_alu instid0(VALU_DEP_4)
	v_cmp_le_u32_e32 vcc_lo, s5, v14
	global_load_b64 v[15:16], v[15:16], off
	s_or_b32 s51, vcc_lo, s51
	s_waitcnt vmcnt(0)
	v_add_f64 v[2:3], v[2:3], v[15:16]
	s_and_not1_b32 exec_lo, exec_lo, s51
	s_cbranch_execnz .LBB348_17
; %bb.18:                               ;   in Loop: Header=BB348_7 Depth=2
	s_or_b32 exec_lo, exec_lo, s51
.LBB348_19:                             ;   in Loop: Header=BB348_7 Depth=2
	s_delay_alu instid0(SALU_CYCLE_1)
	s_or_b32 exec_lo, exec_lo, s2
	s_mov_b32 s2, s33
	s_waitcnt_vscnt null, 0x0
	s_barrier
	buffer_gl0_inv
	ds_store_b64 v12, v[2:3]
	s_branch .LBB348_21
	.p2align	6
.LBB348_20:                             ;   in Loop: Header=BB348_21 Depth=3
	s_or_b32 exec_lo, exec_lo, s52
	s_cmp_gt_u32 s2, 3
	s_mov_b32 s2, s51
	s_cbranch_scc0 .LBB348_23
.LBB348_21:                             ;   Parent Loop BB348_3 Depth=1
                                        ;     Parent Loop BB348_7 Depth=2
                                        ; =>    This Inner Loop Header: Depth=3
	s_lshr_b32 s51, s2, 1
	s_mov_b32 s52, exec_lo
	s_waitcnt lgkmcnt(0)
	s_barrier
	buffer_gl0_inv
	v_cmpx_gt_u32_e64 s51, v5
	s_cbranch_execz .LBB348_20
; %bb.22:                               ;   in Loop: Header=BB348_21 Depth=3
	v_lshl_add_u32 v0, s51, 3, v12
	ds_load_b64 v[2:3], v12
	ds_load_b64 v[14:15], v0
	s_waitcnt lgkmcnt(0)
	v_add_f64 v[2:3], v[2:3], v[14:15]
	ds_store_b64 v12, v[2:3]
	s_branch .LBB348_20
.LBB348_23:                             ;   in Loop: Header=BB348_7 Depth=2
	s_waitcnt lgkmcnt(0)
	s_barrier
	buffer_gl0_inv
	s_and_saveexec_b32 s51, s0
	s_cbranch_execz .LBB348_5
; %bb.24:                               ;   in Loop: Header=BB348_7 Depth=2
	ds_load_b64 v[2:3], v10
	v_mov_b32_e32 v0, v9
	v_mov_b32_e32 v14, v5
	s_mov_b32 s52, 0
.LBB348_25:                             ;   Parent Loop BB348_3 Depth=1
                                        ;     Parent Loop BB348_7 Depth=2
                                        ; =>    This Inner Loop Header: Depth=3
	s_delay_alu instid0(VALU_DEP_2) | instskip(SKIP_1) | instid1(VALU_DEP_3)
	v_lshlrev_b64 v[15:16], 3, v[0:1]
	v_add_nc_u32_e32 v0, s49, v0
	v_add_nc_u32_e32 v14, s33, v14
	s_delay_alu instid0(VALU_DEP_3) | instskip(NEXT) | instid1(VALU_DEP_4)
	v_add_co_u32 v17, vcc_lo, s10, v15
	v_add_co_ci_u32_e32 v18, vcc_lo, s11, v16, vcc_lo
	v_add_co_u32 v25, vcc_lo, s16, v15
	v_add_co_ci_u32_e32 v26, vcc_lo, s17, v16, vcc_lo
	global_load_b64 v[17:18], v[17:18], off
	global_load_b64 v[25:26], v[25:26], off
	s_waitcnt vmcnt(1)
	v_mul_f64 v[19:20], v[17:18], s[20:21]
	v_cmp_nlt_f64_e32 vcc_lo, 0x40900000, v[17:18]
	v_cmp_ngt_f64_e64 s2, 0xc090cc00, v[17:18]
	s_delay_alu instid0(VALU_DEP_3) | instskip(NEXT) | instid1(VALU_DEP_1)
	v_rndne_f64_e32 v[19:20], v[19:20]
	v_fma_f64 v[21:22], v[19:20], s[22:23], v[17:18]
	v_cvt_i32_f64_e32 v27, v[19:20]
	s_delay_alu instid0(VALU_DEP_2) | instskip(NEXT) | instid1(VALU_DEP_1)
	v_fma_f64 v[21:22], v[19:20], s[24:25], v[21:22]
	v_fma_f64 v[23:24], v[21:22], s[28:29], s[26:27]
	s_delay_alu instid0(VALU_DEP_1) | instskip(NEXT) | instid1(VALU_DEP_1)
	v_fma_f64 v[23:24], v[21:22], v[23:24], s[30:31]
	v_fma_f64 v[23:24], v[21:22], v[23:24], s[34:35]
	s_delay_alu instid0(VALU_DEP_1) | instskip(NEXT) | instid1(VALU_DEP_1)
	;; [unrolled: 3-line block ×5, first 2 shown]
	v_fma_f64 v[23:24], v[21:22], v[23:24], 1.0
	v_fma_f64 v[19:20], v[21:22], v[23:24], 1.0
	s_delay_alu instid0(VALU_DEP_1) | instskip(NEXT) | instid1(VALU_DEP_1)
	v_ldexp_f64 v[19:20], v[19:20], v27
	v_cndmask_b32_e32 v20, 0x7ff00000, v20, vcc_lo
	s_and_b32 vcc_lo, s2, vcc_lo
	s_delay_alu instid0(VALU_DEP_2) | instskip(SKIP_1) | instid1(VALU_DEP_3)
	v_cndmask_b32_e32 v17, 0, v19, vcc_lo
	v_cmp_le_u32_e32 vcc_lo, s5, v14
	v_cndmask_b32_e64 v18, 0, v20, s2
	v_add_co_u32 v15, s2, s8, v15
	s_delay_alu instid0(VALU_DEP_1) | instskip(SKIP_1) | instid1(VALU_DEP_3)
	v_add_co_ci_u32_e64 v16, s2, s9, v16, s2
	s_waitcnt vmcnt(0) lgkmcnt(0)
	v_fma_f64 v[17:18], -v[2:3], v[17:18], v[25:26]
	s_or_b32 s52, vcc_lo, s52
	global_store_b64 v[15:16], v[17:18], off
	s_and_not1_b32 exec_lo, exec_lo, s52
	s_cbranch_execnz .LBB348_25
	s_branch .LBB348_5
.LBB348_26:
	s_nop 0
	s_sendmsg sendmsg(MSG_DEALLOC_VGPRS)
	s_endpgm
	.section	.rodata,"a",@progbits
	.p2align	6, 0x0
	.amdhsa_kernel _ZN2at6native12_GLOBAL__N_127cunn_SpatialSoftMaxBackwardIdddNS1_26LogSoftMaxBackwardEpilogueEEEvPT_PKT1_S8_jjj
		.amdhsa_group_segment_fixed_size 0
		.amdhsa_private_segment_fixed_size 0
		.amdhsa_kernarg_size 296
		.amdhsa_user_sgpr_count 14
		.amdhsa_user_sgpr_dispatch_ptr 0
		.amdhsa_user_sgpr_queue_ptr 0
		.amdhsa_user_sgpr_kernarg_segment_ptr 1
		.amdhsa_user_sgpr_dispatch_id 0
		.amdhsa_user_sgpr_private_segment_size 0
		.amdhsa_wavefront_size32 1
		.amdhsa_uses_dynamic_stack 0
		.amdhsa_enable_private_segment 0
		.amdhsa_system_sgpr_workgroup_id_x 1
		.amdhsa_system_sgpr_workgroup_id_y 1
		.amdhsa_system_sgpr_workgroup_id_z 0
		.amdhsa_system_sgpr_workgroup_info 0
		.amdhsa_system_vgpr_workitem_id 1
		.amdhsa_next_free_vgpr 28
		.amdhsa_next_free_sgpr 53
		.amdhsa_reserve_vcc 1
		.amdhsa_float_round_mode_32 0
		.amdhsa_float_round_mode_16_64 0
		.amdhsa_float_denorm_mode_32 3
		.amdhsa_float_denorm_mode_16_64 3
		.amdhsa_dx10_clamp 1
		.amdhsa_ieee_mode 1
		.amdhsa_fp16_overflow 0
		.amdhsa_workgroup_processor_mode 1
		.amdhsa_memory_ordered 1
		.amdhsa_forward_progress 0
		.amdhsa_shared_vgpr_count 0
		.amdhsa_exception_fp_ieee_invalid_op 0
		.amdhsa_exception_fp_denorm_src 0
		.amdhsa_exception_fp_ieee_div_zero 0
		.amdhsa_exception_fp_ieee_overflow 0
		.amdhsa_exception_fp_ieee_underflow 0
		.amdhsa_exception_fp_ieee_inexact 0
		.amdhsa_exception_int_div_zero 0
	.end_amdhsa_kernel
	.section	.text._ZN2at6native12_GLOBAL__N_127cunn_SpatialSoftMaxBackwardIdddNS1_26LogSoftMaxBackwardEpilogueEEEvPT_PKT1_S8_jjj,"axG",@progbits,_ZN2at6native12_GLOBAL__N_127cunn_SpatialSoftMaxBackwardIdddNS1_26LogSoftMaxBackwardEpilogueEEEvPT_PKT1_S8_jjj,comdat
.Lfunc_end348:
	.size	_ZN2at6native12_GLOBAL__N_127cunn_SpatialSoftMaxBackwardIdddNS1_26LogSoftMaxBackwardEpilogueEEEvPT_PKT1_S8_jjj, .Lfunc_end348-_ZN2at6native12_GLOBAL__N_127cunn_SpatialSoftMaxBackwardIdddNS1_26LogSoftMaxBackwardEpilogueEEEvPT_PKT1_S8_jjj
                                        ; -- End function
	.section	.AMDGPU.csdata,"",@progbits
; Kernel info:
; codeLenInByte = 1632
; NumSgprs: 55
; NumVgprs: 28
; ScratchSize: 0
; MemoryBound: 0
; FloatMode: 240
; IeeeMode: 1
; LDSByteSize: 0 bytes/workgroup (compile time only)
; SGPRBlocks: 6
; VGPRBlocks: 3
; NumSGPRsForWavesPerEU: 55
; NumVGPRsForWavesPerEU: 28
; Occupancy: 16
; WaveLimiterHint : 0
; COMPUTE_PGM_RSRC2:SCRATCH_EN: 0
; COMPUTE_PGM_RSRC2:USER_SGPR: 14
; COMPUTE_PGM_RSRC2:TRAP_HANDLER: 0
; COMPUTE_PGM_RSRC2:TGID_X_EN: 1
; COMPUTE_PGM_RSRC2:TGID_Y_EN: 1
; COMPUTE_PGM_RSRC2:TGID_Z_EN: 0
; COMPUTE_PGM_RSRC2:TIDIG_COMP_CNT: 1
	.section	.text._ZN2at6native12_GLOBAL__N_127cunn_SpatialSoftMaxBackwardIfffNS1_26LogSoftMaxBackwardEpilogueEEEvPT_PKT1_S8_jjj,"axG",@progbits,_ZN2at6native12_GLOBAL__N_127cunn_SpatialSoftMaxBackwardIfffNS1_26LogSoftMaxBackwardEpilogueEEEvPT_PKT1_S8_jjj,comdat
	.globl	_ZN2at6native12_GLOBAL__N_127cunn_SpatialSoftMaxBackwardIfffNS1_26LogSoftMaxBackwardEpilogueEEEvPT_PKT1_S8_jjj ; -- Begin function _ZN2at6native12_GLOBAL__N_127cunn_SpatialSoftMaxBackwardIfffNS1_26LogSoftMaxBackwardEpilogueEEEvPT_PKT1_S8_jjj
	.p2align	8
	.type	_ZN2at6native12_GLOBAL__N_127cunn_SpatialSoftMaxBackwardIfffNS1_26LogSoftMaxBackwardEpilogueEEEvPT_PKT1_S8_jjj,@function
_ZN2at6native12_GLOBAL__N_127cunn_SpatialSoftMaxBackwardIfffNS1_26LogSoftMaxBackwardEpilogueEEEvPT_PKT1_S8_jjj: ; @_ZN2at6native12_GLOBAL__N_127cunn_SpatialSoftMaxBackwardIfffNS1_26LogSoftMaxBackwardEpilogueEEEvPT_PKT1_S8_jjj
; %bb.0:
	s_load_b128 s[4:7], s[0:1], 0x18
	s_waitcnt lgkmcnt(0)
	s_cmp_ge_u32 s14, s4
	s_cbranch_scc1 .LBB349_26
; %bb.1:
	s_clause 0x1
	s_load_b32 s2, s[0:1], 0x34
	s_load_b64 s[12:13], s[0:1], 0x28
	v_and_b32_e32 v2, 0x3ff, v0
	s_mul_i32 s3, s14, s5
	s_clause 0x1
	s_load_b128 s[8:11], s[0:1], 0x0
	s_load_b64 s[16:17], s[0:1], 0x10
	s_add_u32 s18, s0, 40
	v_bfe_u32 v3, v0, 10, 10
	v_add_nc_u32_e32 v1, s3, v2
	s_addc_u32 s19, s1, 0
	s_mul_i32 s1, s3, s6
	s_delay_alu instid0(VALU_DEP_1)
	v_mul_lo_u32 v0, s6, v1
	v_mov_b32_e32 v1, 0
	v_cmp_gt_u32_e64 s0, s5, v2
	s_waitcnt lgkmcnt(0)
	s_lshr_b32 s2, s2, 16
	s_cmp_lg_u32 s5, 0
	s_mul_i32 s15, s15, s2
	s_cselect_b32 s3, -1, 0
	v_add_nc_u32_e32 v4, s15, v3
	v_add3_u32 v5, s15, s1, v3
	v_add3_u32 v6, v3, v0, s15
	s_mul_i32 s15, s12, s6
	s_mul_i32 s7, s13, s2
	v_cmp_gt_u32_e64 s1, s6, v4
	s_mul_i32 s13, s15, s5
	s_branch .LBB349_3
.LBB349_2:                              ;   in Loop: Header=BB349_3 Depth=1
	s_or_b32 exec_lo, exec_lo, s15
	v_add_nc_u32_e32 v5, s13, v5
	v_add_nc_u32_e32 v6, s13, v6
	s_add_i32 s14, s12, s14
	s_delay_alu instid0(SALU_CYCLE_1)
	s_cmp_ge_u32 s14, s4
	s_cbranch_scc1 .LBB349_26
.LBB349_3:                              ; =>This Loop Header: Depth=1
                                        ;     Child Loop BB349_7 Depth 2
                                        ;       Child Loop BB349_10 Depth 3
                                        ;       Child Loop BB349_12 Depth 3
	;; [unrolled: 1-line block ×5, first 2 shown]
	s_delay_alu instid0(VALU_DEP_1)
	s_and_saveexec_b32 s15, s1
	s_cbranch_execz .LBB349_2
; %bb.4:                                ;   in Loop: Header=BB349_3 Depth=1
	s_load_b32 s2, s[18:19], 0xc
	v_mov_b32_e32 v7, v6
	v_mov_b32_e32 v9, v5
	;; [unrolled: 1-line block ×3, first 2 shown]
	s_mov_b32 s23, 0
	s_waitcnt lgkmcnt(0)
	s_and_b32 s20, s2, 0xffff
	s_delay_alu instid0(SALU_CYCLE_1) | instskip(SKIP_3) | instid1(VALU_DEP_1)
	v_mul_u32_u24_e32 v0, s20, v3
	s_cmp_lt_u32 s20, 2
	s_mul_i32 s22, s6, s20
	s_cselect_b32 s21, -1, 0
	v_lshl_add_u32 v8, v0, 2, 0
	s_delay_alu instid0(VALU_DEP_1)
	v_lshl_add_u32 v10, v2, 2, v8
	s_branch .LBB349_7
.LBB349_5:                              ;   in Loop: Header=BB349_7 Depth=2
	s_or_b32 exec_lo, exec_lo, s24
.LBB349_6:                              ;   in Loop: Header=BB349_7 Depth=2
	v_add_nc_u32_e32 v11, s7, v11
	v_add_nc_u32_e32 v9, s7, v9
	;; [unrolled: 1-line block ×3, first 2 shown]
	s_delay_alu instid0(VALU_DEP_3) | instskip(SKIP_1) | instid1(SALU_CYCLE_1)
	v_cmp_le_u32_e32 vcc_lo, s6, v11
	s_or_b32 s23, vcc_lo, s23
	s_and_not1_b32 exec_lo, exec_lo, s23
	s_cbranch_execz .LBB349_2
.LBB349_7:                              ;   Parent Loop BB349_3 Depth=1
                                        ; =>  This Loop Header: Depth=2
                                        ;       Child Loop BB349_10 Depth 3
                                        ;       Child Loop BB349_12 Depth 3
	;; [unrolled: 1-line block ×5, first 2 shown]
	s_and_not1_b32 vcc_lo, exec_lo, s21
	s_mov_b32 s2, -1
	s_cbranch_vccnz .LBB349_14
; %bb.8:                                ;   in Loop: Header=BB349_7 Depth=2
	v_mov_b32_e32 v12, 0
	s_and_not1_b32 vcc_lo, exec_lo, s3
	s_cbranch_vccnz .LBB349_11
; %bb.9:                                ;   in Loop: Header=BB349_7 Depth=2
	v_mov_b32_e32 v0, v9
	s_mov_b32 s2, s5
.LBB349_10:                             ;   Parent Loop BB349_3 Depth=1
                                        ;     Parent Loop BB349_7 Depth=2
                                        ; =>    This Inner Loop Header: Depth=3
	s_delay_alu instid0(VALU_DEP_1) | instskip(SKIP_2) | instid1(SALU_CYCLE_1)
	v_lshlrev_b64 v[13:14], 2, v[0:1]
	v_add_nc_u32_e32 v0, s6, v0
	s_add_i32 s2, s2, -1
	s_cmp_eq_u32 s2, 0
	s_delay_alu instid0(VALU_DEP_2) | instskip(NEXT) | instid1(VALU_DEP_3)
	v_add_co_u32 v13, vcc_lo, s16, v13
	v_add_co_ci_u32_e32 v14, vcc_lo, s17, v14, vcc_lo
	global_load_b32 v13, v[13:14], off
	s_waitcnt vmcnt(0)
	v_add_f32_e32 v12, v12, v13
	s_cbranch_scc0 .LBB349_10
.LBB349_11:                             ;   in Loop: Header=BB349_7 Depth=2
	v_mov_b32_e32 v0, v9
	s_and_not1_b32 vcc_lo, exec_lo, s3
	s_mov_b32 s2, s5
	s_cbranch_vccnz .LBB349_13
	.p2align	6
.LBB349_12:                             ;   Parent Loop BB349_3 Depth=1
                                        ;     Parent Loop BB349_7 Depth=2
                                        ; =>    This Inner Loop Header: Depth=3
	s_delay_alu instid0(VALU_DEP_1) | instskip(SKIP_2) | instid1(SALU_CYCLE_1)
	v_lshlrev_b64 v[13:14], 2, v[0:1]
	v_add_nc_u32_e32 v0, s6, v0
	s_add_i32 s2, s2, -1
	s_cmp_lg_u32 s2, 0
	s_delay_alu instid0(VALU_DEP_2) | instskip(NEXT) | instid1(VALU_DEP_3)
	v_add_co_u32 v15, vcc_lo, s10, v13
	v_add_co_ci_u32_e32 v16, vcc_lo, s11, v14, vcc_lo
	global_load_b32 v17, v[15:16], off
	v_add_co_u32 v15, vcc_lo, s16, v13
	v_add_co_ci_u32_e32 v16, vcc_lo, s17, v14, vcc_lo
	global_load_b32 v15, v[15:16], off
	s_waitcnt vmcnt(1)
	v_mul_f32_e32 v16, 0x3fb8aa3b, v17
	v_cmp_ngt_f32_e32 vcc_lo, 0xc2ce8ed0, v17
	s_delay_alu instid0(VALU_DEP_2) | instskip(SKIP_1) | instid1(VALU_DEP_2)
	v_fma_f32 v18, 0x3fb8aa3b, v17, -v16
	v_rndne_f32_e32 v19, v16
	v_fmac_f32_e32 v18, 0x32a5705f, v17
	s_delay_alu instid0(VALU_DEP_2) | instskip(NEXT) | instid1(VALU_DEP_1)
	v_sub_f32_e32 v16, v16, v19
	v_add_f32_e32 v16, v16, v18
	v_cvt_i32_f32_e32 v18, v19
	s_delay_alu instid0(VALU_DEP_2) | instskip(SKIP_2) | instid1(VALU_DEP_1)
	v_exp_f32_e32 v16, v16
	s_waitcnt_depctr 0xfff
	v_ldexp_f32 v16, v16, v18
	v_cndmask_b32_e32 v16, 0, v16, vcc_lo
	v_cmp_nlt_f32_e32 vcc_lo, 0x42b17218, v17
	s_delay_alu instid0(VALU_DEP_2) | instskip(SKIP_3) | instid1(VALU_DEP_3)
	v_cndmask_b32_e32 v16, 0x7f800000, v16, vcc_lo
	v_add_co_u32 v13, vcc_lo, s8, v13
	v_add_co_ci_u32_e32 v14, vcc_lo, s9, v14, vcc_lo
	s_waitcnt vmcnt(0)
	v_fma_f32 v15, -v12, v16, v15
	global_store_b32 v[13:14], v15, off
	s_cbranch_scc1 .LBB349_12
.LBB349_13:                             ;   in Loop: Header=BB349_7 Depth=2
	s_mov_b32 s2, 0
.LBB349_14:                             ;   in Loop: Header=BB349_7 Depth=2
	s_delay_alu instid0(SALU_CYCLE_1)
	s_and_b32 vcc_lo, exec_lo, s2
	s_cbranch_vccz .LBB349_6
; %bb.15:                               ;   in Loop: Header=BB349_7 Depth=2
	v_mov_b32_e32 v12, 0
	s_and_saveexec_b32 s2, s0
	s_cbranch_execz .LBB349_19
; %bb.16:                               ;   in Loop: Header=BB349_7 Depth=2
	v_dual_mov_b32 v12, 0 :: v_dual_mov_b32 v13, v2
	v_mov_b32_e32 v0, v7
	s_mov_b32 s24, 0
.LBB349_17:                             ;   Parent Loop BB349_3 Depth=1
                                        ;     Parent Loop BB349_7 Depth=2
                                        ; =>    This Inner Loop Header: Depth=3
	s_delay_alu instid0(VALU_DEP_1) | instskip(SKIP_1) | instid1(VALU_DEP_2)
	v_lshlrev_b64 v[14:15], 2, v[0:1]
	v_add_nc_u32_e32 v0, s22, v0
	v_add_co_u32 v14, vcc_lo, s16, v14
	s_delay_alu instid0(VALU_DEP_3) | instskip(SKIP_3) | instid1(VALU_DEP_1)
	v_add_co_ci_u32_e32 v15, vcc_lo, s17, v15, vcc_lo
	global_load_b32 v14, v[14:15], off
	s_waitcnt vmcnt(0)
	v_dual_add_f32 v12, v12, v14 :: v_dual_add_nc_u32 v13, s20, v13
	v_cmp_le_u32_e32 vcc_lo, s5, v13
	s_or_b32 s24, vcc_lo, s24
	s_delay_alu instid0(SALU_CYCLE_1)
	s_and_not1_b32 exec_lo, exec_lo, s24
	s_cbranch_execnz .LBB349_17
; %bb.18:                               ;   in Loop: Header=BB349_7 Depth=2
	s_or_b32 exec_lo, exec_lo, s24
.LBB349_19:                             ;   in Loop: Header=BB349_7 Depth=2
	s_delay_alu instid0(SALU_CYCLE_1)
	s_or_b32 exec_lo, exec_lo, s2
	s_mov_b32 s2, s20
	s_waitcnt_vscnt null, 0x0
	s_barrier
	buffer_gl0_inv
	ds_store_b32 v10, v12
	s_branch .LBB349_21
	.p2align	6
.LBB349_20:                             ;   in Loop: Header=BB349_21 Depth=3
	s_or_b32 exec_lo, exec_lo, s25
	s_cmp_gt_u32 s2, 3
	s_mov_b32 s2, s24
	s_cbranch_scc0 .LBB349_23
.LBB349_21:                             ;   Parent Loop BB349_3 Depth=1
                                        ;     Parent Loop BB349_7 Depth=2
                                        ; =>    This Inner Loop Header: Depth=3
	s_lshr_b32 s24, s2, 1
	s_mov_b32 s25, exec_lo
	s_waitcnt lgkmcnt(0)
	s_barrier
	buffer_gl0_inv
	v_cmpx_gt_u32_e64 s24, v2
	s_cbranch_execz .LBB349_20
; %bb.22:                               ;   in Loop: Header=BB349_21 Depth=3
	v_lshl_add_u32 v0, s24, 2, v10
	ds_load_b32 v12, v10
	ds_load_b32 v0, v0
	s_waitcnt lgkmcnt(0)
	v_add_f32_e32 v0, v12, v0
	ds_store_b32 v10, v0
	s_branch .LBB349_20
.LBB349_23:                             ;   in Loop: Header=BB349_7 Depth=2
	s_waitcnt lgkmcnt(0)
	s_barrier
	buffer_gl0_inv
	s_and_saveexec_b32 s24, s0
	s_cbranch_execz .LBB349_5
; %bb.24:                               ;   in Loop: Header=BB349_7 Depth=2
	ds_load_b32 v12, v8
	v_dual_mov_b32 v0, v7 :: v_dual_mov_b32 v13, v2
	s_mov_b32 s25, 0
.LBB349_25:                             ;   Parent Loop BB349_3 Depth=1
                                        ;     Parent Loop BB349_7 Depth=2
                                        ; =>    This Inner Loop Header: Depth=3
	s_delay_alu instid0(VALU_DEP_1) | instskip(NEXT) | instid1(VALU_DEP_2)
	v_lshlrev_b64 v[14:15], 2, v[0:1]
	v_add_nc_u32_e32 v13, s20, v13
	v_add_nc_u32_e32 v0, s22, v0
	s_delay_alu instid0(VALU_DEP_3) | instskip(NEXT) | instid1(VALU_DEP_4)
	v_add_co_u32 v16, vcc_lo, s10, v14
	v_add_co_ci_u32_e32 v17, vcc_lo, s11, v15, vcc_lo
	global_load_b32 v18, v[16:17], off
	v_add_co_u32 v16, vcc_lo, s16, v14
	v_add_co_ci_u32_e32 v17, vcc_lo, s17, v15, vcc_lo
	global_load_b32 v16, v[16:17], off
	s_waitcnt vmcnt(1)
	v_mul_f32_e32 v17, 0x3fb8aa3b, v18
	v_cmp_ngt_f32_e32 vcc_lo, 0xc2ce8ed0, v18
	v_cmp_nlt_f32_e64 s2, 0x42b17218, v18
	s_delay_alu instid0(VALU_DEP_3) | instskip(SKIP_1) | instid1(VALU_DEP_2)
	v_fma_f32 v19, 0x3fb8aa3b, v18, -v17
	v_rndne_f32_e32 v20, v17
	v_fmac_f32_e32 v19, 0x32a5705f, v18
	s_delay_alu instid0(VALU_DEP_2) | instskip(NEXT) | instid1(VALU_DEP_1)
	v_sub_f32_e32 v17, v17, v20
	v_add_f32_e32 v17, v17, v19
	v_cvt_i32_f32_e32 v19, v20
	s_delay_alu instid0(VALU_DEP_2) | instskip(SKIP_2) | instid1(VALU_DEP_1)
	v_exp_f32_e32 v17, v17
	s_waitcnt_depctr 0xfff
	v_ldexp_f32 v17, v17, v19
	v_cndmask_b32_e32 v17, 0, v17, vcc_lo
	v_cmp_le_u32_e32 vcc_lo, s5, v13
	s_delay_alu instid0(VALU_DEP_2) | instskip(SKIP_1) | instid1(VALU_DEP_1)
	v_cndmask_b32_e64 v17, 0x7f800000, v17, s2
	v_add_co_u32 v14, s2, s8, v14
	v_add_co_ci_u32_e64 v15, s2, s9, v15, s2
	s_waitcnt vmcnt(0) lgkmcnt(0)
	s_delay_alu instid0(VALU_DEP_3)
	v_fma_f32 v16, -v12, v17, v16
	s_or_b32 s25, vcc_lo, s25
	global_store_b32 v[14:15], v16, off
	s_and_not1_b32 exec_lo, exec_lo, s25
	s_cbranch_execnz .LBB349_25
	s_branch .LBB349_5
.LBB349_26:
	s_nop 0
	s_sendmsg sendmsg(MSG_DEALLOC_VGPRS)
	s_endpgm
	.section	.rodata,"a",@progbits
	.p2align	6, 0x0
	.amdhsa_kernel _ZN2at6native12_GLOBAL__N_127cunn_SpatialSoftMaxBackwardIfffNS1_26LogSoftMaxBackwardEpilogueEEEvPT_PKT1_S8_jjj
		.amdhsa_group_segment_fixed_size 0
		.amdhsa_private_segment_fixed_size 0
		.amdhsa_kernarg_size 296
		.amdhsa_user_sgpr_count 14
		.amdhsa_user_sgpr_dispatch_ptr 0
		.amdhsa_user_sgpr_queue_ptr 0
		.amdhsa_user_sgpr_kernarg_segment_ptr 1
		.amdhsa_user_sgpr_dispatch_id 0
		.amdhsa_user_sgpr_private_segment_size 0
		.amdhsa_wavefront_size32 1
		.amdhsa_uses_dynamic_stack 0
		.amdhsa_enable_private_segment 0
		.amdhsa_system_sgpr_workgroup_id_x 1
		.amdhsa_system_sgpr_workgroup_id_y 1
		.amdhsa_system_sgpr_workgroup_id_z 0
		.amdhsa_system_sgpr_workgroup_info 0
		.amdhsa_system_vgpr_workitem_id 1
		.amdhsa_next_free_vgpr 21
		.amdhsa_next_free_sgpr 26
		.amdhsa_reserve_vcc 1
		.amdhsa_float_round_mode_32 0
		.amdhsa_float_round_mode_16_64 0
		.amdhsa_float_denorm_mode_32 3
		.amdhsa_float_denorm_mode_16_64 3
		.amdhsa_dx10_clamp 1
		.amdhsa_ieee_mode 1
		.amdhsa_fp16_overflow 0
		.amdhsa_workgroup_processor_mode 1
		.amdhsa_memory_ordered 1
		.amdhsa_forward_progress 0
		.amdhsa_shared_vgpr_count 0
		.amdhsa_exception_fp_ieee_invalid_op 0
		.amdhsa_exception_fp_denorm_src 0
		.amdhsa_exception_fp_ieee_div_zero 0
		.amdhsa_exception_fp_ieee_overflow 0
		.amdhsa_exception_fp_ieee_underflow 0
		.amdhsa_exception_fp_ieee_inexact 0
		.amdhsa_exception_int_div_zero 0
	.end_amdhsa_kernel
	.section	.text._ZN2at6native12_GLOBAL__N_127cunn_SpatialSoftMaxBackwardIfffNS1_26LogSoftMaxBackwardEpilogueEEEvPT_PKT1_S8_jjj,"axG",@progbits,_ZN2at6native12_GLOBAL__N_127cunn_SpatialSoftMaxBackwardIfffNS1_26LogSoftMaxBackwardEpilogueEEEvPT_PKT1_S8_jjj,comdat
.Lfunc_end349:
	.size	_ZN2at6native12_GLOBAL__N_127cunn_SpatialSoftMaxBackwardIfffNS1_26LogSoftMaxBackwardEpilogueEEEvPT_PKT1_S8_jjj, .Lfunc_end349-_ZN2at6native12_GLOBAL__N_127cunn_SpatialSoftMaxBackwardIfffNS1_26LogSoftMaxBackwardEpilogueEEEvPT_PKT1_S8_jjj
                                        ; -- End function
	.section	.AMDGPU.csdata,"",@progbits
; Kernel info:
; codeLenInByte = 1212
; NumSgprs: 28
; NumVgprs: 21
; ScratchSize: 0
; MemoryBound: 0
; FloatMode: 240
; IeeeMode: 1
; LDSByteSize: 0 bytes/workgroup (compile time only)
; SGPRBlocks: 3
; VGPRBlocks: 2
; NumSGPRsForWavesPerEU: 28
; NumVGPRsForWavesPerEU: 21
; Occupancy: 16
; WaveLimiterHint : 0
; COMPUTE_PGM_RSRC2:SCRATCH_EN: 0
; COMPUTE_PGM_RSRC2:USER_SGPR: 14
; COMPUTE_PGM_RSRC2:TRAP_HANDLER: 0
; COMPUTE_PGM_RSRC2:TGID_X_EN: 1
; COMPUTE_PGM_RSRC2:TGID_Y_EN: 1
; COMPUTE_PGM_RSRC2:TGID_Z_EN: 0
; COMPUTE_PGM_RSRC2:TIDIG_COMP_CNT: 1
	.section	.text._ZN2at6native12_GLOBAL__N_127cunn_SpatialSoftMaxBackwardIN3c104HalfEfS4_NS1_26LogSoftMaxBackwardEpilogueEEEvPT_PKT1_SA_jjj,"axG",@progbits,_ZN2at6native12_GLOBAL__N_127cunn_SpatialSoftMaxBackwardIN3c104HalfEfS4_NS1_26LogSoftMaxBackwardEpilogueEEEvPT_PKT1_SA_jjj,comdat
	.globl	_ZN2at6native12_GLOBAL__N_127cunn_SpatialSoftMaxBackwardIN3c104HalfEfS4_NS1_26LogSoftMaxBackwardEpilogueEEEvPT_PKT1_SA_jjj ; -- Begin function _ZN2at6native12_GLOBAL__N_127cunn_SpatialSoftMaxBackwardIN3c104HalfEfS4_NS1_26LogSoftMaxBackwardEpilogueEEEvPT_PKT1_SA_jjj
	.p2align	8
	.type	_ZN2at6native12_GLOBAL__N_127cunn_SpatialSoftMaxBackwardIN3c104HalfEfS4_NS1_26LogSoftMaxBackwardEpilogueEEEvPT_PKT1_SA_jjj,@function
_ZN2at6native12_GLOBAL__N_127cunn_SpatialSoftMaxBackwardIN3c104HalfEfS4_NS1_26LogSoftMaxBackwardEpilogueEEEvPT_PKT1_SA_jjj: ; @_ZN2at6native12_GLOBAL__N_127cunn_SpatialSoftMaxBackwardIN3c104HalfEfS4_NS1_26LogSoftMaxBackwardEpilogueEEEvPT_PKT1_SA_jjj
; %bb.0:
	s_load_b128 s[4:7], s[0:1], 0x18
	s_waitcnt lgkmcnt(0)
	s_cmp_ge_u32 s14, s4
	s_cbranch_scc1 .LBB350_26
; %bb.1:
	s_clause 0x1
	s_load_b32 s2, s[0:1], 0x34
	s_load_b64 s[12:13], s[0:1], 0x28
	v_and_b32_e32 v2, 0x3ff, v0
	s_clause 0x1
	s_load_b128 s[8:11], s[0:1], 0x0
	s_load_b64 s[16:17], s[0:1], 0x10
	s_mul_i32 s3, s14, s5
	s_add_u32 s18, s0, 40
	v_bfe_u32 v3, v0, 10, 10
	v_add_nc_u32_e32 v1, s3, v2
	s_addc_u32 s19, s1, 0
	s_mul_i32 s1, s3, s6
	s_delay_alu instid0(VALU_DEP_1)
	v_mul_lo_u32 v0, s6, v1
	v_mov_b32_e32 v1, 0
	v_cmp_gt_u32_e64 s0, s5, v2
	s_waitcnt lgkmcnt(0)
	s_lshr_b32 s2, s2, 16
	s_mul_i32 s20, s12, s6
	s_mul_i32 s15, s15, s2
	s_cmp_lg_u32 s5, 0
	v_add_nc_u32_e32 v4, s15, v3
	v_add3_u32 v5, s15, s1, v3
	v_add3_u32 v6, v3, v0, s15
	s_mul_i32 s3, s13, s2
	s_cselect_b32 s7, -1, 0
	v_cmp_gt_u32_e64 s1, s6, v4
	s_mul_i32 s13, s20, s5
	s_mov_b32 s15, 0x3fb8aa3b
	s_mov_b32 s20, 0x32a5705f
	s_branch .LBB350_3
.LBB350_2:                              ;   in Loop: Header=BB350_3 Depth=1
	s_or_b32 exec_lo, exec_lo, s21
	v_add_nc_u32_e32 v5, s13, v5
	v_add_nc_u32_e32 v6, s13, v6
	s_add_i32 s14, s12, s14
	s_delay_alu instid0(SALU_CYCLE_1)
	s_cmp_ge_u32 s14, s4
	s_cbranch_scc1 .LBB350_26
.LBB350_3:                              ; =>This Loop Header: Depth=1
                                        ;     Child Loop BB350_7 Depth 2
                                        ;       Child Loop BB350_10 Depth 3
                                        ;       Child Loop BB350_12 Depth 3
	;; [unrolled: 1-line block ×5, first 2 shown]
	s_and_saveexec_b32 s21, s1
	s_cbranch_execz .LBB350_2
; %bb.4:                                ;   in Loop: Header=BB350_3 Depth=1
	s_load_b32 s2, s[18:19], 0xc
	v_mov_b32_e32 v7, v6
	v_mov_b32_e32 v9, v5
	;; [unrolled: 1-line block ×3, first 2 shown]
	s_mov_b32 s25, 0
	s_waitcnt lgkmcnt(0)
	s_and_b32 s22, s2, 0xffff
	s_delay_alu instid0(SALU_CYCLE_1) | instskip(SKIP_3) | instid1(VALU_DEP_1)
	v_mul_u32_u24_e32 v0, s22, v3
	s_cmp_lt_u32 s22, 2
	s_mul_i32 s24, s6, s22
	s_cselect_b32 s23, -1, 0
	v_lshl_add_u32 v8, v0, 2, 0
	s_delay_alu instid0(VALU_DEP_1)
	v_lshl_add_u32 v10, v2, 2, v8
	s_branch .LBB350_7
.LBB350_5:                              ;   in Loop: Header=BB350_7 Depth=2
	s_or_b32 exec_lo, exec_lo, s26
.LBB350_6:                              ;   in Loop: Header=BB350_7 Depth=2
	v_add_nc_u32_e32 v11, s3, v11
	v_add_nc_u32_e32 v9, s3, v9
	;; [unrolled: 1-line block ×3, first 2 shown]
	s_delay_alu instid0(VALU_DEP_3) | instskip(SKIP_1) | instid1(SALU_CYCLE_1)
	v_cmp_le_u32_e32 vcc_lo, s6, v11
	s_or_b32 s25, vcc_lo, s25
	s_and_not1_b32 exec_lo, exec_lo, s25
	s_cbranch_execz .LBB350_2
.LBB350_7:                              ;   Parent Loop BB350_3 Depth=1
                                        ; =>  This Loop Header: Depth=2
                                        ;       Child Loop BB350_10 Depth 3
                                        ;       Child Loop BB350_12 Depth 3
	;; [unrolled: 1-line block ×5, first 2 shown]
	s_and_not1_b32 vcc_lo, exec_lo, s23
	s_mov_b32 s2, -1
	s_cbranch_vccnz .LBB350_14
; %bb.8:                                ;   in Loop: Header=BB350_7 Depth=2
	v_mov_b32_e32 v12, 0
	s_and_not1_b32 vcc_lo, exec_lo, s7
	s_cbranch_vccnz .LBB350_11
; %bb.9:                                ;   in Loop: Header=BB350_7 Depth=2
	v_mov_b32_e32 v0, v9
	s_mov_b32 s2, s5
.LBB350_10:                             ;   Parent Loop BB350_3 Depth=1
                                        ;     Parent Loop BB350_7 Depth=2
                                        ; =>    This Inner Loop Header: Depth=3
	s_delay_alu instid0(VALU_DEP_1) | instskip(SKIP_2) | instid1(SALU_CYCLE_1)
	v_lshlrev_b64 v[13:14], 1, v[0:1]
	v_add_nc_u32_e32 v0, s6, v0
	s_add_i32 s2, s2, -1
	s_cmp_eq_u32 s2, 0
	s_delay_alu instid0(VALU_DEP_2) | instskip(NEXT) | instid1(VALU_DEP_3)
	v_add_co_u32 v13, vcc_lo, s16, v13
	v_add_co_ci_u32_e32 v14, vcc_lo, s17, v14, vcc_lo
	global_load_u16 v13, v[13:14], off
	s_waitcnt vmcnt(0)
	v_cvt_f32_f16_e32 v13, v13
	s_delay_alu instid0(VALU_DEP_1)
	v_add_f32_e32 v12, v12, v13
	s_cbranch_scc0 .LBB350_10
.LBB350_11:                             ;   in Loop: Header=BB350_7 Depth=2
	v_mov_b32_e32 v0, v9
	s_and_not1_b32 vcc_lo, exec_lo, s7
	s_mov_b32 s2, s5
	s_cbranch_vccnz .LBB350_13
	.p2align	6
.LBB350_12:                             ;   Parent Loop BB350_3 Depth=1
                                        ;     Parent Loop BB350_7 Depth=2
                                        ; =>    This Inner Loop Header: Depth=3
	s_delay_alu instid0(VALU_DEP_1) | instskip(SKIP_3) | instid1(VALU_DEP_2)
	v_lshlrev_b64 v[13:14], 1, v[0:1]
	s_add_i32 s2, s2, -1
	v_add_nc_u32_e32 v0, s6, v0
	s_cmp_lg_u32 s2, 0
	v_add_co_u32 v15, vcc_lo, s10, v13
	s_delay_alu instid0(VALU_DEP_3)
	v_add_co_ci_u32_e32 v16, vcc_lo, s11, v14, vcc_lo
	global_load_u16 v17, v[15:16], off
	v_add_co_u32 v15, vcc_lo, s16, v13
	v_add_co_ci_u32_e32 v16, vcc_lo, s17, v14, vcc_lo
	global_load_u16 v15, v[15:16], off
	s_waitcnt vmcnt(1)
	v_cvt_f32_f16_e32 v16, v17
	s_delay_alu instid0(VALU_DEP_1) | instskip(SKIP_1) | instid1(VALU_DEP_1)
	v_cmp_ngt_f32_e32 vcc_lo, 0xc2ce8ed0, v16
	v_mul_f32_e32 v18, 0x3fb8aa3b, v16
	v_fma_mix_f32 v19, v17, s15, -v18 op_sel_hi:[1,0,0]
	v_rndne_f32_e32 v20, v18
	s_delay_alu instid0(VALU_DEP_2) | instskip(NEXT) | instid1(VALU_DEP_2)
	v_fma_mix_f32 v17, v17, s20, v19 op_sel_hi:[1,0,0]
	v_sub_f32_e32 v18, v18, v20
	s_delay_alu instid0(VALU_DEP_1) | instskip(SKIP_1) | instid1(VALU_DEP_2)
	v_add_f32_e32 v17, v18, v17
	v_cvt_i32_f32_e32 v18, v20
	v_exp_f32_e32 v17, v17
	s_waitcnt_depctr 0xfff
	v_ldexp_f32 v17, v17, v18
	s_delay_alu instid0(VALU_DEP_1) | instskip(SKIP_1) | instid1(VALU_DEP_2)
	v_cndmask_b32_e32 v17, 0, v17, vcc_lo
	v_cmp_nlt_f32_e32 vcc_lo, 0x42b17218, v16
	v_cndmask_b32_e32 v16, 0x7f800000, v17, vcc_lo
	v_add_co_u32 v13, vcc_lo, s8, v13
	v_add_co_ci_u32_e32 v14, vcc_lo, s9, v14, vcc_lo
	s_waitcnt vmcnt(0)
	s_delay_alu instid0(VALU_DEP_3)
	v_fma_mixlo_f16 v15, -v12, v16, v15 op_sel_hi:[0,0,1]
	global_store_b16 v[13:14], v15, off
	s_cbranch_scc1 .LBB350_12
.LBB350_13:                             ;   in Loop: Header=BB350_7 Depth=2
	s_mov_b32 s2, 0
.LBB350_14:                             ;   in Loop: Header=BB350_7 Depth=2
	s_delay_alu instid0(SALU_CYCLE_1)
	s_and_b32 vcc_lo, exec_lo, s2
	s_cbranch_vccz .LBB350_6
; %bb.15:                               ;   in Loop: Header=BB350_7 Depth=2
	v_mov_b32_e32 v12, 0
	s_and_saveexec_b32 s2, s0
	s_cbranch_execz .LBB350_19
; %bb.16:                               ;   in Loop: Header=BB350_7 Depth=2
	v_dual_mov_b32 v12, 0 :: v_dual_mov_b32 v13, v2
	v_mov_b32_e32 v0, v7
	s_mov_b32 s26, 0
.LBB350_17:                             ;   Parent Loop BB350_3 Depth=1
                                        ;     Parent Loop BB350_7 Depth=2
                                        ; =>    This Inner Loop Header: Depth=3
	s_delay_alu instid0(VALU_DEP_1) | instskip(SKIP_1) | instid1(VALU_DEP_2)
	v_lshlrev_b64 v[14:15], 1, v[0:1]
	v_add_nc_u32_e32 v0, s24, v0
	v_add_co_u32 v14, vcc_lo, s16, v14
	s_delay_alu instid0(VALU_DEP_3) | instskip(SKIP_3) | instid1(VALU_DEP_1)
	v_add_co_ci_u32_e32 v15, vcc_lo, s17, v15, vcc_lo
	global_load_u16 v14, v[14:15], off
	s_waitcnt vmcnt(0)
	v_cvt_f32_f16_e32 v14, v14
	v_dual_add_f32 v12, v12, v14 :: v_dual_add_nc_u32 v13, s22, v13
	s_delay_alu instid0(VALU_DEP_1) | instskip(SKIP_1) | instid1(SALU_CYCLE_1)
	v_cmp_le_u32_e32 vcc_lo, s5, v13
	s_or_b32 s26, vcc_lo, s26
	s_and_not1_b32 exec_lo, exec_lo, s26
	s_cbranch_execnz .LBB350_17
; %bb.18:                               ;   in Loop: Header=BB350_7 Depth=2
	s_or_b32 exec_lo, exec_lo, s26
.LBB350_19:                             ;   in Loop: Header=BB350_7 Depth=2
	s_delay_alu instid0(SALU_CYCLE_1)
	s_or_b32 exec_lo, exec_lo, s2
	s_mov_b32 s2, s22
	s_waitcnt_vscnt null, 0x0
	s_barrier
	buffer_gl0_inv
	ds_store_b32 v10, v12
	s_branch .LBB350_21
	.p2align	6
.LBB350_20:                             ;   in Loop: Header=BB350_21 Depth=3
	s_or_b32 exec_lo, exec_lo, s27
	s_cmp_gt_u32 s2, 3
	s_mov_b32 s2, s26
	s_cbranch_scc0 .LBB350_23
.LBB350_21:                             ;   Parent Loop BB350_3 Depth=1
                                        ;     Parent Loop BB350_7 Depth=2
                                        ; =>    This Inner Loop Header: Depth=3
	s_lshr_b32 s26, s2, 1
	s_mov_b32 s27, exec_lo
	s_waitcnt lgkmcnt(0)
	s_barrier
	buffer_gl0_inv
	v_cmpx_gt_u32_e64 s26, v2
	s_cbranch_execz .LBB350_20
; %bb.22:                               ;   in Loop: Header=BB350_21 Depth=3
	v_lshl_add_u32 v0, s26, 2, v10
	ds_load_b32 v12, v10
	ds_load_b32 v0, v0
	s_waitcnt lgkmcnt(0)
	v_add_f32_e32 v0, v12, v0
	ds_store_b32 v10, v0
	s_branch .LBB350_20
.LBB350_23:                             ;   in Loop: Header=BB350_7 Depth=2
	s_waitcnt lgkmcnt(0)
	s_barrier
	buffer_gl0_inv
	s_and_saveexec_b32 s26, s0
	s_cbranch_execz .LBB350_5
; %bb.24:                               ;   in Loop: Header=BB350_7 Depth=2
	ds_load_b32 v12, v8
	v_dual_mov_b32 v0, v7 :: v_dual_mov_b32 v13, v2
	s_mov_b32 s27, 0
.LBB350_25:                             ;   Parent Loop BB350_3 Depth=1
                                        ;     Parent Loop BB350_7 Depth=2
                                        ; =>    This Inner Loop Header: Depth=3
	s_delay_alu instid0(VALU_DEP_1) | instskip(SKIP_1) | instid1(VALU_DEP_3)
	v_lshlrev_b64 v[14:15], 1, v[0:1]
	v_add_nc_u32_e32 v0, s24, v0
	v_add_nc_u32_e32 v13, s22, v13
	s_delay_alu instid0(VALU_DEP_3) | instskip(NEXT) | instid1(VALU_DEP_4)
	v_add_co_u32 v16, vcc_lo, s10, v14
	v_add_co_ci_u32_e32 v17, vcc_lo, s11, v15, vcc_lo
	global_load_u16 v18, v[16:17], off
	v_add_co_u32 v16, vcc_lo, s16, v14
	v_add_co_ci_u32_e32 v17, vcc_lo, s17, v15, vcc_lo
	global_load_u16 v16, v[16:17], off
	s_waitcnt vmcnt(1)
	v_cvt_f32_f16_e32 v17, v18
	s_delay_alu instid0(VALU_DEP_1) | instskip(SKIP_2) | instid1(VALU_DEP_2)
	v_cmp_ngt_f32_e32 vcc_lo, 0xc2ce8ed0, v17
	v_mul_f32_e32 v19, 0x3fb8aa3b, v17
	v_cmp_nlt_f32_e64 s2, 0x42b17218, v17
	v_fma_mix_f32 v20, v18, s15, -v19 op_sel_hi:[1,0,0]
	v_rndne_f32_e32 v21, v19
	s_delay_alu instid0(VALU_DEP_2) | instskip(NEXT) | instid1(VALU_DEP_2)
	v_fma_mix_f32 v18, v18, s20, v20 op_sel_hi:[1,0,0]
	v_sub_f32_e32 v19, v19, v21
	s_delay_alu instid0(VALU_DEP_1) | instskip(SKIP_1) | instid1(VALU_DEP_2)
	v_add_f32_e32 v18, v19, v18
	v_cvt_i32_f32_e32 v19, v21
	v_exp_f32_e32 v18, v18
	s_waitcnt_depctr 0xfff
	v_ldexp_f32 v18, v18, v19
	s_delay_alu instid0(VALU_DEP_1) | instskip(SKIP_1) | instid1(VALU_DEP_2)
	v_cndmask_b32_e32 v18, 0, v18, vcc_lo
	v_cmp_le_u32_e32 vcc_lo, s5, v13
	v_cndmask_b32_e64 v17, 0x7f800000, v18, s2
	v_add_co_u32 v14, s2, s8, v14
	s_delay_alu instid0(VALU_DEP_1) | instskip(SKIP_1) | instid1(VALU_DEP_3)
	v_add_co_ci_u32_e64 v15, s2, s9, v15, s2
	s_waitcnt vmcnt(0) lgkmcnt(0)
	v_fma_mixlo_f16 v16, -v12, v17, v16 op_sel_hi:[0,0,1]
	s_or_b32 s27, vcc_lo, s27
	global_store_b16 v[14:15], v16, off
	s_and_not1_b32 exec_lo, exec_lo, s27
	s_cbranch_execnz .LBB350_25
	s_branch .LBB350_5
.LBB350_26:
	s_nop 0
	s_sendmsg sendmsg(MSG_DEALLOC_VGPRS)
	s_endpgm
	.section	.rodata,"a",@progbits
	.p2align	6, 0x0
	.amdhsa_kernel _ZN2at6native12_GLOBAL__N_127cunn_SpatialSoftMaxBackwardIN3c104HalfEfS4_NS1_26LogSoftMaxBackwardEpilogueEEEvPT_PKT1_SA_jjj
		.amdhsa_group_segment_fixed_size 0
		.amdhsa_private_segment_fixed_size 0
		.amdhsa_kernarg_size 296
		.amdhsa_user_sgpr_count 14
		.amdhsa_user_sgpr_dispatch_ptr 0
		.amdhsa_user_sgpr_queue_ptr 0
		.amdhsa_user_sgpr_kernarg_segment_ptr 1
		.amdhsa_user_sgpr_dispatch_id 0
		.amdhsa_user_sgpr_private_segment_size 0
		.amdhsa_wavefront_size32 1
		.amdhsa_uses_dynamic_stack 0
		.amdhsa_enable_private_segment 0
		.amdhsa_system_sgpr_workgroup_id_x 1
		.amdhsa_system_sgpr_workgroup_id_y 1
		.amdhsa_system_sgpr_workgroup_id_z 0
		.amdhsa_system_sgpr_workgroup_info 0
		.amdhsa_system_vgpr_workitem_id 1
		.amdhsa_next_free_vgpr 22
		.amdhsa_next_free_sgpr 28
		.amdhsa_reserve_vcc 1
		.amdhsa_float_round_mode_32 0
		.amdhsa_float_round_mode_16_64 0
		.amdhsa_float_denorm_mode_32 3
		.amdhsa_float_denorm_mode_16_64 3
		.amdhsa_dx10_clamp 1
		.amdhsa_ieee_mode 1
		.amdhsa_fp16_overflow 0
		.amdhsa_workgroup_processor_mode 1
		.amdhsa_memory_ordered 1
		.amdhsa_forward_progress 0
		.amdhsa_shared_vgpr_count 0
		.amdhsa_exception_fp_ieee_invalid_op 0
		.amdhsa_exception_fp_denorm_src 0
		.amdhsa_exception_fp_ieee_div_zero 0
		.amdhsa_exception_fp_ieee_overflow 0
		.amdhsa_exception_fp_ieee_underflow 0
		.amdhsa_exception_fp_ieee_inexact 0
		.amdhsa_exception_int_div_zero 0
	.end_amdhsa_kernel
	.section	.text._ZN2at6native12_GLOBAL__N_127cunn_SpatialSoftMaxBackwardIN3c104HalfEfS4_NS1_26LogSoftMaxBackwardEpilogueEEEvPT_PKT1_SA_jjj,"axG",@progbits,_ZN2at6native12_GLOBAL__N_127cunn_SpatialSoftMaxBackwardIN3c104HalfEfS4_NS1_26LogSoftMaxBackwardEpilogueEEEvPT_PKT1_SA_jjj,comdat
.Lfunc_end350:
	.size	_ZN2at6native12_GLOBAL__N_127cunn_SpatialSoftMaxBackwardIN3c104HalfEfS4_NS1_26LogSoftMaxBackwardEpilogueEEEvPT_PKT1_SA_jjj, .Lfunc_end350-_ZN2at6native12_GLOBAL__N_127cunn_SpatialSoftMaxBackwardIN3c104HalfEfS4_NS1_26LogSoftMaxBackwardEpilogueEEEvPT_PKT1_SA_jjj
                                        ; -- End function
	.section	.AMDGPU.csdata,"",@progbits
; Kernel info:
; codeLenInByte = 1240
; NumSgprs: 30
; NumVgprs: 22
; ScratchSize: 0
; MemoryBound: 0
; FloatMode: 240
; IeeeMode: 1
; LDSByteSize: 0 bytes/workgroup (compile time only)
; SGPRBlocks: 3
; VGPRBlocks: 2
; NumSGPRsForWavesPerEU: 30
; NumVGPRsForWavesPerEU: 22
; Occupancy: 16
; WaveLimiterHint : 0
; COMPUTE_PGM_RSRC2:SCRATCH_EN: 0
; COMPUTE_PGM_RSRC2:USER_SGPR: 14
; COMPUTE_PGM_RSRC2:TRAP_HANDLER: 0
; COMPUTE_PGM_RSRC2:TGID_X_EN: 1
; COMPUTE_PGM_RSRC2:TGID_Y_EN: 1
; COMPUTE_PGM_RSRC2:TGID_Z_EN: 0
; COMPUTE_PGM_RSRC2:TIDIG_COMP_CNT: 1
	.section	.text._ZN2at6native12_GLOBAL__N_127cunn_SpatialSoftMaxBackwardIN3c104HalfEffNS1_26LogSoftMaxBackwardEpilogueEEEvPT_PKT1_SA_jjj,"axG",@progbits,_ZN2at6native12_GLOBAL__N_127cunn_SpatialSoftMaxBackwardIN3c104HalfEffNS1_26LogSoftMaxBackwardEpilogueEEEvPT_PKT1_SA_jjj,comdat
	.globl	_ZN2at6native12_GLOBAL__N_127cunn_SpatialSoftMaxBackwardIN3c104HalfEffNS1_26LogSoftMaxBackwardEpilogueEEEvPT_PKT1_SA_jjj ; -- Begin function _ZN2at6native12_GLOBAL__N_127cunn_SpatialSoftMaxBackwardIN3c104HalfEffNS1_26LogSoftMaxBackwardEpilogueEEEvPT_PKT1_SA_jjj
	.p2align	8
	.type	_ZN2at6native12_GLOBAL__N_127cunn_SpatialSoftMaxBackwardIN3c104HalfEffNS1_26LogSoftMaxBackwardEpilogueEEEvPT_PKT1_SA_jjj,@function
_ZN2at6native12_GLOBAL__N_127cunn_SpatialSoftMaxBackwardIN3c104HalfEffNS1_26LogSoftMaxBackwardEpilogueEEEvPT_PKT1_SA_jjj: ; @_ZN2at6native12_GLOBAL__N_127cunn_SpatialSoftMaxBackwardIN3c104HalfEffNS1_26LogSoftMaxBackwardEpilogueEEEvPT_PKT1_SA_jjj
; %bb.0:
	s_load_b128 s[4:7], s[0:1], 0x18
	s_waitcnt lgkmcnt(0)
	s_cmp_ge_u32 s14, s4
	s_cbranch_scc1 .LBB351_26
; %bb.1:
	s_clause 0x1
	s_load_b32 s2, s[0:1], 0x34
	s_load_b64 s[12:13], s[0:1], 0x28
	v_and_b32_e32 v2, 0x3ff, v0
	s_mul_i32 s3, s14, s5
	s_clause 0x1
	s_load_b128 s[8:11], s[0:1], 0x0
	s_load_b64 s[16:17], s[0:1], 0x10
	s_add_u32 s18, s0, 40
	v_bfe_u32 v3, v0, 10, 10
	v_add_nc_u32_e32 v1, s3, v2
	s_addc_u32 s19, s1, 0
	s_mul_i32 s1, s3, s6
	s_delay_alu instid0(VALU_DEP_1)
	v_mul_lo_u32 v0, s6, v1
	v_mov_b32_e32 v1, 0
	v_cmp_gt_u32_e64 s0, s5, v2
	s_waitcnt lgkmcnt(0)
	s_lshr_b32 s2, s2, 16
	s_cmp_lg_u32 s5, 0
	s_mul_i32 s15, s15, s2
	s_cselect_b32 s3, -1, 0
	v_add_nc_u32_e32 v4, s15, v3
	v_add3_u32 v5, s15, s1, v3
	v_add3_u32 v6, v3, v0, s15
	s_mul_i32 s15, s12, s6
	s_mul_i32 s7, s13, s2
	v_cmp_gt_u32_e64 s1, s6, v4
	s_mul_i32 s13, s15, s5
	s_branch .LBB351_3
.LBB351_2:                              ;   in Loop: Header=BB351_3 Depth=1
	s_or_b32 exec_lo, exec_lo, s15
	v_add_nc_u32_e32 v5, s13, v5
	v_add_nc_u32_e32 v6, s13, v6
	s_add_i32 s14, s12, s14
	s_delay_alu instid0(SALU_CYCLE_1)
	s_cmp_ge_u32 s14, s4
	s_cbranch_scc1 .LBB351_26
.LBB351_3:                              ; =>This Loop Header: Depth=1
                                        ;     Child Loop BB351_7 Depth 2
                                        ;       Child Loop BB351_10 Depth 3
                                        ;       Child Loop BB351_12 Depth 3
	;; [unrolled: 1-line block ×5, first 2 shown]
	s_delay_alu instid0(VALU_DEP_1)
	s_and_saveexec_b32 s15, s1
	s_cbranch_execz .LBB351_2
; %bb.4:                                ;   in Loop: Header=BB351_3 Depth=1
	s_load_b32 s2, s[18:19], 0xc
	v_mov_b32_e32 v7, v6
	v_mov_b32_e32 v9, v5
	;; [unrolled: 1-line block ×3, first 2 shown]
	s_mov_b32 s23, 0
	s_waitcnt lgkmcnt(0)
	s_and_b32 s20, s2, 0xffff
	s_delay_alu instid0(SALU_CYCLE_1) | instskip(SKIP_3) | instid1(VALU_DEP_1)
	v_mul_u32_u24_e32 v0, s20, v3
	s_cmp_lt_u32 s20, 2
	s_mul_i32 s22, s6, s20
	s_cselect_b32 s21, -1, 0
	v_lshl_add_u32 v8, v0, 2, 0
	s_delay_alu instid0(VALU_DEP_1)
	v_lshl_add_u32 v10, v2, 2, v8
	s_branch .LBB351_7
.LBB351_5:                              ;   in Loop: Header=BB351_7 Depth=2
	s_or_b32 exec_lo, exec_lo, s24
.LBB351_6:                              ;   in Loop: Header=BB351_7 Depth=2
	v_add_nc_u32_e32 v11, s7, v11
	v_add_nc_u32_e32 v9, s7, v9
	;; [unrolled: 1-line block ×3, first 2 shown]
	s_delay_alu instid0(VALU_DEP_3) | instskip(SKIP_1) | instid1(SALU_CYCLE_1)
	v_cmp_le_u32_e32 vcc_lo, s6, v11
	s_or_b32 s23, vcc_lo, s23
	s_and_not1_b32 exec_lo, exec_lo, s23
	s_cbranch_execz .LBB351_2
.LBB351_7:                              ;   Parent Loop BB351_3 Depth=1
                                        ; =>  This Loop Header: Depth=2
                                        ;       Child Loop BB351_10 Depth 3
                                        ;       Child Loop BB351_12 Depth 3
	;; [unrolled: 1-line block ×5, first 2 shown]
	s_and_not1_b32 vcc_lo, exec_lo, s21
	s_mov_b32 s2, -1
	s_cbranch_vccnz .LBB351_14
; %bb.8:                                ;   in Loop: Header=BB351_7 Depth=2
	v_mov_b32_e32 v12, 0
	s_and_not1_b32 vcc_lo, exec_lo, s3
	s_cbranch_vccnz .LBB351_11
; %bb.9:                                ;   in Loop: Header=BB351_7 Depth=2
	v_mov_b32_e32 v0, v9
	s_mov_b32 s2, s5
.LBB351_10:                             ;   Parent Loop BB351_3 Depth=1
                                        ;     Parent Loop BB351_7 Depth=2
                                        ; =>    This Inner Loop Header: Depth=3
	s_delay_alu instid0(VALU_DEP_1) | instskip(SKIP_2) | instid1(SALU_CYCLE_1)
	v_lshlrev_b64 v[13:14], 2, v[0:1]
	v_add_nc_u32_e32 v0, s6, v0
	s_add_i32 s2, s2, -1
	s_cmp_eq_u32 s2, 0
	s_delay_alu instid0(VALU_DEP_2) | instskip(NEXT) | instid1(VALU_DEP_3)
	v_add_co_u32 v13, vcc_lo, s16, v13
	v_add_co_ci_u32_e32 v14, vcc_lo, s17, v14, vcc_lo
	global_load_b32 v13, v[13:14], off
	s_waitcnt vmcnt(0)
	v_add_f32_e32 v12, v12, v13
	s_cbranch_scc0 .LBB351_10
.LBB351_11:                             ;   in Loop: Header=BB351_7 Depth=2
	v_mov_b32_e32 v0, v9
	s_and_not1_b32 vcc_lo, exec_lo, s3
	s_mov_b32 s2, s5
	s_cbranch_vccnz .LBB351_13
	.p2align	6
.LBB351_12:                             ;   Parent Loop BB351_3 Depth=1
                                        ;     Parent Loop BB351_7 Depth=2
                                        ; =>    This Inner Loop Header: Depth=3
	s_delay_alu instid0(VALU_DEP_1) | instskip(SKIP_1) | instid1(SALU_CYCLE_1)
	v_lshlrev_b64 v[13:14], 2, v[0:1]
	s_add_i32 s2, s2, -1
	s_cmp_lg_u32 s2, 0
	s_delay_alu instid0(VALU_DEP_1) | instskip(NEXT) | instid1(VALU_DEP_2)
	v_add_co_u32 v15, vcc_lo, s10, v13
	v_add_co_ci_u32_e32 v16, vcc_lo, s11, v14, vcc_lo
	v_add_co_u32 v13, vcc_lo, s16, v13
	v_add_co_ci_u32_e32 v14, vcc_lo, s17, v14, vcc_lo
	global_load_b32 v15, v[15:16], off
	global_load_b32 v16, v[13:14], off
	s_waitcnt vmcnt(1)
	v_mul_f32_e32 v13, 0x3fb8aa3b, v15
	v_cmp_ngt_f32_e32 vcc_lo, 0xc2ce8ed0, v15
	s_delay_alu instid0(VALU_DEP_2) | instskip(SKIP_1) | instid1(VALU_DEP_1)
	v_fma_f32 v14, 0x3fb8aa3b, v15, -v13
	v_rndne_f32_e32 v17, v13
	v_dual_fmac_f32 v14, 0x32a5705f, v15 :: v_dual_sub_f32 v13, v13, v17
	s_delay_alu instid0(VALU_DEP_1) | instskip(SKIP_1) | instid1(VALU_DEP_2)
	v_add_f32_e32 v13, v13, v14
	v_cvt_i32_f32_e32 v14, v17
	v_exp_f32_e32 v13, v13
	s_waitcnt_depctr 0xfff
	v_ldexp_f32 v13, v13, v14
	s_delay_alu instid0(VALU_DEP_1) | instskip(SKIP_3) | instid1(VALU_DEP_4)
	v_cndmask_b32_e32 v17, 0, v13, vcc_lo
	v_cmp_nlt_f32_e32 vcc_lo, 0x42b17218, v15
	v_lshlrev_b64 v[13:14], 1, v[0:1]
	v_add_nc_u32_e32 v0, s6, v0
	v_cndmask_b32_e32 v15, 0x7f800000, v17, vcc_lo
	s_delay_alu instid0(VALU_DEP_3) | instskip(NEXT) | instid1(VALU_DEP_4)
	v_add_co_u32 v13, vcc_lo, s8, v13
	v_add_co_ci_u32_e32 v14, vcc_lo, s9, v14, vcc_lo
	s_waitcnt vmcnt(0)
	s_delay_alu instid0(VALU_DEP_3)
	v_fma_mixlo_f16 v15, -v12, v15, v16
	global_store_b16 v[13:14], v15, off
	s_cbranch_scc1 .LBB351_12
.LBB351_13:                             ;   in Loop: Header=BB351_7 Depth=2
	s_mov_b32 s2, 0
.LBB351_14:                             ;   in Loop: Header=BB351_7 Depth=2
	s_delay_alu instid0(SALU_CYCLE_1)
	s_and_b32 vcc_lo, exec_lo, s2
	s_cbranch_vccz .LBB351_6
; %bb.15:                               ;   in Loop: Header=BB351_7 Depth=2
	v_mov_b32_e32 v12, 0
	s_and_saveexec_b32 s2, s0
	s_cbranch_execz .LBB351_19
; %bb.16:                               ;   in Loop: Header=BB351_7 Depth=2
	v_dual_mov_b32 v12, 0 :: v_dual_mov_b32 v13, v2
	v_mov_b32_e32 v0, v7
	s_mov_b32 s24, 0
.LBB351_17:                             ;   Parent Loop BB351_3 Depth=1
                                        ;     Parent Loop BB351_7 Depth=2
                                        ; =>    This Inner Loop Header: Depth=3
	s_delay_alu instid0(VALU_DEP_1) | instskip(SKIP_1) | instid1(VALU_DEP_2)
	v_lshlrev_b64 v[14:15], 2, v[0:1]
	v_add_nc_u32_e32 v0, s22, v0
	v_add_co_u32 v14, vcc_lo, s16, v14
	s_delay_alu instid0(VALU_DEP_3) | instskip(SKIP_3) | instid1(VALU_DEP_1)
	v_add_co_ci_u32_e32 v15, vcc_lo, s17, v15, vcc_lo
	global_load_b32 v14, v[14:15], off
	s_waitcnt vmcnt(0)
	v_dual_add_f32 v12, v12, v14 :: v_dual_add_nc_u32 v13, s20, v13
	v_cmp_le_u32_e32 vcc_lo, s5, v13
	s_or_b32 s24, vcc_lo, s24
	s_delay_alu instid0(SALU_CYCLE_1)
	s_and_not1_b32 exec_lo, exec_lo, s24
	s_cbranch_execnz .LBB351_17
; %bb.18:                               ;   in Loop: Header=BB351_7 Depth=2
	s_or_b32 exec_lo, exec_lo, s24
.LBB351_19:                             ;   in Loop: Header=BB351_7 Depth=2
	s_delay_alu instid0(SALU_CYCLE_1)
	s_or_b32 exec_lo, exec_lo, s2
	s_mov_b32 s2, s20
	s_waitcnt_vscnt null, 0x0
	s_barrier
	buffer_gl0_inv
	ds_store_b32 v10, v12
	s_branch .LBB351_21
	.p2align	6
.LBB351_20:                             ;   in Loop: Header=BB351_21 Depth=3
	s_or_b32 exec_lo, exec_lo, s25
	s_cmp_gt_u32 s2, 3
	s_mov_b32 s2, s24
	s_cbranch_scc0 .LBB351_23
.LBB351_21:                             ;   Parent Loop BB351_3 Depth=1
                                        ;     Parent Loop BB351_7 Depth=2
                                        ; =>    This Inner Loop Header: Depth=3
	s_lshr_b32 s24, s2, 1
	s_mov_b32 s25, exec_lo
	s_waitcnt lgkmcnt(0)
	s_barrier
	buffer_gl0_inv
	v_cmpx_gt_u32_e64 s24, v2
	s_cbranch_execz .LBB351_20
; %bb.22:                               ;   in Loop: Header=BB351_21 Depth=3
	v_lshl_add_u32 v0, s24, 2, v10
	ds_load_b32 v12, v10
	ds_load_b32 v0, v0
	s_waitcnt lgkmcnt(0)
	v_add_f32_e32 v0, v12, v0
	ds_store_b32 v10, v0
	s_branch .LBB351_20
.LBB351_23:                             ;   in Loop: Header=BB351_7 Depth=2
	s_waitcnt lgkmcnt(0)
	s_barrier
	buffer_gl0_inv
	s_and_saveexec_b32 s24, s0
	s_cbranch_execz .LBB351_5
; %bb.24:                               ;   in Loop: Header=BB351_7 Depth=2
	ds_load_b32 v12, v8
	v_dual_mov_b32 v0, v7 :: v_dual_mov_b32 v13, v2
	s_mov_b32 s25, 0
.LBB351_25:                             ;   Parent Loop BB351_3 Depth=1
                                        ;     Parent Loop BB351_7 Depth=2
                                        ; =>    This Inner Loop Header: Depth=3
	s_delay_alu instid0(VALU_DEP_1) | instskip(NEXT) | instid1(VALU_DEP_2)
	v_lshlrev_b64 v[14:15], 2, v[0:1]
	v_add_nc_u32_e32 v13, s20, v13
	s_delay_alu instid0(VALU_DEP_2) | instskip(NEXT) | instid1(VALU_DEP_3)
	v_add_co_u32 v16, vcc_lo, s10, v14
	v_add_co_ci_u32_e32 v17, vcc_lo, s11, v15, vcc_lo
	v_add_co_u32 v14, vcc_lo, s16, v14
	v_add_co_ci_u32_e32 v15, vcc_lo, s17, v15, vcc_lo
	global_load_b32 v16, v[16:17], off
	global_load_b32 v17, v[14:15], off
	s_waitcnt vmcnt(1)
	v_mul_f32_e32 v14, 0x3fb8aa3b, v16
	v_cmp_ngt_f32_e32 vcc_lo, 0xc2ce8ed0, v16
	v_cmp_nlt_f32_e64 s2, 0x42b17218, v16
	s_delay_alu instid0(VALU_DEP_3) | instskip(SKIP_1) | instid1(VALU_DEP_1)
	v_fma_f32 v15, 0x3fb8aa3b, v16, -v14
	v_rndne_f32_e32 v18, v14
	v_dual_fmac_f32 v15, 0x32a5705f, v16 :: v_dual_sub_f32 v14, v14, v18
	s_delay_alu instid0(VALU_DEP_1) | instskip(SKIP_1) | instid1(VALU_DEP_2)
	v_add_f32_e32 v14, v14, v15
	v_cvt_i32_f32_e32 v15, v18
	v_exp_f32_e32 v14, v14
	s_waitcnt_depctr 0xfff
	v_ldexp_f32 v14, v14, v15
	s_delay_alu instid0(VALU_DEP_1) | instskip(SKIP_3) | instid1(VALU_DEP_4)
	v_cndmask_b32_e32 v18, 0, v14, vcc_lo
	v_lshlrev_b64 v[14:15], 1, v[0:1]
	v_cmp_le_u32_e32 vcc_lo, s5, v13
	v_add_nc_u32_e32 v0, s22, v0
	v_cndmask_b32_e64 v16, 0x7f800000, v18, s2
	s_delay_alu instid0(VALU_DEP_4) | instskip(NEXT) | instid1(VALU_DEP_1)
	v_add_co_u32 v14, s2, s8, v14
	v_add_co_ci_u32_e64 v15, s2, s9, v15, s2
	s_waitcnt vmcnt(0) lgkmcnt(0)
	s_delay_alu instid0(VALU_DEP_3)
	v_fma_mixlo_f16 v16, -v12, v16, v17
	s_or_b32 s25, vcc_lo, s25
	global_store_b16 v[14:15], v16, off
	s_and_not1_b32 exec_lo, exec_lo, s25
	s_cbranch_execnz .LBB351_25
	s_branch .LBB351_5
.LBB351_26:
	s_nop 0
	s_sendmsg sendmsg(MSG_DEALLOC_VGPRS)
	s_endpgm
	.section	.rodata,"a",@progbits
	.p2align	6, 0x0
	.amdhsa_kernel _ZN2at6native12_GLOBAL__N_127cunn_SpatialSoftMaxBackwardIN3c104HalfEffNS1_26LogSoftMaxBackwardEpilogueEEEvPT_PKT1_SA_jjj
		.amdhsa_group_segment_fixed_size 0
		.amdhsa_private_segment_fixed_size 0
		.amdhsa_kernarg_size 296
		.amdhsa_user_sgpr_count 14
		.amdhsa_user_sgpr_dispatch_ptr 0
		.amdhsa_user_sgpr_queue_ptr 0
		.amdhsa_user_sgpr_kernarg_segment_ptr 1
		.amdhsa_user_sgpr_dispatch_id 0
		.amdhsa_user_sgpr_private_segment_size 0
		.amdhsa_wavefront_size32 1
		.amdhsa_uses_dynamic_stack 0
		.amdhsa_enable_private_segment 0
		.amdhsa_system_sgpr_workgroup_id_x 1
		.amdhsa_system_sgpr_workgroup_id_y 1
		.amdhsa_system_sgpr_workgroup_id_z 0
		.amdhsa_system_sgpr_workgroup_info 0
		.amdhsa_system_vgpr_workitem_id 1
		.amdhsa_next_free_vgpr 19
		.amdhsa_next_free_sgpr 26
		.amdhsa_reserve_vcc 1
		.amdhsa_float_round_mode_32 0
		.amdhsa_float_round_mode_16_64 0
		.amdhsa_float_denorm_mode_32 3
		.amdhsa_float_denorm_mode_16_64 3
		.amdhsa_dx10_clamp 1
		.amdhsa_ieee_mode 1
		.amdhsa_fp16_overflow 0
		.amdhsa_workgroup_processor_mode 1
		.amdhsa_memory_ordered 1
		.amdhsa_forward_progress 0
		.amdhsa_shared_vgpr_count 0
		.amdhsa_exception_fp_ieee_invalid_op 0
		.amdhsa_exception_fp_denorm_src 0
		.amdhsa_exception_fp_ieee_div_zero 0
		.amdhsa_exception_fp_ieee_overflow 0
		.amdhsa_exception_fp_ieee_underflow 0
		.amdhsa_exception_fp_ieee_inexact 0
		.amdhsa_exception_int_div_zero 0
	.end_amdhsa_kernel
	.section	.text._ZN2at6native12_GLOBAL__N_127cunn_SpatialSoftMaxBackwardIN3c104HalfEffNS1_26LogSoftMaxBackwardEpilogueEEEvPT_PKT1_SA_jjj,"axG",@progbits,_ZN2at6native12_GLOBAL__N_127cunn_SpatialSoftMaxBackwardIN3c104HalfEffNS1_26LogSoftMaxBackwardEpilogueEEEvPT_PKT1_SA_jjj,comdat
.Lfunc_end351:
	.size	_ZN2at6native12_GLOBAL__N_127cunn_SpatialSoftMaxBackwardIN3c104HalfEffNS1_26LogSoftMaxBackwardEpilogueEEEvPT_PKT1_SA_jjj, .Lfunc_end351-_ZN2at6native12_GLOBAL__N_127cunn_SpatialSoftMaxBackwardIN3c104HalfEffNS1_26LogSoftMaxBackwardEpilogueEEEvPT_PKT1_SA_jjj
                                        ; -- End function
	.section	.AMDGPU.csdata,"",@progbits
; Kernel info:
; codeLenInByte = 1232
; NumSgprs: 28
; NumVgprs: 19
; ScratchSize: 0
; MemoryBound: 0
; FloatMode: 240
; IeeeMode: 1
; LDSByteSize: 0 bytes/workgroup (compile time only)
; SGPRBlocks: 3
; VGPRBlocks: 2
; NumSGPRsForWavesPerEU: 28
; NumVGPRsForWavesPerEU: 19
; Occupancy: 16
; WaveLimiterHint : 0
; COMPUTE_PGM_RSRC2:SCRATCH_EN: 0
; COMPUTE_PGM_RSRC2:USER_SGPR: 14
; COMPUTE_PGM_RSRC2:TRAP_HANDLER: 0
; COMPUTE_PGM_RSRC2:TGID_X_EN: 1
; COMPUTE_PGM_RSRC2:TGID_Y_EN: 1
; COMPUTE_PGM_RSRC2:TGID_Z_EN: 0
; COMPUTE_PGM_RSRC2:TIDIG_COMP_CNT: 1
	.section	.text._ZN2at6native12_GLOBAL__N_127cunn_SpatialSoftMaxBackwardIN3c108BFloat16EfS4_NS1_26LogSoftMaxBackwardEpilogueEEEvPT_PKT1_SA_jjj,"axG",@progbits,_ZN2at6native12_GLOBAL__N_127cunn_SpatialSoftMaxBackwardIN3c108BFloat16EfS4_NS1_26LogSoftMaxBackwardEpilogueEEEvPT_PKT1_SA_jjj,comdat
	.globl	_ZN2at6native12_GLOBAL__N_127cunn_SpatialSoftMaxBackwardIN3c108BFloat16EfS4_NS1_26LogSoftMaxBackwardEpilogueEEEvPT_PKT1_SA_jjj ; -- Begin function _ZN2at6native12_GLOBAL__N_127cunn_SpatialSoftMaxBackwardIN3c108BFloat16EfS4_NS1_26LogSoftMaxBackwardEpilogueEEEvPT_PKT1_SA_jjj
	.p2align	8
	.type	_ZN2at6native12_GLOBAL__N_127cunn_SpatialSoftMaxBackwardIN3c108BFloat16EfS4_NS1_26LogSoftMaxBackwardEpilogueEEEvPT_PKT1_SA_jjj,@function
_ZN2at6native12_GLOBAL__N_127cunn_SpatialSoftMaxBackwardIN3c108BFloat16EfS4_NS1_26LogSoftMaxBackwardEpilogueEEEvPT_PKT1_SA_jjj: ; @_ZN2at6native12_GLOBAL__N_127cunn_SpatialSoftMaxBackwardIN3c108BFloat16EfS4_NS1_26LogSoftMaxBackwardEpilogueEEEvPT_PKT1_SA_jjj
; %bb.0:
	s_load_b128 s[4:7], s[0:1], 0x18
	s_waitcnt lgkmcnt(0)
	s_cmp_ge_u32 s14, s4
	s_cbranch_scc1 .LBB352_26
; %bb.1:
	s_clause 0x1
	s_load_b32 s2, s[0:1], 0x34
	s_load_b64 s[12:13], s[0:1], 0x28
	v_and_b32_e32 v2, 0x3ff, v0
	s_mul_i32 s3, s14, s5
	s_clause 0x1
	s_load_b128 s[8:11], s[0:1], 0x0
	s_load_b64 s[16:17], s[0:1], 0x10
	s_add_u32 s18, s0, 40
	v_bfe_u32 v3, v0, 10, 10
	v_add_nc_u32_e32 v1, s3, v2
	s_addc_u32 s19, s1, 0
	s_mul_i32 s1, s3, s6
	s_delay_alu instid0(VALU_DEP_1)
	v_mul_lo_u32 v0, s6, v1
	v_mov_b32_e32 v1, 0
	v_cmp_gt_u32_e64 s0, s5, v2
	s_waitcnt lgkmcnt(0)
	s_lshr_b32 s2, s2, 16
	s_cmp_lg_u32 s5, 0
	s_mul_i32 s15, s15, s2
	s_cselect_b32 s3, -1, 0
	v_add_nc_u32_e32 v4, s15, v3
	v_add3_u32 v5, s15, s1, v3
	v_add3_u32 v6, v3, v0, s15
	s_mul_i32 s15, s12, s6
	s_mul_i32 s7, s13, s2
	v_cmp_gt_u32_e64 s1, s6, v4
	s_mul_i32 s13, s15, s5
	s_branch .LBB352_3
.LBB352_2:                              ;   in Loop: Header=BB352_3 Depth=1
	s_or_b32 exec_lo, exec_lo, s15
	v_add_nc_u32_e32 v5, s13, v5
	v_add_nc_u32_e32 v6, s13, v6
	s_add_i32 s14, s12, s14
	s_delay_alu instid0(SALU_CYCLE_1)
	s_cmp_ge_u32 s14, s4
	s_cbranch_scc1 .LBB352_26
.LBB352_3:                              ; =>This Loop Header: Depth=1
                                        ;     Child Loop BB352_7 Depth 2
                                        ;       Child Loop BB352_10 Depth 3
                                        ;       Child Loop BB352_12 Depth 3
	;; [unrolled: 1-line block ×5, first 2 shown]
	s_delay_alu instid0(VALU_DEP_1)
	s_and_saveexec_b32 s15, s1
	s_cbranch_execz .LBB352_2
; %bb.4:                                ;   in Loop: Header=BB352_3 Depth=1
	s_load_b32 s2, s[18:19], 0xc
	v_mov_b32_e32 v7, v6
	v_mov_b32_e32 v9, v5
	;; [unrolled: 1-line block ×3, first 2 shown]
	s_mov_b32 s23, 0
	s_waitcnt lgkmcnt(0)
	s_and_b32 s20, s2, 0xffff
	s_delay_alu instid0(SALU_CYCLE_1) | instskip(SKIP_3) | instid1(VALU_DEP_1)
	v_mul_u32_u24_e32 v0, s20, v3
	s_cmp_lt_u32 s20, 2
	s_mul_i32 s22, s6, s20
	s_cselect_b32 s21, -1, 0
	v_lshl_add_u32 v8, v0, 2, 0
	s_delay_alu instid0(VALU_DEP_1)
	v_lshl_add_u32 v10, v2, 2, v8
	s_branch .LBB352_7
.LBB352_5:                              ;   in Loop: Header=BB352_7 Depth=2
	s_or_b32 exec_lo, exec_lo, s24
.LBB352_6:                              ;   in Loop: Header=BB352_7 Depth=2
	v_add_nc_u32_e32 v11, s7, v11
	v_add_nc_u32_e32 v9, s7, v9
	;; [unrolled: 1-line block ×3, first 2 shown]
	s_delay_alu instid0(VALU_DEP_3) | instskip(SKIP_1) | instid1(SALU_CYCLE_1)
	v_cmp_le_u32_e32 vcc_lo, s6, v11
	s_or_b32 s23, vcc_lo, s23
	s_and_not1_b32 exec_lo, exec_lo, s23
	s_cbranch_execz .LBB352_2
.LBB352_7:                              ;   Parent Loop BB352_3 Depth=1
                                        ; =>  This Loop Header: Depth=2
                                        ;       Child Loop BB352_10 Depth 3
                                        ;       Child Loop BB352_12 Depth 3
	;; [unrolled: 1-line block ×5, first 2 shown]
	s_and_not1_b32 vcc_lo, exec_lo, s21
	s_mov_b32 s2, -1
	s_cbranch_vccnz .LBB352_14
; %bb.8:                                ;   in Loop: Header=BB352_7 Depth=2
	v_mov_b32_e32 v12, 0
	s_and_not1_b32 vcc_lo, exec_lo, s3
	s_cbranch_vccnz .LBB352_11
; %bb.9:                                ;   in Loop: Header=BB352_7 Depth=2
	v_mov_b32_e32 v0, v9
	s_mov_b32 s2, s5
.LBB352_10:                             ;   Parent Loop BB352_3 Depth=1
                                        ;     Parent Loop BB352_7 Depth=2
                                        ; =>    This Inner Loop Header: Depth=3
	s_delay_alu instid0(VALU_DEP_1) | instskip(SKIP_2) | instid1(SALU_CYCLE_1)
	v_lshlrev_b64 v[13:14], 1, v[0:1]
	v_add_nc_u32_e32 v0, s6, v0
	s_add_i32 s2, s2, -1
	s_cmp_eq_u32 s2, 0
	s_delay_alu instid0(VALU_DEP_2) | instskip(NEXT) | instid1(VALU_DEP_3)
	v_add_co_u32 v13, vcc_lo, s16, v13
	v_add_co_ci_u32_e32 v14, vcc_lo, s17, v14, vcc_lo
	global_load_u16 v13, v[13:14], off
	s_waitcnt vmcnt(0)
	v_lshlrev_b32_e32 v13, 16, v13
	s_delay_alu instid0(VALU_DEP_1)
	v_add_f32_e32 v12, v12, v13
	s_cbranch_scc0 .LBB352_10
.LBB352_11:                             ;   in Loop: Header=BB352_7 Depth=2
	v_mov_b32_e32 v0, v9
	s_and_not1_b32 vcc_lo, exec_lo, s3
	s_mov_b32 s2, s5
	s_cbranch_vccnz .LBB352_13
.LBB352_12:                             ;   Parent Loop BB352_3 Depth=1
                                        ;     Parent Loop BB352_7 Depth=2
                                        ; =>    This Inner Loop Header: Depth=3
	s_delay_alu instid0(VALU_DEP_1) | instskip(SKIP_3) | instid1(VALU_DEP_2)
	v_lshlrev_b64 v[13:14], 1, v[0:1]
	s_add_i32 s2, s2, -1
	v_add_nc_u32_e32 v0, s6, v0
	s_cmp_lg_u32 s2, 0
	v_add_co_u32 v15, vcc_lo, s10, v13
	s_delay_alu instid0(VALU_DEP_3)
	v_add_co_ci_u32_e32 v16, vcc_lo, s11, v14, vcc_lo
	global_load_u16 v17, v[15:16], off
	v_add_co_u32 v15, vcc_lo, s16, v13
	v_add_co_ci_u32_e32 v16, vcc_lo, s17, v14, vcc_lo
	global_load_u16 v15, v[15:16], off
	s_waitcnt vmcnt(1)
	v_lshlrev_b32_e32 v16, 16, v17
	s_delay_alu instid0(VALU_DEP_1) | instskip(NEXT) | instid1(VALU_DEP_1)
	v_mul_f32_e32 v17, 0x3fb8aa3b, v16
	v_fma_f32 v18, 0x3fb8aa3b, v16, -v17
	v_rndne_f32_e32 v19, v17
	s_delay_alu instid0(VALU_DEP_1) | instskip(SKIP_1) | instid1(VALU_DEP_4)
	v_sub_f32_e32 v17, v17, v19
	v_cmp_ngt_f32_e32 vcc_lo, 0xc2ce8ed0, v16
	v_fmac_f32_e32 v18, 0x32a5705f, v16
	s_delay_alu instid0(VALU_DEP_1) | instskip(SKIP_1) | instid1(VALU_DEP_2)
	v_add_f32_e32 v17, v17, v18
	v_cvt_i32_f32_e32 v18, v19
	v_exp_f32_e32 v17, v17
	s_waitcnt_depctr 0xfff
	v_ldexp_f32 v17, v17, v18
	s_delay_alu instid0(VALU_DEP_1) | instskip(SKIP_2) | instid1(VALU_DEP_2)
	v_cndmask_b32_e32 v17, 0, v17, vcc_lo
	v_cmp_nlt_f32_e32 vcc_lo, 0x42b17218, v16
	s_waitcnt vmcnt(0)
	v_dual_cndmask_b32 v16, 0x7f800000, v17 :: v_dual_lshlrev_b32 v15, 16, v15
	v_add_co_u32 v13, vcc_lo, s8, v13
	v_add_co_ci_u32_e32 v14, vcc_lo, s9, v14, vcc_lo
	s_delay_alu instid0(VALU_DEP_3) | instskip(NEXT) | instid1(VALU_DEP_1)
	v_fma_f32 v15, -v12, v16, v15
	v_bfe_u32 v16, v15, 16, 1
	v_cmp_o_f32_e32 vcc_lo, v15, v15
	s_delay_alu instid0(VALU_DEP_2) | instskip(NEXT) | instid1(VALU_DEP_1)
	v_add3_u32 v16, v15, v16, 0x7fff
	v_lshrrev_b32_e32 v16, 16, v16
	s_delay_alu instid0(VALU_DEP_1)
	v_cndmask_b32_e32 v15, 0x7fc0, v16, vcc_lo
	global_store_b16 v[13:14], v15, off
	s_cbranch_scc1 .LBB352_12
.LBB352_13:                             ;   in Loop: Header=BB352_7 Depth=2
	s_mov_b32 s2, 0
.LBB352_14:                             ;   in Loop: Header=BB352_7 Depth=2
	s_delay_alu instid0(SALU_CYCLE_1)
	s_and_b32 vcc_lo, exec_lo, s2
	s_cbranch_vccz .LBB352_6
; %bb.15:                               ;   in Loop: Header=BB352_7 Depth=2
	v_mov_b32_e32 v12, 0
	s_and_saveexec_b32 s2, s0
	s_cbranch_execz .LBB352_19
; %bb.16:                               ;   in Loop: Header=BB352_7 Depth=2
	v_dual_mov_b32 v12, 0 :: v_dual_mov_b32 v13, v2
	v_mov_b32_e32 v0, v7
	s_mov_b32 s24, 0
.LBB352_17:                             ;   Parent Loop BB352_3 Depth=1
                                        ;     Parent Loop BB352_7 Depth=2
                                        ; =>    This Inner Loop Header: Depth=3
	s_delay_alu instid0(VALU_DEP_1) | instskip(SKIP_1) | instid1(VALU_DEP_2)
	v_lshlrev_b64 v[14:15], 1, v[0:1]
	v_add_nc_u32_e32 v0, s22, v0
	v_add_co_u32 v14, vcc_lo, s16, v14
	s_delay_alu instid0(VALU_DEP_3) | instskip(SKIP_3) | instid1(VALU_DEP_1)
	v_add_co_ci_u32_e32 v15, vcc_lo, s17, v15, vcc_lo
	global_load_u16 v14, v[14:15], off
	s_waitcnt vmcnt(0)
	v_lshlrev_b32_e32 v14, 16, v14
	v_dual_add_f32 v12, v12, v14 :: v_dual_add_nc_u32 v13, s20, v13
	s_delay_alu instid0(VALU_DEP_1) | instskip(SKIP_1) | instid1(SALU_CYCLE_1)
	v_cmp_le_u32_e32 vcc_lo, s5, v13
	s_or_b32 s24, vcc_lo, s24
	s_and_not1_b32 exec_lo, exec_lo, s24
	s_cbranch_execnz .LBB352_17
; %bb.18:                               ;   in Loop: Header=BB352_7 Depth=2
	s_or_b32 exec_lo, exec_lo, s24
.LBB352_19:                             ;   in Loop: Header=BB352_7 Depth=2
	s_delay_alu instid0(SALU_CYCLE_1)
	s_or_b32 exec_lo, exec_lo, s2
	s_mov_b32 s2, s20
	s_waitcnt_vscnt null, 0x0
	s_barrier
	buffer_gl0_inv
	ds_store_b32 v10, v12
	s_branch .LBB352_21
	.p2align	6
.LBB352_20:                             ;   in Loop: Header=BB352_21 Depth=3
	s_or_b32 exec_lo, exec_lo, s25
	s_cmp_gt_u32 s2, 3
	s_mov_b32 s2, s24
	s_cbranch_scc0 .LBB352_23
.LBB352_21:                             ;   Parent Loop BB352_3 Depth=1
                                        ;     Parent Loop BB352_7 Depth=2
                                        ; =>    This Inner Loop Header: Depth=3
	s_lshr_b32 s24, s2, 1
	s_mov_b32 s25, exec_lo
	s_waitcnt lgkmcnt(0)
	s_barrier
	buffer_gl0_inv
	v_cmpx_gt_u32_e64 s24, v2
	s_cbranch_execz .LBB352_20
; %bb.22:                               ;   in Loop: Header=BB352_21 Depth=3
	v_lshl_add_u32 v0, s24, 2, v10
	ds_load_b32 v12, v10
	ds_load_b32 v0, v0
	s_waitcnt lgkmcnt(0)
	v_add_f32_e32 v0, v12, v0
	ds_store_b32 v10, v0
	s_branch .LBB352_20
.LBB352_23:                             ;   in Loop: Header=BB352_7 Depth=2
	s_waitcnt lgkmcnt(0)
	s_barrier
	buffer_gl0_inv
	s_and_saveexec_b32 s24, s0
	s_cbranch_execz .LBB352_5
; %bb.24:                               ;   in Loop: Header=BB352_7 Depth=2
	ds_load_b32 v12, v8
	v_dual_mov_b32 v0, v7 :: v_dual_mov_b32 v13, v2
	s_mov_b32 s25, 0
.LBB352_25:                             ;   Parent Loop BB352_3 Depth=1
                                        ;     Parent Loop BB352_7 Depth=2
                                        ; =>    This Inner Loop Header: Depth=3
	s_delay_alu instid0(VALU_DEP_1) | instskip(SKIP_1) | instid1(VALU_DEP_3)
	v_lshlrev_b64 v[14:15], 1, v[0:1]
	v_add_nc_u32_e32 v0, s22, v0
	v_add_nc_u32_e32 v13, s20, v13
	s_delay_alu instid0(VALU_DEP_3) | instskip(NEXT) | instid1(VALU_DEP_4)
	v_add_co_u32 v16, vcc_lo, s10, v14
	v_add_co_ci_u32_e32 v17, vcc_lo, s11, v15, vcc_lo
	global_load_u16 v18, v[16:17], off
	v_add_co_u32 v16, vcc_lo, s16, v14
	v_add_co_ci_u32_e32 v17, vcc_lo, s17, v15, vcc_lo
	v_add_co_u32 v14, s2, s8, v14
	s_delay_alu instid0(VALU_DEP_1) | instskip(SKIP_3) | instid1(VALU_DEP_1)
	v_add_co_ci_u32_e64 v15, s2, s9, v15, s2
	global_load_u16 v16, v[16:17], off
	s_waitcnt vmcnt(1)
	v_lshlrev_b32_e32 v17, 16, v18
	v_mul_f32_e32 v18, 0x3fb8aa3b, v17
	s_waitcnt vmcnt(0)
	v_lshlrev_b32_e32 v16, 16, v16
	s_delay_alu instid0(VALU_DEP_2) | instskip(SKIP_1) | instid1(VALU_DEP_1)
	v_fma_f32 v19, 0x3fb8aa3b, v17, -v18
	v_rndne_f32_e32 v20, v18
	v_dual_sub_f32 v18, v18, v20 :: v_dual_fmac_f32 v19, 0x32a5705f, v17
	v_cmp_ngt_f32_e32 vcc_lo, 0xc2ce8ed0, v17
	s_delay_alu instid0(VALU_DEP_2) | instskip(SKIP_1) | instid1(VALU_DEP_2)
	v_add_f32_e32 v18, v18, v19
	v_cvt_i32_f32_e32 v19, v20
	v_exp_f32_e32 v18, v18
	s_waitcnt_depctr 0xfff
	v_ldexp_f32 v18, v18, v19
	s_delay_alu instid0(VALU_DEP_1) | instskip(SKIP_1) | instid1(VALU_DEP_2)
	v_cndmask_b32_e32 v18, 0, v18, vcc_lo
	v_cmp_nlt_f32_e32 vcc_lo, 0x42b17218, v17
	v_cndmask_b32_e32 v17, 0x7f800000, v18, vcc_lo
	v_cmp_le_u32_e32 vcc_lo, s5, v13
	s_waitcnt lgkmcnt(0)
	s_delay_alu instid0(VALU_DEP_2) | instskip(SKIP_1) | instid1(VALU_DEP_1)
	v_fma_f32 v16, -v12, v17, v16
	s_or_b32 s25, vcc_lo, s25
	v_bfe_u32 v17, v16, 16, 1
	v_cmp_o_f32_e64 s2, v16, v16
	s_delay_alu instid0(VALU_DEP_2) | instskip(NEXT) | instid1(VALU_DEP_1)
	v_add3_u32 v17, v16, v17, 0x7fff
	v_lshrrev_b32_e32 v17, 16, v17
	s_delay_alu instid0(VALU_DEP_1)
	v_cndmask_b32_e64 v16, 0x7fc0, v17, s2
	global_store_b16 v[14:15], v16, off
	s_and_not1_b32 exec_lo, exec_lo, s25
	s_cbranch_execnz .LBB352_25
	s_branch .LBB352_5
.LBB352_26:
	s_nop 0
	s_sendmsg sendmsg(MSG_DEALLOC_VGPRS)
	s_endpgm
	.section	.rodata,"a",@progbits
	.p2align	6, 0x0
	.amdhsa_kernel _ZN2at6native12_GLOBAL__N_127cunn_SpatialSoftMaxBackwardIN3c108BFloat16EfS4_NS1_26LogSoftMaxBackwardEpilogueEEEvPT_PKT1_SA_jjj
		.amdhsa_group_segment_fixed_size 0
		.amdhsa_private_segment_fixed_size 0
		.amdhsa_kernarg_size 296
		.amdhsa_user_sgpr_count 14
		.amdhsa_user_sgpr_dispatch_ptr 0
		.amdhsa_user_sgpr_queue_ptr 0
		.amdhsa_user_sgpr_kernarg_segment_ptr 1
		.amdhsa_user_sgpr_dispatch_id 0
		.amdhsa_user_sgpr_private_segment_size 0
		.amdhsa_wavefront_size32 1
		.amdhsa_uses_dynamic_stack 0
		.amdhsa_enable_private_segment 0
		.amdhsa_system_sgpr_workgroup_id_x 1
		.amdhsa_system_sgpr_workgroup_id_y 1
		.amdhsa_system_sgpr_workgroup_id_z 0
		.amdhsa_system_sgpr_workgroup_info 0
		.amdhsa_system_vgpr_workitem_id 1
		.amdhsa_next_free_vgpr 21
		.amdhsa_next_free_sgpr 26
		.amdhsa_reserve_vcc 1
		.amdhsa_float_round_mode_32 0
		.amdhsa_float_round_mode_16_64 0
		.amdhsa_float_denorm_mode_32 3
		.amdhsa_float_denorm_mode_16_64 3
		.amdhsa_dx10_clamp 1
		.amdhsa_ieee_mode 1
		.amdhsa_fp16_overflow 0
		.amdhsa_workgroup_processor_mode 1
		.amdhsa_memory_ordered 1
		.amdhsa_forward_progress 0
		.amdhsa_shared_vgpr_count 0
		.amdhsa_exception_fp_ieee_invalid_op 0
		.amdhsa_exception_fp_denorm_src 0
		.amdhsa_exception_fp_ieee_div_zero 0
		.amdhsa_exception_fp_ieee_overflow 0
		.amdhsa_exception_fp_ieee_underflow 0
		.amdhsa_exception_fp_ieee_inexact 0
		.amdhsa_exception_int_div_zero 0
	.end_amdhsa_kernel
	.section	.text._ZN2at6native12_GLOBAL__N_127cunn_SpatialSoftMaxBackwardIN3c108BFloat16EfS4_NS1_26LogSoftMaxBackwardEpilogueEEEvPT_PKT1_SA_jjj,"axG",@progbits,_ZN2at6native12_GLOBAL__N_127cunn_SpatialSoftMaxBackwardIN3c108BFloat16EfS4_NS1_26LogSoftMaxBackwardEpilogueEEEvPT_PKT1_SA_jjj,comdat
.Lfunc_end352:
	.size	_ZN2at6native12_GLOBAL__N_127cunn_SpatialSoftMaxBackwardIN3c108BFloat16EfS4_NS1_26LogSoftMaxBackwardEpilogueEEEvPT_PKT1_SA_jjj, .Lfunc_end352-_ZN2at6native12_GLOBAL__N_127cunn_SpatialSoftMaxBackwardIN3c108BFloat16EfS4_NS1_26LogSoftMaxBackwardEpilogueEEEvPT_PKT1_SA_jjj
                                        ; -- End function
	.section	.AMDGPU.csdata,"",@progbits
; Kernel info:
; codeLenInByte = 1336
; NumSgprs: 28
; NumVgprs: 21
; ScratchSize: 0
; MemoryBound: 0
; FloatMode: 240
; IeeeMode: 1
; LDSByteSize: 0 bytes/workgroup (compile time only)
; SGPRBlocks: 3
; VGPRBlocks: 2
; NumSGPRsForWavesPerEU: 28
; NumVGPRsForWavesPerEU: 21
; Occupancy: 16
; WaveLimiterHint : 0
; COMPUTE_PGM_RSRC2:SCRATCH_EN: 0
; COMPUTE_PGM_RSRC2:USER_SGPR: 14
; COMPUTE_PGM_RSRC2:TRAP_HANDLER: 0
; COMPUTE_PGM_RSRC2:TGID_X_EN: 1
; COMPUTE_PGM_RSRC2:TGID_Y_EN: 1
; COMPUTE_PGM_RSRC2:TGID_Z_EN: 0
; COMPUTE_PGM_RSRC2:TIDIG_COMP_CNT: 1
	.section	.text._ZN2at6native12_GLOBAL__N_127cunn_SpatialSoftMaxBackwardIN3c108BFloat16EffNS1_26LogSoftMaxBackwardEpilogueEEEvPT_PKT1_SA_jjj,"axG",@progbits,_ZN2at6native12_GLOBAL__N_127cunn_SpatialSoftMaxBackwardIN3c108BFloat16EffNS1_26LogSoftMaxBackwardEpilogueEEEvPT_PKT1_SA_jjj,comdat
	.globl	_ZN2at6native12_GLOBAL__N_127cunn_SpatialSoftMaxBackwardIN3c108BFloat16EffNS1_26LogSoftMaxBackwardEpilogueEEEvPT_PKT1_SA_jjj ; -- Begin function _ZN2at6native12_GLOBAL__N_127cunn_SpatialSoftMaxBackwardIN3c108BFloat16EffNS1_26LogSoftMaxBackwardEpilogueEEEvPT_PKT1_SA_jjj
	.p2align	8
	.type	_ZN2at6native12_GLOBAL__N_127cunn_SpatialSoftMaxBackwardIN3c108BFloat16EffNS1_26LogSoftMaxBackwardEpilogueEEEvPT_PKT1_SA_jjj,@function
_ZN2at6native12_GLOBAL__N_127cunn_SpatialSoftMaxBackwardIN3c108BFloat16EffNS1_26LogSoftMaxBackwardEpilogueEEEvPT_PKT1_SA_jjj: ; @_ZN2at6native12_GLOBAL__N_127cunn_SpatialSoftMaxBackwardIN3c108BFloat16EffNS1_26LogSoftMaxBackwardEpilogueEEEvPT_PKT1_SA_jjj
; %bb.0:
	s_load_b128 s[4:7], s[0:1], 0x18
	s_waitcnt lgkmcnt(0)
	s_cmp_ge_u32 s14, s4
	s_cbranch_scc1 .LBB353_26
; %bb.1:
	s_clause 0x1
	s_load_b32 s2, s[0:1], 0x34
	s_load_b64 s[12:13], s[0:1], 0x28
	v_and_b32_e32 v2, 0x3ff, v0
	s_mul_i32 s3, s14, s5
	s_clause 0x1
	s_load_b128 s[8:11], s[0:1], 0x0
	s_load_b64 s[16:17], s[0:1], 0x10
	s_add_u32 s18, s0, 40
	v_bfe_u32 v3, v0, 10, 10
	v_add_nc_u32_e32 v1, s3, v2
	s_addc_u32 s19, s1, 0
	s_mul_i32 s1, s3, s6
	s_delay_alu instid0(VALU_DEP_1)
	v_mul_lo_u32 v0, s6, v1
	v_mov_b32_e32 v1, 0
	v_cmp_gt_u32_e64 s0, s5, v2
	s_waitcnt lgkmcnt(0)
	s_lshr_b32 s2, s2, 16
	s_cmp_lg_u32 s5, 0
	s_mul_i32 s15, s15, s2
	s_cselect_b32 s3, -1, 0
	v_add_nc_u32_e32 v4, s15, v3
	v_add3_u32 v5, s15, s1, v3
	v_add3_u32 v6, v3, v0, s15
	s_mul_i32 s15, s12, s6
	s_mul_i32 s7, s13, s2
	v_cmp_gt_u32_e64 s1, s6, v4
	s_mul_i32 s13, s15, s5
	s_branch .LBB353_3
.LBB353_2:                              ;   in Loop: Header=BB353_3 Depth=1
	s_or_b32 exec_lo, exec_lo, s15
	v_add_nc_u32_e32 v5, s13, v5
	v_add_nc_u32_e32 v6, s13, v6
	s_add_i32 s14, s12, s14
	s_delay_alu instid0(SALU_CYCLE_1)
	s_cmp_ge_u32 s14, s4
	s_cbranch_scc1 .LBB353_26
.LBB353_3:                              ; =>This Loop Header: Depth=1
                                        ;     Child Loop BB353_7 Depth 2
                                        ;       Child Loop BB353_10 Depth 3
                                        ;       Child Loop BB353_12 Depth 3
	;; [unrolled: 1-line block ×5, first 2 shown]
	s_delay_alu instid0(VALU_DEP_1)
	s_and_saveexec_b32 s15, s1
	s_cbranch_execz .LBB353_2
; %bb.4:                                ;   in Loop: Header=BB353_3 Depth=1
	s_load_b32 s2, s[18:19], 0xc
	v_mov_b32_e32 v7, v6
	v_mov_b32_e32 v9, v5
	;; [unrolled: 1-line block ×3, first 2 shown]
	s_mov_b32 s23, 0
	s_waitcnt lgkmcnt(0)
	s_and_b32 s20, s2, 0xffff
	s_delay_alu instid0(SALU_CYCLE_1) | instskip(SKIP_3) | instid1(VALU_DEP_1)
	v_mul_u32_u24_e32 v0, s20, v3
	s_cmp_lt_u32 s20, 2
	s_mul_i32 s22, s6, s20
	s_cselect_b32 s21, -1, 0
	v_lshl_add_u32 v8, v0, 2, 0
	s_delay_alu instid0(VALU_DEP_1)
	v_lshl_add_u32 v10, v2, 2, v8
	s_branch .LBB353_7
.LBB353_5:                              ;   in Loop: Header=BB353_7 Depth=2
	s_or_b32 exec_lo, exec_lo, s24
.LBB353_6:                              ;   in Loop: Header=BB353_7 Depth=2
	v_add_nc_u32_e32 v11, s7, v11
	v_add_nc_u32_e32 v9, s7, v9
	;; [unrolled: 1-line block ×3, first 2 shown]
	s_delay_alu instid0(VALU_DEP_3) | instskip(SKIP_1) | instid1(SALU_CYCLE_1)
	v_cmp_le_u32_e32 vcc_lo, s6, v11
	s_or_b32 s23, vcc_lo, s23
	s_and_not1_b32 exec_lo, exec_lo, s23
	s_cbranch_execz .LBB353_2
.LBB353_7:                              ;   Parent Loop BB353_3 Depth=1
                                        ; =>  This Loop Header: Depth=2
                                        ;       Child Loop BB353_10 Depth 3
                                        ;       Child Loop BB353_12 Depth 3
	;; [unrolled: 1-line block ×5, first 2 shown]
	s_and_not1_b32 vcc_lo, exec_lo, s21
	s_mov_b32 s2, -1
	s_cbranch_vccnz .LBB353_14
; %bb.8:                                ;   in Loop: Header=BB353_7 Depth=2
	v_mov_b32_e32 v12, 0
	s_and_not1_b32 vcc_lo, exec_lo, s3
	s_cbranch_vccnz .LBB353_11
; %bb.9:                                ;   in Loop: Header=BB353_7 Depth=2
	v_mov_b32_e32 v0, v9
	s_mov_b32 s2, s5
.LBB353_10:                             ;   Parent Loop BB353_3 Depth=1
                                        ;     Parent Loop BB353_7 Depth=2
                                        ; =>    This Inner Loop Header: Depth=3
	s_delay_alu instid0(VALU_DEP_1) | instskip(SKIP_2) | instid1(SALU_CYCLE_1)
	v_lshlrev_b64 v[13:14], 2, v[0:1]
	v_add_nc_u32_e32 v0, s6, v0
	s_add_i32 s2, s2, -1
	s_cmp_eq_u32 s2, 0
	s_delay_alu instid0(VALU_DEP_2) | instskip(NEXT) | instid1(VALU_DEP_3)
	v_add_co_u32 v13, vcc_lo, s16, v13
	v_add_co_ci_u32_e32 v14, vcc_lo, s17, v14, vcc_lo
	global_load_b32 v13, v[13:14], off
	s_waitcnt vmcnt(0)
	v_add_f32_e32 v12, v12, v13
	s_cbranch_scc0 .LBB353_10
.LBB353_11:                             ;   in Loop: Header=BB353_7 Depth=2
	v_mov_b32_e32 v0, v9
	s_and_not1_b32 vcc_lo, exec_lo, s3
	s_mov_b32 s2, s5
	s_cbranch_vccnz .LBB353_13
.LBB353_12:                             ;   Parent Loop BB353_3 Depth=1
                                        ;     Parent Loop BB353_7 Depth=2
                                        ; =>    This Inner Loop Header: Depth=3
	s_delay_alu instid0(VALU_DEP_1) | instskip(SKIP_1) | instid1(SALU_CYCLE_1)
	v_lshlrev_b64 v[13:14], 2, v[0:1]
	s_add_i32 s2, s2, -1
	s_cmp_lg_u32 s2, 0
	s_delay_alu instid0(VALU_DEP_1) | instskip(NEXT) | instid1(VALU_DEP_2)
	v_add_co_u32 v15, vcc_lo, s10, v13
	v_add_co_ci_u32_e32 v16, vcc_lo, s11, v14, vcc_lo
	v_add_co_u32 v13, vcc_lo, s16, v13
	v_add_co_ci_u32_e32 v14, vcc_lo, s17, v14, vcc_lo
	global_load_b32 v15, v[15:16], off
	global_load_b32 v13, v[13:14], off
	s_waitcnt vmcnt(1)
	v_mul_f32_e32 v14, 0x3fb8aa3b, v15
	v_cmp_ngt_f32_e32 vcc_lo, 0xc2ce8ed0, v15
	s_delay_alu instid0(VALU_DEP_2) | instskip(SKIP_1) | instid1(VALU_DEP_2)
	v_fma_f32 v16, 0x3fb8aa3b, v15, -v14
	v_rndne_f32_e32 v17, v14
	v_fmac_f32_e32 v16, 0x32a5705f, v15
	s_delay_alu instid0(VALU_DEP_2) | instskip(NEXT) | instid1(VALU_DEP_1)
	v_sub_f32_e32 v14, v14, v17
	v_add_f32_e32 v14, v14, v16
	v_cvt_i32_f32_e32 v16, v17
	s_delay_alu instid0(VALU_DEP_2) | instskip(SKIP_2) | instid1(VALU_DEP_1)
	v_exp_f32_e32 v14, v14
	s_waitcnt_depctr 0xfff
	v_ldexp_f32 v14, v14, v16
	v_cndmask_b32_e32 v14, 0, v14, vcc_lo
	v_cmp_nlt_f32_e32 vcc_lo, 0x42b17218, v15
	s_delay_alu instid0(VALU_DEP_2) | instskip(SKIP_1) | instid1(VALU_DEP_1)
	v_cndmask_b32_e32 v14, 0x7f800000, v14, vcc_lo
	s_waitcnt vmcnt(0)
	v_fma_f32 v15, -v12, v14, v13
	s_delay_alu instid0(VALU_DEP_1) | instskip(NEXT) | instid1(VALU_DEP_1)
	v_bfe_u32 v13, v15, 16, 1
	v_add3_u32 v16, v15, v13, 0x7fff
	v_lshlrev_b64 v[13:14], 1, v[0:1]
	v_add_nc_u32_e32 v0, s6, v0
	s_delay_alu instid0(VALU_DEP_3) | instskip(NEXT) | instid1(VALU_DEP_3)
	v_lshrrev_b32_e32 v16, 16, v16
	v_add_co_u32 v13, vcc_lo, s8, v13
	s_delay_alu instid0(VALU_DEP_4) | instskip(SKIP_1) | instid1(VALU_DEP_4)
	v_add_co_ci_u32_e32 v14, vcc_lo, s9, v14, vcc_lo
	v_cmp_o_f32_e32 vcc_lo, v15, v15
	v_cndmask_b32_e32 v15, 0x7fc0, v16, vcc_lo
	global_store_b16 v[13:14], v15, off
	s_cbranch_scc1 .LBB353_12
.LBB353_13:                             ;   in Loop: Header=BB353_7 Depth=2
	s_mov_b32 s2, 0
.LBB353_14:                             ;   in Loop: Header=BB353_7 Depth=2
	s_delay_alu instid0(SALU_CYCLE_1)
	s_and_b32 vcc_lo, exec_lo, s2
	s_cbranch_vccz .LBB353_6
; %bb.15:                               ;   in Loop: Header=BB353_7 Depth=2
	v_mov_b32_e32 v12, 0
	s_and_saveexec_b32 s2, s0
	s_cbranch_execz .LBB353_19
; %bb.16:                               ;   in Loop: Header=BB353_7 Depth=2
	v_dual_mov_b32 v12, 0 :: v_dual_mov_b32 v13, v2
	v_mov_b32_e32 v0, v7
	s_mov_b32 s24, 0
.LBB353_17:                             ;   Parent Loop BB353_3 Depth=1
                                        ;     Parent Loop BB353_7 Depth=2
                                        ; =>    This Inner Loop Header: Depth=3
	s_delay_alu instid0(VALU_DEP_1) | instskip(SKIP_1) | instid1(VALU_DEP_2)
	v_lshlrev_b64 v[14:15], 2, v[0:1]
	v_add_nc_u32_e32 v0, s22, v0
	v_add_co_u32 v14, vcc_lo, s16, v14
	s_delay_alu instid0(VALU_DEP_3) | instskip(SKIP_3) | instid1(VALU_DEP_1)
	v_add_co_ci_u32_e32 v15, vcc_lo, s17, v15, vcc_lo
	global_load_b32 v14, v[14:15], off
	s_waitcnt vmcnt(0)
	v_dual_add_f32 v12, v12, v14 :: v_dual_add_nc_u32 v13, s20, v13
	v_cmp_le_u32_e32 vcc_lo, s5, v13
	s_or_b32 s24, vcc_lo, s24
	s_delay_alu instid0(SALU_CYCLE_1)
	s_and_not1_b32 exec_lo, exec_lo, s24
	s_cbranch_execnz .LBB353_17
; %bb.18:                               ;   in Loop: Header=BB353_7 Depth=2
	s_or_b32 exec_lo, exec_lo, s24
.LBB353_19:                             ;   in Loop: Header=BB353_7 Depth=2
	s_delay_alu instid0(SALU_CYCLE_1)
	s_or_b32 exec_lo, exec_lo, s2
	s_mov_b32 s2, s20
	s_waitcnt_vscnt null, 0x0
	s_barrier
	buffer_gl0_inv
	ds_store_b32 v10, v12
	s_branch .LBB353_21
	.p2align	6
.LBB353_20:                             ;   in Loop: Header=BB353_21 Depth=3
	s_or_b32 exec_lo, exec_lo, s25
	s_cmp_gt_u32 s2, 3
	s_mov_b32 s2, s24
	s_cbranch_scc0 .LBB353_23
.LBB353_21:                             ;   Parent Loop BB353_3 Depth=1
                                        ;     Parent Loop BB353_7 Depth=2
                                        ; =>    This Inner Loop Header: Depth=3
	s_lshr_b32 s24, s2, 1
	s_mov_b32 s25, exec_lo
	s_waitcnt lgkmcnt(0)
	s_barrier
	buffer_gl0_inv
	v_cmpx_gt_u32_e64 s24, v2
	s_cbranch_execz .LBB353_20
; %bb.22:                               ;   in Loop: Header=BB353_21 Depth=3
	v_lshl_add_u32 v0, s24, 2, v10
	ds_load_b32 v12, v10
	ds_load_b32 v0, v0
	s_waitcnt lgkmcnt(0)
	v_add_f32_e32 v0, v12, v0
	ds_store_b32 v10, v0
	s_branch .LBB353_20
.LBB353_23:                             ;   in Loop: Header=BB353_7 Depth=2
	s_waitcnt lgkmcnt(0)
	s_barrier
	buffer_gl0_inv
	s_and_saveexec_b32 s24, s0
	s_cbranch_execz .LBB353_5
; %bb.24:                               ;   in Loop: Header=BB353_7 Depth=2
	ds_load_b32 v12, v8
	v_dual_mov_b32 v0, v7 :: v_dual_mov_b32 v13, v2
	s_mov_b32 s25, 0
.LBB353_25:                             ;   Parent Loop BB353_3 Depth=1
                                        ;     Parent Loop BB353_7 Depth=2
                                        ; =>    This Inner Loop Header: Depth=3
	s_delay_alu instid0(VALU_DEP_1) | instskip(NEXT) | instid1(VALU_DEP_2)
	v_lshlrev_b64 v[14:15], 2, v[0:1]
	v_add_nc_u32_e32 v13, s20, v13
	s_delay_alu instid0(VALU_DEP_2) | instskip(NEXT) | instid1(VALU_DEP_3)
	v_add_co_u32 v16, vcc_lo, s10, v14
	v_add_co_ci_u32_e32 v17, vcc_lo, s11, v15, vcc_lo
	v_add_co_u32 v14, vcc_lo, s16, v14
	v_add_co_ci_u32_e32 v15, vcc_lo, s17, v15, vcc_lo
	global_load_b32 v16, v[16:17], off
	global_load_b32 v14, v[14:15], off
	s_waitcnt vmcnt(1)
	v_mul_f32_e32 v15, 0x3fb8aa3b, v16
	v_cmp_ngt_f32_e32 vcc_lo, 0xc2ce8ed0, v16
	s_delay_alu instid0(VALU_DEP_2) | instskip(SKIP_1) | instid1(VALU_DEP_2)
	v_fma_f32 v17, 0x3fb8aa3b, v16, -v15
	v_rndne_f32_e32 v18, v15
	v_fmac_f32_e32 v17, 0x32a5705f, v16
	s_delay_alu instid0(VALU_DEP_2) | instskip(NEXT) | instid1(VALU_DEP_1)
	v_sub_f32_e32 v15, v15, v18
	v_add_f32_e32 v15, v15, v17
	v_cvt_i32_f32_e32 v17, v18
	s_delay_alu instid0(VALU_DEP_2) | instskip(SKIP_2) | instid1(VALU_DEP_1)
	v_exp_f32_e32 v15, v15
	s_waitcnt_depctr 0xfff
	v_ldexp_f32 v15, v15, v17
	v_cndmask_b32_e32 v15, 0, v15, vcc_lo
	v_cmp_nlt_f32_e32 vcc_lo, 0x42b17218, v16
	s_delay_alu instid0(VALU_DEP_2) | instskip(SKIP_2) | instid1(VALU_DEP_2)
	v_cndmask_b32_e32 v15, 0x7f800000, v15, vcc_lo
	v_cmp_le_u32_e32 vcc_lo, s5, v13
	s_waitcnt vmcnt(0) lgkmcnt(0)
	v_fma_f32 v16, -v12, v15, v14
	s_or_b32 s25, vcc_lo, s25
	s_delay_alu instid0(VALU_DEP_1) | instskip(NEXT) | instid1(VALU_DEP_1)
	v_bfe_u32 v14, v16, 16, 1
	v_add3_u32 v17, v16, v14, 0x7fff
	v_lshlrev_b64 v[14:15], 1, v[0:1]
	v_add_nc_u32_e32 v0, s22, v0
	s_delay_alu instid0(VALU_DEP_3) | instskip(NEXT) | instid1(VALU_DEP_3)
	v_lshrrev_b32_e32 v17, 16, v17
	v_add_co_u32 v14, s2, s8, v14
	s_delay_alu instid0(VALU_DEP_1) | instskip(SKIP_1) | instid1(VALU_DEP_1)
	v_add_co_ci_u32_e64 v15, s2, s9, v15, s2
	v_cmp_o_f32_e64 s2, v16, v16
	v_cndmask_b32_e64 v16, 0x7fc0, v17, s2
	global_store_b16 v[14:15], v16, off
	s_and_not1_b32 exec_lo, exec_lo, s25
	s_cbranch_execnz .LBB353_25
	s_branch .LBB353_5
.LBB353_26:
	s_nop 0
	s_sendmsg sendmsg(MSG_DEALLOC_VGPRS)
	s_endpgm
	.section	.rodata,"a",@progbits
	.p2align	6, 0x0
	.amdhsa_kernel _ZN2at6native12_GLOBAL__N_127cunn_SpatialSoftMaxBackwardIN3c108BFloat16EffNS1_26LogSoftMaxBackwardEpilogueEEEvPT_PKT1_SA_jjj
		.amdhsa_group_segment_fixed_size 0
		.amdhsa_private_segment_fixed_size 0
		.amdhsa_kernarg_size 296
		.amdhsa_user_sgpr_count 14
		.amdhsa_user_sgpr_dispatch_ptr 0
		.amdhsa_user_sgpr_queue_ptr 0
		.amdhsa_user_sgpr_kernarg_segment_ptr 1
		.amdhsa_user_sgpr_dispatch_id 0
		.amdhsa_user_sgpr_private_segment_size 0
		.amdhsa_wavefront_size32 1
		.amdhsa_uses_dynamic_stack 0
		.amdhsa_enable_private_segment 0
		.amdhsa_system_sgpr_workgroup_id_x 1
		.amdhsa_system_sgpr_workgroup_id_y 1
		.amdhsa_system_sgpr_workgroup_id_z 0
		.amdhsa_system_sgpr_workgroup_info 0
		.amdhsa_system_vgpr_workitem_id 1
		.amdhsa_next_free_vgpr 19
		.amdhsa_next_free_sgpr 26
		.amdhsa_reserve_vcc 1
		.amdhsa_float_round_mode_32 0
		.amdhsa_float_round_mode_16_64 0
		.amdhsa_float_denorm_mode_32 3
		.amdhsa_float_denorm_mode_16_64 3
		.amdhsa_dx10_clamp 1
		.amdhsa_ieee_mode 1
		.amdhsa_fp16_overflow 0
		.amdhsa_workgroup_processor_mode 1
		.amdhsa_memory_ordered 1
		.amdhsa_forward_progress 0
		.amdhsa_shared_vgpr_count 0
		.amdhsa_exception_fp_ieee_invalid_op 0
		.amdhsa_exception_fp_denorm_src 0
		.amdhsa_exception_fp_ieee_div_zero 0
		.amdhsa_exception_fp_ieee_overflow 0
		.amdhsa_exception_fp_ieee_underflow 0
		.amdhsa_exception_fp_ieee_inexact 0
		.amdhsa_exception_int_div_zero 0
	.end_amdhsa_kernel
	.section	.text._ZN2at6native12_GLOBAL__N_127cunn_SpatialSoftMaxBackwardIN3c108BFloat16EffNS1_26LogSoftMaxBackwardEpilogueEEEvPT_PKT1_SA_jjj,"axG",@progbits,_ZN2at6native12_GLOBAL__N_127cunn_SpatialSoftMaxBackwardIN3c108BFloat16EffNS1_26LogSoftMaxBackwardEpilogueEEEvPT_PKT1_SA_jjj,comdat
.Lfunc_end353:
	.size	_ZN2at6native12_GLOBAL__N_127cunn_SpatialSoftMaxBackwardIN3c108BFloat16EffNS1_26LogSoftMaxBackwardEpilogueEEEvPT_PKT1_SA_jjj, .Lfunc_end353-_ZN2at6native12_GLOBAL__N_127cunn_SpatialSoftMaxBackwardIN3c108BFloat16EffNS1_26LogSoftMaxBackwardEpilogueEEEvPT_PKT1_SA_jjj
                                        ; -- End function
	.section	.AMDGPU.csdata,"",@progbits
; Kernel info:
; codeLenInByte = 1320
; NumSgprs: 28
; NumVgprs: 19
; ScratchSize: 0
; MemoryBound: 0
; FloatMode: 240
; IeeeMode: 1
; LDSByteSize: 0 bytes/workgroup (compile time only)
; SGPRBlocks: 3
; VGPRBlocks: 2
; NumSGPRsForWavesPerEU: 28
; NumVGPRsForWavesPerEU: 19
; Occupancy: 16
; WaveLimiterHint : 0
; COMPUTE_PGM_RSRC2:SCRATCH_EN: 0
; COMPUTE_PGM_RSRC2:USER_SGPR: 14
; COMPUTE_PGM_RSRC2:TRAP_HANDLER: 0
; COMPUTE_PGM_RSRC2:TGID_X_EN: 1
; COMPUTE_PGM_RSRC2:TGID_Y_EN: 1
; COMPUTE_PGM_RSRC2:TGID_Z_EN: 0
; COMPUTE_PGM_RSRC2:TIDIG_COMP_CNT: 1
	.section	.text._ZN12_GLOBAL__N_120softmax_warp_forwardIdddLi0ELb0ELb0ELi64EEEvPT0_PKT_iiiPKbib,"axG",@progbits,_ZN12_GLOBAL__N_120softmax_warp_forwardIdddLi0ELb0ELb0ELi64EEEvPT0_PKT_iiiPKbib,comdat
	.globl	_ZN12_GLOBAL__N_120softmax_warp_forwardIdddLi0ELb0ELb0ELi64EEEvPT0_PKT_iiiPKbib ; -- Begin function _ZN12_GLOBAL__N_120softmax_warp_forwardIdddLi0ELb0ELb0ELi64EEEvPT0_PKT_iiiPKbib
	.p2align	8
	.type	_ZN12_GLOBAL__N_120softmax_warp_forwardIdddLi0ELb0ELb0ELi64EEEvPT0_PKT_iiiPKbib,@function
_ZN12_GLOBAL__N_120softmax_warp_forwardIdddLi0ELb0ELb0ELi64EEEvPT0_PKT_iiiPKbib: ; @_ZN12_GLOBAL__N_120softmax_warp_forwardIdddLi0ELb0ELb0ELi64EEEvPT0_PKT_iiiPKbib
; %bb.0:
	s_clause 0x1
	s_load_b32 s2, s[0:1], 0x3c
	s_load_b256 s[4:11], s[0:1], 0x0
	v_bfe_u32 v1, v0, 10, 10
	v_and_b32_e32 v4, 0x3ff, v0
	s_waitcnt lgkmcnt(0)
	s_lshr_b32 s0, s2, 16
	s_delay_alu instid0(SALU_CYCLE_1) | instskip(NEXT) | instid1(VALU_DEP_1)
	s_mul_i32 s15, s15, s0
	v_cmp_gt_i32_e64 s0, s10, v4
	v_add_lshl_u32 v2, s15, v1, 1
	s_delay_alu instid0(VALU_DEP_1) | instskip(SKIP_3) | instid1(VALU_DEP_3)
	v_mad_u64_u32 v[0:1], null, v2, s9, v[4:5]
	v_sub_nc_u32_e32 v8, s8, v2
	v_mov_b32_e32 v2, 0
	v_mov_b32_e32 v3, 0xfff00000
	v_cmp_lt_i32_e32 vcc_lo, 0, v8
	v_ashrrev_i32_e32 v1, 31, v0
	s_delay_alu instid0(VALU_DEP_3) | instskip(SKIP_1) | instid1(VALU_DEP_2)
	v_dual_mov_b32 v5, v3 :: v_dual_mov_b32 v4, v2
	s_and_b32 s2, s0, vcc_lo
	v_lshlrev_b64 v[0:1], 3, v[0:1]
	s_delay_alu instid0(VALU_DEP_1) | instskip(NEXT) | instid1(VALU_DEP_1)
	v_add_co_u32 v6, s1, s6, v0
	v_add_co_ci_u32_e64 v7, s1, s7, v1, s1
	s_and_saveexec_b32 s1, s2
	s_cbranch_execz .LBB354_2
; %bb.1:
	global_load_b64 v[4:5], v[6:7], off
.LBB354_2:
	s_or_b32 exec_lo, exec_lo, s1
	v_cmp_lt_i32_e64 s1, 1, v8
	s_delay_alu instid0(VALU_DEP_1) | instskip(NEXT) | instid1(SALU_CYCLE_1)
	s_and_b32 s1, s0, s1
	s_and_saveexec_b32 s2, s1
	s_cbranch_execz .LBB354_4
; %bb.3:
	s_mov_b32 s11, 0
	s_delay_alu instid0(SALU_CYCLE_1) | instskip(NEXT) | instid1(SALU_CYCLE_1)
	s_lshl_b64 s[6:7], s[10:11], 3
	v_add_co_u32 v2, s1, v6, s6
	s_delay_alu instid0(VALU_DEP_1)
	v_add_co_ci_u32_e64 v3, s1, s7, v7, s1
	global_load_b64 v[2:3], v[2:3], off
.LBB354_4:
	s_or_b32 exec_lo, exec_lo, s2
	s_and_saveexec_b32 s1, vcc_lo
	s_cbranch_execz .LBB354_10
; %bb.5:
	v_add_co_u32 v0, vcc_lo, s4, v0
	v_add_co_ci_u32_e32 v1, vcc_lo, s5, v1, vcc_lo
	s_and_saveexec_b32 s2, s0
	s_cbranch_execz .LBB354_7
; %bb.6:
	s_waitcnt vmcnt(0)
	v_add_f64 v[4:5], v[4:5], -v[4:5]
	s_mov_b32 s4, 0x652b82fe
	s_mov_b32 s5, 0x3ff71547
	;; [unrolled: 1-line block ×4, first 2 shown]
	s_delay_alu instid0(VALU_DEP_1) | instskip(SKIP_4) | instid1(VALU_DEP_3)
	v_mul_f64 v[6:7], v[4:5], s[4:5]
	s_mov_b32 s4, 0xfefa39ef
	s_mov_b32 s5, 0xbfe62e42
	v_cmp_nlt_f64_e32 vcc_lo, 0x40900000, v[4:5]
	v_cmp_ngt_f64_e64 s1, 0xc090cc00, v[4:5]
	v_rndne_f64_e32 v[6:7], v[6:7]
	s_delay_alu instid0(VALU_DEP_1) | instskip(SKIP_3) | instid1(VALU_DEP_2)
	v_fma_f64 v[9:10], v[6:7], s[4:5], v[4:5]
	s_mov_b32 s4, 0x3b39803f
	s_mov_b32 s5, 0xbc7abc9e
	v_cvt_i32_f64_e32 v13, v[6:7]
	v_fma_f64 v[9:10], v[6:7], s[4:5], v[9:10]
	s_mov_b32 s4, 0xfca7ab0c
	s_mov_b32 s5, 0x3e928af3
	s_delay_alu instid0(VALU_DEP_1) | instid1(SALU_CYCLE_1)
	v_fma_f64 v[11:12], v[9:10], s[6:7], s[4:5]
	s_mov_b32 s4, 0x623fde64
	s_mov_b32 s5, 0x3ec71dee
	s_delay_alu instid0(VALU_DEP_1) | instid1(SALU_CYCLE_1)
	;; [unrolled: 4-line block ×9, first 2 shown]
	v_fma_f64 v[11:12], v[9:10], v[11:12], s[4:5]
	s_delay_alu instid0(VALU_DEP_1) | instskip(NEXT) | instid1(VALU_DEP_1)
	v_fma_f64 v[11:12], v[9:10], v[11:12], 1.0
	v_fma_f64 v[6:7], v[9:10], v[11:12], 1.0
	s_delay_alu instid0(VALU_DEP_1) | instskip(NEXT) | instid1(VALU_DEP_1)
	v_ldexp_f64 v[6:7], v[6:7], v13
	v_cndmask_b32_e32 v7, 0x7ff00000, v7, vcc_lo
	s_and_b32 vcc_lo, s1, vcc_lo
	s_delay_alu instid0(VALU_DEP_2) | instskip(NEXT) | instid1(VALU_DEP_2)
	v_cndmask_b32_e32 v4, 0, v6, vcc_lo
	v_cndmask_b32_e64 v5, 0, v7, s1
	s_delay_alu instid0(VALU_DEP_1) | instskip(NEXT) | instid1(VALU_DEP_1)
	v_add_f64 v[6:7], v[4:5], 0
	v_div_scale_f64 v[9:10], null, v[6:7], v[6:7], v[4:5]
	v_div_scale_f64 v[15:16], vcc_lo, v[4:5], v[6:7], v[4:5]
	s_delay_alu instid0(VALU_DEP_2) | instskip(SKIP_2) | instid1(VALU_DEP_1)
	v_rcp_f64_e32 v[11:12], v[9:10]
	s_waitcnt_depctr 0xfff
	v_fma_f64 v[13:14], -v[9:10], v[11:12], 1.0
	v_fma_f64 v[11:12], v[11:12], v[13:14], v[11:12]
	s_delay_alu instid0(VALU_DEP_1) | instskip(NEXT) | instid1(VALU_DEP_1)
	v_fma_f64 v[13:14], -v[9:10], v[11:12], 1.0
	v_fma_f64 v[11:12], v[11:12], v[13:14], v[11:12]
	s_delay_alu instid0(VALU_DEP_1) | instskip(NEXT) | instid1(VALU_DEP_1)
	v_mul_f64 v[13:14], v[15:16], v[11:12]
	v_fma_f64 v[9:10], -v[9:10], v[13:14], v[15:16]
	s_delay_alu instid0(VALU_DEP_1) | instskip(SKIP_1) | instid1(VALU_DEP_2)
	v_div_fmas_f64 v[9:10], v[9:10], v[11:12], v[13:14]
	v_cmp_neq_f64_e32 vcc_lo, 0, v[4:5]
	v_div_fixup_f64 v[6:7], v[9:10], v[6:7], v[4:5]
	s_delay_alu instid0(VALU_DEP_1) | instskip(NEXT) | instid1(VALU_DEP_2)
	v_cndmask_b32_e32 v5, 0x7ff80000, v7, vcc_lo
	v_cndmask_b32_e32 v4, 0, v6, vcc_lo
	global_store_b64 v[0:1], v[4:5], off
.LBB354_7:
	s_or_b32 exec_lo, exec_lo, s2
	v_cmp_ne_u32_e32 vcc_lo, 1, v8
	s_and_b32 exec_lo, exec_lo, vcc_lo
	s_cbranch_execz .LBB354_10
; %bb.8:
	s_and_b32 exec_lo, exec_lo, s0
	s_cbranch_execz .LBB354_10
; %bb.9:
	s_waitcnt vmcnt(0)
	v_add_f64 v[2:3], v[2:3], -v[2:3]
	s_mov_b32 s0, 0x652b82fe
	s_mov_b32 s1, 0x3ff71547
	;; [unrolled: 1-line block ×5, first 2 shown]
	s_delay_alu instid0(VALU_DEP_1) | instskip(SKIP_3) | instid1(VALU_DEP_2)
	v_mul_f64 v[4:5], v[2:3], s[0:1]
	s_mov_b32 s0, 0xfefa39ef
	s_mov_b32 s1, 0xbfe62e42
	v_cmp_nlt_f64_e32 vcc_lo, 0x40900000, v[2:3]
	v_rndne_f64_e32 v[4:5], v[4:5]
	s_delay_alu instid0(VALU_DEP_1) | instskip(SKIP_3) | instid1(VALU_DEP_2)
	v_fma_f64 v[6:7], v[4:5], s[0:1], v[2:3]
	s_mov_b32 s0, 0x3b39803f
	s_mov_b32 s1, 0xbc7abc9e
	v_cvt_i32_f64_e32 v10, v[4:5]
	v_fma_f64 v[6:7], v[4:5], s[0:1], v[6:7]
	s_mov_b32 s0, 0xfca7ab0c
	s_mov_b32 s1, 0x3e928af3
	s_delay_alu instid0(VALU_DEP_1) | instid1(SALU_CYCLE_1)
	v_fma_f64 v[8:9], v[6:7], s[2:3], s[0:1]
	s_mov_b32 s0, 0x623fde64
	s_mov_b32 s1, 0x3ec71dee
	s_delay_alu instid0(VALU_DEP_1) | instid1(SALU_CYCLE_1)
	;; [unrolled: 4-line block ×9, first 2 shown]
	v_fma_f64 v[8:9], v[6:7], v[8:9], s[0:1]
	v_cmp_ngt_f64_e64 s0, 0xc090cc00, v[2:3]
	s_delay_alu instid0(VALU_DEP_2) | instskip(NEXT) | instid1(VALU_DEP_1)
	v_fma_f64 v[8:9], v[6:7], v[8:9], 1.0
	v_fma_f64 v[4:5], v[6:7], v[8:9], 1.0
	s_delay_alu instid0(VALU_DEP_1) | instskip(NEXT) | instid1(VALU_DEP_1)
	v_ldexp_f64 v[4:5], v[4:5], v10
	v_cndmask_b32_e32 v5, 0x7ff00000, v5, vcc_lo
	s_and_b32 vcc_lo, s0, vcc_lo
	s_delay_alu instid0(VALU_DEP_2) | instskip(NEXT) | instid1(VALU_DEP_2)
	v_cndmask_b32_e32 v2, 0, v4, vcc_lo
	v_cndmask_b32_e64 v3, 0, v5, s0
	s_lshl_b64 s[0:1], s[10:11], 3
	s_delay_alu instid0(SALU_CYCLE_1) | instskip(NEXT) | instid1(VALU_DEP_2)
	v_add_co_u32 v0, s0, v0, s0
	v_add_f64 v[4:5], v[2:3], 0
	v_add_co_ci_u32_e64 v1, s0, s1, v1, s0
	s_delay_alu instid0(VALU_DEP_2) | instskip(SKIP_1) | instid1(VALU_DEP_2)
	v_div_scale_f64 v[6:7], null, v[4:5], v[4:5], v[2:3]
	v_div_scale_f64 v[12:13], vcc_lo, v[2:3], v[4:5], v[2:3]
	v_rcp_f64_e32 v[8:9], v[6:7]
	s_waitcnt_depctr 0xfff
	v_fma_f64 v[10:11], -v[6:7], v[8:9], 1.0
	s_delay_alu instid0(VALU_DEP_1) | instskip(NEXT) | instid1(VALU_DEP_1)
	v_fma_f64 v[8:9], v[8:9], v[10:11], v[8:9]
	v_fma_f64 v[10:11], -v[6:7], v[8:9], 1.0
	s_delay_alu instid0(VALU_DEP_1) | instskip(NEXT) | instid1(VALU_DEP_1)
	v_fma_f64 v[8:9], v[8:9], v[10:11], v[8:9]
	v_mul_f64 v[10:11], v[12:13], v[8:9]
	s_delay_alu instid0(VALU_DEP_1) | instskip(NEXT) | instid1(VALU_DEP_1)
	v_fma_f64 v[6:7], -v[6:7], v[10:11], v[12:13]
	v_div_fmas_f64 v[6:7], v[6:7], v[8:9], v[10:11]
	v_cmp_neq_f64_e32 vcc_lo, 0, v[2:3]
	s_delay_alu instid0(VALU_DEP_2) | instskip(NEXT) | instid1(VALU_DEP_1)
	v_div_fixup_f64 v[4:5], v[6:7], v[4:5], v[2:3]
	v_cndmask_b32_e32 v3, 0x7ff80000, v5, vcc_lo
	s_delay_alu instid0(VALU_DEP_2)
	v_cndmask_b32_e32 v2, 0, v4, vcc_lo
	global_store_b64 v[0:1], v[2:3], off
.LBB354_10:
	s_nop 0
	s_sendmsg sendmsg(MSG_DEALLOC_VGPRS)
	s_endpgm
	.section	.rodata,"a",@progbits
	.p2align	6, 0x0
	.amdhsa_kernel _ZN12_GLOBAL__N_120softmax_warp_forwardIdddLi0ELb0ELb0ELi64EEEvPT0_PKT_iiiPKbib
		.amdhsa_group_segment_fixed_size 0
		.amdhsa_private_segment_fixed_size 0
		.amdhsa_kernarg_size 304
		.amdhsa_user_sgpr_count 15
		.amdhsa_user_sgpr_dispatch_ptr 0
		.amdhsa_user_sgpr_queue_ptr 0
		.amdhsa_user_sgpr_kernarg_segment_ptr 1
		.amdhsa_user_sgpr_dispatch_id 0
		.amdhsa_user_sgpr_private_segment_size 0
		.amdhsa_wavefront_size32 1
		.amdhsa_uses_dynamic_stack 0
		.amdhsa_enable_private_segment 0
		.amdhsa_system_sgpr_workgroup_id_x 1
		.amdhsa_system_sgpr_workgroup_id_y 0
		.amdhsa_system_sgpr_workgroup_id_z 0
		.amdhsa_system_sgpr_workgroup_info 0
		.amdhsa_system_vgpr_workitem_id 1
		.amdhsa_next_free_vgpr 17
		.amdhsa_next_free_sgpr 16
		.amdhsa_reserve_vcc 1
		.amdhsa_float_round_mode_32 0
		.amdhsa_float_round_mode_16_64 0
		.amdhsa_float_denorm_mode_32 3
		.amdhsa_float_denorm_mode_16_64 3
		.amdhsa_dx10_clamp 1
		.amdhsa_ieee_mode 1
		.amdhsa_fp16_overflow 0
		.amdhsa_workgroup_processor_mode 1
		.amdhsa_memory_ordered 1
		.amdhsa_forward_progress 0
		.amdhsa_shared_vgpr_count 0
		.amdhsa_exception_fp_ieee_invalid_op 0
		.amdhsa_exception_fp_denorm_src 0
		.amdhsa_exception_fp_ieee_div_zero 0
		.amdhsa_exception_fp_ieee_overflow 0
		.amdhsa_exception_fp_ieee_underflow 0
		.amdhsa_exception_fp_ieee_inexact 0
		.amdhsa_exception_int_div_zero 0
	.end_amdhsa_kernel
	.section	.text._ZN12_GLOBAL__N_120softmax_warp_forwardIdddLi0ELb0ELb0ELi64EEEvPT0_PKT_iiiPKbib,"axG",@progbits,_ZN12_GLOBAL__N_120softmax_warp_forwardIdddLi0ELb0ELb0ELi64EEEvPT0_PKT_iiiPKbib,comdat
.Lfunc_end354:
	.size	_ZN12_GLOBAL__N_120softmax_warp_forwardIdddLi0ELb0ELb0ELi64EEEvPT0_PKT_iiiPKbib, .Lfunc_end354-_ZN12_GLOBAL__N_120softmax_warp_forwardIdddLi0ELb0ELb0ELi64EEEvPT0_PKT_iiiPKbib
                                        ; -- End function
	.section	.AMDGPU.csdata,"",@progbits
; Kernel info:
; codeLenInByte = 1504
; NumSgprs: 18
; NumVgprs: 17
; ScratchSize: 0
; MemoryBound: 0
; FloatMode: 240
; IeeeMode: 1
; LDSByteSize: 0 bytes/workgroup (compile time only)
; SGPRBlocks: 2
; VGPRBlocks: 2
; NumSGPRsForWavesPerEU: 18
; NumVGPRsForWavesPerEU: 17
; Occupancy: 16
; WaveLimiterHint : 0
; COMPUTE_PGM_RSRC2:SCRATCH_EN: 0
; COMPUTE_PGM_RSRC2:USER_SGPR: 15
; COMPUTE_PGM_RSRC2:TRAP_HANDLER: 0
; COMPUTE_PGM_RSRC2:TGID_X_EN: 1
; COMPUTE_PGM_RSRC2:TGID_Y_EN: 0
; COMPUTE_PGM_RSRC2:TGID_Z_EN: 0
; COMPUTE_PGM_RSRC2:TIDIG_COMP_CNT: 1
	.section	.text._ZN12_GLOBAL__N_120softmax_warp_forwardIdddLi0ELb0ELb0ELi32EEEvPT0_PKT_iiiPKbib,"axG",@progbits,_ZN12_GLOBAL__N_120softmax_warp_forwardIdddLi0ELb0ELb0ELi32EEEvPT0_PKT_iiiPKbib,comdat
	.globl	_ZN12_GLOBAL__N_120softmax_warp_forwardIdddLi0ELb0ELb0ELi32EEEvPT0_PKT_iiiPKbib ; -- Begin function _ZN12_GLOBAL__N_120softmax_warp_forwardIdddLi0ELb0ELb0ELi32EEEvPT0_PKT_iiiPKbib
	.p2align	8
	.type	_ZN12_GLOBAL__N_120softmax_warp_forwardIdddLi0ELb0ELb0ELi32EEEvPT0_PKT_iiiPKbib,@function
_ZN12_GLOBAL__N_120softmax_warp_forwardIdddLi0ELb0ELb0ELi32EEEvPT0_PKT_iiiPKbib: ; @_ZN12_GLOBAL__N_120softmax_warp_forwardIdddLi0ELb0ELb0ELi32EEEvPT0_PKT_iiiPKbib
; %bb.0:
	s_clause 0x1
	s_load_b32 s2, s[0:1], 0x3c
	s_load_b256 s[4:11], s[0:1], 0x0
	v_bfe_u32 v1, v0, 10, 10
	v_and_b32_e32 v4, 0x3ff, v0
	s_waitcnt lgkmcnt(0)
	s_lshr_b32 s0, s2, 16
	s_delay_alu instid0(SALU_CYCLE_1) | instskip(NEXT) | instid1(VALU_DEP_1)
	s_mul_i32 s15, s15, s0
	v_cmp_gt_i32_e64 s0, s10, v4
	v_add_lshl_u32 v2, s15, v1, 1
	s_delay_alu instid0(VALU_DEP_1) | instskip(SKIP_3) | instid1(VALU_DEP_3)
	v_mad_u64_u32 v[0:1], null, v2, s9, v[4:5]
	v_sub_nc_u32_e32 v8, s8, v2
	v_mov_b32_e32 v2, 0
	v_mov_b32_e32 v3, 0xfff00000
	v_cmp_lt_i32_e32 vcc_lo, 0, v8
	v_ashrrev_i32_e32 v1, 31, v0
	s_delay_alu instid0(VALU_DEP_3) | instskip(SKIP_1) | instid1(VALU_DEP_2)
	v_dual_mov_b32 v5, v3 :: v_dual_mov_b32 v4, v2
	s_and_b32 s2, s0, vcc_lo
	v_lshlrev_b64 v[0:1], 3, v[0:1]
	s_delay_alu instid0(VALU_DEP_1) | instskip(NEXT) | instid1(VALU_DEP_1)
	v_add_co_u32 v6, s1, s6, v0
	v_add_co_ci_u32_e64 v7, s1, s7, v1, s1
	s_and_saveexec_b32 s1, s2
	s_cbranch_execz .LBB355_2
; %bb.1:
	global_load_b64 v[4:5], v[6:7], off
.LBB355_2:
	s_or_b32 exec_lo, exec_lo, s1
	v_cmp_lt_i32_e64 s1, 1, v8
	s_delay_alu instid0(VALU_DEP_1) | instskip(NEXT) | instid1(SALU_CYCLE_1)
	s_and_b32 s1, s0, s1
	s_and_saveexec_b32 s2, s1
	s_cbranch_execz .LBB355_4
; %bb.3:
	s_mov_b32 s11, 0
	s_delay_alu instid0(SALU_CYCLE_1) | instskip(NEXT) | instid1(SALU_CYCLE_1)
	s_lshl_b64 s[6:7], s[10:11], 3
	v_add_co_u32 v2, s1, v6, s6
	s_delay_alu instid0(VALU_DEP_1)
	v_add_co_ci_u32_e64 v3, s1, s7, v7, s1
	global_load_b64 v[2:3], v[2:3], off
.LBB355_4:
	s_or_b32 exec_lo, exec_lo, s2
	s_and_saveexec_b32 s1, vcc_lo
	s_cbranch_execz .LBB355_10
; %bb.5:
	v_add_co_u32 v0, vcc_lo, s4, v0
	v_add_co_ci_u32_e32 v1, vcc_lo, s5, v1, vcc_lo
	s_and_saveexec_b32 s2, s0
	s_cbranch_execz .LBB355_7
; %bb.6:
	s_waitcnt vmcnt(0)
	v_add_f64 v[4:5], v[4:5], -v[4:5]
	s_mov_b32 s4, 0x652b82fe
	s_mov_b32 s5, 0x3ff71547
	;; [unrolled: 1-line block ×4, first 2 shown]
	s_delay_alu instid0(VALU_DEP_1) | instskip(SKIP_4) | instid1(VALU_DEP_3)
	v_mul_f64 v[6:7], v[4:5], s[4:5]
	s_mov_b32 s4, 0xfefa39ef
	s_mov_b32 s5, 0xbfe62e42
	v_cmp_nlt_f64_e32 vcc_lo, 0x40900000, v[4:5]
	v_cmp_ngt_f64_e64 s1, 0xc090cc00, v[4:5]
	v_rndne_f64_e32 v[6:7], v[6:7]
	s_delay_alu instid0(VALU_DEP_1) | instskip(SKIP_3) | instid1(VALU_DEP_2)
	v_fma_f64 v[9:10], v[6:7], s[4:5], v[4:5]
	s_mov_b32 s4, 0x3b39803f
	s_mov_b32 s5, 0xbc7abc9e
	v_cvt_i32_f64_e32 v13, v[6:7]
	v_fma_f64 v[9:10], v[6:7], s[4:5], v[9:10]
	s_mov_b32 s4, 0xfca7ab0c
	s_mov_b32 s5, 0x3e928af3
	s_delay_alu instid0(VALU_DEP_1) | instid1(SALU_CYCLE_1)
	v_fma_f64 v[11:12], v[9:10], s[6:7], s[4:5]
	s_mov_b32 s4, 0x623fde64
	s_mov_b32 s5, 0x3ec71dee
	s_delay_alu instid0(VALU_DEP_1) | instid1(SALU_CYCLE_1)
	;; [unrolled: 4-line block ×9, first 2 shown]
	v_fma_f64 v[11:12], v[9:10], v[11:12], s[4:5]
	s_delay_alu instid0(VALU_DEP_1) | instskip(NEXT) | instid1(VALU_DEP_1)
	v_fma_f64 v[11:12], v[9:10], v[11:12], 1.0
	v_fma_f64 v[6:7], v[9:10], v[11:12], 1.0
	s_delay_alu instid0(VALU_DEP_1) | instskip(NEXT) | instid1(VALU_DEP_1)
	v_ldexp_f64 v[6:7], v[6:7], v13
	v_cndmask_b32_e32 v7, 0x7ff00000, v7, vcc_lo
	s_and_b32 vcc_lo, s1, vcc_lo
	s_delay_alu instid0(VALU_DEP_2) | instskip(NEXT) | instid1(VALU_DEP_2)
	v_cndmask_b32_e32 v4, 0, v6, vcc_lo
	v_cndmask_b32_e64 v5, 0, v7, s1
	s_delay_alu instid0(VALU_DEP_1) | instskip(NEXT) | instid1(VALU_DEP_1)
	v_add_f64 v[6:7], v[4:5], 0
	v_div_scale_f64 v[9:10], null, v[6:7], v[6:7], v[4:5]
	v_div_scale_f64 v[15:16], vcc_lo, v[4:5], v[6:7], v[4:5]
	s_delay_alu instid0(VALU_DEP_2) | instskip(SKIP_2) | instid1(VALU_DEP_1)
	v_rcp_f64_e32 v[11:12], v[9:10]
	s_waitcnt_depctr 0xfff
	v_fma_f64 v[13:14], -v[9:10], v[11:12], 1.0
	v_fma_f64 v[11:12], v[11:12], v[13:14], v[11:12]
	s_delay_alu instid0(VALU_DEP_1) | instskip(NEXT) | instid1(VALU_DEP_1)
	v_fma_f64 v[13:14], -v[9:10], v[11:12], 1.0
	v_fma_f64 v[11:12], v[11:12], v[13:14], v[11:12]
	s_delay_alu instid0(VALU_DEP_1) | instskip(NEXT) | instid1(VALU_DEP_1)
	v_mul_f64 v[13:14], v[15:16], v[11:12]
	v_fma_f64 v[9:10], -v[9:10], v[13:14], v[15:16]
	s_delay_alu instid0(VALU_DEP_1) | instskip(SKIP_1) | instid1(VALU_DEP_2)
	v_div_fmas_f64 v[9:10], v[9:10], v[11:12], v[13:14]
	v_cmp_neq_f64_e32 vcc_lo, 0, v[4:5]
	v_div_fixup_f64 v[6:7], v[9:10], v[6:7], v[4:5]
	s_delay_alu instid0(VALU_DEP_1) | instskip(NEXT) | instid1(VALU_DEP_2)
	v_cndmask_b32_e32 v5, 0x7ff80000, v7, vcc_lo
	v_cndmask_b32_e32 v4, 0, v6, vcc_lo
	global_store_b64 v[0:1], v[4:5], off
.LBB355_7:
	s_or_b32 exec_lo, exec_lo, s2
	v_cmp_ne_u32_e32 vcc_lo, 1, v8
	s_and_b32 exec_lo, exec_lo, vcc_lo
	s_cbranch_execz .LBB355_10
; %bb.8:
	s_and_b32 exec_lo, exec_lo, s0
	s_cbranch_execz .LBB355_10
; %bb.9:
	s_waitcnt vmcnt(0)
	v_add_f64 v[2:3], v[2:3], -v[2:3]
	s_mov_b32 s0, 0x652b82fe
	s_mov_b32 s1, 0x3ff71547
	;; [unrolled: 1-line block ×5, first 2 shown]
	s_delay_alu instid0(VALU_DEP_1) | instskip(SKIP_3) | instid1(VALU_DEP_2)
	v_mul_f64 v[4:5], v[2:3], s[0:1]
	s_mov_b32 s0, 0xfefa39ef
	s_mov_b32 s1, 0xbfe62e42
	v_cmp_nlt_f64_e32 vcc_lo, 0x40900000, v[2:3]
	v_rndne_f64_e32 v[4:5], v[4:5]
	s_delay_alu instid0(VALU_DEP_1) | instskip(SKIP_3) | instid1(VALU_DEP_2)
	v_fma_f64 v[6:7], v[4:5], s[0:1], v[2:3]
	s_mov_b32 s0, 0x3b39803f
	s_mov_b32 s1, 0xbc7abc9e
	v_cvt_i32_f64_e32 v10, v[4:5]
	v_fma_f64 v[6:7], v[4:5], s[0:1], v[6:7]
	s_mov_b32 s0, 0xfca7ab0c
	s_mov_b32 s1, 0x3e928af3
	s_delay_alu instid0(VALU_DEP_1) | instid1(SALU_CYCLE_1)
	v_fma_f64 v[8:9], v[6:7], s[2:3], s[0:1]
	s_mov_b32 s0, 0x623fde64
	s_mov_b32 s1, 0x3ec71dee
	s_delay_alu instid0(VALU_DEP_1) | instid1(SALU_CYCLE_1)
	;; [unrolled: 4-line block ×9, first 2 shown]
	v_fma_f64 v[8:9], v[6:7], v[8:9], s[0:1]
	v_cmp_ngt_f64_e64 s0, 0xc090cc00, v[2:3]
	s_delay_alu instid0(VALU_DEP_2) | instskip(NEXT) | instid1(VALU_DEP_1)
	v_fma_f64 v[8:9], v[6:7], v[8:9], 1.0
	v_fma_f64 v[4:5], v[6:7], v[8:9], 1.0
	s_delay_alu instid0(VALU_DEP_1) | instskip(NEXT) | instid1(VALU_DEP_1)
	v_ldexp_f64 v[4:5], v[4:5], v10
	v_cndmask_b32_e32 v5, 0x7ff00000, v5, vcc_lo
	s_and_b32 vcc_lo, s0, vcc_lo
	s_delay_alu instid0(VALU_DEP_2) | instskip(NEXT) | instid1(VALU_DEP_2)
	v_cndmask_b32_e32 v2, 0, v4, vcc_lo
	v_cndmask_b32_e64 v3, 0, v5, s0
	s_lshl_b64 s[0:1], s[10:11], 3
	s_delay_alu instid0(SALU_CYCLE_1) | instskip(NEXT) | instid1(VALU_DEP_2)
	v_add_co_u32 v0, s0, v0, s0
	v_add_f64 v[4:5], v[2:3], 0
	v_add_co_ci_u32_e64 v1, s0, s1, v1, s0
	s_delay_alu instid0(VALU_DEP_2) | instskip(SKIP_1) | instid1(VALU_DEP_2)
	v_div_scale_f64 v[6:7], null, v[4:5], v[4:5], v[2:3]
	v_div_scale_f64 v[12:13], vcc_lo, v[2:3], v[4:5], v[2:3]
	v_rcp_f64_e32 v[8:9], v[6:7]
	s_waitcnt_depctr 0xfff
	v_fma_f64 v[10:11], -v[6:7], v[8:9], 1.0
	s_delay_alu instid0(VALU_DEP_1) | instskip(NEXT) | instid1(VALU_DEP_1)
	v_fma_f64 v[8:9], v[8:9], v[10:11], v[8:9]
	v_fma_f64 v[10:11], -v[6:7], v[8:9], 1.0
	s_delay_alu instid0(VALU_DEP_1) | instskip(NEXT) | instid1(VALU_DEP_1)
	v_fma_f64 v[8:9], v[8:9], v[10:11], v[8:9]
	v_mul_f64 v[10:11], v[12:13], v[8:9]
	s_delay_alu instid0(VALU_DEP_1) | instskip(NEXT) | instid1(VALU_DEP_1)
	v_fma_f64 v[6:7], -v[6:7], v[10:11], v[12:13]
	v_div_fmas_f64 v[6:7], v[6:7], v[8:9], v[10:11]
	v_cmp_neq_f64_e32 vcc_lo, 0, v[2:3]
	s_delay_alu instid0(VALU_DEP_2) | instskip(NEXT) | instid1(VALU_DEP_1)
	v_div_fixup_f64 v[4:5], v[6:7], v[4:5], v[2:3]
	v_cndmask_b32_e32 v3, 0x7ff80000, v5, vcc_lo
	s_delay_alu instid0(VALU_DEP_2)
	v_cndmask_b32_e32 v2, 0, v4, vcc_lo
	global_store_b64 v[0:1], v[2:3], off
.LBB355_10:
	s_nop 0
	s_sendmsg sendmsg(MSG_DEALLOC_VGPRS)
	s_endpgm
	.section	.rodata,"a",@progbits
	.p2align	6, 0x0
	.amdhsa_kernel _ZN12_GLOBAL__N_120softmax_warp_forwardIdddLi0ELb0ELb0ELi32EEEvPT0_PKT_iiiPKbib
		.amdhsa_group_segment_fixed_size 0
		.amdhsa_private_segment_fixed_size 0
		.amdhsa_kernarg_size 304
		.amdhsa_user_sgpr_count 15
		.amdhsa_user_sgpr_dispatch_ptr 0
		.amdhsa_user_sgpr_queue_ptr 0
		.amdhsa_user_sgpr_kernarg_segment_ptr 1
		.amdhsa_user_sgpr_dispatch_id 0
		.amdhsa_user_sgpr_private_segment_size 0
		.amdhsa_wavefront_size32 1
		.amdhsa_uses_dynamic_stack 0
		.amdhsa_enable_private_segment 0
		.amdhsa_system_sgpr_workgroup_id_x 1
		.amdhsa_system_sgpr_workgroup_id_y 0
		.amdhsa_system_sgpr_workgroup_id_z 0
		.amdhsa_system_sgpr_workgroup_info 0
		.amdhsa_system_vgpr_workitem_id 1
		.amdhsa_next_free_vgpr 17
		.amdhsa_next_free_sgpr 16
		.amdhsa_reserve_vcc 1
		.amdhsa_float_round_mode_32 0
		.amdhsa_float_round_mode_16_64 0
		.amdhsa_float_denorm_mode_32 3
		.amdhsa_float_denorm_mode_16_64 3
		.amdhsa_dx10_clamp 1
		.amdhsa_ieee_mode 1
		.amdhsa_fp16_overflow 0
		.amdhsa_workgroup_processor_mode 1
		.amdhsa_memory_ordered 1
		.amdhsa_forward_progress 0
		.amdhsa_shared_vgpr_count 0
		.amdhsa_exception_fp_ieee_invalid_op 0
		.amdhsa_exception_fp_denorm_src 0
		.amdhsa_exception_fp_ieee_div_zero 0
		.amdhsa_exception_fp_ieee_overflow 0
		.amdhsa_exception_fp_ieee_underflow 0
		.amdhsa_exception_fp_ieee_inexact 0
		.amdhsa_exception_int_div_zero 0
	.end_amdhsa_kernel
	.section	.text._ZN12_GLOBAL__N_120softmax_warp_forwardIdddLi0ELb0ELb0ELi32EEEvPT0_PKT_iiiPKbib,"axG",@progbits,_ZN12_GLOBAL__N_120softmax_warp_forwardIdddLi0ELb0ELb0ELi32EEEvPT0_PKT_iiiPKbib,comdat
.Lfunc_end355:
	.size	_ZN12_GLOBAL__N_120softmax_warp_forwardIdddLi0ELb0ELb0ELi32EEEvPT0_PKT_iiiPKbib, .Lfunc_end355-_ZN12_GLOBAL__N_120softmax_warp_forwardIdddLi0ELb0ELb0ELi32EEEvPT0_PKT_iiiPKbib
                                        ; -- End function
	.section	.AMDGPU.csdata,"",@progbits
; Kernel info:
; codeLenInByte = 1504
; NumSgprs: 18
; NumVgprs: 17
; ScratchSize: 0
; MemoryBound: 0
; FloatMode: 240
; IeeeMode: 1
; LDSByteSize: 0 bytes/workgroup (compile time only)
; SGPRBlocks: 2
; VGPRBlocks: 2
; NumSGPRsForWavesPerEU: 18
; NumVGPRsForWavesPerEU: 17
; Occupancy: 16
; WaveLimiterHint : 0
; COMPUTE_PGM_RSRC2:SCRATCH_EN: 0
; COMPUTE_PGM_RSRC2:USER_SGPR: 15
; COMPUTE_PGM_RSRC2:TRAP_HANDLER: 0
; COMPUTE_PGM_RSRC2:TGID_X_EN: 1
; COMPUTE_PGM_RSRC2:TGID_Y_EN: 0
; COMPUTE_PGM_RSRC2:TGID_Z_EN: 0
; COMPUTE_PGM_RSRC2:TIDIG_COMP_CNT: 1
	.section	.text._ZN12_GLOBAL__N_120softmax_warp_forwardIdddLi1ELb0ELb0ELi64EEEvPT0_PKT_iiiPKbib,"axG",@progbits,_ZN12_GLOBAL__N_120softmax_warp_forwardIdddLi1ELb0ELb0ELi64EEEvPT0_PKT_iiiPKbib,comdat
	.globl	_ZN12_GLOBAL__N_120softmax_warp_forwardIdddLi1ELb0ELb0ELi64EEEvPT0_PKT_iiiPKbib ; -- Begin function _ZN12_GLOBAL__N_120softmax_warp_forwardIdddLi1ELb0ELb0ELi64EEEvPT0_PKT_iiiPKbib
	.p2align	8
	.type	_ZN12_GLOBAL__N_120softmax_warp_forwardIdddLi1ELb0ELb0ELi64EEEvPT0_PKT_iiiPKbib,@function
_ZN12_GLOBAL__N_120softmax_warp_forwardIdddLi1ELb0ELb0ELi64EEEvPT0_PKT_iiiPKbib: ; @_ZN12_GLOBAL__N_120softmax_warp_forwardIdddLi1ELb0ELb0ELi64EEEvPT0_PKT_iiiPKbib
; %bb.0:
	s_clause 0x1
	s_load_b32 s2, s[0:1], 0x3c
	s_load_b256 s[16:23], s[0:1], 0x0
	v_bfe_u32 v1, v0, 10, 10
	v_and_b32_e32 v4, 0x3ff, v0
	s_waitcnt lgkmcnt(0)
	s_lshr_b32 s0, s2, 16
	s_delay_alu instid0(SALU_CYCLE_1) | instskip(NEXT) | instid1(VALU_DEP_1)
	s_mul_i32 s15, s15, s0
	v_cmp_gt_i32_e64 s0, s22, v4
	v_add_lshl_u32 v2, s15, v1, 1
	s_delay_alu instid0(VALU_DEP_1) | instskip(SKIP_3) | instid1(VALU_DEP_3)
	v_mad_u64_u32 v[0:1], null, v2, s21, v[4:5]
	v_sub_nc_u32_e32 v14, s20, v2
	v_mov_b32_e32 v2, 0
	v_mov_b32_e32 v3, 0xfff00000
	v_cmp_lt_i32_e32 vcc_lo, 0, v14
	v_ashrrev_i32_e32 v1, 31, v0
	s_delay_alu instid0(VALU_DEP_3) | instskip(SKIP_1) | instid1(VALU_DEP_2)
	v_dual_mov_b32 v5, v3 :: v_dual_mov_b32 v4, v2
	s_and_b32 s2, s0, vcc_lo
	v_lshlrev_b64 v[0:1], 3, v[0:1]
	s_delay_alu instid0(VALU_DEP_1) | instskip(NEXT) | instid1(VALU_DEP_1)
	v_add_co_u32 v6, s1, s18, v0
	v_add_co_ci_u32_e64 v7, s1, s19, v1, s1
	s_and_saveexec_b32 s1, s2
	s_cbranch_execz .LBB356_2
; %bb.1:
	global_load_b64 v[4:5], v[6:7], off
.LBB356_2:
	s_or_b32 exec_lo, exec_lo, s1
	v_cmp_lt_i32_e64 s1, 1, v14
	s_delay_alu instid0(VALU_DEP_1) | instskip(NEXT) | instid1(SALU_CYCLE_1)
	s_and_b32 s1, s0, s1
	s_and_saveexec_b32 s2, s1
	s_cbranch_execz .LBB356_4
; %bb.3:
	s_mov_b32 s23, 0
	s_delay_alu instid0(SALU_CYCLE_1) | instskip(NEXT) | instid1(SALU_CYCLE_1)
	s_lshl_b64 s[4:5], s[22:23], 3
	v_add_co_u32 v2, s1, v6, s4
	s_delay_alu instid0(VALU_DEP_1)
	v_add_co_ci_u32_e64 v3, s1, s5, v7, s1
	global_load_b64 v[2:3], v[2:3], off
.LBB356_4:
	s_or_b32 exec_lo, exec_lo, s2
	v_mbcnt_lo_u32_b32 v6, -1, 0
	s_mov_b32 s4, 0x6a5dcb37
	s_mov_b32 s5, 0x3e5ade15
	s_delay_alu instid0(VALU_DEP_1) | instskip(SKIP_1) | instid1(VALU_DEP_2)
	v_and_b32_e32 v7, 30, v6
	v_xor_b32_e32 v8, 1, v6
	v_add_nc_u32_e32 v7, 2, v7
	s_delay_alu instid0(VALU_DEP_1) | instskip(NEXT) | instid1(VALU_DEP_1)
	v_cmp_lt_i32_e64 s1, v8, v7
	v_cndmask_b32_e64 v6, v6, v8, s1
	s_delay_alu instid0(VALU_DEP_1)
	v_lshlrev_b32_e32 v19, 2, v6
	s_waitcnt vmcnt(0)
	ds_bpermute_b32 v6, v19, v4
	ds_bpermute_b32 v7, v19, v5
	;; [unrolled: 1-line block ×4, first 2 shown]
	s_waitcnt lgkmcnt(2)
	v_cmp_lt_f64_e64 s1, v[4:5], v[6:7]
	s_waitcnt lgkmcnt(0)
	v_cmp_lt_f64_e64 s2, v[2:3], v[8:9]
	s_delay_alu instid0(VALU_DEP_2) | instskip(SKIP_1) | instid1(VALU_DEP_3)
	v_cndmask_b32_e64 v7, v5, v7, s1
	v_cndmask_b32_e64 v6, v4, v6, s1
	;; [unrolled: 1-line block ×4, first 2 shown]
	s_mov_b32 s2, 0x652b82fe
	s_mov_b32 s3, 0x3ff71547
	v_add_f64 v[4:5], v[4:5], -v[6:7]
	s_delay_alu instid0(VALU_DEP_2) | instskip(NEXT) | instid1(VALU_DEP_2)
	v_add_f64 v[2:3], v[2:3], -v[8:9]
	v_mul_f64 v[6:7], v[4:5], s[2:3]
	v_cmp_nlt_f64_e64 s1, 0x40900000, v[4:5]
	s_delay_alu instid0(VALU_DEP_3) | instskip(SKIP_2) | instid1(VALU_DEP_3)
	v_mul_f64 v[8:9], v[2:3], s[2:3]
	s_mov_b32 s2, 0xfefa39ef
	s_mov_b32 s3, 0xbfe62e42
	v_rndne_f64_e32 v[6:7], v[6:7]
	s_delay_alu instid0(VALU_DEP_2) | instskip(NEXT) | instid1(VALU_DEP_2)
	v_rndne_f64_e32 v[8:9], v[8:9]
	v_fma_f64 v[10:11], v[6:7], s[2:3], v[4:5]
	v_cvt_i32_f64_e32 v20, v[6:7]
	s_delay_alu instid0(VALU_DEP_3)
	v_fma_f64 v[12:13], v[8:9], s[2:3], v[2:3]
	s_mov_b32 s2, 0x3b39803f
	s_mov_b32 s3, 0xbc7abc9e
	s_delay_alu instid0(VALU_DEP_3) | instid1(SALU_CYCLE_1)
	v_fma_f64 v[10:11], v[6:7], s[2:3], v[10:11]
	s_delay_alu instid0(VALU_DEP_2)
	v_fma_f64 v[12:13], v[8:9], s[2:3], v[12:13]
	s_mov_b32 s2, 0xfca7ab0c
	s_mov_b32 s3, 0x3e928af3
	s_delay_alu instid0(VALU_DEP_2) | instid1(SALU_CYCLE_1)
	v_fma_f64 v[15:16], v[10:11], s[4:5], s[2:3]
	s_delay_alu instid0(VALU_DEP_2) | instskip(SKIP_3) | instid1(VALU_DEP_3)
	v_fma_f64 v[17:18], v[12:13], s[4:5], s[2:3]
	s_mov_b32 s2, 0x623fde64
	s_mov_b32 s3, 0x3ec71dee
	v_cmp_ngt_f64_e64 s4, 0xc090cc00, v[2:3]
	v_fma_f64 v[15:16], v[10:11], v[15:16], s[2:3]
	s_delay_alu instid0(VALU_DEP_3)
	v_fma_f64 v[17:18], v[12:13], v[17:18], s[2:3]
	s_mov_b32 s2, 0x7c89e6b0
	s_mov_b32 s3, 0x3efa0199
	s_delay_alu instid0(VALU_DEP_2) | instid1(SALU_CYCLE_1)
	v_fma_f64 v[15:16], v[10:11], v[15:16], s[2:3]
	s_delay_alu instid0(VALU_DEP_2)
	v_fma_f64 v[17:18], v[12:13], v[17:18], s[2:3]
	s_mov_b32 s2, 0x14761f6e
	s_mov_b32 s3, 0x3f2a01a0
	s_delay_alu instid0(VALU_DEP_2) | instid1(SALU_CYCLE_1)
	v_fma_f64 v[15:16], v[10:11], v[15:16], s[2:3]
	s_delay_alu instid0(VALU_DEP_2)
	;; [unrolled: 6-line block ×6, first 2 shown]
	v_fma_f64 v[17:18], v[12:13], v[17:18], s[2:3]
	s_mov_b32 s2, 11
	s_mov_b32 s3, 0x3fe00000
	s_delay_alu instid0(VALU_DEP_2) | instid1(SALU_CYCLE_1)
	v_fma_f64 v[15:16], v[10:11], v[15:16], s[2:3]
	s_delay_alu instid0(VALU_DEP_2) | instskip(SKIP_2) | instid1(VALU_DEP_4)
	v_fma_f64 v[17:18], v[12:13], v[17:18], s[2:3]
	v_cmp_nlt_f64_e64 s3, 0x40900000, v[2:3]
	v_cmp_ngt_f64_e64 s2, 0xc090cc00, v[4:5]
	v_fma_f64 v[15:16], v[10:11], v[15:16], 1.0
	s_delay_alu instid0(VALU_DEP_4) | instskip(NEXT) | instid1(VALU_DEP_2)
	v_fma_f64 v[17:18], v[12:13], v[17:18], 1.0
	v_fma_f64 v[6:7], v[10:11], v[15:16], 1.0
	v_cvt_i32_f64_e32 v10, v[8:9]
	s_delay_alu instid0(VALU_DEP_3) | instskip(NEXT) | instid1(VALU_DEP_3)
	v_fma_f64 v[8:9], v[12:13], v[17:18], 1.0
	v_ldexp_f64 v[6:7], v[6:7], v20
	s_delay_alu instid0(VALU_DEP_2) | instskip(NEXT) | instid1(VALU_DEP_2)
	v_ldexp_f64 v[10:11], v[8:9], v10
	v_cndmask_b32_e64 v7, 0x7ff00000, v7, s1
	s_and_b32 s1, s2, s1
	s_delay_alu instid0(VALU_DEP_2) | instskip(NEXT) | instid1(VALU_DEP_4)
	v_cndmask_b32_e64 v4, 0x7ff00000, v11, s3
	v_cndmask_b32_e64 v8, 0, v6, s1
	s_and_b32 s1, s4, s3
	v_cndmask_b32_e64 v9, 0, v7, s2
	v_cndmask_b32_e64 v2, 0, v10, s1
	;; [unrolled: 1-line block ×3, first 2 shown]
	s_delay_alu instid0(VALU_DEP_3) | instskip(NEXT) | instid1(VALU_DEP_2)
	v_add_f64 v[10:11], v[8:9], 0
	v_add_f64 v[4:5], v[2:3], 0
	ds_bpermute_b32 v12, v19, v10
	ds_bpermute_b32 v13, v19, v11
	;; [unrolled: 1-line block ×4, first 2 shown]
	s_and_saveexec_b32 s1, vcc_lo
	s_cbranch_execz .LBB356_10
; %bb.5:
	v_add_co_u32 v0, vcc_lo, s16, v0
	v_add_co_ci_u32_e32 v1, vcc_lo, s17, v1, vcc_lo
	s_and_saveexec_b32 s1, s0
	s_cbranch_execz .LBB356_7
; %bb.6:
	s_waitcnt lgkmcnt(2)
	v_add_f64 v[10:11], v[10:11], v[12:13]
	s_delay_alu instid0(VALU_DEP_1) | instskip(SKIP_1) | instid1(VALU_DEP_2)
	v_div_scale_f64 v[12:13], null, v[10:11], v[10:11], v[8:9]
	v_div_scale_f64 v[19:20], vcc_lo, v[8:9], v[10:11], v[8:9]
	v_rcp_f64_e32 v[15:16], v[12:13]
	s_waitcnt_depctr 0xfff
	v_fma_f64 v[17:18], -v[12:13], v[15:16], 1.0
	s_delay_alu instid0(VALU_DEP_1) | instskip(NEXT) | instid1(VALU_DEP_1)
	v_fma_f64 v[15:16], v[15:16], v[17:18], v[15:16]
	v_fma_f64 v[17:18], -v[12:13], v[15:16], 1.0
	s_delay_alu instid0(VALU_DEP_1) | instskip(NEXT) | instid1(VALU_DEP_1)
	v_fma_f64 v[15:16], v[15:16], v[17:18], v[15:16]
	v_mul_f64 v[17:18], v[19:20], v[15:16]
	s_delay_alu instid0(VALU_DEP_1) | instskip(NEXT) | instid1(VALU_DEP_1)
	v_fma_f64 v[12:13], -v[12:13], v[17:18], v[19:20]
	v_div_fmas_f64 v[12:13], v[12:13], v[15:16], v[17:18]
	v_cmp_neq_f64_e32 vcc_lo, 0, v[10:11]
	s_delay_alu instid0(VALU_DEP_2) | instskip(NEXT) | instid1(VALU_DEP_1)
	v_div_fixup_f64 v[8:9], v[12:13], v[10:11], v[8:9]
	v_cndmask_b32_e32 v9, 0x7ff80000, v9, vcc_lo
	s_delay_alu instid0(VALU_DEP_2)
	v_cndmask_b32_e32 v8, 0, v8, vcc_lo
	global_store_b64 v[0:1], v[8:9], off
.LBB356_7:
	s_or_b32 exec_lo, exec_lo, s1
	v_cmp_ne_u32_e32 vcc_lo, 1, v14
	s_and_b32 exec_lo, exec_lo, vcc_lo
	s_cbranch_execz .LBB356_10
; %bb.8:
	s_and_b32 exec_lo, exec_lo, s0
	s_cbranch_execz .LBB356_10
; %bb.9:
	s_waitcnt lgkmcnt(0)
	v_add_f64 v[4:5], v[4:5], v[6:7]
	s_mov_b32 s23, 0
	s_delay_alu instid0(SALU_CYCLE_1) | instskip(NEXT) | instid1(SALU_CYCLE_1)
	s_lshl_b64 s[0:1], s[22:23], 3
	v_add_co_u32 v0, s0, v0, s0
	s_delay_alu instid0(VALU_DEP_1) | instskip(NEXT) | instid1(VALU_DEP_3)
	v_add_co_ci_u32_e64 v1, s0, s1, v1, s0
	v_div_scale_f64 v[6:7], null, v[4:5], v[4:5], v[2:3]
	v_div_scale_f64 v[12:13], vcc_lo, v[2:3], v[4:5], v[2:3]
	s_delay_alu instid0(VALU_DEP_2) | instskip(SKIP_2) | instid1(VALU_DEP_1)
	v_rcp_f64_e32 v[8:9], v[6:7]
	s_waitcnt_depctr 0xfff
	v_fma_f64 v[10:11], -v[6:7], v[8:9], 1.0
	v_fma_f64 v[8:9], v[8:9], v[10:11], v[8:9]
	s_delay_alu instid0(VALU_DEP_1) | instskip(NEXT) | instid1(VALU_DEP_1)
	v_fma_f64 v[10:11], -v[6:7], v[8:9], 1.0
	v_fma_f64 v[8:9], v[8:9], v[10:11], v[8:9]
	s_delay_alu instid0(VALU_DEP_1) | instskip(NEXT) | instid1(VALU_DEP_1)
	v_mul_f64 v[10:11], v[12:13], v[8:9]
	v_fma_f64 v[6:7], -v[6:7], v[10:11], v[12:13]
	s_delay_alu instid0(VALU_DEP_1) | instskip(SKIP_1) | instid1(VALU_DEP_2)
	v_div_fmas_f64 v[6:7], v[6:7], v[8:9], v[10:11]
	v_cmp_neq_f64_e32 vcc_lo, 0, v[4:5]
	v_div_fixup_f64 v[2:3], v[6:7], v[4:5], v[2:3]
	s_delay_alu instid0(VALU_DEP_1) | instskip(NEXT) | instid1(VALU_DEP_2)
	v_cndmask_b32_e32 v3, 0x7ff80000, v3, vcc_lo
	v_cndmask_b32_e32 v2, 0, v2, vcc_lo
	global_store_b64 v[0:1], v[2:3], off
.LBB356_10:
	s_nop 0
	s_sendmsg sendmsg(MSG_DEALLOC_VGPRS)
	s_endpgm
	.section	.rodata,"a",@progbits
	.p2align	6, 0x0
	.amdhsa_kernel _ZN12_GLOBAL__N_120softmax_warp_forwardIdddLi1ELb0ELb0ELi64EEEvPT0_PKT_iiiPKbib
		.amdhsa_group_segment_fixed_size 0
		.amdhsa_private_segment_fixed_size 0
		.amdhsa_kernarg_size 304
		.amdhsa_user_sgpr_count 15
		.amdhsa_user_sgpr_dispatch_ptr 0
		.amdhsa_user_sgpr_queue_ptr 0
		.amdhsa_user_sgpr_kernarg_segment_ptr 1
		.amdhsa_user_sgpr_dispatch_id 0
		.amdhsa_user_sgpr_private_segment_size 0
		.amdhsa_wavefront_size32 1
		.amdhsa_uses_dynamic_stack 0
		.amdhsa_enable_private_segment 0
		.amdhsa_system_sgpr_workgroup_id_x 1
		.amdhsa_system_sgpr_workgroup_id_y 0
		.amdhsa_system_sgpr_workgroup_id_z 0
		.amdhsa_system_sgpr_workgroup_info 0
		.amdhsa_system_vgpr_workitem_id 1
		.amdhsa_next_free_vgpr 21
		.amdhsa_next_free_sgpr 24
		.amdhsa_reserve_vcc 1
		.amdhsa_float_round_mode_32 0
		.amdhsa_float_round_mode_16_64 0
		.amdhsa_float_denorm_mode_32 3
		.amdhsa_float_denorm_mode_16_64 3
		.amdhsa_dx10_clamp 1
		.amdhsa_ieee_mode 1
		.amdhsa_fp16_overflow 0
		.amdhsa_workgroup_processor_mode 1
		.amdhsa_memory_ordered 1
		.amdhsa_forward_progress 0
		.amdhsa_shared_vgpr_count 0
		.amdhsa_exception_fp_ieee_invalid_op 0
		.amdhsa_exception_fp_denorm_src 0
		.amdhsa_exception_fp_ieee_div_zero 0
		.amdhsa_exception_fp_ieee_overflow 0
		.amdhsa_exception_fp_ieee_underflow 0
		.amdhsa_exception_fp_ieee_inexact 0
		.amdhsa_exception_int_div_zero 0
	.end_amdhsa_kernel
	.section	.text._ZN12_GLOBAL__N_120softmax_warp_forwardIdddLi1ELb0ELb0ELi64EEEvPT0_PKT_iiiPKbib,"axG",@progbits,_ZN12_GLOBAL__N_120softmax_warp_forwardIdddLi1ELb0ELb0ELi64EEEvPT0_PKT_iiiPKbib,comdat
.Lfunc_end356:
	.size	_ZN12_GLOBAL__N_120softmax_warp_forwardIdddLi1ELb0ELb0ELi64EEEvPT0_PKT_iiiPKbib, .Lfunc_end356-_ZN12_GLOBAL__N_120softmax_warp_forwardIdddLi1ELb0ELb0ELi64EEEvPT0_PKT_iiiPKbib
                                        ; -- End function
	.section	.AMDGPU.csdata,"",@progbits
; Kernel info:
; codeLenInByte = 1520
; NumSgprs: 26
; NumVgprs: 21
; ScratchSize: 0
; MemoryBound: 0
; FloatMode: 240
; IeeeMode: 1
; LDSByteSize: 0 bytes/workgroup (compile time only)
; SGPRBlocks: 3
; VGPRBlocks: 2
; NumSGPRsForWavesPerEU: 26
; NumVGPRsForWavesPerEU: 21
; Occupancy: 16
; WaveLimiterHint : 0
; COMPUTE_PGM_RSRC2:SCRATCH_EN: 0
; COMPUTE_PGM_RSRC2:USER_SGPR: 15
; COMPUTE_PGM_RSRC2:TRAP_HANDLER: 0
; COMPUTE_PGM_RSRC2:TGID_X_EN: 1
; COMPUTE_PGM_RSRC2:TGID_Y_EN: 0
; COMPUTE_PGM_RSRC2:TGID_Z_EN: 0
; COMPUTE_PGM_RSRC2:TIDIG_COMP_CNT: 1
	.section	.text._ZN12_GLOBAL__N_120softmax_warp_forwardIdddLi1ELb0ELb0ELi32EEEvPT0_PKT_iiiPKbib,"axG",@progbits,_ZN12_GLOBAL__N_120softmax_warp_forwardIdddLi1ELb0ELb0ELi32EEEvPT0_PKT_iiiPKbib,comdat
	.globl	_ZN12_GLOBAL__N_120softmax_warp_forwardIdddLi1ELb0ELb0ELi32EEEvPT0_PKT_iiiPKbib ; -- Begin function _ZN12_GLOBAL__N_120softmax_warp_forwardIdddLi1ELb0ELb0ELi32EEEvPT0_PKT_iiiPKbib
	.p2align	8
	.type	_ZN12_GLOBAL__N_120softmax_warp_forwardIdddLi1ELb0ELb0ELi32EEEvPT0_PKT_iiiPKbib,@function
_ZN12_GLOBAL__N_120softmax_warp_forwardIdddLi1ELb0ELb0ELi32EEEvPT0_PKT_iiiPKbib: ; @_ZN12_GLOBAL__N_120softmax_warp_forwardIdddLi1ELb0ELb0ELi32EEEvPT0_PKT_iiiPKbib
; %bb.0:
	s_clause 0x1
	s_load_b32 s2, s[0:1], 0x3c
	s_load_b256 s[16:23], s[0:1], 0x0
	v_bfe_u32 v1, v0, 10, 10
	v_and_b32_e32 v4, 0x3ff, v0
	s_waitcnt lgkmcnt(0)
	s_lshr_b32 s0, s2, 16
	s_delay_alu instid0(SALU_CYCLE_1) | instskip(NEXT) | instid1(VALU_DEP_1)
	s_mul_i32 s15, s15, s0
	v_cmp_gt_i32_e64 s0, s22, v4
	v_add_lshl_u32 v2, s15, v1, 1
	s_delay_alu instid0(VALU_DEP_1) | instskip(SKIP_3) | instid1(VALU_DEP_3)
	v_mad_u64_u32 v[0:1], null, v2, s21, v[4:5]
	v_sub_nc_u32_e32 v14, s20, v2
	v_mov_b32_e32 v2, 0
	v_mov_b32_e32 v3, 0xfff00000
	v_cmp_lt_i32_e32 vcc_lo, 0, v14
	v_ashrrev_i32_e32 v1, 31, v0
	s_delay_alu instid0(VALU_DEP_3) | instskip(SKIP_1) | instid1(VALU_DEP_2)
	v_dual_mov_b32 v5, v3 :: v_dual_mov_b32 v4, v2
	s_and_b32 s2, s0, vcc_lo
	v_lshlrev_b64 v[0:1], 3, v[0:1]
	s_delay_alu instid0(VALU_DEP_1) | instskip(NEXT) | instid1(VALU_DEP_1)
	v_add_co_u32 v6, s1, s18, v0
	v_add_co_ci_u32_e64 v7, s1, s19, v1, s1
	s_and_saveexec_b32 s1, s2
	s_cbranch_execz .LBB357_2
; %bb.1:
	global_load_b64 v[4:5], v[6:7], off
.LBB357_2:
	s_or_b32 exec_lo, exec_lo, s1
	v_cmp_lt_i32_e64 s1, 1, v14
	s_delay_alu instid0(VALU_DEP_1) | instskip(NEXT) | instid1(SALU_CYCLE_1)
	s_and_b32 s1, s0, s1
	s_and_saveexec_b32 s2, s1
	s_cbranch_execz .LBB357_4
; %bb.3:
	s_mov_b32 s23, 0
	s_delay_alu instid0(SALU_CYCLE_1) | instskip(NEXT) | instid1(SALU_CYCLE_1)
	s_lshl_b64 s[4:5], s[22:23], 3
	v_add_co_u32 v2, s1, v6, s4
	s_delay_alu instid0(VALU_DEP_1)
	v_add_co_ci_u32_e64 v3, s1, s5, v7, s1
	global_load_b64 v[2:3], v[2:3], off
.LBB357_4:
	s_or_b32 exec_lo, exec_lo, s2
	v_mbcnt_lo_u32_b32 v6, -1, 0
	s_mov_b32 s4, 0x6a5dcb37
	s_mov_b32 s5, 0x3e5ade15
	s_delay_alu instid0(VALU_DEP_1) | instskip(SKIP_1) | instid1(VALU_DEP_2)
	v_and_b32_e32 v7, 30, v6
	v_xor_b32_e32 v8, 1, v6
	v_add_nc_u32_e32 v7, 2, v7
	s_delay_alu instid0(VALU_DEP_1) | instskip(NEXT) | instid1(VALU_DEP_1)
	v_cmp_lt_i32_e64 s1, v8, v7
	v_cndmask_b32_e64 v6, v6, v8, s1
	s_delay_alu instid0(VALU_DEP_1)
	v_lshlrev_b32_e32 v19, 2, v6
	s_waitcnt vmcnt(0)
	ds_bpermute_b32 v6, v19, v4
	ds_bpermute_b32 v7, v19, v5
	;; [unrolled: 1-line block ×4, first 2 shown]
	s_waitcnt lgkmcnt(2)
	v_cmp_lt_f64_e64 s1, v[4:5], v[6:7]
	s_waitcnt lgkmcnt(0)
	v_cmp_lt_f64_e64 s2, v[2:3], v[8:9]
	s_delay_alu instid0(VALU_DEP_2) | instskip(SKIP_1) | instid1(VALU_DEP_3)
	v_cndmask_b32_e64 v7, v5, v7, s1
	v_cndmask_b32_e64 v6, v4, v6, s1
	;; [unrolled: 1-line block ×4, first 2 shown]
	s_mov_b32 s2, 0x652b82fe
	s_mov_b32 s3, 0x3ff71547
	v_add_f64 v[4:5], v[4:5], -v[6:7]
	s_delay_alu instid0(VALU_DEP_2) | instskip(NEXT) | instid1(VALU_DEP_2)
	v_add_f64 v[2:3], v[2:3], -v[8:9]
	v_mul_f64 v[6:7], v[4:5], s[2:3]
	v_cmp_nlt_f64_e64 s1, 0x40900000, v[4:5]
	s_delay_alu instid0(VALU_DEP_3) | instskip(SKIP_2) | instid1(VALU_DEP_3)
	v_mul_f64 v[8:9], v[2:3], s[2:3]
	s_mov_b32 s2, 0xfefa39ef
	s_mov_b32 s3, 0xbfe62e42
	v_rndne_f64_e32 v[6:7], v[6:7]
	s_delay_alu instid0(VALU_DEP_2) | instskip(NEXT) | instid1(VALU_DEP_2)
	v_rndne_f64_e32 v[8:9], v[8:9]
	v_fma_f64 v[10:11], v[6:7], s[2:3], v[4:5]
	v_cvt_i32_f64_e32 v20, v[6:7]
	s_delay_alu instid0(VALU_DEP_3)
	v_fma_f64 v[12:13], v[8:9], s[2:3], v[2:3]
	s_mov_b32 s2, 0x3b39803f
	s_mov_b32 s3, 0xbc7abc9e
	s_delay_alu instid0(VALU_DEP_3) | instid1(SALU_CYCLE_1)
	v_fma_f64 v[10:11], v[6:7], s[2:3], v[10:11]
	s_delay_alu instid0(VALU_DEP_2)
	v_fma_f64 v[12:13], v[8:9], s[2:3], v[12:13]
	s_mov_b32 s2, 0xfca7ab0c
	s_mov_b32 s3, 0x3e928af3
	s_delay_alu instid0(VALU_DEP_2) | instid1(SALU_CYCLE_1)
	v_fma_f64 v[15:16], v[10:11], s[4:5], s[2:3]
	s_delay_alu instid0(VALU_DEP_2) | instskip(SKIP_3) | instid1(VALU_DEP_3)
	v_fma_f64 v[17:18], v[12:13], s[4:5], s[2:3]
	s_mov_b32 s2, 0x623fde64
	s_mov_b32 s3, 0x3ec71dee
	v_cmp_ngt_f64_e64 s4, 0xc090cc00, v[2:3]
	v_fma_f64 v[15:16], v[10:11], v[15:16], s[2:3]
	s_delay_alu instid0(VALU_DEP_3)
	v_fma_f64 v[17:18], v[12:13], v[17:18], s[2:3]
	s_mov_b32 s2, 0x7c89e6b0
	s_mov_b32 s3, 0x3efa0199
	s_delay_alu instid0(VALU_DEP_2) | instid1(SALU_CYCLE_1)
	v_fma_f64 v[15:16], v[10:11], v[15:16], s[2:3]
	s_delay_alu instid0(VALU_DEP_2)
	v_fma_f64 v[17:18], v[12:13], v[17:18], s[2:3]
	s_mov_b32 s2, 0x14761f6e
	s_mov_b32 s3, 0x3f2a01a0
	s_delay_alu instid0(VALU_DEP_2) | instid1(SALU_CYCLE_1)
	v_fma_f64 v[15:16], v[10:11], v[15:16], s[2:3]
	s_delay_alu instid0(VALU_DEP_2)
	;; [unrolled: 6-line block ×6, first 2 shown]
	v_fma_f64 v[17:18], v[12:13], v[17:18], s[2:3]
	s_mov_b32 s2, 11
	s_mov_b32 s3, 0x3fe00000
	s_delay_alu instid0(VALU_DEP_2) | instid1(SALU_CYCLE_1)
	v_fma_f64 v[15:16], v[10:11], v[15:16], s[2:3]
	s_delay_alu instid0(VALU_DEP_2) | instskip(SKIP_2) | instid1(VALU_DEP_4)
	v_fma_f64 v[17:18], v[12:13], v[17:18], s[2:3]
	v_cmp_nlt_f64_e64 s3, 0x40900000, v[2:3]
	v_cmp_ngt_f64_e64 s2, 0xc090cc00, v[4:5]
	v_fma_f64 v[15:16], v[10:11], v[15:16], 1.0
	s_delay_alu instid0(VALU_DEP_4) | instskip(NEXT) | instid1(VALU_DEP_2)
	v_fma_f64 v[17:18], v[12:13], v[17:18], 1.0
	v_fma_f64 v[6:7], v[10:11], v[15:16], 1.0
	v_cvt_i32_f64_e32 v10, v[8:9]
	s_delay_alu instid0(VALU_DEP_3) | instskip(NEXT) | instid1(VALU_DEP_3)
	v_fma_f64 v[8:9], v[12:13], v[17:18], 1.0
	v_ldexp_f64 v[6:7], v[6:7], v20
	s_delay_alu instid0(VALU_DEP_2) | instskip(NEXT) | instid1(VALU_DEP_2)
	v_ldexp_f64 v[10:11], v[8:9], v10
	v_cndmask_b32_e64 v7, 0x7ff00000, v7, s1
	s_and_b32 s1, s2, s1
	s_delay_alu instid0(VALU_DEP_2) | instskip(NEXT) | instid1(VALU_DEP_4)
	v_cndmask_b32_e64 v4, 0x7ff00000, v11, s3
	v_cndmask_b32_e64 v8, 0, v6, s1
	s_and_b32 s1, s4, s3
	v_cndmask_b32_e64 v9, 0, v7, s2
	v_cndmask_b32_e64 v2, 0, v10, s1
	;; [unrolled: 1-line block ×3, first 2 shown]
	s_delay_alu instid0(VALU_DEP_3) | instskip(NEXT) | instid1(VALU_DEP_2)
	v_add_f64 v[10:11], v[8:9], 0
	v_add_f64 v[4:5], v[2:3], 0
	ds_bpermute_b32 v12, v19, v10
	ds_bpermute_b32 v13, v19, v11
	;; [unrolled: 1-line block ×4, first 2 shown]
	s_and_saveexec_b32 s1, vcc_lo
	s_cbranch_execz .LBB357_10
; %bb.5:
	v_add_co_u32 v0, vcc_lo, s16, v0
	v_add_co_ci_u32_e32 v1, vcc_lo, s17, v1, vcc_lo
	s_and_saveexec_b32 s1, s0
	s_cbranch_execz .LBB357_7
; %bb.6:
	s_waitcnt lgkmcnt(2)
	v_add_f64 v[10:11], v[10:11], v[12:13]
	s_delay_alu instid0(VALU_DEP_1) | instskip(SKIP_1) | instid1(VALU_DEP_2)
	v_div_scale_f64 v[12:13], null, v[10:11], v[10:11], v[8:9]
	v_div_scale_f64 v[19:20], vcc_lo, v[8:9], v[10:11], v[8:9]
	v_rcp_f64_e32 v[15:16], v[12:13]
	s_waitcnt_depctr 0xfff
	v_fma_f64 v[17:18], -v[12:13], v[15:16], 1.0
	s_delay_alu instid0(VALU_DEP_1) | instskip(NEXT) | instid1(VALU_DEP_1)
	v_fma_f64 v[15:16], v[15:16], v[17:18], v[15:16]
	v_fma_f64 v[17:18], -v[12:13], v[15:16], 1.0
	s_delay_alu instid0(VALU_DEP_1) | instskip(NEXT) | instid1(VALU_DEP_1)
	v_fma_f64 v[15:16], v[15:16], v[17:18], v[15:16]
	v_mul_f64 v[17:18], v[19:20], v[15:16]
	s_delay_alu instid0(VALU_DEP_1) | instskip(NEXT) | instid1(VALU_DEP_1)
	v_fma_f64 v[12:13], -v[12:13], v[17:18], v[19:20]
	v_div_fmas_f64 v[12:13], v[12:13], v[15:16], v[17:18]
	v_cmp_neq_f64_e32 vcc_lo, 0, v[10:11]
	s_delay_alu instid0(VALU_DEP_2) | instskip(NEXT) | instid1(VALU_DEP_1)
	v_div_fixup_f64 v[8:9], v[12:13], v[10:11], v[8:9]
	v_cndmask_b32_e32 v9, 0x7ff80000, v9, vcc_lo
	s_delay_alu instid0(VALU_DEP_2)
	v_cndmask_b32_e32 v8, 0, v8, vcc_lo
	global_store_b64 v[0:1], v[8:9], off
.LBB357_7:
	s_or_b32 exec_lo, exec_lo, s1
	v_cmp_ne_u32_e32 vcc_lo, 1, v14
	s_and_b32 exec_lo, exec_lo, vcc_lo
	s_cbranch_execz .LBB357_10
; %bb.8:
	s_and_b32 exec_lo, exec_lo, s0
	s_cbranch_execz .LBB357_10
; %bb.9:
	s_waitcnt lgkmcnt(0)
	v_add_f64 v[4:5], v[4:5], v[6:7]
	s_mov_b32 s23, 0
	s_delay_alu instid0(SALU_CYCLE_1) | instskip(NEXT) | instid1(SALU_CYCLE_1)
	s_lshl_b64 s[0:1], s[22:23], 3
	v_add_co_u32 v0, s0, v0, s0
	s_delay_alu instid0(VALU_DEP_1) | instskip(NEXT) | instid1(VALU_DEP_3)
	v_add_co_ci_u32_e64 v1, s0, s1, v1, s0
	v_div_scale_f64 v[6:7], null, v[4:5], v[4:5], v[2:3]
	v_div_scale_f64 v[12:13], vcc_lo, v[2:3], v[4:5], v[2:3]
	s_delay_alu instid0(VALU_DEP_2) | instskip(SKIP_2) | instid1(VALU_DEP_1)
	v_rcp_f64_e32 v[8:9], v[6:7]
	s_waitcnt_depctr 0xfff
	v_fma_f64 v[10:11], -v[6:7], v[8:9], 1.0
	v_fma_f64 v[8:9], v[8:9], v[10:11], v[8:9]
	s_delay_alu instid0(VALU_DEP_1) | instskip(NEXT) | instid1(VALU_DEP_1)
	v_fma_f64 v[10:11], -v[6:7], v[8:9], 1.0
	v_fma_f64 v[8:9], v[8:9], v[10:11], v[8:9]
	s_delay_alu instid0(VALU_DEP_1) | instskip(NEXT) | instid1(VALU_DEP_1)
	v_mul_f64 v[10:11], v[12:13], v[8:9]
	v_fma_f64 v[6:7], -v[6:7], v[10:11], v[12:13]
	s_delay_alu instid0(VALU_DEP_1) | instskip(SKIP_1) | instid1(VALU_DEP_2)
	v_div_fmas_f64 v[6:7], v[6:7], v[8:9], v[10:11]
	v_cmp_neq_f64_e32 vcc_lo, 0, v[4:5]
	v_div_fixup_f64 v[2:3], v[6:7], v[4:5], v[2:3]
	s_delay_alu instid0(VALU_DEP_1) | instskip(NEXT) | instid1(VALU_DEP_2)
	v_cndmask_b32_e32 v3, 0x7ff80000, v3, vcc_lo
	v_cndmask_b32_e32 v2, 0, v2, vcc_lo
	global_store_b64 v[0:1], v[2:3], off
.LBB357_10:
	s_nop 0
	s_sendmsg sendmsg(MSG_DEALLOC_VGPRS)
	s_endpgm
	.section	.rodata,"a",@progbits
	.p2align	6, 0x0
	.amdhsa_kernel _ZN12_GLOBAL__N_120softmax_warp_forwardIdddLi1ELb0ELb0ELi32EEEvPT0_PKT_iiiPKbib
		.amdhsa_group_segment_fixed_size 0
		.amdhsa_private_segment_fixed_size 0
		.amdhsa_kernarg_size 304
		.amdhsa_user_sgpr_count 15
		.amdhsa_user_sgpr_dispatch_ptr 0
		.amdhsa_user_sgpr_queue_ptr 0
		.amdhsa_user_sgpr_kernarg_segment_ptr 1
		.amdhsa_user_sgpr_dispatch_id 0
		.amdhsa_user_sgpr_private_segment_size 0
		.amdhsa_wavefront_size32 1
		.amdhsa_uses_dynamic_stack 0
		.amdhsa_enable_private_segment 0
		.amdhsa_system_sgpr_workgroup_id_x 1
		.amdhsa_system_sgpr_workgroup_id_y 0
		.amdhsa_system_sgpr_workgroup_id_z 0
		.amdhsa_system_sgpr_workgroup_info 0
		.amdhsa_system_vgpr_workitem_id 1
		.amdhsa_next_free_vgpr 21
		.amdhsa_next_free_sgpr 24
		.amdhsa_reserve_vcc 1
		.amdhsa_float_round_mode_32 0
		.amdhsa_float_round_mode_16_64 0
		.amdhsa_float_denorm_mode_32 3
		.amdhsa_float_denorm_mode_16_64 3
		.amdhsa_dx10_clamp 1
		.amdhsa_ieee_mode 1
		.amdhsa_fp16_overflow 0
		.amdhsa_workgroup_processor_mode 1
		.amdhsa_memory_ordered 1
		.amdhsa_forward_progress 0
		.amdhsa_shared_vgpr_count 0
		.amdhsa_exception_fp_ieee_invalid_op 0
		.amdhsa_exception_fp_denorm_src 0
		.amdhsa_exception_fp_ieee_div_zero 0
		.amdhsa_exception_fp_ieee_overflow 0
		.amdhsa_exception_fp_ieee_underflow 0
		.amdhsa_exception_fp_ieee_inexact 0
		.amdhsa_exception_int_div_zero 0
	.end_amdhsa_kernel
	.section	.text._ZN12_GLOBAL__N_120softmax_warp_forwardIdddLi1ELb0ELb0ELi32EEEvPT0_PKT_iiiPKbib,"axG",@progbits,_ZN12_GLOBAL__N_120softmax_warp_forwardIdddLi1ELb0ELb0ELi32EEEvPT0_PKT_iiiPKbib,comdat
.Lfunc_end357:
	.size	_ZN12_GLOBAL__N_120softmax_warp_forwardIdddLi1ELb0ELb0ELi32EEEvPT0_PKT_iiiPKbib, .Lfunc_end357-_ZN12_GLOBAL__N_120softmax_warp_forwardIdddLi1ELb0ELb0ELi32EEEvPT0_PKT_iiiPKbib
                                        ; -- End function
	.section	.AMDGPU.csdata,"",@progbits
; Kernel info:
; codeLenInByte = 1520
; NumSgprs: 26
; NumVgprs: 21
; ScratchSize: 0
; MemoryBound: 0
; FloatMode: 240
; IeeeMode: 1
; LDSByteSize: 0 bytes/workgroup (compile time only)
; SGPRBlocks: 3
; VGPRBlocks: 2
; NumSGPRsForWavesPerEU: 26
; NumVGPRsForWavesPerEU: 21
; Occupancy: 16
; WaveLimiterHint : 0
; COMPUTE_PGM_RSRC2:SCRATCH_EN: 0
; COMPUTE_PGM_RSRC2:USER_SGPR: 15
; COMPUTE_PGM_RSRC2:TRAP_HANDLER: 0
; COMPUTE_PGM_RSRC2:TGID_X_EN: 1
; COMPUTE_PGM_RSRC2:TGID_Y_EN: 0
; COMPUTE_PGM_RSRC2:TGID_Z_EN: 0
; COMPUTE_PGM_RSRC2:TIDIG_COMP_CNT: 1
	.section	.text._ZN12_GLOBAL__N_120softmax_warp_forwardIdddLi2ELb0ELb0ELi64EEEvPT0_PKT_iiiPKbib,"axG",@progbits,_ZN12_GLOBAL__N_120softmax_warp_forwardIdddLi2ELb0ELb0ELi64EEEvPT0_PKT_iiiPKbib,comdat
	.globl	_ZN12_GLOBAL__N_120softmax_warp_forwardIdddLi2ELb0ELb0ELi64EEEvPT0_PKT_iiiPKbib ; -- Begin function _ZN12_GLOBAL__N_120softmax_warp_forwardIdddLi2ELb0ELb0ELi64EEEvPT0_PKT_iiiPKbib
	.p2align	8
	.type	_ZN12_GLOBAL__N_120softmax_warp_forwardIdddLi2ELb0ELb0ELi64EEEvPT0_PKT_iiiPKbib,@function
_ZN12_GLOBAL__N_120softmax_warp_forwardIdddLi2ELb0ELb0ELi64EEEvPT0_PKT_iiiPKbib: ; @_ZN12_GLOBAL__N_120softmax_warp_forwardIdddLi2ELb0ELb0ELi64EEEvPT0_PKT_iiiPKbib
; %bb.0:
	s_clause 0x1
	s_load_b32 s2, s[0:1], 0x3c
	s_load_b256 s[16:23], s[0:1], 0x0
	v_bfe_u32 v1, v0, 10, 10
	v_and_b32_e32 v4, 0x3ff, v0
	s_waitcnt lgkmcnt(0)
	s_lshr_b32 s0, s2, 16
	s_delay_alu instid0(SALU_CYCLE_1) | instskip(NEXT) | instid1(VALU_DEP_1)
	s_mul_i32 s15, s15, s0
	v_cmp_gt_i32_e64 s0, s22, v4
	v_add_lshl_u32 v2, s15, v1, 1
	s_delay_alu instid0(VALU_DEP_1) | instskip(SKIP_3) | instid1(VALU_DEP_3)
	v_mad_u64_u32 v[0:1], null, v2, s21, v[4:5]
	v_sub_nc_u32_e32 v14, s20, v2
	v_mov_b32_e32 v2, 0
	v_mov_b32_e32 v3, 0xfff00000
	v_cmp_lt_i32_e32 vcc_lo, 0, v14
	v_ashrrev_i32_e32 v1, 31, v0
	s_delay_alu instid0(VALU_DEP_3) | instskip(SKIP_1) | instid1(VALU_DEP_2)
	v_dual_mov_b32 v5, v3 :: v_dual_mov_b32 v4, v2
	s_and_b32 s2, s0, vcc_lo
	v_lshlrev_b64 v[0:1], 3, v[0:1]
	s_delay_alu instid0(VALU_DEP_1) | instskip(NEXT) | instid1(VALU_DEP_1)
	v_add_co_u32 v6, s1, s18, v0
	v_add_co_ci_u32_e64 v7, s1, s19, v1, s1
	s_and_saveexec_b32 s1, s2
	s_cbranch_execz .LBB358_2
; %bb.1:
	global_load_b64 v[4:5], v[6:7], off
.LBB358_2:
	s_or_b32 exec_lo, exec_lo, s1
	v_cmp_lt_i32_e64 s1, 1, v14
	s_delay_alu instid0(VALU_DEP_1) | instskip(NEXT) | instid1(SALU_CYCLE_1)
	s_and_b32 s1, s0, s1
	s_and_saveexec_b32 s2, s1
	s_cbranch_execz .LBB358_4
; %bb.3:
	s_mov_b32 s23, 0
	s_delay_alu instid0(SALU_CYCLE_1) | instskip(NEXT) | instid1(SALU_CYCLE_1)
	s_lshl_b64 s[4:5], s[22:23], 3
	v_add_co_u32 v2, s1, v6, s4
	s_delay_alu instid0(VALU_DEP_1)
	v_add_co_ci_u32_e64 v3, s1, s5, v7, s1
	global_load_b64 v[2:3], v[2:3], off
.LBB358_4:
	s_or_b32 exec_lo, exec_lo, s2
	v_mbcnt_lo_u32_b32 v10, -1, 0
	s_mov_b32 s4, 0x6a5dcb37
	s_mov_b32 s5, 0x3e5ade15
	s_delay_alu instid0(VALU_DEP_1) | instskip(SKIP_2) | instid1(VALU_DEP_3)
	v_and_b32_e32 v6, 28, v10
	v_xor_b32_e32 v7, 2, v10
	v_xor_b32_e32 v12, 1, v10
	v_add_nc_u32_e32 v11, 4, v6
	s_delay_alu instid0(VALU_DEP_1) | instskip(NEXT) | instid1(VALU_DEP_3)
	v_cmp_lt_i32_e64 s1, v7, v11
	v_cmp_lt_i32_e64 s3, v12, v11
	s_delay_alu instid0(VALU_DEP_2) | instskip(NEXT) | instid1(VALU_DEP_2)
	v_cndmask_b32_e64 v6, v10, v7, s1
	v_cndmask_b32_e64 v10, v10, v12, s3
	s_delay_alu instid0(VALU_DEP_2) | instskip(NEXT) | instid1(VALU_DEP_2)
	v_lshlrev_b32_e32 v19, 2, v6
	v_lshlrev_b32_e32 v20, 2, v10
	s_waitcnt vmcnt(0)
	ds_bpermute_b32 v6, v19, v4
	ds_bpermute_b32 v7, v19, v5
	;; [unrolled: 1-line block ×4, first 2 shown]
	s_waitcnt lgkmcnt(2)
	v_cmp_lt_f64_e64 s1, v[4:5], v[6:7]
	s_waitcnt lgkmcnt(0)
	v_cmp_lt_f64_e64 s2, v[2:3], v[8:9]
	s_delay_alu instid0(VALU_DEP_2) | instskip(SKIP_1) | instid1(VALU_DEP_3)
	v_cndmask_b32_e64 v7, v5, v7, s1
	v_cndmask_b32_e64 v6, v4, v6, s1
	;; [unrolled: 1-line block ×4, first 2 shown]
	ds_bpermute_b32 v11, v20, v7
	ds_bpermute_b32 v10, v20, v6
	;; [unrolled: 1-line block ×4, first 2 shown]
	s_waitcnt lgkmcnt(2)
	v_cmp_lt_f64_e64 s1, v[6:7], v[10:11]
	s_waitcnt lgkmcnt(0)
	v_cmp_lt_f64_e64 s2, v[8:9], v[12:13]
	s_delay_alu instid0(VALU_DEP_2) | instskip(SKIP_1) | instid1(VALU_DEP_3)
	v_cndmask_b32_e64 v7, v7, v11, s1
	v_cndmask_b32_e64 v6, v6, v10, s1
	;; [unrolled: 1-line block ×4, first 2 shown]
	s_mov_b32 s2, 0x652b82fe
	s_mov_b32 s3, 0x3ff71547
	v_add_f64 v[4:5], v[4:5], -v[6:7]
	s_delay_alu instid0(VALU_DEP_2) | instskip(NEXT) | instid1(VALU_DEP_2)
	v_add_f64 v[2:3], v[2:3], -v[8:9]
	v_mul_f64 v[6:7], v[4:5], s[2:3]
	v_cmp_nlt_f64_e64 s1, 0x40900000, v[4:5]
	s_delay_alu instid0(VALU_DEP_3) | instskip(SKIP_2) | instid1(VALU_DEP_3)
	v_mul_f64 v[8:9], v[2:3], s[2:3]
	s_mov_b32 s2, 0xfefa39ef
	s_mov_b32 s3, 0xbfe62e42
	v_rndne_f64_e32 v[6:7], v[6:7]
	s_delay_alu instid0(VALU_DEP_2) | instskip(NEXT) | instid1(VALU_DEP_2)
	v_rndne_f64_e32 v[8:9], v[8:9]
	v_fma_f64 v[10:11], v[6:7], s[2:3], v[4:5]
	v_cvt_i32_f64_e32 v21, v[6:7]
	s_delay_alu instid0(VALU_DEP_3)
	v_fma_f64 v[12:13], v[8:9], s[2:3], v[2:3]
	s_mov_b32 s2, 0x3b39803f
	s_mov_b32 s3, 0xbc7abc9e
	s_delay_alu instid0(VALU_DEP_3) | instid1(SALU_CYCLE_1)
	v_fma_f64 v[10:11], v[6:7], s[2:3], v[10:11]
	s_delay_alu instid0(VALU_DEP_2)
	v_fma_f64 v[12:13], v[8:9], s[2:3], v[12:13]
	s_mov_b32 s2, 0xfca7ab0c
	s_mov_b32 s3, 0x3e928af3
	s_delay_alu instid0(VALU_DEP_2) | instid1(SALU_CYCLE_1)
	v_fma_f64 v[15:16], v[10:11], s[4:5], s[2:3]
	s_delay_alu instid0(VALU_DEP_2) | instskip(SKIP_3) | instid1(VALU_DEP_3)
	v_fma_f64 v[17:18], v[12:13], s[4:5], s[2:3]
	s_mov_b32 s2, 0x623fde64
	s_mov_b32 s3, 0x3ec71dee
	v_cmp_ngt_f64_e64 s4, 0xc090cc00, v[2:3]
	v_fma_f64 v[15:16], v[10:11], v[15:16], s[2:3]
	s_delay_alu instid0(VALU_DEP_3)
	v_fma_f64 v[17:18], v[12:13], v[17:18], s[2:3]
	s_mov_b32 s2, 0x7c89e6b0
	s_mov_b32 s3, 0x3efa0199
	s_delay_alu instid0(VALU_DEP_2) | instid1(SALU_CYCLE_1)
	v_fma_f64 v[15:16], v[10:11], v[15:16], s[2:3]
	s_delay_alu instid0(VALU_DEP_2)
	v_fma_f64 v[17:18], v[12:13], v[17:18], s[2:3]
	s_mov_b32 s2, 0x14761f6e
	s_mov_b32 s3, 0x3f2a01a0
	s_delay_alu instid0(VALU_DEP_2) | instid1(SALU_CYCLE_1)
	v_fma_f64 v[15:16], v[10:11], v[15:16], s[2:3]
	s_delay_alu instid0(VALU_DEP_2)
	;; [unrolled: 6-line block ×6, first 2 shown]
	v_fma_f64 v[17:18], v[12:13], v[17:18], s[2:3]
	s_mov_b32 s2, 11
	s_mov_b32 s3, 0x3fe00000
	s_delay_alu instid0(VALU_DEP_2) | instid1(SALU_CYCLE_1)
	v_fma_f64 v[15:16], v[10:11], v[15:16], s[2:3]
	s_delay_alu instid0(VALU_DEP_2) | instskip(SKIP_2) | instid1(VALU_DEP_4)
	v_fma_f64 v[17:18], v[12:13], v[17:18], s[2:3]
	v_cmp_nlt_f64_e64 s3, 0x40900000, v[2:3]
	v_cmp_ngt_f64_e64 s2, 0xc090cc00, v[4:5]
	v_fma_f64 v[15:16], v[10:11], v[15:16], 1.0
	s_delay_alu instid0(VALU_DEP_4) | instskip(NEXT) | instid1(VALU_DEP_2)
	v_fma_f64 v[17:18], v[12:13], v[17:18], 1.0
	v_fma_f64 v[6:7], v[10:11], v[15:16], 1.0
	v_cvt_i32_f64_e32 v10, v[8:9]
	s_delay_alu instid0(VALU_DEP_3) | instskip(NEXT) | instid1(VALU_DEP_3)
	v_fma_f64 v[8:9], v[12:13], v[17:18], 1.0
	v_ldexp_f64 v[6:7], v[6:7], v21
	s_delay_alu instid0(VALU_DEP_2) | instskip(NEXT) | instid1(VALU_DEP_2)
	v_ldexp_f64 v[10:11], v[8:9], v10
	v_cndmask_b32_e64 v7, 0x7ff00000, v7, s1
	s_and_b32 s1, s2, s1
	s_delay_alu instid0(VALU_DEP_2) | instskip(NEXT) | instid1(VALU_DEP_4)
	v_cndmask_b32_e64 v4, 0x7ff00000, v11, s3
	v_cndmask_b32_e64 v8, 0, v6, s1
	s_and_b32 s1, s4, s3
	v_cndmask_b32_e64 v9, 0, v7, s2
	v_cndmask_b32_e64 v2, 0, v10, s1
	;; [unrolled: 1-line block ×3, first 2 shown]
	s_delay_alu instid0(VALU_DEP_3) | instskip(NEXT) | instid1(VALU_DEP_2)
	v_add_f64 v[4:5], v[8:9], 0
	v_add_f64 v[6:7], v[2:3], 0
	ds_bpermute_b32 v10, v19, v4
	ds_bpermute_b32 v11, v19, v5
	;; [unrolled: 1-line block ×4, first 2 shown]
	s_waitcnt lgkmcnt(2)
	v_add_f64 v[10:11], v[4:5], v[10:11]
	s_waitcnt lgkmcnt(0)
	v_add_f64 v[4:5], v[6:7], v[12:13]
	ds_bpermute_b32 v12, v20, v10
	ds_bpermute_b32 v13, v20, v11
	;; [unrolled: 1-line block ×4, first 2 shown]
	s_and_saveexec_b32 s1, vcc_lo
	s_cbranch_execz .LBB358_10
; %bb.5:
	v_add_co_u32 v0, vcc_lo, s16, v0
	v_add_co_ci_u32_e32 v1, vcc_lo, s17, v1, vcc_lo
	s_and_saveexec_b32 s1, s0
	s_cbranch_execz .LBB358_7
; %bb.6:
	s_waitcnt lgkmcnt(2)
	v_add_f64 v[10:11], v[10:11], v[12:13]
	s_delay_alu instid0(VALU_DEP_1) | instskip(SKIP_1) | instid1(VALU_DEP_2)
	v_div_scale_f64 v[12:13], null, v[10:11], v[10:11], v[8:9]
	v_div_scale_f64 v[19:20], vcc_lo, v[8:9], v[10:11], v[8:9]
	v_rcp_f64_e32 v[15:16], v[12:13]
	s_waitcnt_depctr 0xfff
	v_fma_f64 v[17:18], -v[12:13], v[15:16], 1.0
	s_delay_alu instid0(VALU_DEP_1) | instskip(NEXT) | instid1(VALU_DEP_1)
	v_fma_f64 v[15:16], v[15:16], v[17:18], v[15:16]
	v_fma_f64 v[17:18], -v[12:13], v[15:16], 1.0
	s_delay_alu instid0(VALU_DEP_1) | instskip(NEXT) | instid1(VALU_DEP_1)
	v_fma_f64 v[15:16], v[15:16], v[17:18], v[15:16]
	v_mul_f64 v[17:18], v[19:20], v[15:16]
	s_delay_alu instid0(VALU_DEP_1) | instskip(NEXT) | instid1(VALU_DEP_1)
	v_fma_f64 v[12:13], -v[12:13], v[17:18], v[19:20]
	v_div_fmas_f64 v[12:13], v[12:13], v[15:16], v[17:18]
	v_cmp_neq_f64_e32 vcc_lo, 0, v[10:11]
	s_delay_alu instid0(VALU_DEP_2) | instskip(NEXT) | instid1(VALU_DEP_1)
	v_div_fixup_f64 v[8:9], v[12:13], v[10:11], v[8:9]
	v_cndmask_b32_e32 v9, 0x7ff80000, v9, vcc_lo
	s_delay_alu instid0(VALU_DEP_2)
	v_cndmask_b32_e32 v8, 0, v8, vcc_lo
	global_store_b64 v[0:1], v[8:9], off
.LBB358_7:
	s_or_b32 exec_lo, exec_lo, s1
	v_cmp_ne_u32_e32 vcc_lo, 1, v14
	s_and_b32 exec_lo, exec_lo, vcc_lo
	s_cbranch_execz .LBB358_10
; %bb.8:
	s_and_b32 exec_lo, exec_lo, s0
	s_cbranch_execz .LBB358_10
; %bb.9:
	s_waitcnt lgkmcnt(0)
	v_add_f64 v[4:5], v[4:5], v[6:7]
	s_mov_b32 s23, 0
	s_delay_alu instid0(SALU_CYCLE_1) | instskip(NEXT) | instid1(SALU_CYCLE_1)
	s_lshl_b64 s[0:1], s[22:23], 3
	v_add_co_u32 v0, s0, v0, s0
	s_delay_alu instid0(VALU_DEP_1) | instskip(NEXT) | instid1(VALU_DEP_3)
	v_add_co_ci_u32_e64 v1, s0, s1, v1, s0
	v_div_scale_f64 v[6:7], null, v[4:5], v[4:5], v[2:3]
	v_div_scale_f64 v[12:13], vcc_lo, v[2:3], v[4:5], v[2:3]
	s_delay_alu instid0(VALU_DEP_2) | instskip(SKIP_2) | instid1(VALU_DEP_1)
	v_rcp_f64_e32 v[8:9], v[6:7]
	s_waitcnt_depctr 0xfff
	v_fma_f64 v[10:11], -v[6:7], v[8:9], 1.0
	v_fma_f64 v[8:9], v[8:9], v[10:11], v[8:9]
	s_delay_alu instid0(VALU_DEP_1) | instskip(NEXT) | instid1(VALU_DEP_1)
	v_fma_f64 v[10:11], -v[6:7], v[8:9], 1.0
	v_fma_f64 v[8:9], v[8:9], v[10:11], v[8:9]
	s_delay_alu instid0(VALU_DEP_1) | instskip(NEXT) | instid1(VALU_DEP_1)
	v_mul_f64 v[10:11], v[12:13], v[8:9]
	v_fma_f64 v[6:7], -v[6:7], v[10:11], v[12:13]
	s_delay_alu instid0(VALU_DEP_1) | instskip(SKIP_1) | instid1(VALU_DEP_2)
	v_div_fmas_f64 v[6:7], v[6:7], v[8:9], v[10:11]
	v_cmp_neq_f64_e32 vcc_lo, 0, v[4:5]
	v_div_fixup_f64 v[2:3], v[6:7], v[4:5], v[2:3]
	s_delay_alu instid0(VALU_DEP_1) | instskip(NEXT) | instid1(VALU_DEP_2)
	v_cndmask_b32_e32 v3, 0x7ff80000, v3, vcc_lo
	v_cndmask_b32_e32 v2, 0, v2, vcc_lo
	global_store_b64 v[0:1], v[2:3], off
.LBB358_10:
	s_nop 0
	s_sendmsg sendmsg(MSG_DEALLOC_VGPRS)
	s_endpgm
	.section	.rodata,"a",@progbits
	.p2align	6, 0x0
	.amdhsa_kernel _ZN12_GLOBAL__N_120softmax_warp_forwardIdddLi2ELb0ELb0ELi64EEEvPT0_PKT_iiiPKbib
		.amdhsa_group_segment_fixed_size 0
		.amdhsa_private_segment_fixed_size 0
		.amdhsa_kernarg_size 304
		.amdhsa_user_sgpr_count 15
		.amdhsa_user_sgpr_dispatch_ptr 0
		.amdhsa_user_sgpr_queue_ptr 0
		.amdhsa_user_sgpr_kernarg_segment_ptr 1
		.amdhsa_user_sgpr_dispatch_id 0
		.amdhsa_user_sgpr_private_segment_size 0
		.amdhsa_wavefront_size32 1
		.amdhsa_uses_dynamic_stack 0
		.amdhsa_enable_private_segment 0
		.amdhsa_system_sgpr_workgroup_id_x 1
		.amdhsa_system_sgpr_workgroup_id_y 0
		.amdhsa_system_sgpr_workgroup_id_z 0
		.amdhsa_system_sgpr_workgroup_info 0
		.amdhsa_system_vgpr_workitem_id 1
		.amdhsa_next_free_vgpr 22
		.amdhsa_next_free_sgpr 24
		.amdhsa_reserve_vcc 1
		.amdhsa_float_round_mode_32 0
		.amdhsa_float_round_mode_16_64 0
		.amdhsa_float_denorm_mode_32 3
		.amdhsa_float_denorm_mode_16_64 3
		.amdhsa_dx10_clamp 1
		.amdhsa_ieee_mode 1
		.amdhsa_fp16_overflow 0
		.amdhsa_workgroup_processor_mode 1
		.amdhsa_memory_ordered 1
		.amdhsa_forward_progress 0
		.amdhsa_shared_vgpr_count 0
		.amdhsa_exception_fp_ieee_invalid_op 0
		.amdhsa_exception_fp_denorm_src 0
		.amdhsa_exception_fp_ieee_div_zero 0
		.amdhsa_exception_fp_ieee_overflow 0
		.amdhsa_exception_fp_ieee_underflow 0
		.amdhsa_exception_fp_ieee_inexact 0
		.amdhsa_exception_int_div_zero 0
	.end_amdhsa_kernel
	.section	.text._ZN12_GLOBAL__N_120softmax_warp_forwardIdddLi2ELb0ELb0ELi64EEEvPT0_PKT_iiiPKbib,"axG",@progbits,_ZN12_GLOBAL__N_120softmax_warp_forwardIdddLi2ELb0ELb0ELi64EEEvPT0_PKT_iiiPKbib,comdat
.Lfunc_end358:
	.size	_ZN12_GLOBAL__N_120softmax_warp_forwardIdddLi2ELb0ELb0ELi64EEEvPT0_PKT_iiiPKbib, .Lfunc_end358-_ZN12_GLOBAL__N_120softmax_warp_forwardIdddLi2ELb0ELb0ELi64EEEvPT0_PKT_iiiPKbib
                                        ; -- End function
	.section	.AMDGPU.csdata,"",@progbits
; Kernel info:
; codeLenInByte = 1696
; NumSgprs: 26
; NumVgprs: 22
; ScratchSize: 0
; MemoryBound: 0
; FloatMode: 240
; IeeeMode: 1
; LDSByteSize: 0 bytes/workgroup (compile time only)
; SGPRBlocks: 3
; VGPRBlocks: 2
; NumSGPRsForWavesPerEU: 26
; NumVGPRsForWavesPerEU: 22
; Occupancy: 16
; WaveLimiterHint : 0
; COMPUTE_PGM_RSRC2:SCRATCH_EN: 0
; COMPUTE_PGM_RSRC2:USER_SGPR: 15
; COMPUTE_PGM_RSRC2:TRAP_HANDLER: 0
; COMPUTE_PGM_RSRC2:TGID_X_EN: 1
; COMPUTE_PGM_RSRC2:TGID_Y_EN: 0
; COMPUTE_PGM_RSRC2:TGID_Z_EN: 0
; COMPUTE_PGM_RSRC2:TIDIG_COMP_CNT: 1
	.section	.text._ZN12_GLOBAL__N_120softmax_warp_forwardIdddLi2ELb0ELb0ELi32EEEvPT0_PKT_iiiPKbib,"axG",@progbits,_ZN12_GLOBAL__N_120softmax_warp_forwardIdddLi2ELb0ELb0ELi32EEEvPT0_PKT_iiiPKbib,comdat
	.globl	_ZN12_GLOBAL__N_120softmax_warp_forwardIdddLi2ELb0ELb0ELi32EEEvPT0_PKT_iiiPKbib ; -- Begin function _ZN12_GLOBAL__N_120softmax_warp_forwardIdddLi2ELb0ELb0ELi32EEEvPT0_PKT_iiiPKbib
	.p2align	8
	.type	_ZN12_GLOBAL__N_120softmax_warp_forwardIdddLi2ELb0ELb0ELi32EEEvPT0_PKT_iiiPKbib,@function
_ZN12_GLOBAL__N_120softmax_warp_forwardIdddLi2ELb0ELb0ELi32EEEvPT0_PKT_iiiPKbib: ; @_ZN12_GLOBAL__N_120softmax_warp_forwardIdddLi2ELb0ELb0ELi32EEEvPT0_PKT_iiiPKbib
; %bb.0:
	s_clause 0x1
	s_load_b32 s2, s[0:1], 0x3c
	s_load_b256 s[16:23], s[0:1], 0x0
	v_bfe_u32 v1, v0, 10, 10
	v_and_b32_e32 v4, 0x3ff, v0
	s_waitcnt lgkmcnt(0)
	s_lshr_b32 s0, s2, 16
	s_delay_alu instid0(SALU_CYCLE_1) | instskip(NEXT) | instid1(VALU_DEP_1)
	s_mul_i32 s15, s15, s0
	v_cmp_gt_i32_e64 s0, s22, v4
	v_add_lshl_u32 v2, s15, v1, 1
	s_delay_alu instid0(VALU_DEP_1) | instskip(SKIP_3) | instid1(VALU_DEP_3)
	v_mad_u64_u32 v[0:1], null, v2, s21, v[4:5]
	v_sub_nc_u32_e32 v14, s20, v2
	v_mov_b32_e32 v2, 0
	v_mov_b32_e32 v3, 0xfff00000
	v_cmp_lt_i32_e32 vcc_lo, 0, v14
	v_ashrrev_i32_e32 v1, 31, v0
	s_delay_alu instid0(VALU_DEP_3) | instskip(SKIP_1) | instid1(VALU_DEP_2)
	v_dual_mov_b32 v5, v3 :: v_dual_mov_b32 v4, v2
	s_and_b32 s2, s0, vcc_lo
	v_lshlrev_b64 v[0:1], 3, v[0:1]
	s_delay_alu instid0(VALU_DEP_1) | instskip(NEXT) | instid1(VALU_DEP_1)
	v_add_co_u32 v6, s1, s18, v0
	v_add_co_ci_u32_e64 v7, s1, s19, v1, s1
	s_and_saveexec_b32 s1, s2
	s_cbranch_execz .LBB359_2
; %bb.1:
	global_load_b64 v[4:5], v[6:7], off
.LBB359_2:
	s_or_b32 exec_lo, exec_lo, s1
	v_cmp_lt_i32_e64 s1, 1, v14
	s_delay_alu instid0(VALU_DEP_1) | instskip(NEXT) | instid1(SALU_CYCLE_1)
	s_and_b32 s1, s0, s1
	s_and_saveexec_b32 s2, s1
	s_cbranch_execz .LBB359_4
; %bb.3:
	s_mov_b32 s23, 0
	s_delay_alu instid0(SALU_CYCLE_1) | instskip(NEXT) | instid1(SALU_CYCLE_1)
	s_lshl_b64 s[4:5], s[22:23], 3
	v_add_co_u32 v2, s1, v6, s4
	s_delay_alu instid0(VALU_DEP_1)
	v_add_co_ci_u32_e64 v3, s1, s5, v7, s1
	global_load_b64 v[2:3], v[2:3], off
.LBB359_4:
	s_or_b32 exec_lo, exec_lo, s2
	v_mbcnt_lo_u32_b32 v10, -1, 0
	s_mov_b32 s4, 0x6a5dcb37
	s_mov_b32 s5, 0x3e5ade15
	s_delay_alu instid0(VALU_DEP_1) | instskip(SKIP_2) | instid1(VALU_DEP_3)
	v_and_b32_e32 v6, 28, v10
	v_xor_b32_e32 v7, 2, v10
	v_xor_b32_e32 v12, 1, v10
	v_add_nc_u32_e32 v11, 4, v6
	s_delay_alu instid0(VALU_DEP_1) | instskip(NEXT) | instid1(VALU_DEP_3)
	v_cmp_lt_i32_e64 s1, v7, v11
	v_cmp_lt_i32_e64 s3, v12, v11
	s_delay_alu instid0(VALU_DEP_2) | instskip(NEXT) | instid1(VALU_DEP_2)
	v_cndmask_b32_e64 v6, v10, v7, s1
	v_cndmask_b32_e64 v10, v10, v12, s3
	s_delay_alu instid0(VALU_DEP_2) | instskip(NEXT) | instid1(VALU_DEP_2)
	v_lshlrev_b32_e32 v19, 2, v6
	v_lshlrev_b32_e32 v20, 2, v10
	s_waitcnt vmcnt(0)
	ds_bpermute_b32 v6, v19, v4
	ds_bpermute_b32 v7, v19, v5
	;; [unrolled: 1-line block ×4, first 2 shown]
	s_waitcnt lgkmcnt(2)
	v_cmp_lt_f64_e64 s1, v[4:5], v[6:7]
	s_waitcnt lgkmcnt(0)
	v_cmp_lt_f64_e64 s2, v[2:3], v[8:9]
	s_delay_alu instid0(VALU_DEP_2) | instskip(SKIP_1) | instid1(VALU_DEP_3)
	v_cndmask_b32_e64 v7, v5, v7, s1
	v_cndmask_b32_e64 v6, v4, v6, s1
	;; [unrolled: 1-line block ×4, first 2 shown]
	ds_bpermute_b32 v11, v20, v7
	ds_bpermute_b32 v10, v20, v6
	;; [unrolled: 1-line block ×4, first 2 shown]
	s_waitcnt lgkmcnt(2)
	v_cmp_lt_f64_e64 s1, v[6:7], v[10:11]
	s_waitcnt lgkmcnt(0)
	v_cmp_lt_f64_e64 s2, v[8:9], v[12:13]
	s_delay_alu instid0(VALU_DEP_2) | instskip(SKIP_1) | instid1(VALU_DEP_3)
	v_cndmask_b32_e64 v7, v7, v11, s1
	v_cndmask_b32_e64 v6, v6, v10, s1
	v_cndmask_b32_e64 v9, v9, v13, s2
	v_cndmask_b32_e64 v8, v8, v12, s2
	s_mov_b32 s2, 0x652b82fe
	s_mov_b32 s3, 0x3ff71547
	v_add_f64 v[4:5], v[4:5], -v[6:7]
	s_delay_alu instid0(VALU_DEP_2) | instskip(NEXT) | instid1(VALU_DEP_2)
	v_add_f64 v[2:3], v[2:3], -v[8:9]
	v_mul_f64 v[6:7], v[4:5], s[2:3]
	v_cmp_nlt_f64_e64 s1, 0x40900000, v[4:5]
	s_delay_alu instid0(VALU_DEP_3) | instskip(SKIP_2) | instid1(VALU_DEP_3)
	v_mul_f64 v[8:9], v[2:3], s[2:3]
	s_mov_b32 s2, 0xfefa39ef
	s_mov_b32 s3, 0xbfe62e42
	v_rndne_f64_e32 v[6:7], v[6:7]
	s_delay_alu instid0(VALU_DEP_2) | instskip(NEXT) | instid1(VALU_DEP_2)
	v_rndne_f64_e32 v[8:9], v[8:9]
	v_fma_f64 v[10:11], v[6:7], s[2:3], v[4:5]
	v_cvt_i32_f64_e32 v21, v[6:7]
	s_delay_alu instid0(VALU_DEP_3)
	v_fma_f64 v[12:13], v[8:9], s[2:3], v[2:3]
	s_mov_b32 s2, 0x3b39803f
	s_mov_b32 s3, 0xbc7abc9e
	s_delay_alu instid0(VALU_DEP_3) | instid1(SALU_CYCLE_1)
	v_fma_f64 v[10:11], v[6:7], s[2:3], v[10:11]
	s_delay_alu instid0(VALU_DEP_2)
	v_fma_f64 v[12:13], v[8:9], s[2:3], v[12:13]
	s_mov_b32 s2, 0xfca7ab0c
	s_mov_b32 s3, 0x3e928af3
	s_delay_alu instid0(VALU_DEP_2) | instid1(SALU_CYCLE_1)
	v_fma_f64 v[15:16], v[10:11], s[4:5], s[2:3]
	s_delay_alu instid0(VALU_DEP_2) | instskip(SKIP_3) | instid1(VALU_DEP_3)
	v_fma_f64 v[17:18], v[12:13], s[4:5], s[2:3]
	s_mov_b32 s2, 0x623fde64
	s_mov_b32 s3, 0x3ec71dee
	v_cmp_ngt_f64_e64 s4, 0xc090cc00, v[2:3]
	v_fma_f64 v[15:16], v[10:11], v[15:16], s[2:3]
	s_delay_alu instid0(VALU_DEP_3)
	v_fma_f64 v[17:18], v[12:13], v[17:18], s[2:3]
	s_mov_b32 s2, 0x7c89e6b0
	s_mov_b32 s3, 0x3efa0199
	s_delay_alu instid0(VALU_DEP_2) | instid1(SALU_CYCLE_1)
	v_fma_f64 v[15:16], v[10:11], v[15:16], s[2:3]
	s_delay_alu instid0(VALU_DEP_2)
	v_fma_f64 v[17:18], v[12:13], v[17:18], s[2:3]
	s_mov_b32 s2, 0x14761f6e
	s_mov_b32 s3, 0x3f2a01a0
	s_delay_alu instid0(VALU_DEP_2) | instid1(SALU_CYCLE_1)
	v_fma_f64 v[15:16], v[10:11], v[15:16], s[2:3]
	s_delay_alu instid0(VALU_DEP_2)
	;; [unrolled: 6-line block ×6, first 2 shown]
	v_fma_f64 v[17:18], v[12:13], v[17:18], s[2:3]
	s_mov_b32 s2, 11
	s_mov_b32 s3, 0x3fe00000
	s_delay_alu instid0(VALU_DEP_2) | instid1(SALU_CYCLE_1)
	v_fma_f64 v[15:16], v[10:11], v[15:16], s[2:3]
	s_delay_alu instid0(VALU_DEP_2) | instskip(SKIP_2) | instid1(VALU_DEP_4)
	v_fma_f64 v[17:18], v[12:13], v[17:18], s[2:3]
	v_cmp_nlt_f64_e64 s3, 0x40900000, v[2:3]
	v_cmp_ngt_f64_e64 s2, 0xc090cc00, v[4:5]
	v_fma_f64 v[15:16], v[10:11], v[15:16], 1.0
	s_delay_alu instid0(VALU_DEP_4) | instskip(NEXT) | instid1(VALU_DEP_2)
	v_fma_f64 v[17:18], v[12:13], v[17:18], 1.0
	v_fma_f64 v[6:7], v[10:11], v[15:16], 1.0
	v_cvt_i32_f64_e32 v10, v[8:9]
	s_delay_alu instid0(VALU_DEP_3) | instskip(NEXT) | instid1(VALU_DEP_3)
	v_fma_f64 v[8:9], v[12:13], v[17:18], 1.0
	v_ldexp_f64 v[6:7], v[6:7], v21
	s_delay_alu instid0(VALU_DEP_2) | instskip(NEXT) | instid1(VALU_DEP_2)
	v_ldexp_f64 v[10:11], v[8:9], v10
	v_cndmask_b32_e64 v7, 0x7ff00000, v7, s1
	s_and_b32 s1, s2, s1
	s_delay_alu instid0(VALU_DEP_2) | instskip(NEXT) | instid1(VALU_DEP_4)
	v_cndmask_b32_e64 v4, 0x7ff00000, v11, s3
	v_cndmask_b32_e64 v8, 0, v6, s1
	s_and_b32 s1, s4, s3
	v_cndmask_b32_e64 v9, 0, v7, s2
	v_cndmask_b32_e64 v2, 0, v10, s1
	;; [unrolled: 1-line block ×3, first 2 shown]
	s_delay_alu instid0(VALU_DEP_3) | instskip(NEXT) | instid1(VALU_DEP_2)
	v_add_f64 v[4:5], v[8:9], 0
	v_add_f64 v[6:7], v[2:3], 0
	ds_bpermute_b32 v10, v19, v4
	ds_bpermute_b32 v11, v19, v5
	;; [unrolled: 1-line block ×4, first 2 shown]
	s_waitcnt lgkmcnt(2)
	v_add_f64 v[10:11], v[4:5], v[10:11]
	s_waitcnt lgkmcnt(0)
	v_add_f64 v[4:5], v[6:7], v[12:13]
	ds_bpermute_b32 v12, v20, v10
	ds_bpermute_b32 v13, v20, v11
	;; [unrolled: 1-line block ×4, first 2 shown]
	s_and_saveexec_b32 s1, vcc_lo
	s_cbranch_execz .LBB359_10
; %bb.5:
	v_add_co_u32 v0, vcc_lo, s16, v0
	v_add_co_ci_u32_e32 v1, vcc_lo, s17, v1, vcc_lo
	s_and_saveexec_b32 s1, s0
	s_cbranch_execz .LBB359_7
; %bb.6:
	s_waitcnt lgkmcnt(2)
	v_add_f64 v[10:11], v[10:11], v[12:13]
	s_delay_alu instid0(VALU_DEP_1) | instskip(SKIP_1) | instid1(VALU_DEP_2)
	v_div_scale_f64 v[12:13], null, v[10:11], v[10:11], v[8:9]
	v_div_scale_f64 v[19:20], vcc_lo, v[8:9], v[10:11], v[8:9]
	v_rcp_f64_e32 v[15:16], v[12:13]
	s_waitcnt_depctr 0xfff
	v_fma_f64 v[17:18], -v[12:13], v[15:16], 1.0
	s_delay_alu instid0(VALU_DEP_1) | instskip(NEXT) | instid1(VALU_DEP_1)
	v_fma_f64 v[15:16], v[15:16], v[17:18], v[15:16]
	v_fma_f64 v[17:18], -v[12:13], v[15:16], 1.0
	s_delay_alu instid0(VALU_DEP_1) | instskip(NEXT) | instid1(VALU_DEP_1)
	v_fma_f64 v[15:16], v[15:16], v[17:18], v[15:16]
	v_mul_f64 v[17:18], v[19:20], v[15:16]
	s_delay_alu instid0(VALU_DEP_1) | instskip(NEXT) | instid1(VALU_DEP_1)
	v_fma_f64 v[12:13], -v[12:13], v[17:18], v[19:20]
	v_div_fmas_f64 v[12:13], v[12:13], v[15:16], v[17:18]
	v_cmp_neq_f64_e32 vcc_lo, 0, v[10:11]
	s_delay_alu instid0(VALU_DEP_2) | instskip(NEXT) | instid1(VALU_DEP_1)
	v_div_fixup_f64 v[8:9], v[12:13], v[10:11], v[8:9]
	v_cndmask_b32_e32 v9, 0x7ff80000, v9, vcc_lo
	s_delay_alu instid0(VALU_DEP_2)
	v_cndmask_b32_e32 v8, 0, v8, vcc_lo
	global_store_b64 v[0:1], v[8:9], off
.LBB359_7:
	s_or_b32 exec_lo, exec_lo, s1
	v_cmp_ne_u32_e32 vcc_lo, 1, v14
	s_and_b32 exec_lo, exec_lo, vcc_lo
	s_cbranch_execz .LBB359_10
; %bb.8:
	s_and_b32 exec_lo, exec_lo, s0
	s_cbranch_execz .LBB359_10
; %bb.9:
	s_waitcnt lgkmcnt(0)
	v_add_f64 v[4:5], v[4:5], v[6:7]
	s_mov_b32 s23, 0
	s_delay_alu instid0(SALU_CYCLE_1) | instskip(NEXT) | instid1(SALU_CYCLE_1)
	s_lshl_b64 s[0:1], s[22:23], 3
	v_add_co_u32 v0, s0, v0, s0
	s_delay_alu instid0(VALU_DEP_1) | instskip(NEXT) | instid1(VALU_DEP_3)
	v_add_co_ci_u32_e64 v1, s0, s1, v1, s0
	v_div_scale_f64 v[6:7], null, v[4:5], v[4:5], v[2:3]
	v_div_scale_f64 v[12:13], vcc_lo, v[2:3], v[4:5], v[2:3]
	s_delay_alu instid0(VALU_DEP_2) | instskip(SKIP_2) | instid1(VALU_DEP_1)
	v_rcp_f64_e32 v[8:9], v[6:7]
	s_waitcnt_depctr 0xfff
	v_fma_f64 v[10:11], -v[6:7], v[8:9], 1.0
	v_fma_f64 v[8:9], v[8:9], v[10:11], v[8:9]
	s_delay_alu instid0(VALU_DEP_1) | instskip(NEXT) | instid1(VALU_DEP_1)
	v_fma_f64 v[10:11], -v[6:7], v[8:9], 1.0
	v_fma_f64 v[8:9], v[8:9], v[10:11], v[8:9]
	s_delay_alu instid0(VALU_DEP_1) | instskip(NEXT) | instid1(VALU_DEP_1)
	v_mul_f64 v[10:11], v[12:13], v[8:9]
	v_fma_f64 v[6:7], -v[6:7], v[10:11], v[12:13]
	s_delay_alu instid0(VALU_DEP_1) | instskip(SKIP_1) | instid1(VALU_DEP_2)
	v_div_fmas_f64 v[6:7], v[6:7], v[8:9], v[10:11]
	v_cmp_neq_f64_e32 vcc_lo, 0, v[4:5]
	v_div_fixup_f64 v[2:3], v[6:7], v[4:5], v[2:3]
	s_delay_alu instid0(VALU_DEP_1) | instskip(NEXT) | instid1(VALU_DEP_2)
	v_cndmask_b32_e32 v3, 0x7ff80000, v3, vcc_lo
	v_cndmask_b32_e32 v2, 0, v2, vcc_lo
	global_store_b64 v[0:1], v[2:3], off
.LBB359_10:
	s_nop 0
	s_sendmsg sendmsg(MSG_DEALLOC_VGPRS)
	s_endpgm
	.section	.rodata,"a",@progbits
	.p2align	6, 0x0
	.amdhsa_kernel _ZN12_GLOBAL__N_120softmax_warp_forwardIdddLi2ELb0ELb0ELi32EEEvPT0_PKT_iiiPKbib
		.amdhsa_group_segment_fixed_size 0
		.amdhsa_private_segment_fixed_size 0
		.amdhsa_kernarg_size 304
		.amdhsa_user_sgpr_count 15
		.amdhsa_user_sgpr_dispatch_ptr 0
		.amdhsa_user_sgpr_queue_ptr 0
		.amdhsa_user_sgpr_kernarg_segment_ptr 1
		.amdhsa_user_sgpr_dispatch_id 0
		.amdhsa_user_sgpr_private_segment_size 0
		.amdhsa_wavefront_size32 1
		.amdhsa_uses_dynamic_stack 0
		.amdhsa_enable_private_segment 0
		.amdhsa_system_sgpr_workgroup_id_x 1
		.amdhsa_system_sgpr_workgroup_id_y 0
		.amdhsa_system_sgpr_workgroup_id_z 0
		.amdhsa_system_sgpr_workgroup_info 0
		.amdhsa_system_vgpr_workitem_id 1
		.amdhsa_next_free_vgpr 22
		.amdhsa_next_free_sgpr 24
		.amdhsa_reserve_vcc 1
		.amdhsa_float_round_mode_32 0
		.amdhsa_float_round_mode_16_64 0
		.amdhsa_float_denorm_mode_32 3
		.amdhsa_float_denorm_mode_16_64 3
		.amdhsa_dx10_clamp 1
		.amdhsa_ieee_mode 1
		.amdhsa_fp16_overflow 0
		.amdhsa_workgroup_processor_mode 1
		.amdhsa_memory_ordered 1
		.amdhsa_forward_progress 0
		.amdhsa_shared_vgpr_count 0
		.amdhsa_exception_fp_ieee_invalid_op 0
		.amdhsa_exception_fp_denorm_src 0
		.amdhsa_exception_fp_ieee_div_zero 0
		.amdhsa_exception_fp_ieee_overflow 0
		.amdhsa_exception_fp_ieee_underflow 0
		.amdhsa_exception_fp_ieee_inexact 0
		.amdhsa_exception_int_div_zero 0
	.end_amdhsa_kernel
	.section	.text._ZN12_GLOBAL__N_120softmax_warp_forwardIdddLi2ELb0ELb0ELi32EEEvPT0_PKT_iiiPKbib,"axG",@progbits,_ZN12_GLOBAL__N_120softmax_warp_forwardIdddLi2ELb0ELb0ELi32EEEvPT0_PKT_iiiPKbib,comdat
.Lfunc_end359:
	.size	_ZN12_GLOBAL__N_120softmax_warp_forwardIdddLi2ELb0ELb0ELi32EEEvPT0_PKT_iiiPKbib, .Lfunc_end359-_ZN12_GLOBAL__N_120softmax_warp_forwardIdddLi2ELb0ELb0ELi32EEEvPT0_PKT_iiiPKbib
                                        ; -- End function
	.section	.AMDGPU.csdata,"",@progbits
; Kernel info:
; codeLenInByte = 1696
; NumSgprs: 26
; NumVgprs: 22
; ScratchSize: 0
; MemoryBound: 0
; FloatMode: 240
; IeeeMode: 1
; LDSByteSize: 0 bytes/workgroup (compile time only)
; SGPRBlocks: 3
; VGPRBlocks: 2
; NumSGPRsForWavesPerEU: 26
; NumVGPRsForWavesPerEU: 22
; Occupancy: 16
; WaveLimiterHint : 0
; COMPUTE_PGM_RSRC2:SCRATCH_EN: 0
; COMPUTE_PGM_RSRC2:USER_SGPR: 15
; COMPUTE_PGM_RSRC2:TRAP_HANDLER: 0
; COMPUTE_PGM_RSRC2:TGID_X_EN: 1
; COMPUTE_PGM_RSRC2:TGID_Y_EN: 0
; COMPUTE_PGM_RSRC2:TGID_Z_EN: 0
; COMPUTE_PGM_RSRC2:TIDIG_COMP_CNT: 1
	.section	.text._ZN12_GLOBAL__N_120softmax_warp_forwardIdddLi3ELb0ELb0ELi64EEEvPT0_PKT_iiiPKbib,"axG",@progbits,_ZN12_GLOBAL__N_120softmax_warp_forwardIdddLi3ELb0ELb0ELi64EEEvPT0_PKT_iiiPKbib,comdat
	.globl	_ZN12_GLOBAL__N_120softmax_warp_forwardIdddLi3ELb0ELb0ELi64EEEvPT0_PKT_iiiPKbib ; -- Begin function _ZN12_GLOBAL__N_120softmax_warp_forwardIdddLi3ELb0ELb0ELi64EEEvPT0_PKT_iiiPKbib
	.p2align	8
	.type	_ZN12_GLOBAL__N_120softmax_warp_forwardIdddLi3ELb0ELb0ELi64EEEvPT0_PKT_iiiPKbib,@function
_ZN12_GLOBAL__N_120softmax_warp_forwardIdddLi3ELb0ELb0ELi64EEEvPT0_PKT_iiiPKbib: ; @_ZN12_GLOBAL__N_120softmax_warp_forwardIdddLi3ELb0ELb0ELi64EEEvPT0_PKT_iiiPKbib
; %bb.0:
	s_clause 0x1
	s_load_b32 s2, s[0:1], 0x3c
	s_load_b256 s[16:23], s[0:1], 0x0
	v_bfe_u32 v1, v0, 10, 10
	v_and_b32_e32 v4, 0x3ff, v0
	s_waitcnt lgkmcnt(0)
	s_lshr_b32 s0, s2, 16
	s_delay_alu instid0(SALU_CYCLE_1) | instskip(NEXT) | instid1(VALU_DEP_1)
	s_mul_i32 s15, s15, s0
	v_cmp_gt_i32_e64 s0, s22, v4
	v_add_lshl_u32 v2, s15, v1, 1
	s_delay_alu instid0(VALU_DEP_1) | instskip(SKIP_3) | instid1(VALU_DEP_3)
	v_mad_u64_u32 v[0:1], null, v2, s21, v[4:5]
	v_sub_nc_u32_e32 v14, s20, v2
	v_mov_b32_e32 v2, 0
	v_mov_b32_e32 v3, 0xfff00000
	v_cmp_lt_i32_e32 vcc_lo, 0, v14
	v_ashrrev_i32_e32 v1, 31, v0
	s_delay_alu instid0(VALU_DEP_3) | instskip(SKIP_1) | instid1(VALU_DEP_2)
	v_dual_mov_b32 v5, v3 :: v_dual_mov_b32 v4, v2
	s_and_b32 s2, s0, vcc_lo
	v_lshlrev_b64 v[0:1], 3, v[0:1]
	s_delay_alu instid0(VALU_DEP_1) | instskip(NEXT) | instid1(VALU_DEP_1)
	v_add_co_u32 v6, s1, s18, v0
	v_add_co_ci_u32_e64 v7, s1, s19, v1, s1
	s_and_saveexec_b32 s1, s2
	s_cbranch_execz .LBB360_2
; %bb.1:
	global_load_b64 v[4:5], v[6:7], off
.LBB360_2:
	s_or_b32 exec_lo, exec_lo, s1
	v_cmp_lt_i32_e64 s1, 1, v14
	s_delay_alu instid0(VALU_DEP_1) | instskip(NEXT) | instid1(SALU_CYCLE_1)
	s_and_b32 s1, s0, s1
	s_and_saveexec_b32 s2, s1
	s_cbranch_execz .LBB360_4
; %bb.3:
	s_mov_b32 s23, 0
	s_delay_alu instid0(SALU_CYCLE_1) | instskip(NEXT) | instid1(SALU_CYCLE_1)
	s_lshl_b64 s[4:5], s[22:23], 3
	v_add_co_u32 v2, s1, v6, s4
	s_delay_alu instid0(VALU_DEP_1)
	v_add_co_ci_u32_e64 v3, s1, s5, v7, s1
	global_load_b64 v[2:3], v[2:3], off
.LBB360_4:
	s_or_b32 exec_lo, exec_lo, s2
	v_mbcnt_lo_u32_b32 v15, -1, 0
	s_mov_b32 s4, 0x6a5dcb37
	s_mov_b32 s5, 0x3e5ade15
	s_delay_alu instid0(VALU_DEP_1) | instskip(SKIP_3) | instid1(VALU_DEP_4)
	v_and_b32_e32 v6, 24, v15
	v_xor_b32_e32 v7, 4, v15
	v_xor_b32_e32 v10, 2, v15
	;; [unrolled: 1-line block ×3, first 2 shown]
	v_add_nc_u32_e32 v16, 8, v6
	s_delay_alu instid0(VALU_DEP_1) | instskip(NEXT) | instid1(VALU_DEP_4)
	v_cmp_lt_i32_e64 s1, v7, v16
	v_cmp_lt_i32_e64 s3, v10, v16
	s_delay_alu instid0(VALU_DEP_2) | instskip(NEXT) | instid1(VALU_DEP_2)
	v_cndmask_b32_e64 v6, v15, v7, s1
	v_cndmask_b32_e64 v10, v15, v10, s3
	v_cmp_lt_i32_e64 s3, v17, v16
	s_delay_alu instid0(VALU_DEP_3) | instskip(NEXT) | instid1(VALU_DEP_3)
	v_lshlrev_b32_e32 v19, 2, v6
	v_lshlrev_b32_e32 v20, 2, v10
	s_delay_alu instid0(VALU_DEP_3)
	v_cndmask_b32_e64 v15, v15, v17, s3
	s_waitcnt vmcnt(0)
	ds_bpermute_b32 v6, v19, v4
	ds_bpermute_b32 v7, v19, v5
	;; [unrolled: 1-line block ×4, first 2 shown]
	v_lshlrev_b32_e32 v21, 2, v15
	s_waitcnt lgkmcnt(2)
	v_cmp_lt_f64_e64 s1, v[4:5], v[6:7]
	s_waitcnt lgkmcnt(0)
	v_cmp_lt_f64_e64 s2, v[2:3], v[8:9]
	s_delay_alu instid0(VALU_DEP_2) | instskip(SKIP_1) | instid1(VALU_DEP_3)
	v_cndmask_b32_e64 v7, v5, v7, s1
	v_cndmask_b32_e64 v6, v4, v6, s1
	;; [unrolled: 1-line block ×4, first 2 shown]
	ds_bpermute_b32 v11, v20, v7
	ds_bpermute_b32 v10, v20, v6
	;; [unrolled: 1-line block ×4, first 2 shown]
	s_waitcnt lgkmcnt(2)
	v_cmp_lt_f64_e64 s1, v[6:7], v[10:11]
	s_waitcnt lgkmcnt(0)
	v_cmp_lt_f64_e64 s2, v[8:9], v[12:13]
	s_delay_alu instid0(VALU_DEP_2) | instskip(SKIP_1) | instid1(VALU_DEP_3)
	v_cndmask_b32_e64 v7, v7, v11, s1
	v_cndmask_b32_e64 v6, v6, v10, s1
	;; [unrolled: 1-line block ×4, first 2 shown]
	ds_bpermute_b32 v11, v21, v7
	ds_bpermute_b32 v10, v21, v6
	;; [unrolled: 1-line block ×4, first 2 shown]
	s_waitcnt lgkmcnt(2)
	v_cmp_lt_f64_e64 s1, v[6:7], v[10:11]
	s_waitcnt lgkmcnt(0)
	v_cmp_lt_f64_e64 s2, v[8:9], v[12:13]
	s_delay_alu instid0(VALU_DEP_2) | instskip(SKIP_1) | instid1(VALU_DEP_3)
	v_cndmask_b32_e64 v7, v7, v11, s1
	v_cndmask_b32_e64 v6, v6, v10, s1
	;; [unrolled: 1-line block ×4, first 2 shown]
	s_mov_b32 s2, 0x652b82fe
	s_mov_b32 s3, 0x3ff71547
	v_add_f64 v[4:5], v[4:5], -v[6:7]
	s_delay_alu instid0(VALU_DEP_2) | instskip(NEXT) | instid1(VALU_DEP_2)
	v_add_f64 v[2:3], v[2:3], -v[8:9]
	v_mul_f64 v[6:7], v[4:5], s[2:3]
	v_cmp_nlt_f64_e64 s1, 0x40900000, v[4:5]
	s_delay_alu instid0(VALU_DEP_3) | instskip(SKIP_2) | instid1(VALU_DEP_3)
	v_mul_f64 v[8:9], v[2:3], s[2:3]
	s_mov_b32 s2, 0xfefa39ef
	s_mov_b32 s3, 0xbfe62e42
	v_rndne_f64_e32 v[6:7], v[6:7]
	s_delay_alu instid0(VALU_DEP_2) | instskip(NEXT) | instid1(VALU_DEP_2)
	v_rndne_f64_e32 v[8:9], v[8:9]
	v_fma_f64 v[10:11], v[6:7], s[2:3], v[4:5]
	v_cvt_i32_f64_e32 v22, v[6:7]
	s_delay_alu instid0(VALU_DEP_3)
	v_fma_f64 v[12:13], v[8:9], s[2:3], v[2:3]
	s_mov_b32 s2, 0x3b39803f
	s_mov_b32 s3, 0xbc7abc9e
	s_delay_alu instid0(VALU_DEP_3) | instid1(SALU_CYCLE_1)
	v_fma_f64 v[10:11], v[6:7], s[2:3], v[10:11]
	s_delay_alu instid0(VALU_DEP_2)
	v_fma_f64 v[12:13], v[8:9], s[2:3], v[12:13]
	s_mov_b32 s2, 0xfca7ab0c
	s_mov_b32 s3, 0x3e928af3
	s_delay_alu instid0(VALU_DEP_2) | instid1(SALU_CYCLE_1)
	v_fma_f64 v[15:16], v[10:11], s[4:5], s[2:3]
	s_delay_alu instid0(VALU_DEP_2) | instskip(SKIP_3) | instid1(VALU_DEP_3)
	v_fma_f64 v[17:18], v[12:13], s[4:5], s[2:3]
	s_mov_b32 s2, 0x623fde64
	s_mov_b32 s3, 0x3ec71dee
	v_cmp_ngt_f64_e64 s4, 0xc090cc00, v[2:3]
	v_fma_f64 v[15:16], v[10:11], v[15:16], s[2:3]
	s_delay_alu instid0(VALU_DEP_3)
	v_fma_f64 v[17:18], v[12:13], v[17:18], s[2:3]
	s_mov_b32 s2, 0x7c89e6b0
	s_mov_b32 s3, 0x3efa0199
	s_delay_alu instid0(VALU_DEP_2) | instid1(SALU_CYCLE_1)
	v_fma_f64 v[15:16], v[10:11], v[15:16], s[2:3]
	s_delay_alu instid0(VALU_DEP_2)
	v_fma_f64 v[17:18], v[12:13], v[17:18], s[2:3]
	s_mov_b32 s2, 0x14761f6e
	s_mov_b32 s3, 0x3f2a01a0
	s_delay_alu instid0(VALU_DEP_2) | instid1(SALU_CYCLE_1)
	v_fma_f64 v[15:16], v[10:11], v[15:16], s[2:3]
	s_delay_alu instid0(VALU_DEP_2)
	;; [unrolled: 6-line block ×6, first 2 shown]
	v_fma_f64 v[17:18], v[12:13], v[17:18], s[2:3]
	s_mov_b32 s2, 11
	s_mov_b32 s3, 0x3fe00000
	s_delay_alu instid0(VALU_DEP_2) | instid1(SALU_CYCLE_1)
	v_fma_f64 v[15:16], v[10:11], v[15:16], s[2:3]
	s_delay_alu instid0(VALU_DEP_2) | instskip(SKIP_2) | instid1(VALU_DEP_4)
	v_fma_f64 v[17:18], v[12:13], v[17:18], s[2:3]
	v_cmp_nlt_f64_e64 s3, 0x40900000, v[2:3]
	v_cmp_ngt_f64_e64 s2, 0xc090cc00, v[4:5]
	v_fma_f64 v[15:16], v[10:11], v[15:16], 1.0
	s_delay_alu instid0(VALU_DEP_4) | instskip(NEXT) | instid1(VALU_DEP_2)
	v_fma_f64 v[17:18], v[12:13], v[17:18], 1.0
	v_fma_f64 v[6:7], v[10:11], v[15:16], 1.0
	v_cvt_i32_f64_e32 v10, v[8:9]
	s_delay_alu instid0(VALU_DEP_3) | instskip(NEXT) | instid1(VALU_DEP_3)
	v_fma_f64 v[8:9], v[12:13], v[17:18], 1.0
	v_ldexp_f64 v[6:7], v[6:7], v22
	s_delay_alu instid0(VALU_DEP_2) | instskip(NEXT) | instid1(VALU_DEP_2)
	v_ldexp_f64 v[8:9], v[8:9], v10
	v_cndmask_b32_e64 v7, 0x7ff00000, v7, s1
	s_and_b32 s1, s2, s1
	s_delay_alu instid0(VALU_DEP_2) | instskip(NEXT) | instid1(VALU_DEP_2)
	v_cndmask_b32_e64 v4, 0x7ff00000, v9, s3
	v_cndmask_b32_e64 v5, 0, v7, s2
	s_delay_alu instid0(VALU_DEP_2) | instskip(SKIP_2) | instid1(SALU_CYCLE_1)
	v_cndmask_b32_e64 v3, 0, v4, s4
	v_cndmask_b32_e64 v4, 0, v6, s1
	s_and_b32 s1, s4, s3
	v_cndmask_b32_e64 v2, 0, v8, s1
	s_delay_alu instid0(VALU_DEP_2) | instskip(NEXT) | instid1(VALU_DEP_2)
	v_add_f64 v[6:7], v[4:5], 0
	v_add_f64 v[8:9], v[2:3], 0
	ds_bpermute_b32 v10, v19, v6
	ds_bpermute_b32 v11, v19, v7
	;; [unrolled: 1-line block ×4, first 2 shown]
	s_waitcnt lgkmcnt(2)
	v_add_f64 v[6:7], v[6:7], v[10:11]
	s_waitcnt lgkmcnt(0)
	v_add_f64 v[8:9], v[8:9], v[12:13]
	ds_bpermute_b32 v10, v20, v6
	ds_bpermute_b32 v11, v20, v7
	;; [unrolled: 1-line block ×4, first 2 shown]
	s_waitcnt lgkmcnt(2)
	v_add_f64 v[10:11], v[6:7], v[10:11]
	s_waitcnt lgkmcnt(0)
	v_add_f64 v[6:7], v[8:9], v[12:13]
	ds_bpermute_b32 v12, v21, v10
	ds_bpermute_b32 v13, v21, v11
	;; [unrolled: 1-line block ×4, first 2 shown]
	s_and_saveexec_b32 s1, vcc_lo
	s_cbranch_execz .LBB360_10
; %bb.5:
	v_add_co_u32 v0, vcc_lo, s16, v0
	v_add_co_ci_u32_e32 v1, vcc_lo, s17, v1, vcc_lo
	s_and_saveexec_b32 s1, s0
	s_cbranch_execz .LBB360_7
; %bb.6:
	s_waitcnt lgkmcnt(2)
	v_add_f64 v[10:11], v[10:11], v[12:13]
	s_delay_alu instid0(VALU_DEP_1) | instskip(SKIP_1) | instid1(VALU_DEP_2)
	v_div_scale_f64 v[12:13], null, v[10:11], v[10:11], v[4:5]
	v_div_scale_f64 v[19:20], vcc_lo, v[4:5], v[10:11], v[4:5]
	v_rcp_f64_e32 v[15:16], v[12:13]
	s_waitcnt_depctr 0xfff
	v_fma_f64 v[17:18], -v[12:13], v[15:16], 1.0
	s_delay_alu instid0(VALU_DEP_1) | instskip(NEXT) | instid1(VALU_DEP_1)
	v_fma_f64 v[15:16], v[15:16], v[17:18], v[15:16]
	v_fma_f64 v[17:18], -v[12:13], v[15:16], 1.0
	s_delay_alu instid0(VALU_DEP_1) | instskip(NEXT) | instid1(VALU_DEP_1)
	v_fma_f64 v[15:16], v[15:16], v[17:18], v[15:16]
	v_mul_f64 v[17:18], v[19:20], v[15:16]
	s_delay_alu instid0(VALU_DEP_1) | instskip(NEXT) | instid1(VALU_DEP_1)
	v_fma_f64 v[12:13], -v[12:13], v[17:18], v[19:20]
	v_div_fmas_f64 v[12:13], v[12:13], v[15:16], v[17:18]
	v_cmp_neq_f64_e32 vcc_lo, 0, v[10:11]
	s_delay_alu instid0(VALU_DEP_2) | instskip(NEXT) | instid1(VALU_DEP_1)
	v_div_fixup_f64 v[4:5], v[12:13], v[10:11], v[4:5]
	v_cndmask_b32_e32 v5, 0x7ff80000, v5, vcc_lo
	s_delay_alu instid0(VALU_DEP_2)
	v_cndmask_b32_e32 v4, 0, v4, vcc_lo
	global_store_b64 v[0:1], v[4:5], off
.LBB360_7:
	s_or_b32 exec_lo, exec_lo, s1
	v_cmp_ne_u32_e32 vcc_lo, 1, v14
	s_and_b32 exec_lo, exec_lo, vcc_lo
	s_cbranch_execz .LBB360_10
; %bb.8:
	s_and_b32 exec_lo, exec_lo, s0
	s_cbranch_execz .LBB360_10
; %bb.9:
	s_waitcnt lgkmcnt(0)
	v_add_f64 v[4:5], v[6:7], v[8:9]
	s_mov_b32 s23, 0
	s_delay_alu instid0(SALU_CYCLE_1) | instskip(NEXT) | instid1(SALU_CYCLE_1)
	s_lshl_b64 s[0:1], s[22:23], 3
	v_add_co_u32 v0, s0, v0, s0
	s_delay_alu instid0(VALU_DEP_1) | instskip(NEXT) | instid1(VALU_DEP_3)
	v_add_co_ci_u32_e64 v1, s0, s1, v1, s0
	v_div_scale_f64 v[6:7], null, v[4:5], v[4:5], v[2:3]
	v_div_scale_f64 v[12:13], vcc_lo, v[2:3], v[4:5], v[2:3]
	s_delay_alu instid0(VALU_DEP_2) | instskip(SKIP_2) | instid1(VALU_DEP_1)
	v_rcp_f64_e32 v[8:9], v[6:7]
	s_waitcnt_depctr 0xfff
	v_fma_f64 v[10:11], -v[6:7], v[8:9], 1.0
	v_fma_f64 v[8:9], v[8:9], v[10:11], v[8:9]
	s_delay_alu instid0(VALU_DEP_1) | instskip(NEXT) | instid1(VALU_DEP_1)
	v_fma_f64 v[10:11], -v[6:7], v[8:9], 1.0
	v_fma_f64 v[8:9], v[8:9], v[10:11], v[8:9]
	s_delay_alu instid0(VALU_DEP_1) | instskip(NEXT) | instid1(VALU_DEP_1)
	v_mul_f64 v[10:11], v[12:13], v[8:9]
	v_fma_f64 v[6:7], -v[6:7], v[10:11], v[12:13]
	s_delay_alu instid0(VALU_DEP_1) | instskip(SKIP_1) | instid1(VALU_DEP_2)
	v_div_fmas_f64 v[6:7], v[6:7], v[8:9], v[10:11]
	v_cmp_neq_f64_e32 vcc_lo, 0, v[4:5]
	v_div_fixup_f64 v[2:3], v[6:7], v[4:5], v[2:3]
	s_delay_alu instid0(VALU_DEP_1) | instskip(NEXT) | instid1(VALU_DEP_2)
	v_cndmask_b32_e32 v3, 0x7ff80000, v3, vcc_lo
	v_cndmask_b32_e32 v2, 0, v2, vcc_lo
	global_store_b64 v[0:1], v[2:3], off
.LBB360_10:
	s_nop 0
	s_sendmsg sendmsg(MSG_DEALLOC_VGPRS)
	s_endpgm
	.section	.rodata,"a",@progbits
	.p2align	6, 0x0
	.amdhsa_kernel _ZN12_GLOBAL__N_120softmax_warp_forwardIdddLi3ELb0ELb0ELi64EEEvPT0_PKT_iiiPKbib
		.amdhsa_group_segment_fixed_size 0
		.amdhsa_private_segment_fixed_size 0
		.amdhsa_kernarg_size 304
		.amdhsa_user_sgpr_count 15
		.amdhsa_user_sgpr_dispatch_ptr 0
		.amdhsa_user_sgpr_queue_ptr 0
		.amdhsa_user_sgpr_kernarg_segment_ptr 1
		.amdhsa_user_sgpr_dispatch_id 0
		.amdhsa_user_sgpr_private_segment_size 0
		.amdhsa_wavefront_size32 1
		.amdhsa_uses_dynamic_stack 0
		.amdhsa_enable_private_segment 0
		.amdhsa_system_sgpr_workgroup_id_x 1
		.amdhsa_system_sgpr_workgroup_id_y 0
		.amdhsa_system_sgpr_workgroup_id_z 0
		.amdhsa_system_sgpr_workgroup_info 0
		.amdhsa_system_vgpr_workitem_id 1
		.amdhsa_next_free_vgpr 23
		.amdhsa_next_free_sgpr 24
		.amdhsa_reserve_vcc 1
		.amdhsa_float_round_mode_32 0
		.amdhsa_float_round_mode_16_64 0
		.amdhsa_float_denorm_mode_32 3
		.amdhsa_float_denorm_mode_16_64 3
		.amdhsa_dx10_clamp 1
		.amdhsa_ieee_mode 1
		.amdhsa_fp16_overflow 0
		.amdhsa_workgroup_processor_mode 1
		.amdhsa_memory_ordered 1
		.amdhsa_forward_progress 0
		.amdhsa_shared_vgpr_count 0
		.amdhsa_exception_fp_ieee_invalid_op 0
		.amdhsa_exception_fp_denorm_src 0
		.amdhsa_exception_fp_ieee_div_zero 0
		.amdhsa_exception_fp_ieee_overflow 0
		.amdhsa_exception_fp_ieee_underflow 0
		.amdhsa_exception_fp_ieee_inexact 0
		.amdhsa_exception_int_div_zero 0
	.end_amdhsa_kernel
	.section	.text._ZN12_GLOBAL__N_120softmax_warp_forwardIdddLi3ELb0ELb0ELi64EEEvPT0_PKT_iiiPKbib,"axG",@progbits,_ZN12_GLOBAL__N_120softmax_warp_forwardIdddLi3ELb0ELb0ELi64EEEvPT0_PKT_iiiPKbib,comdat
.Lfunc_end360:
	.size	_ZN12_GLOBAL__N_120softmax_warp_forwardIdddLi3ELb0ELb0ELi64EEEvPT0_PKT_iiiPKbib, .Lfunc_end360-_ZN12_GLOBAL__N_120softmax_warp_forwardIdddLi3ELb0ELb0ELi64EEEvPT0_PKT_iiiPKbib
                                        ; -- End function
	.section	.AMDGPU.csdata,"",@progbits
; Kernel info:
; codeLenInByte = 1876
; NumSgprs: 26
; NumVgprs: 23
; ScratchSize: 0
; MemoryBound: 0
; FloatMode: 240
; IeeeMode: 1
; LDSByteSize: 0 bytes/workgroup (compile time only)
; SGPRBlocks: 3
; VGPRBlocks: 2
; NumSGPRsForWavesPerEU: 26
; NumVGPRsForWavesPerEU: 23
; Occupancy: 16
; WaveLimiterHint : 0
; COMPUTE_PGM_RSRC2:SCRATCH_EN: 0
; COMPUTE_PGM_RSRC2:USER_SGPR: 15
; COMPUTE_PGM_RSRC2:TRAP_HANDLER: 0
; COMPUTE_PGM_RSRC2:TGID_X_EN: 1
; COMPUTE_PGM_RSRC2:TGID_Y_EN: 0
; COMPUTE_PGM_RSRC2:TGID_Z_EN: 0
; COMPUTE_PGM_RSRC2:TIDIG_COMP_CNT: 1
	.section	.text._ZN12_GLOBAL__N_120softmax_warp_forwardIdddLi3ELb0ELb0ELi32EEEvPT0_PKT_iiiPKbib,"axG",@progbits,_ZN12_GLOBAL__N_120softmax_warp_forwardIdddLi3ELb0ELb0ELi32EEEvPT0_PKT_iiiPKbib,comdat
	.globl	_ZN12_GLOBAL__N_120softmax_warp_forwardIdddLi3ELb0ELb0ELi32EEEvPT0_PKT_iiiPKbib ; -- Begin function _ZN12_GLOBAL__N_120softmax_warp_forwardIdddLi3ELb0ELb0ELi32EEEvPT0_PKT_iiiPKbib
	.p2align	8
	.type	_ZN12_GLOBAL__N_120softmax_warp_forwardIdddLi3ELb0ELb0ELi32EEEvPT0_PKT_iiiPKbib,@function
_ZN12_GLOBAL__N_120softmax_warp_forwardIdddLi3ELb0ELb0ELi32EEEvPT0_PKT_iiiPKbib: ; @_ZN12_GLOBAL__N_120softmax_warp_forwardIdddLi3ELb0ELb0ELi32EEEvPT0_PKT_iiiPKbib
; %bb.0:
	s_clause 0x1
	s_load_b32 s2, s[0:1], 0x3c
	s_load_b256 s[16:23], s[0:1], 0x0
	v_bfe_u32 v1, v0, 10, 10
	v_and_b32_e32 v4, 0x3ff, v0
	s_waitcnt lgkmcnt(0)
	s_lshr_b32 s0, s2, 16
	s_delay_alu instid0(SALU_CYCLE_1) | instskip(NEXT) | instid1(VALU_DEP_1)
	s_mul_i32 s15, s15, s0
	v_cmp_gt_i32_e64 s0, s22, v4
	v_add_lshl_u32 v2, s15, v1, 1
	s_delay_alu instid0(VALU_DEP_1) | instskip(SKIP_3) | instid1(VALU_DEP_3)
	v_mad_u64_u32 v[0:1], null, v2, s21, v[4:5]
	v_sub_nc_u32_e32 v14, s20, v2
	v_mov_b32_e32 v2, 0
	v_mov_b32_e32 v3, 0xfff00000
	v_cmp_lt_i32_e32 vcc_lo, 0, v14
	v_ashrrev_i32_e32 v1, 31, v0
	s_delay_alu instid0(VALU_DEP_3) | instskip(SKIP_1) | instid1(VALU_DEP_2)
	v_dual_mov_b32 v5, v3 :: v_dual_mov_b32 v4, v2
	s_and_b32 s2, s0, vcc_lo
	v_lshlrev_b64 v[0:1], 3, v[0:1]
	s_delay_alu instid0(VALU_DEP_1) | instskip(NEXT) | instid1(VALU_DEP_1)
	v_add_co_u32 v6, s1, s18, v0
	v_add_co_ci_u32_e64 v7, s1, s19, v1, s1
	s_and_saveexec_b32 s1, s2
	s_cbranch_execz .LBB361_2
; %bb.1:
	global_load_b64 v[4:5], v[6:7], off
.LBB361_2:
	s_or_b32 exec_lo, exec_lo, s1
	v_cmp_lt_i32_e64 s1, 1, v14
	s_delay_alu instid0(VALU_DEP_1) | instskip(NEXT) | instid1(SALU_CYCLE_1)
	s_and_b32 s1, s0, s1
	s_and_saveexec_b32 s2, s1
	s_cbranch_execz .LBB361_4
; %bb.3:
	s_mov_b32 s23, 0
	s_delay_alu instid0(SALU_CYCLE_1) | instskip(NEXT) | instid1(SALU_CYCLE_1)
	s_lshl_b64 s[4:5], s[22:23], 3
	v_add_co_u32 v2, s1, v6, s4
	s_delay_alu instid0(VALU_DEP_1)
	v_add_co_ci_u32_e64 v3, s1, s5, v7, s1
	global_load_b64 v[2:3], v[2:3], off
.LBB361_4:
	s_or_b32 exec_lo, exec_lo, s2
	v_mbcnt_lo_u32_b32 v15, -1, 0
	s_mov_b32 s4, 0x6a5dcb37
	s_mov_b32 s5, 0x3e5ade15
	s_delay_alu instid0(VALU_DEP_1) | instskip(SKIP_3) | instid1(VALU_DEP_4)
	v_and_b32_e32 v6, 24, v15
	v_xor_b32_e32 v7, 4, v15
	v_xor_b32_e32 v10, 2, v15
	;; [unrolled: 1-line block ×3, first 2 shown]
	v_add_nc_u32_e32 v16, 8, v6
	s_delay_alu instid0(VALU_DEP_1) | instskip(NEXT) | instid1(VALU_DEP_4)
	v_cmp_lt_i32_e64 s1, v7, v16
	v_cmp_lt_i32_e64 s3, v10, v16
	s_delay_alu instid0(VALU_DEP_2) | instskip(NEXT) | instid1(VALU_DEP_2)
	v_cndmask_b32_e64 v6, v15, v7, s1
	v_cndmask_b32_e64 v10, v15, v10, s3
	v_cmp_lt_i32_e64 s3, v17, v16
	s_delay_alu instid0(VALU_DEP_3) | instskip(NEXT) | instid1(VALU_DEP_3)
	v_lshlrev_b32_e32 v19, 2, v6
	v_lshlrev_b32_e32 v20, 2, v10
	s_delay_alu instid0(VALU_DEP_3)
	v_cndmask_b32_e64 v15, v15, v17, s3
	s_waitcnt vmcnt(0)
	ds_bpermute_b32 v6, v19, v4
	ds_bpermute_b32 v7, v19, v5
	;; [unrolled: 1-line block ×4, first 2 shown]
	v_lshlrev_b32_e32 v21, 2, v15
	s_waitcnt lgkmcnt(2)
	v_cmp_lt_f64_e64 s1, v[4:5], v[6:7]
	s_waitcnt lgkmcnt(0)
	v_cmp_lt_f64_e64 s2, v[2:3], v[8:9]
	s_delay_alu instid0(VALU_DEP_2) | instskip(SKIP_1) | instid1(VALU_DEP_3)
	v_cndmask_b32_e64 v7, v5, v7, s1
	v_cndmask_b32_e64 v6, v4, v6, s1
	;; [unrolled: 1-line block ×4, first 2 shown]
	ds_bpermute_b32 v11, v20, v7
	ds_bpermute_b32 v10, v20, v6
	;; [unrolled: 1-line block ×4, first 2 shown]
	s_waitcnt lgkmcnt(2)
	v_cmp_lt_f64_e64 s1, v[6:7], v[10:11]
	s_waitcnt lgkmcnt(0)
	v_cmp_lt_f64_e64 s2, v[8:9], v[12:13]
	s_delay_alu instid0(VALU_DEP_2) | instskip(SKIP_1) | instid1(VALU_DEP_3)
	v_cndmask_b32_e64 v7, v7, v11, s1
	v_cndmask_b32_e64 v6, v6, v10, s1
	;; [unrolled: 1-line block ×4, first 2 shown]
	ds_bpermute_b32 v11, v21, v7
	ds_bpermute_b32 v10, v21, v6
	ds_bpermute_b32 v13, v21, v9
	ds_bpermute_b32 v12, v21, v8
	s_waitcnt lgkmcnt(2)
	v_cmp_lt_f64_e64 s1, v[6:7], v[10:11]
	s_waitcnt lgkmcnt(0)
	v_cmp_lt_f64_e64 s2, v[8:9], v[12:13]
	s_delay_alu instid0(VALU_DEP_2) | instskip(SKIP_1) | instid1(VALU_DEP_3)
	v_cndmask_b32_e64 v7, v7, v11, s1
	v_cndmask_b32_e64 v6, v6, v10, s1
	;; [unrolled: 1-line block ×4, first 2 shown]
	s_mov_b32 s2, 0x652b82fe
	s_mov_b32 s3, 0x3ff71547
	v_add_f64 v[4:5], v[4:5], -v[6:7]
	s_delay_alu instid0(VALU_DEP_2) | instskip(NEXT) | instid1(VALU_DEP_2)
	v_add_f64 v[2:3], v[2:3], -v[8:9]
	v_mul_f64 v[6:7], v[4:5], s[2:3]
	v_cmp_nlt_f64_e64 s1, 0x40900000, v[4:5]
	s_delay_alu instid0(VALU_DEP_3) | instskip(SKIP_2) | instid1(VALU_DEP_3)
	v_mul_f64 v[8:9], v[2:3], s[2:3]
	s_mov_b32 s2, 0xfefa39ef
	s_mov_b32 s3, 0xbfe62e42
	v_rndne_f64_e32 v[6:7], v[6:7]
	s_delay_alu instid0(VALU_DEP_2) | instskip(NEXT) | instid1(VALU_DEP_2)
	v_rndne_f64_e32 v[8:9], v[8:9]
	v_fma_f64 v[10:11], v[6:7], s[2:3], v[4:5]
	v_cvt_i32_f64_e32 v22, v[6:7]
	s_delay_alu instid0(VALU_DEP_3)
	v_fma_f64 v[12:13], v[8:9], s[2:3], v[2:3]
	s_mov_b32 s2, 0x3b39803f
	s_mov_b32 s3, 0xbc7abc9e
	s_delay_alu instid0(VALU_DEP_3) | instid1(SALU_CYCLE_1)
	v_fma_f64 v[10:11], v[6:7], s[2:3], v[10:11]
	s_delay_alu instid0(VALU_DEP_2)
	v_fma_f64 v[12:13], v[8:9], s[2:3], v[12:13]
	s_mov_b32 s2, 0xfca7ab0c
	s_mov_b32 s3, 0x3e928af3
	s_delay_alu instid0(VALU_DEP_2) | instid1(SALU_CYCLE_1)
	v_fma_f64 v[15:16], v[10:11], s[4:5], s[2:3]
	s_delay_alu instid0(VALU_DEP_2) | instskip(SKIP_3) | instid1(VALU_DEP_3)
	v_fma_f64 v[17:18], v[12:13], s[4:5], s[2:3]
	s_mov_b32 s2, 0x623fde64
	s_mov_b32 s3, 0x3ec71dee
	v_cmp_ngt_f64_e64 s4, 0xc090cc00, v[2:3]
	v_fma_f64 v[15:16], v[10:11], v[15:16], s[2:3]
	s_delay_alu instid0(VALU_DEP_3)
	v_fma_f64 v[17:18], v[12:13], v[17:18], s[2:3]
	s_mov_b32 s2, 0x7c89e6b0
	s_mov_b32 s3, 0x3efa0199
	s_delay_alu instid0(VALU_DEP_2) | instid1(SALU_CYCLE_1)
	v_fma_f64 v[15:16], v[10:11], v[15:16], s[2:3]
	s_delay_alu instid0(VALU_DEP_2)
	v_fma_f64 v[17:18], v[12:13], v[17:18], s[2:3]
	s_mov_b32 s2, 0x14761f6e
	s_mov_b32 s3, 0x3f2a01a0
	s_delay_alu instid0(VALU_DEP_2) | instid1(SALU_CYCLE_1)
	v_fma_f64 v[15:16], v[10:11], v[15:16], s[2:3]
	s_delay_alu instid0(VALU_DEP_2)
	;; [unrolled: 6-line block ×6, first 2 shown]
	v_fma_f64 v[17:18], v[12:13], v[17:18], s[2:3]
	s_mov_b32 s2, 11
	s_mov_b32 s3, 0x3fe00000
	s_delay_alu instid0(VALU_DEP_2) | instid1(SALU_CYCLE_1)
	v_fma_f64 v[15:16], v[10:11], v[15:16], s[2:3]
	s_delay_alu instid0(VALU_DEP_2) | instskip(SKIP_2) | instid1(VALU_DEP_4)
	v_fma_f64 v[17:18], v[12:13], v[17:18], s[2:3]
	v_cmp_nlt_f64_e64 s3, 0x40900000, v[2:3]
	v_cmp_ngt_f64_e64 s2, 0xc090cc00, v[4:5]
	v_fma_f64 v[15:16], v[10:11], v[15:16], 1.0
	s_delay_alu instid0(VALU_DEP_4) | instskip(NEXT) | instid1(VALU_DEP_2)
	v_fma_f64 v[17:18], v[12:13], v[17:18], 1.0
	v_fma_f64 v[6:7], v[10:11], v[15:16], 1.0
	v_cvt_i32_f64_e32 v10, v[8:9]
	s_delay_alu instid0(VALU_DEP_3) | instskip(NEXT) | instid1(VALU_DEP_3)
	v_fma_f64 v[8:9], v[12:13], v[17:18], 1.0
	v_ldexp_f64 v[6:7], v[6:7], v22
	s_delay_alu instid0(VALU_DEP_2) | instskip(NEXT) | instid1(VALU_DEP_2)
	v_ldexp_f64 v[8:9], v[8:9], v10
	v_cndmask_b32_e64 v7, 0x7ff00000, v7, s1
	s_and_b32 s1, s2, s1
	s_delay_alu instid0(VALU_DEP_2) | instskip(NEXT) | instid1(VALU_DEP_2)
	v_cndmask_b32_e64 v4, 0x7ff00000, v9, s3
	v_cndmask_b32_e64 v5, 0, v7, s2
	s_delay_alu instid0(VALU_DEP_2) | instskip(SKIP_2) | instid1(SALU_CYCLE_1)
	v_cndmask_b32_e64 v3, 0, v4, s4
	v_cndmask_b32_e64 v4, 0, v6, s1
	s_and_b32 s1, s4, s3
	v_cndmask_b32_e64 v2, 0, v8, s1
	s_delay_alu instid0(VALU_DEP_2) | instskip(NEXT) | instid1(VALU_DEP_2)
	v_add_f64 v[6:7], v[4:5], 0
	v_add_f64 v[8:9], v[2:3], 0
	ds_bpermute_b32 v10, v19, v6
	ds_bpermute_b32 v11, v19, v7
	;; [unrolled: 1-line block ×4, first 2 shown]
	s_waitcnt lgkmcnt(2)
	v_add_f64 v[6:7], v[6:7], v[10:11]
	s_waitcnt lgkmcnt(0)
	v_add_f64 v[8:9], v[8:9], v[12:13]
	ds_bpermute_b32 v10, v20, v6
	ds_bpermute_b32 v11, v20, v7
	;; [unrolled: 1-line block ×4, first 2 shown]
	s_waitcnt lgkmcnt(2)
	v_add_f64 v[10:11], v[6:7], v[10:11]
	s_waitcnt lgkmcnt(0)
	v_add_f64 v[6:7], v[8:9], v[12:13]
	ds_bpermute_b32 v12, v21, v10
	ds_bpermute_b32 v13, v21, v11
	;; [unrolled: 1-line block ×4, first 2 shown]
	s_and_saveexec_b32 s1, vcc_lo
	s_cbranch_execz .LBB361_10
; %bb.5:
	v_add_co_u32 v0, vcc_lo, s16, v0
	v_add_co_ci_u32_e32 v1, vcc_lo, s17, v1, vcc_lo
	s_and_saveexec_b32 s1, s0
	s_cbranch_execz .LBB361_7
; %bb.6:
	s_waitcnt lgkmcnt(2)
	v_add_f64 v[10:11], v[10:11], v[12:13]
	s_delay_alu instid0(VALU_DEP_1) | instskip(SKIP_1) | instid1(VALU_DEP_2)
	v_div_scale_f64 v[12:13], null, v[10:11], v[10:11], v[4:5]
	v_div_scale_f64 v[19:20], vcc_lo, v[4:5], v[10:11], v[4:5]
	v_rcp_f64_e32 v[15:16], v[12:13]
	s_waitcnt_depctr 0xfff
	v_fma_f64 v[17:18], -v[12:13], v[15:16], 1.0
	s_delay_alu instid0(VALU_DEP_1) | instskip(NEXT) | instid1(VALU_DEP_1)
	v_fma_f64 v[15:16], v[15:16], v[17:18], v[15:16]
	v_fma_f64 v[17:18], -v[12:13], v[15:16], 1.0
	s_delay_alu instid0(VALU_DEP_1) | instskip(NEXT) | instid1(VALU_DEP_1)
	v_fma_f64 v[15:16], v[15:16], v[17:18], v[15:16]
	v_mul_f64 v[17:18], v[19:20], v[15:16]
	s_delay_alu instid0(VALU_DEP_1) | instskip(NEXT) | instid1(VALU_DEP_1)
	v_fma_f64 v[12:13], -v[12:13], v[17:18], v[19:20]
	v_div_fmas_f64 v[12:13], v[12:13], v[15:16], v[17:18]
	v_cmp_neq_f64_e32 vcc_lo, 0, v[10:11]
	s_delay_alu instid0(VALU_DEP_2) | instskip(NEXT) | instid1(VALU_DEP_1)
	v_div_fixup_f64 v[4:5], v[12:13], v[10:11], v[4:5]
	v_cndmask_b32_e32 v5, 0x7ff80000, v5, vcc_lo
	s_delay_alu instid0(VALU_DEP_2)
	v_cndmask_b32_e32 v4, 0, v4, vcc_lo
	global_store_b64 v[0:1], v[4:5], off
.LBB361_7:
	s_or_b32 exec_lo, exec_lo, s1
	v_cmp_ne_u32_e32 vcc_lo, 1, v14
	s_and_b32 exec_lo, exec_lo, vcc_lo
	s_cbranch_execz .LBB361_10
; %bb.8:
	s_and_b32 exec_lo, exec_lo, s0
	s_cbranch_execz .LBB361_10
; %bb.9:
	s_waitcnt lgkmcnt(0)
	v_add_f64 v[4:5], v[6:7], v[8:9]
	s_mov_b32 s23, 0
	s_delay_alu instid0(SALU_CYCLE_1) | instskip(NEXT) | instid1(SALU_CYCLE_1)
	s_lshl_b64 s[0:1], s[22:23], 3
	v_add_co_u32 v0, s0, v0, s0
	s_delay_alu instid0(VALU_DEP_1) | instskip(NEXT) | instid1(VALU_DEP_3)
	v_add_co_ci_u32_e64 v1, s0, s1, v1, s0
	v_div_scale_f64 v[6:7], null, v[4:5], v[4:5], v[2:3]
	v_div_scale_f64 v[12:13], vcc_lo, v[2:3], v[4:5], v[2:3]
	s_delay_alu instid0(VALU_DEP_2) | instskip(SKIP_2) | instid1(VALU_DEP_1)
	v_rcp_f64_e32 v[8:9], v[6:7]
	s_waitcnt_depctr 0xfff
	v_fma_f64 v[10:11], -v[6:7], v[8:9], 1.0
	v_fma_f64 v[8:9], v[8:9], v[10:11], v[8:9]
	s_delay_alu instid0(VALU_DEP_1) | instskip(NEXT) | instid1(VALU_DEP_1)
	v_fma_f64 v[10:11], -v[6:7], v[8:9], 1.0
	v_fma_f64 v[8:9], v[8:9], v[10:11], v[8:9]
	s_delay_alu instid0(VALU_DEP_1) | instskip(NEXT) | instid1(VALU_DEP_1)
	v_mul_f64 v[10:11], v[12:13], v[8:9]
	v_fma_f64 v[6:7], -v[6:7], v[10:11], v[12:13]
	s_delay_alu instid0(VALU_DEP_1) | instskip(SKIP_1) | instid1(VALU_DEP_2)
	v_div_fmas_f64 v[6:7], v[6:7], v[8:9], v[10:11]
	v_cmp_neq_f64_e32 vcc_lo, 0, v[4:5]
	v_div_fixup_f64 v[2:3], v[6:7], v[4:5], v[2:3]
	s_delay_alu instid0(VALU_DEP_1) | instskip(NEXT) | instid1(VALU_DEP_2)
	v_cndmask_b32_e32 v3, 0x7ff80000, v3, vcc_lo
	v_cndmask_b32_e32 v2, 0, v2, vcc_lo
	global_store_b64 v[0:1], v[2:3], off
.LBB361_10:
	s_nop 0
	s_sendmsg sendmsg(MSG_DEALLOC_VGPRS)
	s_endpgm
	.section	.rodata,"a",@progbits
	.p2align	6, 0x0
	.amdhsa_kernel _ZN12_GLOBAL__N_120softmax_warp_forwardIdddLi3ELb0ELb0ELi32EEEvPT0_PKT_iiiPKbib
		.amdhsa_group_segment_fixed_size 0
		.amdhsa_private_segment_fixed_size 0
		.amdhsa_kernarg_size 304
		.amdhsa_user_sgpr_count 15
		.amdhsa_user_sgpr_dispatch_ptr 0
		.amdhsa_user_sgpr_queue_ptr 0
		.amdhsa_user_sgpr_kernarg_segment_ptr 1
		.amdhsa_user_sgpr_dispatch_id 0
		.amdhsa_user_sgpr_private_segment_size 0
		.amdhsa_wavefront_size32 1
		.amdhsa_uses_dynamic_stack 0
		.amdhsa_enable_private_segment 0
		.amdhsa_system_sgpr_workgroup_id_x 1
		.amdhsa_system_sgpr_workgroup_id_y 0
		.amdhsa_system_sgpr_workgroup_id_z 0
		.amdhsa_system_sgpr_workgroup_info 0
		.amdhsa_system_vgpr_workitem_id 1
		.amdhsa_next_free_vgpr 23
		.amdhsa_next_free_sgpr 24
		.amdhsa_reserve_vcc 1
		.amdhsa_float_round_mode_32 0
		.amdhsa_float_round_mode_16_64 0
		.amdhsa_float_denorm_mode_32 3
		.amdhsa_float_denorm_mode_16_64 3
		.amdhsa_dx10_clamp 1
		.amdhsa_ieee_mode 1
		.amdhsa_fp16_overflow 0
		.amdhsa_workgroup_processor_mode 1
		.amdhsa_memory_ordered 1
		.amdhsa_forward_progress 0
		.amdhsa_shared_vgpr_count 0
		.amdhsa_exception_fp_ieee_invalid_op 0
		.amdhsa_exception_fp_denorm_src 0
		.amdhsa_exception_fp_ieee_div_zero 0
		.amdhsa_exception_fp_ieee_overflow 0
		.amdhsa_exception_fp_ieee_underflow 0
		.amdhsa_exception_fp_ieee_inexact 0
		.amdhsa_exception_int_div_zero 0
	.end_amdhsa_kernel
	.section	.text._ZN12_GLOBAL__N_120softmax_warp_forwardIdddLi3ELb0ELb0ELi32EEEvPT0_PKT_iiiPKbib,"axG",@progbits,_ZN12_GLOBAL__N_120softmax_warp_forwardIdddLi3ELb0ELb0ELi32EEEvPT0_PKT_iiiPKbib,comdat
.Lfunc_end361:
	.size	_ZN12_GLOBAL__N_120softmax_warp_forwardIdddLi3ELb0ELb0ELi32EEEvPT0_PKT_iiiPKbib, .Lfunc_end361-_ZN12_GLOBAL__N_120softmax_warp_forwardIdddLi3ELb0ELb0ELi32EEEvPT0_PKT_iiiPKbib
                                        ; -- End function
	.section	.AMDGPU.csdata,"",@progbits
; Kernel info:
; codeLenInByte = 1876
; NumSgprs: 26
; NumVgprs: 23
; ScratchSize: 0
; MemoryBound: 0
; FloatMode: 240
; IeeeMode: 1
; LDSByteSize: 0 bytes/workgroup (compile time only)
; SGPRBlocks: 3
; VGPRBlocks: 2
; NumSGPRsForWavesPerEU: 26
; NumVGPRsForWavesPerEU: 23
; Occupancy: 16
; WaveLimiterHint : 0
; COMPUTE_PGM_RSRC2:SCRATCH_EN: 0
; COMPUTE_PGM_RSRC2:USER_SGPR: 15
; COMPUTE_PGM_RSRC2:TRAP_HANDLER: 0
; COMPUTE_PGM_RSRC2:TGID_X_EN: 1
; COMPUTE_PGM_RSRC2:TGID_Y_EN: 0
; COMPUTE_PGM_RSRC2:TGID_Z_EN: 0
; COMPUTE_PGM_RSRC2:TIDIG_COMP_CNT: 1
	.section	.text._ZN12_GLOBAL__N_120softmax_warp_forwardIdddLi4ELb0ELb0ELi64EEEvPT0_PKT_iiiPKbib,"axG",@progbits,_ZN12_GLOBAL__N_120softmax_warp_forwardIdddLi4ELb0ELb0ELi64EEEvPT0_PKT_iiiPKbib,comdat
	.globl	_ZN12_GLOBAL__N_120softmax_warp_forwardIdddLi4ELb0ELb0ELi64EEEvPT0_PKT_iiiPKbib ; -- Begin function _ZN12_GLOBAL__N_120softmax_warp_forwardIdddLi4ELb0ELb0ELi64EEEvPT0_PKT_iiiPKbib
	.p2align	8
	.type	_ZN12_GLOBAL__N_120softmax_warp_forwardIdddLi4ELb0ELb0ELi64EEEvPT0_PKT_iiiPKbib,@function
_ZN12_GLOBAL__N_120softmax_warp_forwardIdddLi4ELb0ELb0ELi64EEEvPT0_PKT_iiiPKbib: ; @_ZN12_GLOBAL__N_120softmax_warp_forwardIdddLi4ELb0ELb0ELi64EEEvPT0_PKT_iiiPKbib
; %bb.0:
	s_clause 0x1
	s_load_b32 s2, s[0:1], 0x3c
	s_load_b256 s[16:23], s[0:1], 0x0
	v_bfe_u32 v1, v0, 10, 10
	v_and_b32_e32 v4, 0x3ff, v0
	s_waitcnt lgkmcnt(0)
	s_lshr_b32 s0, s2, 16
	s_delay_alu instid0(SALU_CYCLE_1) | instskip(NEXT) | instid1(VALU_DEP_1)
	s_mul_i32 s15, s15, s0
	v_cmp_gt_i32_e64 s0, s22, v4
	v_add_lshl_u32 v2, s15, v1, 1
	s_delay_alu instid0(VALU_DEP_1) | instskip(SKIP_3) | instid1(VALU_DEP_3)
	v_mad_u64_u32 v[0:1], null, v2, s21, v[4:5]
	v_sub_nc_u32_e32 v14, s20, v2
	v_mov_b32_e32 v2, 0
	v_mov_b32_e32 v3, 0xfff00000
	v_cmp_lt_i32_e32 vcc_lo, 0, v14
	v_ashrrev_i32_e32 v1, 31, v0
	s_delay_alu instid0(VALU_DEP_3) | instskip(SKIP_1) | instid1(VALU_DEP_2)
	v_dual_mov_b32 v5, v3 :: v_dual_mov_b32 v4, v2
	s_and_b32 s2, s0, vcc_lo
	v_lshlrev_b64 v[0:1], 3, v[0:1]
	s_delay_alu instid0(VALU_DEP_1) | instskip(NEXT) | instid1(VALU_DEP_1)
	v_add_co_u32 v6, s1, s18, v0
	v_add_co_ci_u32_e64 v7, s1, s19, v1, s1
	s_and_saveexec_b32 s1, s2
	s_cbranch_execz .LBB362_2
; %bb.1:
	global_load_b64 v[4:5], v[6:7], off
.LBB362_2:
	s_or_b32 exec_lo, exec_lo, s1
	v_cmp_lt_i32_e64 s1, 1, v14
	s_delay_alu instid0(VALU_DEP_1) | instskip(NEXT) | instid1(SALU_CYCLE_1)
	s_and_b32 s1, s0, s1
	s_and_saveexec_b32 s2, s1
	s_cbranch_execz .LBB362_4
; %bb.3:
	s_mov_b32 s23, 0
	s_delay_alu instid0(SALU_CYCLE_1) | instskip(NEXT) | instid1(SALU_CYCLE_1)
	s_lshl_b64 s[4:5], s[22:23], 3
	v_add_co_u32 v2, s1, v6, s4
	s_delay_alu instid0(VALU_DEP_1)
	v_add_co_ci_u32_e64 v3, s1, s5, v7, s1
	global_load_b64 v[2:3], v[2:3], off
.LBB362_4:
	s_or_b32 exec_lo, exec_lo, s2
	v_mbcnt_lo_u32_b32 v15, -1, 0
	s_mov_b32 s4, 0x6a5dcb37
	s_mov_b32 s5, 0x3e5ade15
	s_delay_alu instid0(VALU_DEP_1) | instskip(SKIP_3) | instid1(VALU_DEP_4)
	v_and_b32_e32 v6, 16, v15
	v_xor_b32_e32 v7, 8, v15
	v_xor_b32_e32 v10, 4, v15
	;; [unrolled: 1-line block ×3, first 2 shown]
	v_add_nc_u32_e32 v16, 16, v6
	s_delay_alu instid0(VALU_DEP_1) | instskip(NEXT) | instid1(VALU_DEP_4)
	v_cmp_lt_i32_e64 s1, v7, v16
	v_cmp_lt_i32_e64 s3, v10, v16
	s_delay_alu instid0(VALU_DEP_2) | instskip(NEXT) | instid1(VALU_DEP_2)
	v_cndmask_b32_e64 v6, v15, v7, s1
	v_cndmask_b32_e64 v10, v15, v10, s3
	v_cmp_lt_i32_e64 s3, v17, v16
	s_delay_alu instid0(VALU_DEP_3) | instskip(NEXT) | instid1(VALU_DEP_3)
	v_lshlrev_b32_e32 v19, 2, v6
	v_lshlrev_b32_e32 v20, 2, v10
	s_delay_alu instid0(VALU_DEP_3)
	v_cndmask_b32_e64 v17, v15, v17, s3
	s_waitcnt vmcnt(0)
	ds_bpermute_b32 v6, v19, v4
	ds_bpermute_b32 v7, v19, v5
	;; [unrolled: 1-line block ×4, first 2 shown]
	v_lshlrev_b32_e32 v21, 2, v17
	v_xor_b32_e32 v17, 1, v15
	s_delay_alu instid0(VALU_DEP_1) | instskip(NEXT) | instid1(VALU_DEP_1)
	v_cmp_lt_i32_e64 s3, v17, v16
	v_cndmask_b32_e64 v15, v15, v17, s3
	s_delay_alu instid0(VALU_DEP_1) | instskip(SKIP_4) | instid1(VALU_DEP_2)
	v_lshlrev_b32_e32 v22, 2, v15
	s_waitcnt lgkmcnt(2)
	v_cmp_lt_f64_e64 s1, v[4:5], v[6:7]
	s_waitcnt lgkmcnt(0)
	v_cmp_lt_f64_e64 s2, v[2:3], v[8:9]
	v_cndmask_b32_e64 v7, v5, v7, s1
	v_cndmask_b32_e64 v6, v4, v6, s1
	s_delay_alu instid0(VALU_DEP_3)
	v_cndmask_b32_e64 v9, v3, v9, s2
	v_cndmask_b32_e64 v8, v2, v8, s2
	ds_bpermute_b32 v11, v20, v7
	ds_bpermute_b32 v10, v20, v6
	ds_bpermute_b32 v13, v20, v9
	ds_bpermute_b32 v12, v20, v8
	s_waitcnt lgkmcnt(2)
	v_cmp_lt_f64_e64 s1, v[6:7], v[10:11]
	s_waitcnt lgkmcnt(0)
	v_cmp_lt_f64_e64 s2, v[8:9], v[12:13]
	s_delay_alu instid0(VALU_DEP_2) | instskip(SKIP_1) | instid1(VALU_DEP_3)
	v_cndmask_b32_e64 v7, v7, v11, s1
	v_cndmask_b32_e64 v6, v6, v10, s1
	v_cndmask_b32_e64 v9, v9, v13, s2
	v_cndmask_b32_e64 v8, v8, v12, s2
	ds_bpermute_b32 v11, v21, v7
	ds_bpermute_b32 v10, v21, v6
	ds_bpermute_b32 v13, v21, v9
	ds_bpermute_b32 v12, v21, v8
	s_waitcnt lgkmcnt(2)
	v_cmp_lt_f64_e64 s1, v[6:7], v[10:11]
	s_waitcnt lgkmcnt(0)
	v_cmp_lt_f64_e64 s2, v[8:9], v[12:13]
	s_delay_alu instid0(VALU_DEP_2) | instskip(SKIP_1) | instid1(VALU_DEP_3)
	v_cndmask_b32_e64 v7, v7, v11, s1
	v_cndmask_b32_e64 v6, v6, v10, s1
	;; [unrolled: 13-line block ×3, first 2 shown]
	v_cndmask_b32_e64 v9, v9, v13, s2
	v_cndmask_b32_e64 v8, v8, v12, s2
	s_mov_b32 s2, 0x652b82fe
	s_mov_b32 s3, 0x3ff71547
	v_add_f64 v[4:5], v[4:5], -v[6:7]
	s_delay_alu instid0(VALU_DEP_2) | instskip(NEXT) | instid1(VALU_DEP_2)
	v_add_f64 v[2:3], v[2:3], -v[8:9]
	v_mul_f64 v[6:7], v[4:5], s[2:3]
	v_cmp_nlt_f64_e64 s1, 0x40900000, v[4:5]
	s_delay_alu instid0(VALU_DEP_3) | instskip(SKIP_2) | instid1(VALU_DEP_3)
	v_mul_f64 v[8:9], v[2:3], s[2:3]
	s_mov_b32 s2, 0xfefa39ef
	s_mov_b32 s3, 0xbfe62e42
	v_rndne_f64_e32 v[6:7], v[6:7]
	s_delay_alu instid0(VALU_DEP_2) | instskip(NEXT) | instid1(VALU_DEP_2)
	v_rndne_f64_e32 v[8:9], v[8:9]
	v_fma_f64 v[10:11], v[6:7], s[2:3], v[4:5]
	v_cvt_i32_f64_e32 v23, v[6:7]
	s_delay_alu instid0(VALU_DEP_3)
	v_fma_f64 v[12:13], v[8:9], s[2:3], v[2:3]
	s_mov_b32 s2, 0x3b39803f
	s_mov_b32 s3, 0xbc7abc9e
	s_delay_alu instid0(VALU_DEP_3) | instid1(SALU_CYCLE_1)
	v_fma_f64 v[10:11], v[6:7], s[2:3], v[10:11]
	s_delay_alu instid0(VALU_DEP_2)
	v_fma_f64 v[12:13], v[8:9], s[2:3], v[12:13]
	s_mov_b32 s2, 0xfca7ab0c
	s_mov_b32 s3, 0x3e928af3
	s_delay_alu instid0(VALU_DEP_2) | instid1(SALU_CYCLE_1)
	v_fma_f64 v[15:16], v[10:11], s[4:5], s[2:3]
	s_delay_alu instid0(VALU_DEP_2) | instskip(SKIP_3) | instid1(VALU_DEP_3)
	v_fma_f64 v[17:18], v[12:13], s[4:5], s[2:3]
	s_mov_b32 s2, 0x623fde64
	s_mov_b32 s3, 0x3ec71dee
	v_cmp_ngt_f64_e64 s4, 0xc090cc00, v[2:3]
	v_fma_f64 v[15:16], v[10:11], v[15:16], s[2:3]
	s_delay_alu instid0(VALU_DEP_3)
	v_fma_f64 v[17:18], v[12:13], v[17:18], s[2:3]
	s_mov_b32 s2, 0x7c89e6b0
	s_mov_b32 s3, 0x3efa0199
	s_delay_alu instid0(VALU_DEP_2) | instid1(SALU_CYCLE_1)
	v_fma_f64 v[15:16], v[10:11], v[15:16], s[2:3]
	s_delay_alu instid0(VALU_DEP_2)
	v_fma_f64 v[17:18], v[12:13], v[17:18], s[2:3]
	s_mov_b32 s2, 0x14761f6e
	s_mov_b32 s3, 0x3f2a01a0
	s_delay_alu instid0(VALU_DEP_2) | instid1(SALU_CYCLE_1)
	v_fma_f64 v[15:16], v[10:11], v[15:16], s[2:3]
	s_delay_alu instid0(VALU_DEP_2)
	;; [unrolled: 6-line block ×6, first 2 shown]
	v_fma_f64 v[17:18], v[12:13], v[17:18], s[2:3]
	s_mov_b32 s2, 11
	s_mov_b32 s3, 0x3fe00000
	s_delay_alu instid0(VALU_DEP_2) | instid1(SALU_CYCLE_1)
	v_fma_f64 v[15:16], v[10:11], v[15:16], s[2:3]
	s_delay_alu instid0(VALU_DEP_2) | instskip(SKIP_2) | instid1(VALU_DEP_4)
	v_fma_f64 v[17:18], v[12:13], v[17:18], s[2:3]
	v_cmp_nlt_f64_e64 s3, 0x40900000, v[2:3]
	v_cmp_ngt_f64_e64 s2, 0xc090cc00, v[4:5]
	v_fma_f64 v[15:16], v[10:11], v[15:16], 1.0
	s_delay_alu instid0(VALU_DEP_4) | instskip(NEXT) | instid1(VALU_DEP_2)
	v_fma_f64 v[17:18], v[12:13], v[17:18], 1.0
	v_fma_f64 v[6:7], v[10:11], v[15:16], 1.0
	v_cvt_i32_f64_e32 v10, v[8:9]
	s_delay_alu instid0(VALU_DEP_3) | instskip(NEXT) | instid1(VALU_DEP_3)
	v_fma_f64 v[8:9], v[12:13], v[17:18], 1.0
	v_ldexp_f64 v[6:7], v[6:7], v23
	s_delay_alu instid0(VALU_DEP_2) | instskip(NEXT) | instid1(VALU_DEP_2)
	v_ldexp_f64 v[8:9], v[8:9], v10
	v_cndmask_b32_e64 v7, 0x7ff00000, v7, s1
	s_and_b32 s1, s2, s1
	s_delay_alu instid0(VALU_DEP_2) | instskip(NEXT) | instid1(VALU_DEP_2)
	v_cndmask_b32_e64 v4, 0x7ff00000, v9, s3
	v_cndmask_b32_e64 v5, 0, v7, s2
	s_delay_alu instid0(VALU_DEP_2) | instskip(SKIP_2) | instid1(SALU_CYCLE_1)
	v_cndmask_b32_e64 v3, 0, v4, s4
	v_cndmask_b32_e64 v4, 0, v6, s1
	s_and_b32 s1, s4, s3
	v_cndmask_b32_e64 v2, 0, v8, s1
	s_delay_alu instid0(VALU_DEP_2) | instskip(NEXT) | instid1(VALU_DEP_2)
	v_add_f64 v[6:7], v[4:5], 0
	v_add_f64 v[8:9], v[2:3], 0
	ds_bpermute_b32 v10, v19, v6
	ds_bpermute_b32 v11, v19, v7
	ds_bpermute_b32 v12, v19, v8
	ds_bpermute_b32 v13, v19, v9
	s_waitcnt lgkmcnt(2)
	v_add_f64 v[6:7], v[6:7], v[10:11]
	s_waitcnt lgkmcnt(0)
	v_add_f64 v[8:9], v[8:9], v[12:13]
	ds_bpermute_b32 v10, v20, v6
	ds_bpermute_b32 v11, v20, v7
	ds_bpermute_b32 v12, v20, v8
	ds_bpermute_b32 v13, v20, v9
	s_waitcnt lgkmcnt(2)
	v_add_f64 v[6:7], v[6:7], v[10:11]
	s_waitcnt lgkmcnt(0)
	;; [unrolled: 8-line block ×3, first 2 shown]
	v_add_f64 v[6:7], v[8:9], v[12:13]
	ds_bpermute_b32 v12, v22, v10
	ds_bpermute_b32 v13, v22, v11
	ds_bpermute_b32 v8, v22, v6
	ds_bpermute_b32 v9, v22, v7
	s_and_saveexec_b32 s1, vcc_lo
	s_cbranch_execz .LBB362_10
; %bb.5:
	v_add_co_u32 v0, vcc_lo, s16, v0
	v_add_co_ci_u32_e32 v1, vcc_lo, s17, v1, vcc_lo
	s_and_saveexec_b32 s1, s0
	s_cbranch_execz .LBB362_7
; %bb.6:
	s_waitcnt lgkmcnt(2)
	v_add_f64 v[10:11], v[10:11], v[12:13]
	s_delay_alu instid0(VALU_DEP_1) | instskip(SKIP_1) | instid1(VALU_DEP_2)
	v_div_scale_f64 v[12:13], null, v[10:11], v[10:11], v[4:5]
	v_div_scale_f64 v[19:20], vcc_lo, v[4:5], v[10:11], v[4:5]
	v_rcp_f64_e32 v[15:16], v[12:13]
	s_waitcnt_depctr 0xfff
	v_fma_f64 v[17:18], -v[12:13], v[15:16], 1.0
	s_delay_alu instid0(VALU_DEP_1) | instskip(NEXT) | instid1(VALU_DEP_1)
	v_fma_f64 v[15:16], v[15:16], v[17:18], v[15:16]
	v_fma_f64 v[17:18], -v[12:13], v[15:16], 1.0
	s_delay_alu instid0(VALU_DEP_1) | instskip(NEXT) | instid1(VALU_DEP_1)
	v_fma_f64 v[15:16], v[15:16], v[17:18], v[15:16]
	v_mul_f64 v[17:18], v[19:20], v[15:16]
	s_delay_alu instid0(VALU_DEP_1) | instskip(NEXT) | instid1(VALU_DEP_1)
	v_fma_f64 v[12:13], -v[12:13], v[17:18], v[19:20]
	v_div_fmas_f64 v[12:13], v[12:13], v[15:16], v[17:18]
	v_cmp_neq_f64_e32 vcc_lo, 0, v[10:11]
	s_delay_alu instid0(VALU_DEP_2) | instskip(NEXT) | instid1(VALU_DEP_1)
	v_div_fixup_f64 v[4:5], v[12:13], v[10:11], v[4:5]
	v_cndmask_b32_e32 v5, 0x7ff80000, v5, vcc_lo
	s_delay_alu instid0(VALU_DEP_2)
	v_cndmask_b32_e32 v4, 0, v4, vcc_lo
	global_store_b64 v[0:1], v[4:5], off
.LBB362_7:
	s_or_b32 exec_lo, exec_lo, s1
	v_cmp_ne_u32_e32 vcc_lo, 1, v14
	s_and_b32 exec_lo, exec_lo, vcc_lo
	s_cbranch_execz .LBB362_10
; %bb.8:
	s_and_b32 exec_lo, exec_lo, s0
	s_cbranch_execz .LBB362_10
; %bb.9:
	s_waitcnt lgkmcnt(0)
	v_add_f64 v[4:5], v[6:7], v[8:9]
	s_mov_b32 s23, 0
	s_delay_alu instid0(SALU_CYCLE_1) | instskip(NEXT) | instid1(SALU_CYCLE_1)
	s_lshl_b64 s[0:1], s[22:23], 3
	v_add_co_u32 v0, s0, v0, s0
	s_delay_alu instid0(VALU_DEP_1) | instskip(NEXT) | instid1(VALU_DEP_3)
	v_add_co_ci_u32_e64 v1, s0, s1, v1, s0
	v_div_scale_f64 v[6:7], null, v[4:5], v[4:5], v[2:3]
	v_div_scale_f64 v[12:13], vcc_lo, v[2:3], v[4:5], v[2:3]
	s_delay_alu instid0(VALU_DEP_2) | instskip(SKIP_2) | instid1(VALU_DEP_1)
	v_rcp_f64_e32 v[8:9], v[6:7]
	s_waitcnt_depctr 0xfff
	v_fma_f64 v[10:11], -v[6:7], v[8:9], 1.0
	v_fma_f64 v[8:9], v[8:9], v[10:11], v[8:9]
	s_delay_alu instid0(VALU_DEP_1) | instskip(NEXT) | instid1(VALU_DEP_1)
	v_fma_f64 v[10:11], -v[6:7], v[8:9], 1.0
	v_fma_f64 v[8:9], v[8:9], v[10:11], v[8:9]
	s_delay_alu instid0(VALU_DEP_1) | instskip(NEXT) | instid1(VALU_DEP_1)
	v_mul_f64 v[10:11], v[12:13], v[8:9]
	v_fma_f64 v[6:7], -v[6:7], v[10:11], v[12:13]
	s_delay_alu instid0(VALU_DEP_1) | instskip(SKIP_1) | instid1(VALU_DEP_2)
	v_div_fmas_f64 v[6:7], v[6:7], v[8:9], v[10:11]
	v_cmp_neq_f64_e32 vcc_lo, 0, v[4:5]
	v_div_fixup_f64 v[2:3], v[6:7], v[4:5], v[2:3]
	s_delay_alu instid0(VALU_DEP_1) | instskip(NEXT) | instid1(VALU_DEP_2)
	v_cndmask_b32_e32 v3, 0x7ff80000, v3, vcc_lo
	v_cndmask_b32_e32 v2, 0, v2, vcc_lo
	global_store_b64 v[0:1], v[2:3], off
.LBB362_10:
	s_nop 0
	s_sendmsg sendmsg(MSG_DEALLOC_VGPRS)
	s_endpgm
	.section	.rodata,"a",@progbits
	.p2align	6, 0x0
	.amdhsa_kernel _ZN12_GLOBAL__N_120softmax_warp_forwardIdddLi4ELb0ELb0ELi64EEEvPT0_PKT_iiiPKbib
		.amdhsa_group_segment_fixed_size 0
		.amdhsa_private_segment_fixed_size 0
		.amdhsa_kernarg_size 304
		.amdhsa_user_sgpr_count 15
		.amdhsa_user_sgpr_dispatch_ptr 0
		.amdhsa_user_sgpr_queue_ptr 0
		.amdhsa_user_sgpr_kernarg_segment_ptr 1
		.amdhsa_user_sgpr_dispatch_id 0
		.amdhsa_user_sgpr_private_segment_size 0
		.amdhsa_wavefront_size32 1
		.amdhsa_uses_dynamic_stack 0
		.amdhsa_enable_private_segment 0
		.amdhsa_system_sgpr_workgroup_id_x 1
		.amdhsa_system_sgpr_workgroup_id_y 0
		.amdhsa_system_sgpr_workgroup_id_z 0
		.amdhsa_system_sgpr_workgroup_info 0
		.amdhsa_system_vgpr_workitem_id 1
		.amdhsa_next_free_vgpr 24
		.amdhsa_next_free_sgpr 24
		.amdhsa_reserve_vcc 1
		.amdhsa_float_round_mode_32 0
		.amdhsa_float_round_mode_16_64 0
		.amdhsa_float_denorm_mode_32 3
		.amdhsa_float_denorm_mode_16_64 3
		.amdhsa_dx10_clamp 1
		.amdhsa_ieee_mode 1
		.amdhsa_fp16_overflow 0
		.amdhsa_workgroup_processor_mode 1
		.amdhsa_memory_ordered 1
		.amdhsa_forward_progress 0
		.amdhsa_shared_vgpr_count 0
		.amdhsa_exception_fp_ieee_invalid_op 0
		.amdhsa_exception_fp_denorm_src 0
		.amdhsa_exception_fp_ieee_div_zero 0
		.amdhsa_exception_fp_ieee_overflow 0
		.amdhsa_exception_fp_ieee_underflow 0
		.amdhsa_exception_fp_ieee_inexact 0
		.amdhsa_exception_int_div_zero 0
	.end_amdhsa_kernel
	.section	.text._ZN12_GLOBAL__N_120softmax_warp_forwardIdddLi4ELb0ELb0ELi64EEEvPT0_PKT_iiiPKbib,"axG",@progbits,_ZN12_GLOBAL__N_120softmax_warp_forwardIdddLi4ELb0ELb0ELi64EEEvPT0_PKT_iiiPKbib,comdat
.Lfunc_end362:
	.size	_ZN12_GLOBAL__N_120softmax_warp_forwardIdddLi4ELb0ELb0ELi64EEEvPT0_PKT_iiiPKbib, .Lfunc_end362-_ZN12_GLOBAL__N_120softmax_warp_forwardIdddLi4ELb0ELb0ELi64EEEvPT0_PKT_iiiPKbib
                                        ; -- End function
	.section	.AMDGPU.csdata,"",@progbits
; Kernel info:
; codeLenInByte = 2056
; NumSgprs: 26
; NumVgprs: 24
; ScratchSize: 0
; MemoryBound: 0
; FloatMode: 240
; IeeeMode: 1
; LDSByteSize: 0 bytes/workgroup (compile time only)
; SGPRBlocks: 3
; VGPRBlocks: 2
; NumSGPRsForWavesPerEU: 26
; NumVGPRsForWavesPerEU: 24
; Occupancy: 16
; WaveLimiterHint : 0
; COMPUTE_PGM_RSRC2:SCRATCH_EN: 0
; COMPUTE_PGM_RSRC2:USER_SGPR: 15
; COMPUTE_PGM_RSRC2:TRAP_HANDLER: 0
; COMPUTE_PGM_RSRC2:TGID_X_EN: 1
; COMPUTE_PGM_RSRC2:TGID_Y_EN: 0
; COMPUTE_PGM_RSRC2:TGID_Z_EN: 0
; COMPUTE_PGM_RSRC2:TIDIG_COMP_CNT: 1
	.section	.text._ZN12_GLOBAL__N_120softmax_warp_forwardIdddLi4ELb0ELb0ELi32EEEvPT0_PKT_iiiPKbib,"axG",@progbits,_ZN12_GLOBAL__N_120softmax_warp_forwardIdddLi4ELb0ELb0ELi32EEEvPT0_PKT_iiiPKbib,comdat
	.globl	_ZN12_GLOBAL__N_120softmax_warp_forwardIdddLi4ELb0ELb0ELi32EEEvPT0_PKT_iiiPKbib ; -- Begin function _ZN12_GLOBAL__N_120softmax_warp_forwardIdddLi4ELb0ELb0ELi32EEEvPT0_PKT_iiiPKbib
	.p2align	8
	.type	_ZN12_GLOBAL__N_120softmax_warp_forwardIdddLi4ELb0ELb0ELi32EEEvPT0_PKT_iiiPKbib,@function
_ZN12_GLOBAL__N_120softmax_warp_forwardIdddLi4ELb0ELb0ELi32EEEvPT0_PKT_iiiPKbib: ; @_ZN12_GLOBAL__N_120softmax_warp_forwardIdddLi4ELb0ELb0ELi32EEEvPT0_PKT_iiiPKbib
; %bb.0:
	s_clause 0x1
	s_load_b32 s2, s[0:1], 0x3c
	s_load_b256 s[16:23], s[0:1], 0x0
	v_bfe_u32 v1, v0, 10, 10
	v_and_b32_e32 v4, 0x3ff, v0
	s_waitcnt lgkmcnt(0)
	s_lshr_b32 s0, s2, 16
	s_delay_alu instid0(SALU_CYCLE_1) | instskip(NEXT) | instid1(VALU_DEP_1)
	s_mul_i32 s15, s15, s0
	v_cmp_gt_i32_e64 s0, s22, v4
	v_add_lshl_u32 v2, s15, v1, 1
	s_delay_alu instid0(VALU_DEP_1) | instskip(SKIP_3) | instid1(VALU_DEP_3)
	v_mad_u64_u32 v[0:1], null, v2, s21, v[4:5]
	v_sub_nc_u32_e32 v14, s20, v2
	v_mov_b32_e32 v2, 0
	v_mov_b32_e32 v3, 0xfff00000
	v_cmp_lt_i32_e32 vcc_lo, 0, v14
	v_ashrrev_i32_e32 v1, 31, v0
	s_delay_alu instid0(VALU_DEP_3) | instskip(SKIP_1) | instid1(VALU_DEP_2)
	v_dual_mov_b32 v5, v3 :: v_dual_mov_b32 v4, v2
	s_and_b32 s2, s0, vcc_lo
	v_lshlrev_b64 v[0:1], 3, v[0:1]
	s_delay_alu instid0(VALU_DEP_1) | instskip(NEXT) | instid1(VALU_DEP_1)
	v_add_co_u32 v6, s1, s18, v0
	v_add_co_ci_u32_e64 v7, s1, s19, v1, s1
	s_and_saveexec_b32 s1, s2
	s_cbranch_execz .LBB363_2
; %bb.1:
	global_load_b64 v[4:5], v[6:7], off
.LBB363_2:
	s_or_b32 exec_lo, exec_lo, s1
	v_cmp_lt_i32_e64 s1, 1, v14
	s_delay_alu instid0(VALU_DEP_1) | instskip(NEXT) | instid1(SALU_CYCLE_1)
	s_and_b32 s1, s0, s1
	s_and_saveexec_b32 s2, s1
	s_cbranch_execz .LBB363_4
; %bb.3:
	s_mov_b32 s23, 0
	s_delay_alu instid0(SALU_CYCLE_1) | instskip(NEXT) | instid1(SALU_CYCLE_1)
	s_lshl_b64 s[4:5], s[22:23], 3
	v_add_co_u32 v2, s1, v6, s4
	s_delay_alu instid0(VALU_DEP_1)
	v_add_co_ci_u32_e64 v3, s1, s5, v7, s1
	global_load_b64 v[2:3], v[2:3], off
.LBB363_4:
	s_or_b32 exec_lo, exec_lo, s2
	v_mbcnt_lo_u32_b32 v15, -1, 0
	s_mov_b32 s4, 0x6a5dcb37
	s_mov_b32 s5, 0x3e5ade15
	s_delay_alu instid0(VALU_DEP_1) | instskip(SKIP_3) | instid1(VALU_DEP_4)
	v_and_b32_e32 v6, 16, v15
	v_xor_b32_e32 v7, 8, v15
	v_xor_b32_e32 v10, 4, v15
	;; [unrolled: 1-line block ×3, first 2 shown]
	v_add_nc_u32_e32 v16, 16, v6
	s_delay_alu instid0(VALU_DEP_1) | instskip(NEXT) | instid1(VALU_DEP_4)
	v_cmp_lt_i32_e64 s1, v7, v16
	v_cmp_lt_i32_e64 s3, v10, v16
	s_delay_alu instid0(VALU_DEP_2) | instskip(NEXT) | instid1(VALU_DEP_2)
	v_cndmask_b32_e64 v6, v15, v7, s1
	v_cndmask_b32_e64 v10, v15, v10, s3
	v_cmp_lt_i32_e64 s3, v17, v16
	s_delay_alu instid0(VALU_DEP_3) | instskip(NEXT) | instid1(VALU_DEP_3)
	v_lshlrev_b32_e32 v19, 2, v6
	v_lshlrev_b32_e32 v20, 2, v10
	s_delay_alu instid0(VALU_DEP_3)
	v_cndmask_b32_e64 v17, v15, v17, s3
	s_waitcnt vmcnt(0)
	ds_bpermute_b32 v6, v19, v4
	ds_bpermute_b32 v7, v19, v5
	;; [unrolled: 1-line block ×4, first 2 shown]
	v_lshlrev_b32_e32 v21, 2, v17
	v_xor_b32_e32 v17, 1, v15
	s_delay_alu instid0(VALU_DEP_1) | instskip(NEXT) | instid1(VALU_DEP_1)
	v_cmp_lt_i32_e64 s3, v17, v16
	v_cndmask_b32_e64 v15, v15, v17, s3
	s_delay_alu instid0(VALU_DEP_1) | instskip(SKIP_4) | instid1(VALU_DEP_2)
	v_lshlrev_b32_e32 v22, 2, v15
	s_waitcnt lgkmcnt(2)
	v_cmp_lt_f64_e64 s1, v[4:5], v[6:7]
	s_waitcnt lgkmcnt(0)
	v_cmp_lt_f64_e64 s2, v[2:3], v[8:9]
	v_cndmask_b32_e64 v7, v5, v7, s1
	v_cndmask_b32_e64 v6, v4, v6, s1
	s_delay_alu instid0(VALU_DEP_3)
	v_cndmask_b32_e64 v9, v3, v9, s2
	v_cndmask_b32_e64 v8, v2, v8, s2
	ds_bpermute_b32 v11, v20, v7
	ds_bpermute_b32 v10, v20, v6
	ds_bpermute_b32 v13, v20, v9
	ds_bpermute_b32 v12, v20, v8
	s_waitcnt lgkmcnt(2)
	v_cmp_lt_f64_e64 s1, v[6:7], v[10:11]
	s_waitcnt lgkmcnt(0)
	v_cmp_lt_f64_e64 s2, v[8:9], v[12:13]
	s_delay_alu instid0(VALU_DEP_2) | instskip(SKIP_1) | instid1(VALU_DEP_3)
	v_cndmask_b32_e64 v7, v7, v11, s1
	v_cndmask_b32_e64 v6, v6, v10, s1
	v_cndmask_b32_e64 v9, v9, v13, s2
	v_cndmask_b32_e64 v8, v8, v12, s2
	ds_bpermute_b32 v11, v21, v7
	ds_bpermute_b32 v10, v21, v6
	ds_bpermute_b32 v13, v21, v9
	ds_bpermute_b32 v12, v21, v8
	s_waitcnt lgkmcnt(2)
	v_cmp_lt_f64_e64 s1, v[6:7], v[10:11]
	s_waitcnt lgkmcnt(0)
	v_cmp_lt_f64_e64 s2, v[8:9], v[12:13]
	s_delay_alu instid0(VALU_DEP_2) | instskip(SKIP_1) | instid1(VALU_DEP_3)
	v_cndmask_b32_e64 v7, v7, v11, s1
	v_cndmask_b32_e64 v6, v6, v10, s1
	v_cndmask_b32_e64 v9, v9, v13, s2
	v_cndmask_b32_e64 v8, v8, v12, s2
	ds_bpermute_b32 v11, v22, v7
	ds_bpermute_b32 v10, v22, v6
	ds_bpermute_b32 v13, v22, v9
	ds_bpermute_b32 v12, v22, v8
	s_waitcnt lgkmcnt(2)
	v_cmp_lt_f64_e64 s1, v[6:7], v[10:11]
	s_waitcnt lgkmcnt(0)
	v_cmp_lt_f64_e64 s2, v[8:9], v[12:13]
	s_delay_alu instid0(VALU_DEP_2) | instskip(SKIP_1) | instid1(VALU_DEP_3)
	v_cndmask_b32_e64 v7, v7, v11, s1
	v_cndmask_b32_e64 v6, v6, v10, s1
	v_cndmask_b32_e64 v9, v9, v13, s2
	v_cndmask_b32_e64 v8, v8, v12, s2
	s_mov_b32 s2, 0x652b82fe
	s_mov_b32 s3, 0x3ff71547
	v_add_f64 v[4:5], v[4:5], -v[6:7]
	s_delay_alu instid0(VALU_DEP_2) | instskip(NEXT) | instid1(VALU_DEP_2)
	v_add_f64 v[2:3], v[2:3], -v[8:9]
	v_mul_f64 v[6:7], v[4:5], s[2:3]
	v_cmp_nlt_f64_e64 s1, 0x40900000, v[4:5]
	s_delay_alu instid0(VALU_DEP_3) | instskip(SKIP_2) | instid1(VALU_DEP_3)
	v_mul_f64 v[8:9], v[2:3], s[2:3]
	s_mov_b32 s2, 0xfefa39ef
	s_mov_b32 s3, 0xbfe62e42
	v_rndne_f64_e32 v[6:7], v[6:7]
	s_delay_alu instid0(VALU_DEP_2) | instskip(NEXT) | instid1(VALU_DEP_2)
	v_rndne_f64_e32 v[8:9], v[8:9]
	v_fma_f64 v[10:11], v[6:7], s[2:3], v[4:5]
	v_cvt_i32_f64_e32 v23, v[6:7]
	s_delay_alu instid0(VALU_DEP_3)
	v_fma_f64 v[12:13], v[8:9], s[2:3], v[2:3]
	s_mov_b32 s2, 0x3b39803f
	s_mov_b32 s3, 0xbc7abc9e
	s_delay_alu instid0(VALU_DEP_3) | instid1(SALU_CYCLE_1)
	v_fma_f64 v[10:11], v[6:7], s[2:3], v[10:11]
	s_delay_alu instid0(VALU_DEP_2)
	v_fma_f64 v[12:13], v[8:9], s[2:3], v[12:13]
	s_mov_b32 s2, 0xfca7ab0c
	s_mov_b32 s3, 0x3e928af3
	s_delay_alu instid0(VALU_DEP_2) | instid1(SALU_CYCLE_1)
	v_fma_f64 v[15:16], v[10:11], s[4:5], s[2:3]
	s_delay_alu instid0(VALU_DEP_2) | instskip(SKIP_3) | instid1(VALU_DEP_3)
	v_fma_f64 v[17:18], v[12:13], s[4:5], s[2:3]
	s_mov_b32 s2, 0x623fde64
	s_mov_b32 s3, 0x3ec71dee
	v_cmp_ngt_f64_e64 s4, 0xc090cc00, v[2:3]
	v_fma_f64 v[15:16], v[10:11], v[15:16], s[2:3]
	s_delay_alu instid0(VALU_DEP_3)
	v_fma_f64 v[17:18], v[12:13], v[17:18], s[2:3]
	s_mov_b32 s2, 0x7c89e6b0
	s_mov_b32 s3, 0x3efa0199
	s_delay_alu instid0(VALU_DEP_2) | instid1(SALU_CYCLE_1)
	v_fma_f64 v[15:16], v[10:11], v[15:16], s[2:3]
	s_delay_alu instid0(VALU_DEP_2)
	v_fma_f64 v[17:18], v[12:13], v[17:18], s[2:3]
	s_mov_b32 s2, 0x14761f6e
	s_mov_b32 s3, 0x3f2a01a0
	s_delay_alu instid0(VALU_DEP_2) | instid1(SALU_CYCLE_1)
	v_fma_f64 v[15:16], v[10:11], v[15:16], s[2:3]
	s_delay_alu instid0(VALU_DEP_2)
	;; [unrolled: 6-line block ×6, first 2 shown]
	v_fma_f64 v[17:18], v[12:13], v[17:18], s[2:3]
	s_mov_b32 s2, 11
	s_mov_b32 s3, 0x3fe00000
	s_delay_alu instid0(VALU_DEP_2) | instid1(SALU_CYCLE_1)
	v_fma_f64 v[15:16], v[10:11], v[15:16], s[2:3]
	s_delay_alu instid0(VALU_DEP_2) | instskip(SKIP_2) | instid1(VALU_DEP_4)
	v_fma_f64 v[17:18], v[12:13], v[17:18], s[2:3]
	v_cmp_nlt_f64_e64 s3, 0x40900000, v[2:3]
	v_cmp_ngt_f64_e64 s2, 0xc090cc00, v[4:5]
	v_fma_f64 v[15:16], v[10:11], v[15:16], 1.0
	s_delay_alu instid0(VALU_DEP_4) | instskip(NEXT) | instid1(VALU_DEP_2)
	v_fma_f64 v[17:18], v[12:13], v[17:18], 1.0
	v_fma_f64 v[6:7], v[10:11], v[15:16], 1.0
	v_cvt_i32_f64_e32 v10, v[8:9]
	s_delay_alu instid0(VALU_DEP_3) | instskip(NEXT) | instid1(VALU_DEP_3)
	v_fma_f64 v[8:9], v[12:13], v[17:18], 1.0
	v_ldexp_f64 v[6:7], v[6:7], v23
	s_delay_alu instid0(VALU_DEP_2) | instskip(NEXT) | instid1(VALU_DEP_2)
	v_ldexp_f64 v[8:9], v[8:9], v10
	v_cndmask_b32_e64 v7, 0x7ff00000, v7, s1
	s_and_b32 s1, s2, s1
	s_delay_alu instid0(VALU_DEP_2) | instskip(NEXT) | instid1(VALU_DEP_2)
	v_cndmask_b32_e64 v4, 0x7ff00000, v9, s3
	v_cndmask_b32_e64 v5, 0, v7, s2
	s_delay_alu instid0(VALU_DEP_2) | instskip(SKIP_2) | instid1(SALU_CYCLE_1)
	v_cndmask_b32_e64 v3, 0, v4, s4
	v_cndmask_b32_e64 v4, 0, v6, s1
	s_and_b32 s1, s4, s3
	v_cndmask_b32_e64 v2, 0, v8, s1
	s_delay_alu instid0(VALU_DEP_2) | instskip(NEXT) | instid1(VALU_DEP_2)
	v_add_f64 v[6:7], v[4:5], 0
	v_add_f64 v[8:9], v[2:3], 0
	ds_bpermute_b32 v10, v19, v6
	ds_bpermute_b32 v11, v19, v7
	ds_bpermute_b32 v12, v19, v8
	ds_bpermute_b32 v13, v19, v9
	s_waitcnt lgkmcnt(2)
	v_add_f64 v[6:7], v[6:7], v[10:11]
	s_waitcnt lgkmcnt(0)
	v_add_f64 v[8:9], v[8:9], v[12:13]
	ds_bpermute_b32 v10, v20, v6
	ds_bpermute_b32 v11, v20, v7
	ds_bpermute_b32 v12, v20, v8
	ds_bpermute_b32 v13, v20, v9
	s_waitcnt lgkmcnt(2)
	v_add_f64 v[6:7], v[6:7], v[10:11]
	s_waitcnt lgkmcnt(0)
	;; [unrolled: 8-line block ×3, first 2 shown]
	v_add_f64 v[6:7], v[8:9], v[12:13]
	ds_bpermute_b32 v12, v22, v10
	ds_bpermute_b32 v13, v22, v11
	;; [unrolled: 1-line block ×4, first 2 shown]
	s_and_saveexec_b32 s1, vcc_lo
	s_cbranch_execz .LBB363_10
; %bb.5:
	v_add_co_u32 v0, vcc_lo, s16, v0
	v_add_co_ci_u32_e32 v1, vcc_lo, s17, v1, vcc_lo
	s_and_saveexec_b32 s1, s0
	s_cbranch_execz .LBB363_7
; %bb.6:
	s_waitcnt lgkmcnt(2)
	v_add_f64 v[10:11], v[10:11], v[12:13]
	s_delay_alu instid0(VALU_DEP_1) | instskip(SKIP_1) | instid1(VALU_DEP_2)
	v_div_scale_f64 v[12:13], null, v[10:11], v[10:11], v[4:5]
	v_div_scale_f64 v[19:20], vcc_lo, v[4:5], v[10:11], v[4:5]
	v_rcp_f64_e32 v[15:16], v[12:13]
	s_waitcnt_depctr 0xfff
	v_fma_f64 v[17:18], -v[12:13], v[15:16], 1.0
	s_delay_alu instid0(VALU_DEP_1) | instskip(NEXT) | instid1(VALU_DEP_1)
	v_fma_f64 v[15:16], v[15:16], v[17:18], v[15:16]
	v_fma_f64 v[17:18], -v[12:13], v[15:16], 1.0
	s_delay_alu instid0(VALU_DEP_1) | instskip(NEXT) | instid1(VALU_DEP_1)
	v_fma_f64 v[15:16], v[15:16], v[17:18], v[15:16]
	v_mul_f64 v[17:18], v[19:20], v[15:16]
	s_delay_alu instid0(VALU_DEP_1) | instskip(NEXT) | instid1(VALU_DEP_1)
	v_fma_f64 v[12:13], -v[12:13], v[17:18], v[19:20]
	v_div_fmas_f64 v[12:13], v[12:13], v[15:16], v[17:18]
	v_cmp_neq_f64_e32 vcc_lo, 0, v[10:11]
	s_delay_alu instid0(VALU_DEP_2) | instskip(NEXT) | instid1(VALU_DEP_1)
	v_div_fixup_f64 v[4:5], v[12:13], v[10:11], v[4:5]
	v_cndmask_b32_e32 v5, 0x7ff80000, v5, vcc_lo
	s_delay_alu instid0(VALU_DEP_2)
	v_cndmask_b32_e32 v4, 0, v4, vcc_lo
	global_store_b64 v[0:1], v[4:5], off
.LBB363_7:
	s_or_b32 exec_lo, exec_lo, s1
	v_cmp_ne_u32_e32 vcc_lo, 1, v14
	s_and_b32 exec_lo, exec_lo, vcc_lo
	s_cbranch_execz .LBB363_10
; %bb.8:
	s_and_b32 exec_lo, exec_lo, s0
	s_cbranch_execz .LBB363_10
; %bb.9:
	s_waitcnt lgkmcnt(0)
	v_add_f64 v[4:5], v[6:7], v[8:9]
	s_mov_b32 s23, 0
	s_delay_alu instid0(SALU_CYCLE_1) | instskip(NEXT) | instid1(SALU_CYCLE_1)
	s_lshl_b64 s[0:1], s[22:23], 3
	v_add_co_u32 v0, s0, v0, s0
	s_delay_alu instid0(VALU_DEP_1) | instskip(NEXT) | instid1(VALU_DEP_3)
	v_add_co_ci_u32_e64 v1, s0, s1, v1, s0
	v_div_scale_f64 v[6:7], null, v[4:5], v[4:5], v[2:3]
	v_div_scale_f64 v[12:13], vcc_lo, v[2:3], v[4:5], v[2:3]
	s_delay_alu instid0(VALU_DEP_2) | instskip(SKIP_2) | instid1(VALU_DEP_1)
	v_rcp_f64_e32 v[8:9], v[6:7]
	s_waitcnt_depctr 0xfff
	v_fma_f64 v[10:11], -v[6:7], v[8:9], 1.0
	v_fma_f64 v[8:9], v[8:9], v[10:11], v[8:9]
	s_delay_alu instid0(VALU_DEP_1) | instskip(NEXT) | instid1(VALU_DEP_1)
	v_fma_f64 v[10:11], -v[6:7], v[8:9], 1.0
	v_fma_f64 v[8:9], v[8:9], v[10:11], v[8:9]
	s_delay_alu instid0(VALU_DEP_1) | instskip(NEXT) | instid1(VALU_DEP_1)
	v_mul_f64 v[10:11], v[12:13], v[8:9]
	v_fma_f64 v[6:7], -v[6:7], v[10:11], v[12:13]
	s_delay_alu instid0(VALU_DEP_1) | instskip(SKIP_1) | instid1(VALU_DEP_2)
	v_div_fmas_f64 v[6:7], v[6:7], v[8:9], v[10:11]
	v_cmp_neq_f64_e32 vcc_lo, 0, v[4:5]
	v_div_fixup_f64 v[2:3], v[6:7], v[4:5], v[2:3]
	s_delay_alu instid0(VALU_DEP_1) | instskip(NEXT) | instid1(VALU_DEP_2)
	v_cndmask_b32_e32 v3, 0x7ff80000, v3, vcc_lo
	v_cndmask_b32_e32 v2, 0, v2, vcc_lo
	global_store_b64 v[0:1], v[2:3], off
.LBB363_10:
	s_nop 0
	s_sendmsg sendmsg(MSG_DEALLOC_VGPRS)
	s_endpgm
	.section	.rodata,"a",@progbits
	.p2align	6, 0x0
	.amdhsa_kernel _ZN12_GLOBAL__N_120softmax_warp_forwardIdddLi4ELb0ELb0ELi32EEEvPT0_PKT_iiiPKbib
		.amdhsa_group_segment_fixed_size 0
		.amdhsa_private_segment_fixed_size 0
		.amdhsa_kernarg_size 304
		.amdhsa_user_sgpr_count 15
		.amdhsa_user_sgpr_dispatch_ptr 0
		.amdhsa_user_sgpr_queue_ptr 0
		.amdhsa_user_sgpr_kernarg_segment_ptr 1
		.amdhsa_user_sgpr_dispatch_id 0
		.amdhsa_user_sgpr_private_segment_size 0
		.amdhsa_wavefront_size32 1
		.amdhsa_uses_dynamic_stack 0
		.amdhsa_enable_private_segment 0
		.amdhsa_system_sgpr_workgroup_id_x 1
		.amdhsa_system_sgpr_workgroup_id_y 0
		.amdhsa_system_sgpr_workgroup_id_z 0
		.amdhsa_system_sgpr_workgroup_info 0
		.amdhsa_system_vgpr_workitem_id 1
		.amdhsa_next_free_vgpr 24
		.amdhsa_next_free_sgpr 24
		.amdhsa_reserve_vcc 1
		.amdhsa_float_round_mode_32 0
		.amdhsa_float_round_mode_16_64 0
		.amdhsa_float_denorm_mode_32 3
		.amdhsa_float_denorm_mode_16_64 3
		.amdhsa_dx10_clamp 1
		.amdhsa_ieee_mode 1
		.amdhsa_fp16_overflow 0
		.amdhsa_workgroup_processor_mode 1
		.amdhsa_memory_ordered 1
		.amdhsa_forward_progress 0
		.amdhsa_shared_vgpr_count 0
		.amdhsa_exception_fp_ieee_invalid_op 0
		.amdhsa_exception_fp_denorm_src 0
		.amdhsa_exception_fp_ieee_div_zero 0
		.amdhsa_exception_fp_ieee_overflow 0
		.amdhsa_exception_fp_ieee_underflow 0
		.amdhsa_exception_fp_ieee_inexact 0
		.amdhsa_exception_int_div_zero 0
	.end_amdhsa_kernel
	.section	.text._ZN12_GLOBAL__N_120softmax_warp_forwardIdddLi4ELb0ELb0ELi32EEEvPT0_PKT_iiiPKbib,"axG",@progbits,_ZN12_GLOBAL__N_120softmax_warp_forwardIdddLi4ELb0ELb0ELi32EEEvPT0_PKT_iiiPKbib,comdat
.Lfunc_end363:
	.size	_ZN12_GLOBAL__N_120softmax_warp_forwardIdddLi4ELb0ELb0ELi32EEEvPT0_PKT_iiiPKbib, .Lfunc_end363-_ZN12_GLOBAL__N_120softmax_warp_forwardIdddLi4ELb0ELb0ELi32EEEvPT0_PKT_iiiPKbib
                                        ; -- End function
	.section	.AMDGPU.csdata,"",@progbits
; Kernel info:
; codeLenInByte = 2056
; NumSgprs: 26
; NumVgprs: 24
; ScratchSize: 0
; MemoryBound: 0
; FloatMode: 240
; IeeeMode: 1
; LDSByteSize: 0 bytes/workgroup (compile time only)
; SGPRBlocks: 3
; VGPRBlocks: 2
; NumSGPRsForWavesPerEU: 26
; NumVGPRsForWavesPerEU: 24
; Occupancy: 16
; WaveLimiterHint : 0
; COMPUTE_PGM_RSRC2:SCRATCH_EN: 0
; COMPUTE_PGM_RSRC2:USER_SGPR: 15
; COMPUTE_PGM_RSRC2:TRAP_HANDLER: 0
; COMPUTE_PGM_RSRC2:TGID_X_EN: 1
; COMPUTE_PGM_RSRC2:TGID_Y_EN: 0
; COMPUTE_PGM_RSRC2:TGID_Z_EN: 0
; COMPUTE_PGM_RSRC2:TIDIG_COMP_CNT: 1
	.section	.text._ZN12_GLOBAL__N_120softmax_warp_forwardIdddLi5ELb0ELb0ELi64EEEvPT0_PKT_iiiPKbib,"axG",@progbits,_ZN12_GLOBAL__N_120softmax_warp_forwardIdddLi5ELb0ELb0ELi64EEEvPT0_PKT_iiiPKbib,comdat
	.globl	_ZN12_GLOBAL__N_120softmax_warp_forwardIdddLi5ELb0ELb0ELi64EEEvPT0_PKT_iiiPKbib ; -- Begin function _ZN12_GLOBAL__N_120softmax_warp_forwardIdddLi5ELb0ELb0ELi64EEEvPT0_PKT_iiiPKbib
	.p2align	8
	.type	_ZN12_GLOBAL__N_120softmax_warp_forwardIdddLi5ELb0ELb0ELi64EEEvPT0_PKT_iiiPKbib,@function
_ZN12_GLOBAL__N_120softmax_warp_forwardIdddLi5ELb0ELb0ELi64EEEvPT0_PKT_iiiPKbib: ; @_ZN12_GLOBAL__N_120softmax_warp_forwardIdddLi5ELb0ELb0ELi64EEEvPT0_PKT_iiiPKbib
; %bb.0:
	s_clause 0x1
	s_load_b32 s2, s[0:1], 0x3c
	s_load_b256 s[16:23], s[0:1], 0x0
	v_bfe_u32 v1, v0, 10, 10
	v_and_b32_e32 v4, 0x3ff, v0
	s_waitcnt lgkmcnt(0)
	s_lshr_b32 s0, s2, 16
	s_delay_alu instid0(SALU_CYCLE_1) | instskip(NEXT) | instid1(VALU_DEP_1)
	s_mul_i32 s15, s15, s0
	v_cmp_gt_i32_e64 s0, s22, v4
	v_add_lshl_u32 v2, s15, v1, 1
	s_delay_alu instid0(VALU_DEP_1) | instskip(SKIP_3) | instid1(VALU_DEP_3)
	v_mad_u64_u32 v[0:1], null, v2, s21, v[4:5]
	v_sub_nc_u32_e32 v14, s20, v2
	v_mov_b32_e32 v2, 0
	v_mov_b32_e32 v3, 0xfff00000
	v_cmp_lt_i32_e32 vcc_lo, 0, v14
	v_ashrrev_i32_e32 v1, 31, v0
	s_delay_alu instid0(VALU_DEP_3) | instskip(SKIP_1) | instid1(VALU_DEP_2)
	v_dual_mov_b32 v5, v3 :: v_dual_mov_b32 v4, v2
	s_and_b32 s2, s0, vcc_lo
	v_lshlrev_b64 v[0:1], 3, v[0:1]
	s_delay_alu instid0(VALU_DEP_1) | instskip(NEXT) | instid1(VALU_DEP_1)
	v_add_co_u32 v6, s1, s18, v0
	v_add_co_ci_u32_e64 v7, s1, s19, v1, s1
	s_and_saveexec_b32 s1, s2
	s_cbranch_execz .LBB364_2
; %bb.1:
	global_load_b64 v[4:5], v[6:7], off
.LBB364_2:
	s_or_b32 exec_lo, exec_lo, s1
	v_cmp_lt_i32_e64 s1, 1, v14
	s_delay_alu instid0(VALU_DEP_1) | instskip(NEXT) | instid1(SALU_CYCLE_1)
	s_and_b32 s1, s0, s1
	s_and_saveexec_b32 s2, s1
	s_cbranch_execz .LBB364_4
; %bb.3:
	s_mov_b32 s23, 0
	s_delay_alu instid0(SALU_CYCLE_1) | instskip(NEXT) | instid1(SALU_CYCLE_1)
	s_lshl_b64 s[4:5], s[22:23], 3
	v_add_co_u32 v2, s1, v6, s4
	s_delay_alu instid0(VALU_DEP_1)
	v_add_co_ci_u32_e64 v3, s1, s5, v7, s1
	global_load_b64 v[2:3], v[2:3], off
.LBB364_4:
	s_or_b32 exec_lo, exec_lo, s2
	v_mbcnt_lo_u32_b32 v15, -1, 0
	s_mov_b32 s4, 0x6a5dcb37
	s_mov_b32 s5, 0x3e5ade15
	s_delay_alu instid0(VALU_DEP_1) | instskip(SKIP_2) | instid1(VALU_DEP_3)
	v_xor_b32_e32 v6, 16, v15
	v_xor_b32_e32 v10, 8, v15
	;; [unrolled: 1-line block ×3, first 2 shown]
	v_cmp_gt_i32_e64 s1, 32, v6
	s_delay_alu instid0(VALU_DEP_3) | instskip(NEXT) | instid1(VALU_DEP_2)
	v_cmp_gt_i32_e64 s3, 32, v10
	v_cndmask_b32_e64 v6, v15, v6, s1
	s_delay_alu instid0(VALU_DEP_2) | instskip(SKIP_1) | instid1(VALU_DEP_3)
	v_cndmask_b32_e64 v10, v15, v10, s3
	v_cmp_gt_i32_e64 s3, 32, v16
	v_lshlrev_b32_e32 v19, 2, v6
	s_delay_alu instid0(VALU_DEP_3) | instskip(NEXT) | instid1(VALU_DEP_3)
	v_lshlrev_b32_e32 v20, 2, v10
	v_cndmask_b32_e64 v16, v15, v16, s3
	s_waitcnt vmcnt(0)
	ds_bpermute_b32 v6, v19, v4
	ds_bpermute_b32 v7, v19, v5
	;; [unrolled: 1-line block ×4, first 2 shown]
	v_lshlrev_b32_e32 v21, 2, v16
	v_xor_b32_e32 v16, 2, v15
	s_delay_alu instid0(VALU_DEP_1) | instskip(NEXT) | instid1(VALU_DEP_1)
	v_cmp_gt_i32_e64 s3, 32, v16
	v_cndmask_b32_e64 v16, v15, v16, s3
	s_delay_alu instid0(VALU_DEP_1)
	v_lshlrev_b32_e32 v22, 2, v16
	s_waitcnt lgkmcnt(2)
	v_cmp_lt_f64_e64 s1, v[4:5], v[6:7]
	v_xor_b32_e32 v16, 1, v15
	s_waitcnt lgkmcnt(0)
	v_cmp_lt_f64_e64 s2, v[2:3], v[8:9]
	s_delay_alu instid0(VALU_DEP_2) | instskip(NEXT) | instid1(VALU_DEP_1)
	v_cmp_gt_i32_e64 s3, 32, v16
	v_cndmask_b32_e64 v15, v15, v16, s3
	s_delay_alu instid0(VALU_DEP_1)
	v_lshlrev_b32_e32 v23, 2, v15
	v_cndmask_b32_e64 v7, v5, v7, s1
	v_cndmask_b32_e64 v6, v4, v6, s1
	v_cndmask_b32_e64 v9, v3, v9, s2
	v_cndmask_b32_e64 v8, v2, v8, s2
	ds_bpermute_b32 v11, v20, v7
	ds_bpermute_b32 v10, v20, v6
	ds_bpermute_b32 v13, v20, v9
	ds_bpermute_b32 v12, v20, v8
	s_waitcnt lgkmcnt(2)
	v_cmp_lt_f64_e64 s1, v[6:7], v[10:11]
	s_waitcnt lgkmcnt(0)
	v_cmp_lt_f64_e64 s2, v[8:9], v[12:13]
	s_delay_alu instid0(VALU_DEP_2) | instskip(SKIP_1) | instid1(VALU_DEP_3)
	v_cndmask_b32_e64 v7, v7, v11, s1
	v_cndmask_b32_e64 v6, v6, v10, s1
	v_cndmask_b32_e64 v9, v9, v13, s2
	v_cndmask_b32_e64 v8, v8, v12, s2
	ds_bpermute_b32 v11, v21, v7
	ds_bpermute_b32 v10, v21, v6
	ds_bpermute_b32 v13, v21, v9
	ds_bpermute_b32 v12, v21, v8
	s_waitcnt lgkmcnt(2)
	v_cmp_lt_f64_e64 s1, v[6:7], v[10:11]
	s_waitcnt lgkmcnt(0)
	v_cmp_lt_f64_e64 s2, v[8:9], v[12:13]
	s_delay_alu instid0(VALU_DEP_2) | instskip(SKIP_1) | instid1(VALU_DEP_3)
	;; [unrolled: 13-line block ×4, first 2 shown]
	v_cndmask_b32_e64 v7, v7, v11, s1
	v_cndmask_b32_e64 v6, v6, v10, s1
	;; [unrolled: 1-line block ×4, first 2 shown]
	s_mov_b32 s2, 0x652b82fe
	s_mov_b32 s3, 0x3ff71547
	v_add_f64 v[4:5], v[4:5], -v[6:7]
	s_delay_alu instid0(VALU_DEP_2) | instskip(NEXT) | instid1(VALU_DEP_2)
	v_add_f64 v[2:3], v[2:3], -v[8:9]
	v_mul_f64 v[6:7], v[4:5], s[2:3]
	v_cmp_nlt_f64_e64 s1, 0x40900000, v[4:5]
	s_delay_alu instid0(VALU_DEP_3) | instskip(SKIP_2) | instid1(VALU_DEP_3)
	v_mul_f64 v[8:9], v[2:3], s[2:3]
	s_mov_b32 s2, 0xfefa39ef
	s_mov_b32 s3, 0xbfe62e42
	v_rndne_f64_e32 v[6:7], v[6:7]
	s_delay_alu instid0(VALU_DEP_2) | instskip(NEXT) | instid1(VALU_DEP_2)
	v_rndne_f64_e32 v[8:9], v[8:9]
	v_fma_f64 v[10:11], v[6:7], s[2:3], v[4:5]
	v_cvt_i32_f64_e32 v24, v[6:7]
	s_delay_alu instid0(VALU_DEP_3)
	v_fma_f64 v[12:13], v[8:9], s[2:3], v[2:3]
	s_mov_b32 s2, 0x3b39803f
	s_mov_b32 s3, 0xbc7abc9e
	s_delay_alu instid0(VALU_DEP_3) | instid1(SALU_CYCLE_1)
	v_fma_f64 v[10:11], v[6:7], s[2:3], v[10:11]
	s_delay_alu instid0(VALU_DEP_2)
	v_fma_f64 v[12:13], v[8:9], s[2:3], v[12:13]
	s_mov_b32 s2, 0xfca7ab0c
	s_mov_b32 s3, 0x3e928af3
	s_delay_alu instid0(VALU_DEP_2) | instid1(SALU_CYCLE_1)
	v_fma_f64 v[15:16], v[10:11], s[4:5], s[2:3]
	s_delay_alu instid0(VALU_DEP_2) | instskip(SKIP_3) | instid1(VALU_DEP_3)
	v_fma_f64 v[17:18], v[12:13], s[4:5], s[2:3]
	s_mov_b32 s2, 0x623fde64
	s_mov_b32 s3, 0x3ec71dee
	v_cmp_ngt_f64_e64 s4, 0xc090cc00, v[2:3]
	v_fma_f64 v[15:16], v[10:11], v[15:16], s[2:3]
	s_delay_alu instid0(VALU_DEP_3)
	v_fma_f64 v[17:18], v[12:13], v[17:18], s[2:3]
	s_mov_b32 s2, 0x7c89e6b0
	s_mov_b32 s3, 0x3efa0199
	s_delay_alu instid0(VALU_DEP_2) | instid1(SALU_CYCLE_1)
	v_fma_f64 v[15:16], v[10:11], v[15:16], s[2:3]
	s_delay_alu instid0(VALU_DEP_2)
	v_fma_f64 v[17:18], v[12:13], v[17:18], s[2:3]
	s_mov_b32 s2, 0x14761f6e
	s_mov_b32 s3, 0x3f2a01a0
	s_delay_alu instid0(VALU_DEP_2) | instid1(SALU_CYCLE_1)
	v_fma_f64 v[15:16], v[10:11], v[15:16], s[2:3]
	s_delay_alu instid0(VALU_DEP_2)
	;; [unrolled: 6-line block ×6, first 2 shown]
	v_fma_f64 v[17:18], v[12:13], v[17:18], s[2:3]
	s_mov_b32 s2, 11
	s_mov_b32 s3, 0x3fe00000
	s_delay_alu instid0(VALU_DEP_2) | instid1(SALU_CYCLE_1)
	v_fma_f64 v[15:16], v[10:11], v[15:16], s[2:3]
	s_delay_alu instid0(VALU_DEP_2) | instskip(SKIP_2) | instid1(VALU_DEP_4)
	v_fma_f64 v[17:18], v[12:13], v[17:18], s[2:3]
	v_cmp_nlt_f64_e64 s3, 0x40900000, v[2:3]
	v_cmp_ngt_f64_e64 s2, 0xc090cc00, v[4:5]
	v_fma_f64 v[15:16], v[10:11], v[15:16], 1.0
	s_delay_alu instid0(VALU_DEP_4) | instskip(NEXT) | instid1(VALU_DEP_2)
	v_fma_f64 v[17:18], v[12:13], v[17:18], 1.0
	v_fma_f64 v[6:7], v[10:11], v[15:16], 1.0
	v_cvt_i32_f64_e32 v10, v[8:9]
	s_delay_alu instid0(VALU_DEP_3) | instskip(NEXT) | instid1(VALU_DEP_3)
	v_fma_f64 v[8:9], v[12:13], v[17:18], 1.0
	v_ldexp_f64 v[6:7], v[6:7], v24
	s_delay_alu instid0(VALU_DEP_2) | instskip(NEXT) | instid1(VALU_DEP_2)
	v_ldexp_f64 v[8:9], v[8:9], v10
	v_cndmask_b32_e64 v7, 0x7ff00000, v7, s1
	s_and_b32 s1, s2, s1
	s_delay_alu instid0(VALU_DEP_2) | instskip(NEXT) | instid1(VALU_DEP_2)
	v_cndmask_b32_e64 v4, 0x7ff00000, v9, s3
	v_cndmask_b32_e64 v5, 0, v7, s2
	s_delay_alu instid0(VALU_DEP_2) | instskip(SKIP_2) | instid1(SALU_CYCLE_1)
	v_cndmask_b32_e64 v3, 0, v4, s4
	v_cndmask_b32_e64 v4, 0, v6, s1
	s_and_b32 s1, s4, s3
	v_cndmask_b32_e64 v2, 0, v8, s1
	s_delay_alu instid0(VALU_DEP_2) | instskip(NEXT) | instid1(VALU_DEP_2)
	v_add_f64 v[6:7], v[4:5], 0
	v_add_f64 v[8:9], v[2:3], 0
	ds_bpermute_b32 v10, v19, v6
	ds_bpermute_b32 v11, v19, v7
	ds_bpermute_b32 v12, v19, v8
	ds_bpermute_b32 v13, v19, v9
	s_waitcnt lgkmcnt(2)
	v_add_f64 v[6:7], v[6:7], v[10:11]
	s_waitcnt lgkmcnt(0)
	v_add_f64 v[8:9], v[8:9], v[12:13]
	ds_bpermute_b32 v10, v20, v6
	ds_bpermute_b32 v11, v20, v7
	ds_bpermute_b32 v12, v20, v8
	ds_bpermute_b32 v13, v20, v9
	s_waitcnt lgkmcnt(2)
	v_add_f64 v[6:7], v[6:7], v[10:11]
	s_waitcnt lgkmcnt(0)
	;; [unrolled: 8-line block ×4, first 2 shown]
	v_add_f64 v[6:7], v[8:9], v[12:13]
	ds_bpermute_b32 v12, v23, v10
	ds_bpermute_b32 v13, v23, v11
	;; [unrolled: 1-line block ×4, first 2 shown]
	s_and_saveexec_b32 s1, vcc_lo
	s_cbranch_execz .LBB364_10
; %bb.5:
	v_add_co_u32 v0, vcc_lo, s16, v0
	v_add_co_ci_u32_e32 v1, vcc_lo, s17, v1, vcc_lo
	s_and_saveexec_b32 s1, s0
	s_cbranch_execz .LBB364_7
; %bb.6:
	s_waitcnt lgkmcnt(2)
	v_add_f64 v[10:11], v[10:11], v[12:13]
	s_delay_alu instid0(VALU_DEP_1) | instskip(SKIP_1) | instid1(VALU_DEP_2)
	v_div_scale_f64 v[12:13], null, v[10:11], v[10:11], v[4:5]
	v_div_scale_f64 v[19:20], vcc_lo, v[4:5], v[10:11], v[4:5]
	v_rcp_f64_e32 v[15:16], v[12:13]
	s_waitcnt_depctr 0xfff
	v_fma_f64 v[17:18], -v[12:13], v[15:16], 1.0
	s_delay_alu instid0(VALU_DEP_1) | instskip(NEXT) | instid1(VALU_DEP_1)
	v_fma_f64 v[15:16], v[15:16], v[17:18], v[15:16]
	v_fma_f64 v[17:18], -v[12:13], v[15:16], 1.0
	s_delay_alu instid0(VALU_DEP_1) | instskip(NEXT) | instid1(VALU_DEP_1)
	v_fma_f64 v[15:16], v[15:16], v[17:18], v[15:16]
	v_mul_f64 v[17:18], v[19:20], v[15:16]
	s_delay_alu instid0(VALU_DEP_1) | instskip(NEXT) | instid1(VALU_DEP_1)
	v_fma_f64 v[12:13], -v[12:13], v[17:18], v[19:20]
	v_div_fmas_f64 v[12:13], v[12:13], v[15:16], v[17:18]
	v_cmp_neq_f64_e32 vcc_lo, 0, v[10:11]
	s_delay_alu instid0(VALU_DEP_2) | instskip(NEXT) | instid1(VALU_DEP_1)
	v_div_fixup_f64 v[4:5], v[12:13], v[10:11], v[4:5]
	v_cndmask_b32_e32 v5, 0x7ff80000, v5, vcc_lo
	s_delay_alu instid0(VALU_DEP_2)
	v_cndmask_b32_e32 v4, 0, v4, vcc_lo
	global_store_b64 v[0:1], v[4:5], off
.LBB364_7:
	s_or_b32 exec_lo, exec_lo, s1
	v_cmp_ne_u32_e32 vcc_lo, 1, v14
	s_and_b32 exec_lo, exec_lo, vcc_lo
	s_cbranch_execz .LBB364_10
; %bb.8:
	s_and_b32 exec_lo, exec_lo, s0
	s_cbranch_execz .LBB364_10
; %bb.9:
	s_waitcnt lgkmcnt(0)
	v_add_f64 v[4:5], v[6:7], v[8:9]
	s_mov_b32 s23, 0
	s_delay_alu instid0(SALU_CYCLE_1) | instskip(NEXT) | instid1(SALU_CYCLE_1)
	s_lshl_b64 s[0:1], s[22:23], 3
	v_add_co_u32 v0, s0, v0, s0
	s_delay_alu instid0(VALU_DEP_1) | instskip(NEXT) | instid1(VALU_DEP_3)
	v_add_co_ci_u32_e64 v1, s0, s1, v1, s0
	v_div_scale_f64 v[6:7], null, v[4:5], v[4:5], v[2:3]
	v_div_scale_f64 v[12:13], vcc_lo, v[2:3], v[4:5], v[2:3]
	s_delay_alu instid0(VALU_DEP_2) | instskip(SKIP_2) | instid1(VALU_DEP_1)
	v_rcp_f64_e32 v[8:9], v[6:7]
	s_waitcnt_depctr 0xfff
	v_fma_f64 v[10:11], -v[6:7], v[8:9], 1.0
	v_fma_f64 v[8:9], v[8:9], v[10:11], v[8:9]
	s_delay_alu instid0(VALU_DEP_1) | instskip(NEXT) | instid1(VALU_DEP_1)
	v_fma_f64 v[10:11], -v[6:7], v[8:9], 1.0
	v_fma_f64 v[8:9], v[8:9], v[10:11], v[8:9]
	s_delay_alu instid0(VALU_DEP_1) | instskip(NEXT) | instid1(VALU_DEP_1)
	v_mul_f64 v[10:11], v[12:13], v[8:9]
	v_fma_f64 v[6:7], -v[6:7], v[10:11], v[12:13]
	s_delay_alu instid0(VALU_DEP_1) | instskip(SKIP_1) | instid1(VALU_DEP_2)
	v_div_fmas_f64 v[6:7], v[6:7], v[8:9], v[10:11]
	v_cmp_neq_f64_e32 vcc_lo, 0, v[4:5]
	v_div_fixup_f64 v[2:3], v[6:7], v[4:5], v[2:3]
	s_delay_alu instid0(VALU_DEP_1) | instskip(NEXT) | instid1(VALU_DEP_2)
	v_cndmask_b32_e32 v3, 0x7ff80000, v3, vcc_lo
	v_cndmask_b32_e32 v2, 0, v2, vcc_lo
	global_store_b64 v[0:1], v[2:3], off
.LBB364_10:
	s_nop 0
	s_sendmsg sendmsg(MSG_DEALLOC_VGPRS)
	s_endpgm
	.section	.rodata,"a",@progbits
	.p2align	6, 0x0
	.amdhsa_kernel _ZN12_GLOBAL__N_120softmax_warp_forwardIdddLi5ELb0ELb0ELi64EEEvPT0_PKT_iiiPKbib
		.amdhsa_group_segment_fixed_size 0
		.amdhsa_private_segment_fixed_size 0
		.amdhsa_kernarg_size 304
		.amdhsa_user_sgpr_count 15
		.amdhsa_user_sgpr_dispatch_ptr 0
		.amdhsa_user_sgpr_queue_ptr 0
		.amdhsa_user_sgpr_kernarg_segment_ptr 1
		.amdhsa_user_sgpr_dispatch_id 0
		.amdhsa_user_sgpr_private_segment_size 0
		.amdhsa_wavefront_size32 1
		.amdhsa_uses_dynamic_stack 0
		.amdhsa_enable_private_segment 0
		.amdhsa_system_sgpr_workgroup_id_x 1
		.amdhsa_system_sgpr_workgroup_id_y 0
		.amdhsa_system_sgpr_workgroup_id_z 0
		.amdhsa_system_sgpr_workgroup_info 0
		.amdhsa_system_vgpr_workitem_id 1
		.amdhsa_next_free_vgpr 25
		.amdhsa_next_free_sgpr 24
		.amdhsa_reserve_vcc 1
		.amdhsa_float_round_mode_32 0
		.amdhsa_float_round_mode_16_64 0
		.amdhsa_float_denorm_mode_32 3
		.amdhsa_float_denorm_mode_16_64 3
		.amdhsa_dx10_clamp 1
		.amdhsa_ieee_mode 1
		.amdhsa_fp16_overflow 0
		.amdhsa_workgroup_processor_mode 1
		.amdhsa_memory_ordered 1
		.amdhsa_forward_progress 0
		.amdhsa_shared_vgpr_count 0
		.amdhsa_exception_fp_ieee_invalid_op 0
		.amdhsa_exception_fp_denorm_src 0
		.amdhsa_exception_fp_ieee_div_zero 0
		.amdhsa_exception_fp_ieee_overflow 0
		.amdhsa_exception_fp_ieee_underflow 0
		.amdhsa_exception_fp_ieee_inexact 0
		.amdhsa_exception_int_div_zero 0
	.end_amdhsa_kernel
	.section	.text._ZN12_GLOBAL__N_120softmax_warp_forwardIdddLi5ELb0ELb0ELi64EEEvPT0_PKT_iiiPKbib,"axG",@progbits,_ZN12_GLOBAL__N_120softmax_warp_forwardIdddLi5ELb0ELb0ELi64EEEvPT0_PKT_iiiPKbib,comdat
.Lfunc_end364:
	.size	_ZN12_GLOBAL__N_120softmax_warp_forwardIdddLi5ELb0ELb0ELi64EEEvPT0_PKT_iiiPKbib, .Lfunc_end364-_ZN12_GLOBAL__N_120softmax_warp_forwardIdddLi5ELb0ELb0ELi64EEEvPT0_PKT_iiiPKbib
                                        ; -- End function
	.section	.AMDGPU.csdata,"",@progbits
; Kernel info:
; codeLenInByte = 2220
; NumSgprs: 26
; NumVgprs: 25
; ScratchSize: 0
; MemoryBound: 0
; FloatMode: 240
; IeeeMode: 1
; LDSByteSize: 0 bytes/workgroup (compile time only)
; SGPRBlocks: 3
; VGPRBlocks: 3
; NumSGPRsForWavesPerEU: 26
; NumVGPRsForWavesPerEU: 25
; Occupancy: 16
; WaveLimiterHint : 0
; COMPUTE_PGM_RSRC2:SCRATCH_EN: 0
; COMPUTE_PGM_RSRC2:USER_SGPR: 15
; COMPUTE_PGM_RSRC2:TRAP_HANDLER: 0
; COMPUTE_PGM_RSRC2:TGID_X_EN: 1
; COMPUTE_PGM_RSRC2:TGID_Y_EN: 0
; COMPUTE_PGM_RSRC2:TGID_Z_EN: 0
; COMPUTE_PGM_RSRC2:TIDIG_COMP_CNT: 1
	.section	.text._ZN12_GLOBAL__N_120softmax_warp_forwardIdddLi5ELb0ELb0ELi32EEEvPT0_PKT_iiiPKbib,"axG",@progbits,_ZN12_GLOBAL__N_120softmax_warp_forwardIdddLi5ELb0ELb0ELi32EEEvPT0_PKT_iiiPKbib,comdat
	.globl	_ZN12_GLOBAL__N_120softmax_warp_forwardIdddLi5ELb0ELb0ELi32EEEvPT0_PKT_iiiPKbib ; -- Begin function _ZN12_GLOBAL__N_120softmax_warp_forwardIdddLi5ELb0ELb0ELi32EEEvPT0_PKT_iiiPKbib
	.p2align	8
	.type	_ZN12_GLOBAL__N_120softmax_warp_forwardIdddLi5ELb0ELb0ELi32EEEvPT0_PKT_iiiPKbib,@function
_ZN12_GLOBAL__N_120softmax_warp_forwardIdddLi5ELb0ELb0ELi32EEEvPT0_PKT_iiiPKbib: ; @_ZN12_GLOBAL__N_120softmax_warp_forwardIdddLi5ELb0ELb0ELi32EEEvPT0_PKT_iiiPKbib
; %bb.0:
	s_clause 0x1
	s_load_b32 s2, s[0:1], 0x3c
	s_load_b256 s[16:23], s[0:1], 0x0
	v_bfe_u32 v1, v0, 10, 10
	v_and_b32_e32 v4, 0x3ff, v0
	s_waitcnt lgkmcnt(0)
	s_lshr_b32 s0, s2, 16
	s_delay_alu instid0(SALU_CYCLE_1) | instskip(NEXT) | instid1(VALU_DEP_1)
	s_mul_i32 s15, s15, s0
	v_cmp_gt_i32_e64 s0, s22, v4
	v_add_lshl_u32 v2, s15, v1, 1
	s_delay_alu instid0(VALU_DEP_1) | instskip(SKIP_3) | instid1(VALU_DEP_3)
	v_mad_u64_u32 v[0:1], null, v2, s21, v[4:5]
	v_sub_nc_u32_e32 v14, s20, v2
	v_mov_b32_e32 v2, 0
	v_mov_b32_e32 v3, 0xfff00000
	v_cmp_lt_i32_e32 vcc_lo, 0, v14
	v_ashrrev_i32_e32 v1, 31, v0
	s_delay_alu instid0(VALU_DEP_3) | instskip(SKIP_1) | instid1(VALU_DEP_2)
	v_dual_mov_b32 v5, v3 :: v_dual_mov_b32 v4, v2
	s_and_b32 s2, s0, vcc_lo
	v_lshlrev_b64 v[0:1], 3, v[0:1]
	s_delay_alu instid0(VALU_DEP_1) | instskip(NEXT) | instid1(VALU_DEP_1)
	v_add_co_u32 v6, s1, s18, v0
	v_add_co_ci_u32_e64 v7, s1, s19, v1, s1
	s_and_saveexec_b32 s1, s2
	s_cbranch_execz .LBB365_2
; %bb.1:
	global_load_b64 v[4:5], v[6:7], off
.LBB365_2:
	s_or_b32 exec_lo, exec_lo, s1
	v_cmp_lt_i32_e64 s1, 1, v14
	s_delay_alu instid0(VALU_DEP_1) | instskip(NEXT) | instid1(SALU_CYCLE_1)
	s_and_b32 s1, s0, s1
	s_and_saveexec_b32 s2, s1
	s_cbranch_execz .LBB365_4
; %bb.3:
	s_mov_b32 s23, 0
	s_delay_alu instid0(SALU_CYCLE_1) | instskip(NEXT) | instid1(SALU_CYCLE_1)
	s_lshl_b64 s[4:5], s[22:23], 3
	v_add_co_u32 v2, s1, v6, s4
	s_delay_alu instid0(VALU_DEP_1)
	v_add_co_ci_u32_e64 v3, s1, s5, v7, s1
	global_load_b64 v[2:3], v[2:3], off
.LBB365_4:
	s_or_b32 exec_lo, exec_lo, s2
	v_mbcnt_lo_u32_b32 v15, -1, 0
	s_mov_b32 s4, 0x6a5dcb37
	s_mov_b32 s5, 0x3e5ade15
	s_delay_alu instid0(VALU_DEP_1) | instskip(SKIP_2) | instid1(VALU_DEP_3)
	v_xor_b32_e32 v6, 16, v15
	v_xor_b32_e32 v10, 8, v15
	;; [unrolled: 1-line block ×3, first 2 shown]
	v_cmp_gt_i32_e64 s1, 32, v6
	s_delay_alu instid0(VALU_DEP_3) | instskip(NEXT) | instid1(VALU_DEP_2)
	v_cmp_gt_i32_e64 s3, 32, v10
	v_cndmask_b32_e64 v6, v15, v6, s1
	s_delay_alu instid0(VALU_DEP_2) | instskip(SKIP_1) | instid1(VALU_DEP_3)
	v_cndmask_b32_e64 v10, v15, v10, s3
	v_cmp_gt_i32_e64 s3, 32, v16
	v_lshlrev_b32_e32 v19, 2, v6
	s_delay_alu instid0(VALU_DEP_3) | instskip(NEXT) | instid1(VALU_DEP_3)
	v_lshlrev_b32_e32 v20, 2, v10
	v_cndmask_b32_e64 v16, v15, v16, s3
	s_waitcnt vmcnt(0)
	ds_bpermute_b32 v6, v19, v4
	ds_bpermute_b32 v7, v19, v5
	;; [unrolled: 1-line block ×4, first 2 shown]
	v_lshlrev_b32_e32 v21, 2, v16
	v_xor_b32_e32 v16, 2, v15
	s_delay_alu instid0(VALU_DEP_1) | instskip(NEXT) | instid1(VALU_DEP_1)
	v_cmp_gt_i32_e64 s3, 32, v16
	v_cndmask_b32_e64 v16, v15, v16, s3
	s_delay_alu instid0(VALU_DEP_1)
	v_lshlrev_b32_e32 v22, 2, v16
	s_waitcnt lgkmcnt(2)
	v_cmp_lt_f64_e64 s1, v[4:5], v[6:7]
	v_xor_b32_e32 v16, 1, v15
	s_waitcnt lgkmcnt(0)
	v_cmp_lt_f64_e64 s2, v[2:3], v[8:9]
	s_delay_alu instid0(VALU_DEP_2) | instskip(NEXT) | instid1(VALU_DEP_1)
	v_cmp_gt_i32_e64 s3, 32, v16
	v_cndmask_b32_e64 v15, v15, v16, s3
	s_delay_alu instid0(VALU_DEP_1)
	v_lshlrev_b32_e32 v23, 2, v15
	v_cndmask_b32_e64 v7, v5, v7, s1
	v_cndmask_b32_e64 v6, v4, v6, s1
	v_cndmask_b32_e64 v9, v3, v9, s2
	v_cndmask_b32_e64 v8, v2, v8, s2
	ds_bpermute_b32 v11, v20, v7
	ds_bpermute_b32 v10, v20, v6
	ds_bpermute_b32 v13, v20, v9
	ds_bpermute_b32 v12, v20, v8
	s_waitcnt lgkmcnt(2)
	v_cmp_lt_f64_e64 s1, v[6:7], v[10:11]
	s_waitcnt lgkmcnt(0)
	v_cmp_lt_f64_e64 s2, v[8:9], v[12:13]
	s_delay_alu instid0(VALU_DEP_2) | instskip(SKIP_1) | instid1(VALU_DEP_3)
	v_cndmask_b32_e64 v7, v7, v11, s1
	v_cndmask_b32_e64 v6, v6, v10, s1
	v_cndmask_b32_e64 v9, v9, v13, s2
	v_cndmask_b32_e64 v8, v8, v12, s2
	ds_bpermute_b32 v11, v21, v7
	ds_bpermute_b32 v10, v21, v6
	ds_bpermute_b32 v13, v21, v9
	ds_bpermute_b32 v12, v21, v8
	s_waitcnt lgkmcnt(2)
	v_cmp_lt_f64_e64 s1, v[6:7], v[10:11]
	s_waitcnt lgkmcnt(0)
	v_cmp_lt_f64_e64 s2, v[8:9], v[12:13]
	s_delay_alu instid0(VALU_DEP_2) | instskip(SKIP_1) | instid1(VALU_DEP_3)
	;; [unrolled: 13-line block ×4, first 2 shown]
	v_cndmask_b32_e64 v7, v7, v11, s1
	v_cndmask_b32_e64 v6, v6, v10, s1
	;; [unrolled: 1-line block ×4, first 2 shown]
	s_mov_b32 s2, 0x652b82fe
	s_mov_b32 s3, 0x3ff71547
	v_add_f64 v[4:5], v[4:5], -v[6:7]
	s_delay_alu instid0(VALU_DEP_2) | instskip(NEXT) | instid1(VALU_DEP_2)
	v_add_f64 v[2:3], v[2:3], -v[8:9]
	v_mul_f64 v[6:7], v[4:5], s[2:3]
	v_cmp_nlt_f64_e64 s1, 0x40900000, v[4:5]
	s_delay_alu instid0(VALU_DEP_3) | instskip(SKIP_2) | instid1(VALU_DEP_3)
	v_mul_f64 v[8:9], v[2:3], s[2:3]
	s_mov_b32 s2, 0xfefa39ef
	s_mov_b32 s3, 0xbfe62e42
	v_rndne_f64_e32 v[6:7], v[6:7]
	s_delay_alu instid0(VALU_DEP_2) | instskip(NEXT) | instid1(VALU_DEP_2)
	v_rndne_f64_e32 v[8:9], v[8:9]
	v_fma_f64 v[10:11], v[6:7], s[2:3], v[4:5]
	v_cvt_i32_f64_e32 v24, v[6:7]
	s_delay_alu instid0(VALU_DEP_3)
	v_fma_f64 v[12:13], v[8:9], s[2:3], v[2:3]
	s_mov_b32 s2, 0x3b39803f
	s_mov_b32 s3, 0xbc7abc9e
	s_delay_alu instid0(VALU_DEP_3) | instid1(SALU_CYCLE_1)
	v_fma_f64 v[10:11], v[6:7], s[2:3], v[10:11]
	s_delay_alu instid0(VALU_DEP_2)
	v_fma_f64 v[12:13], v[8:9], s[2:3], v[12:13]
	s_mov_b32 s2, 0xfca7ab0c
	s_mov_b32 s3, 0x3e928af3
	s_delay_alu instid0(VALU_DEP_2) | instid1(SALU_CYCLE_1)
	v_fma_f64 v[15:16], v[10:11], s[4:5], s[2:3]
	s_delay_alu instid0(VALU_DEP_2) | instskip(SKIP_3) | instid1(VALU_DEP_3)
	v_fma_f64 v[17:18], v[12:13], s[4:5], s[2:3]
	s_mov_b32 s2, 0x623fde64
	s_mov_b32 s3, 0x3ec71dee
	v_cmp_ngt_f64_e64 s4, 0xc090cc00, v[2:3]
	v_fma_f64 v[15:16], v[10:11], v[15:16], s[2:3]
	s_delay_alu instid0(VALU_DEP_3)
	v_fma_f64 v[17:18], v[12:13], v[17:18], s[2:3]
	s_mov_b32 s2, 0x7c89e6b0
	s_mov_b32 s3, 0x3efa0199
	s_delay_alu instid0(VALU_DEP_2) | instid1(SALU_CYCLE_1)
	v_fma_f64 v[15:16], v[10:11], v[15:16], s[2:3]
	s_delay_alu instid0(VALU_DEP_2)
	v_fma_f64 v[17:18], v[12:13], v[17:18], s[2:3]
	s_mov_b32 s2, 0x14761f6e
	s_mov_b32 s3, 0x3f2a01a0
	s_delay_alu instid0(VALU_DEP_2) | instid1(SALU_CYCLE_1)
	v_fma_f64 v[15:16], v[10:11], v[15:16], s[2:3]
	s_delay_alu instid0(VALU_DEP_2)
	;; [unrolled: 6-line block ×6, first 2 shown]
	v_fma_f64 v[17:18], v[12:13], v[17:18], s[2:3]
	s_mov_b32 s2, 11
	s_mov_b32 s3, 0x3fe00000
	s_delay_alu instid0(VALU_DEP_2) | instid1(SALU_CYCLE_1)
	v_fma_f64 v[15:16], v[10:11], v[15:16], s[2:3]
	s_delay_alu instid0(VALU_DEP_2) | instskip(SKIP_2) | instid1(VALU_DEP_4)
	v_fma_f64 v[17:18], v[12:13], v[17:18], s[2:3]
	v_cmp_nlt_f64_e64 s3, 0x40900000, v[2:3]
	v_cmp_ngt_f64_e64 s2, 0xc090cc00, v[4:5]
	v_fma_f64 v[15:16], v[10:11], v[15:16], 1.0
	s_delay_alu instid0(VALU_DEP_4) | instskip(NEXT) | instid1(VALU_DEP_2)
	v_fma_f64 v[17:18], v[12:13], v[17:18], 1.0
	v_fma_f64 v[6:7], v[10:11], v[15:16], 1.0
	v_cvt_i32_f64_e32 v10, v[8:9]
	s_delay_alu instid0(VALU_DEP_3) | instskip(NEXT) | instid1(VALU_DEP_3)
	v_fma_f64 v[8:9], v[12:13], v[17:18], 1.0
	v_ldexp_f64 v[6:7], v[6:7], v24
	s_delay_alu instid0(VALU_DEP_2) | instskip(NEXT) | instid1(VALU_DEP_2)
	v_ldexp_f64 v[8:9], v[8:9], v10
	v_cndmask_b32_e64 v7, 0x7ff00000, v7, s1
	s_and_b32 s1, s2, s1
	s_delay_alu instid0(VALU_DEP_2) | instskip(NEXT) | instid1(VALU_DEP_2)
	v_cndmask_b32_e64 v4, 0x7ff00000, v9, s3
	v_cndmask_b32_e64 v5, 0, v7, s2
	s_delay_alu instid0(VALU_DEP_2) | instskip(SKIP_2) | instid1(SALU_CYCLE_1)
	v_cndmask_b32_e64 v3, 0, v4, s4
	v_cndmask_b32_e64 v4, 0, v6, s1
	s_and_b32 s1, s4, s3
	v_cndmask_b32_e64 v2, 0, v8, s1
	s_delay_alu instid0(VALU_DEP_2) | instskip(NEXT) | instid1(VALU_DEP_2)
	v_add_f64 v[6:7], v[4:5], 0
	v_add_f64 v[8:9], v[2:3], 0
	ds_bpermute_b32 v10, v19, v6
	ds_bpermute_b32 v11, v19, v7
	ds_bpermute_b32 v12, v19, v8
	ds_bpermute_b32 v13, v19, v9
	s_waitcnt lgkmcnt(2)
	v_add_f64 v[6:7], v[6:7], v[10:11]
	s_waitcnt lgkmcnt(0)
	v_add_f64 v[8:9], v[8:9], v[12:13]
	ds_bpermute_b32 v10, v20, v6
	ds_bpermute_b32 v11, v20, v7
	ds_bpermute_b32 v12, v20, v8
	ds_bpermute_b32 v13, v20, v9
	s_waitcnt lgkmcnt(2)
	v_add_f64 v[6:7], v[6:7], v[10:11]
	s_waitcnt lgkmcnt(0)
	;; [unrolled: 8-line block ×4, first 2 shown]
	v_add_f64 v[6:7], v[8:9], v[12:13]
	ds_bpermute_b32 v12, v23, v10
	ds_bpermute_b32 v13, v23, v11
	;; [unrolled: 1-line block ×4, first 2 shown]
	s_and_saveexec_b32 s1, vcc_lo
	s_cbranch_execz .LBB365_10
; %bb.5:
	v_add_co_u32 v0, vcc_lo, s16, v0
	v_add_co_ci_u32_e32 v1, vcc_lo, s17, v1, vcc_lo
	s_and_saveexec_b32 s1, s0
	s_cbranch_execz .LBB365_7
; %bb.6:
	s_waitcnt lgkmcnt(2)
	v_add_f64 v[10:11], v[10:11], v[12:13]
	s_delay_alu instid0(VALU_DEP_1) | instskip(SKIP_1) | instid1(VALU_DEP_2)
	v_div_scale_f64 v[12:13], null, v[10:11], v[10:11], v[4:5]
	v_div_scale_f64 v[19:20], vcc_lo, v[4:5], v[10:11], v[4:5]
	v_rcp_f64_e32 v[15:16], v[12:13]
	s_waitcnt_depctr 0xfff
	v_fma_f64 v[17:18], -v[12:13], v[15:16], 1.0
	s_delay_alu instid0(VALU_DEP_1) | instskip(NEXT) | instid1(VALU_DEP_1)
	v_fma_f64 v[15:16], v[15:16], v[17:18], v[15:16]
	v_fma_f64 v[17:18], -v[12:13], v[15:16], 1.0
	s_delay_alu instid0(VALU_DEP_1) | instskip(NEXT) | instid1(VALU_DEP_1)
	v_fma_f64 v[15:16], v[15:16], v[17:18], v[15:16]
	v_mul_f64 v[17:18], v[19:20], v[15:16]
	s_delay_alu instid0(VALU_DEP_1) | instskip(NEXT) | instid1(VALU_DEP_1)
	v_fma_f64 v[12:13], -v[12:13], v[17:18], v[19:20]
	v_div_fmas_f64 v[12:13], v[12:13], v[15:16], v[17:18]
	v_cmp_neq_f64_e32 vcc_lo, 0, v[10:11]
	s_delay_alu instid0(VALU_DEP_2) | instskip(NEXT) | instid1(VALU_DEP_1)
	v_div_fixup_f64 v[4:5], v[12:13], v[10:11], v[4:5]
	v_cndmask_b32_e32 v5, 0x7ff80000, v5, vcc_lo
	s_delay_alu instid0(VALU_DEP_2)
	v_cndmask_b32_e32 v4, 0, v4, vcc_lo
	global_store_b64 v[0:1], v[4:5], off
.LBB365_7:
	s_or_b32 exec_lo, exec_lo, s1
	v_cmp_ne_u32_e32 vcc_lo, 1, v14
	s_and_b32 exec_lo, exec_lo, vcc_lo
	s_cbranch_execz .LBB365_10
; %bb.8:
	s_and_b32 exec_lo, exec_lo, s0
	s_cbranch_execz .LBB365_10
; %bb.9:
	s_waitcnt lgkmcnt(0)
	v_add_f64 v[4:5], v[6:7], v[8:9]
	s_mov_b32 s23, 0
	s_delay_alu instid0(SALU_CYCLE_1) | instskip(NEXT) | instid1(SALU_CYCLE_1)
	s_lshl_b64 s[0:1], s[22:23], 3
	v_add_co_u32 v0, s0, v0, s0
	s_delay_alu instid0(VALU_DEP_1) | instskip(NEXT) | instid1(VALU_DEP_3)
	v_add_co_ci_u32_e64 v1, s0, s1, v1, s0
	v_div_scale_f64 v[6:7], null, v[4:5], v[4:5], v[2:3]
	v_div_scale_f64 v[12:13], vcc_lo, v[2:3], v[4:5], v[2:3]
	s_delay_alu instid0(VALU_DEP_2) | instskip(SKIP_2) | instid1(VALU_DEP_1)
	v_rcp_f64_e32 v[8:9], v[6:7]
	s_waitcnt_depctr 0xfff
	v_fma_f64 v[10:11], -v[6:7], v[8:9], 1.0
	v_fma_f64 v[8:9], v[8:9], v[10:11], v[8:9]
	s_delay_alu instid0(VALU_DEP_1) | instskip(NEXT) | instid1(VALU_DEP_1)
	v_fma_f64 v[10:11], -v[6:7], v[8:9], 1.0
	v_fma_f64 v[8:9], v[8:9], v[10:11], v[8:9]
	s_delay_alu instid0(VALU_DEP_1) | instskip(NEXT) | instid1(VALU_DEP_1)
	v_mul_f64 v[10:11], v[12:13], v[8:9]
	v_fma_f64 v[6:7], -v[6:7], v[10:11], v[12:13]
	s_delay_alu instid0(VALU_DEP_1) | instskip(SKIP_1) | instid1(VALU_DEP_2)
	v_div_fmas_f64 v[6:7], v[6:7], v[8:9], v[10:11]
	v_cmp_neq_f64_e32 vcc_lo, 0, v[4:5]
	v_div_fixup_f64 v[2:3], v[6:7], v[4:5], v[2:3]
	s_delay_alu instid0(VALU_DEP_1) | instskip(NEXT) | instid1(VALU_DEP_2)
	v_cndmask_b32_e32 v3, 0x7ff80000, v3, vcc_lo
	v_cndmask_b32_e32 v2, 0, v2, vcc_lo
	global_store_b64 v[0:1], v[2:3], off
.LBB365_10:
	s_nop 0
	s_sendmsg sendmsg(MSG_DEALLOC_VGPRS)
	s_endpgm
	.section	.rodata,"a",@progbits
	.p2align	6, 0x0
	.amdhsa_kernel _ZN12_GLOBAL__N_120softmax_warp_forwardIdddLi5ELb0ELb0ELi32EEEvPT0_PKT_iiiPKbib
		.amdhsa_group_segment_fixed_size 0
		.amdhsa_private_segment_fixed_size 0
		.amdhsa_kernarg_size 304
		.amdhsa_user_sgpr_count 15
		.amdhsa_user_sgpr_dispatch_ptr 0
		.amdhsa_user_sgpr_queue_ptr 0
		.amdhsa_user_sgpr_kernarg_segment_ptr 1
		.amdhsa_user_sgpr_dispatch_id 0
		.amdhsa_user_sgpr_private_segment_size 0
		.amdhsa_wavefront_size32 1
		.amdhsa_uses_dynamic_stack 0
		.amdhsa_enable_private_segment 0
		.amdhsa_system_sgpr_workgroup_id_x 1
		.amdhsa_system_sgpr_workgroup_id_y 0
		.amdhsa_system_sgpr_workgroup_id_z 0
		.amdhsa_system_sgpr_workgroup_info 0
		.amdhsa_system_vgpr_workitem_id 1
		.amdhsa_next_free_vgpr 25
		.amdhsa_next_free_sgpr 24
		.amdhsa_reserve_vcc 1
		.amdhsa_float_round_mode_32 0
		.amdhsa_float_round_mode_16_64 0
		.amdhsa_float_denorm_mode_32 3
		.amdhsa_float_denorm_mode_16_64 3
		.amdhsa_dx10_clamp 1
		.amdhsa_ieee_mode 1
		.amdhsa_fp16_overflow 0
		.amdhsa_workgroup_processor_mode 1
		.amdhsa_memory_ordered 1
		.amdhsa_forward_progress 0
		.amdhsa_shared_vgpr_count 0
		.amdhsa_exception_fp_ieee_invalid_op 0
		.amdhsa_exception_fp_denorm_src 0
		.amdhsa_exception_fp_ieee_div_zero 0
		.amdhsa_exception_fp_ieee_overflow 0
		.amdhsa_exception_fp_ieee_underflow 0
		.amdhsa_exception_fp_ieee_inexact 0
		.amdhsa_exception_int_div_zero 0
	.end_amdhsa_kernel
	.section	.text._ZN12_GLOBAL__N_120softmax_warp_forwardIdddLi5ELb0ELb0ELi32EEEvPT0_PKT_iiiPKbib,"axG",@progbits,_ZN12_GLOBAL__N_120softmax_warp_forwardIdddLi5ELb0ELb0ELi32EEEvPT0_PKT_iiiPKbib,comdat
.Lfunc_end365:
	.size	_ZN12_GLOBAL__N_120softmax_warp_forwardIdddLi5ELb0ELb0ELi32EEEvPT0_PKT_iiiPKbib, .Lfunc_end365-_ZN12_GLOBAL__N_120softmax_warp_forwardIdddLi5ELb0ELb0ELi32EEEvPT0_PKT_iiiPKbib
                                        ; -- End function
	.section	.AMDGPU.csdata,"",@progbits
; Kernel info:
; codeLenInByte = 2220
; NumSgprs: 26
; NumVgprs: 25
; ScratchSize: 0
; MemoryBound: 0
; FloatMode: 240
; IeeeMode: 1
; LDSByteSize: 0 bytes/workgroup (compile time only)
; SGPRBlocks: 3
; VGPRBlocks: 3
; NumSGPRsForWavesPerEU: 26
; NumVGPRsForWavesPerEU: 25
; Occupancy: 16
; WaveLimiterHint : 0
; COMPUTE_PGM_RSRC2:SCRATCH_EN: 0
; COMPUTE_PGM_RSRC2:USER_SGPR: 15
; COMPUTE_PGM_RSRC2:TRAP_HANDLER: 0
; COMPUTE_PGM_RSRC2:TGID_X_EN: 1
; COMPUTE_PGM_RSRC2:TGID_Y_EN: 0
; COMPUTE_PGM_RSRC2:TGID_Z_EN: 0
; COMPUTE_PGM_RSRC2:TIDIG_COMP_CNT: 1
	.section	.text._ZN12_GLOBAL__N_120softmax_warp_forwardIdddLi6ELb0ELb0ELi64EEEvPT0_PKT_iiiPKbib,"axG",@progbits,_ZN12_GLOBAL__N_120softmax_warp_forwardIdddLi6ELb0ELb0ELi64EEEvPT0_PKT_iiiPKbib,comdat
	.globl	_ZN12_GLOBAL__N_120softmax_warp_forwardIdddLi6ELb0ELb0ELi64EEEvPT0_PKT_iiiPKbib ; -- Begin function _ZN12_GLOBAL__N_120softmax_warp_forwardIdddLi6ELb0ELb0ELi64EEEvPT0_PKT_iiiPKbib
	.p2align	8
	.type	_ZN12_GLOBAL__N_120softmax_warp_forwardIdddLi6ELb0ELb0ELi64EEEvPT0_PKT_iiiPKbib,@function
_ZN12_GLOBAL__N_120softmax_warp_forwardIdddLi6ELb0ELb0ELi64EEEvPT0_PKT_iiiPKbib: ; @_ZN12_GLOBAL__N_120softmax_warp_forwardIdddLi6ELb0ELb0ELi64EEEvPT0_PKT_iiiPKbib
; %bb.0:
	s_clause 0x1
	s_load_b32 s2, s[0:1], 0x3c
	s_load_b256 s[16:23], s[0:1], 0x0
	v_bfe_u32 v1, v0, 10, 10
	v_and_b32_e32 v4, 0x3ff, v0
	s_waitcnt lgkmcnt(0)
	s_lshr_b32 s0, s2, 16
	s_delay_alu instid0(SALU_CYCLE_1) | instskip(NEXT) | instid1(VALU_DEP_1)
	s_mul_i32 s15, s15, s0
	v_cmp_gt_i32_e64 s0, s22, v4
	v_add_lshl_u32 v2, s15, v1, 1
	s_delay_alu instid0(VALU_DEP_1) | instskip(SKIP_3) | instid1(VALU_DEP_3)
	v_mad_u64_u32 v[0:1], null, v2, s21, v[4:5]
	v_sub_nc_u32_e32 v14, s20, v2
	v_mov_b32_e32 v2, 0
	v_mov_b32_e32 v3, 0xfff00000
	v_cmp_lt_i32_e32 vcc_lo, 0, v14
	v_ashrrev_i32_e32 v1, 31, v0
	s_delay_alu instid0(VALU_DEP_3) | instskip(SKIP_1) | instid1(VALU_DEP_2)
	v_dual_mov_b32 v5, v3 :: v_dual_mov_b32 v4, v2
	s_and_b32 s2, s0, vcc_lo
	v_lshlrev_b64 v[0:1], 3, v[0:1]
	s_delay_alu instid0(VALU_DEP_1) | instskip(NEXT) | instid1(VALU_DEP_1)
	v_add_co_u32 v6, s1, s18, v0
	v_add_co_ci_u32_e64 v7, s1, s19, v1, s1
	s_and_saveexec_b32 s1, s2
	s_cbranch_execz .LBB366_2
; %bb.1:
	global_load_b64 v[4:5], v[6:7], off
.LBB366_2:
	s_or_b32 exec_lo, exec_lo, s1
	v_cmp_lt_i32_e64 s1, 1, v14
	s_delay_alu instid0(VALU_DEP_1) | instskip(NEXT) | instid1(SALU_CYCLE_1)
	s_and_b32 s1, s0, s1
	s_and_saveexec_b32 s2, s1
	s_cbranch_execz .LBB366_4
; %bb.3:
	s_mov_b32 s23, 0
	s_delay_alu instid0(SALU_CYCLE_1) | instskip(NEXT) | instid1(SALU_CYCLE_1)
	s_lshl_b64 s[4:5], s[22:23], 3
	v_add_co_u32 v2, s1, v6, s4
	s_delay_alu instid0(VALU_DEP_1)
	v_add_co_ci_u32_e64 v3, s1, s5, v7, s1
	global_load_b64 v[2:3], v[2:3], off
.LBB366_4:
	s_or_b32 exec_lo, exec_lo, s2
	v_mbcnt_lo_u32_b32 v15, -1, 0
	s_mov_b32 s4, 0x6a5dcb37
	s_mov_b32 s5, 0x3e5ade15
	s_delay_alu instid0(VALU_DEP_1) | instskip(SKIP_2) | instid1(VALU_DEP_3)
	v_or_b32_e32 v6, 32, v15
	v_xor_b32_e32 v10, 16, v15
	v_xor_b32_e32 v16, 8, v15
	v_cmp_gt_i32_e64 s1, 64, v6
	s_delay_alu instid0(VALU_DEP_3) | instskip(NEXT) | instid1(VALU_DEP_2)
	v_cmp_gt_i32_e64 s3, 64, v10
	v_cndmask_b32_e64 v6, v15, v6, s1
	s_delay_alu instid0(VALU_DEP_2) | instskip(SKIP_1) | instid1(VALU_DEP_3)
	v_cndmask_b32_e64 v10, v15, v10, s3
	v_cmp_gt_i32_e64 s3, 64, v16
	v_lshlrev_b32_e32 v19, 2, v6
	s_delay_alu instid0(VALU_DEP_3) | instskip(NEXT) | instid1(VALU_DEP_3)
	v_lshlrev_b32_e32 v20, 2, v10
	v_cndmask_b32_e64 v16, v15, v16, s3
	s_waitcnt vmcnt(0)
	ds_bpermute_b32 v6, v19, v4
	ds_bpermute_b32 v7, v19, v5
	;; [unrolled: 1-line block ×4, first 2 shown]
	v_lshlrev_b32_e32 v21, 2, v16
	v_xor_b32_e32 v16, 4, v15
	s_delay_alu instid0(VALU_DEP_1) | instskip(NEXT) | instid1(VALU_DEP_1)
	v_cmp_gt_i32_e64 s3, 64, v16
	v_cndmask_b32_e64 v16, v15, v16, s3
	s_delay_alu instid0(VALU_DEP_1)
	v_lshlrev_b32_e32 v22, 2, v16
	s_waitcnt lgkmcnt(2)
	v_cmp_lt_f64_e64 s1, v[4:5], v[6:7]
	v_xor_b32_e32 v16, 2, v15
	s_waitcnt lgkmcnt(0)
	v_cmp_lt_f64_e64 s2, v[2:3], v[8:9]
	s_delay_alu instid0(VALU_DEP_2) | instskip(NEXT) | instid1(VALU_DEP_1)
	v_cmp_gt_i32_e64 s3, 64, v16
	v_cndmask_b32_e64 v16, v15, v16, s3
	s_delay_alu instid0(VALU_DEP_1) | instskip(SKIP_1) | instid1(VALU_DEP_1)
	v_lshlrev_b32_e32 v23, 2, v16
	v_xor_b32_e32 v16, 1, v15
	v_cmp_gt_i32_e64 s3, 64, v16
	s_delay_alu instid0(VALU_DEP_1) | instskip(NEXT) | instid1(VALU_DEP_1)
	v_cndmask_b32_e64 v15, v15, v16, s3
	v_lshlrev_b32_e32 v24, 2, v15
	v_cndmask_b32_e64 v7, v5, v7, s1
	v_cndmask_b32_e64 v6, v4, v6, s1
	v_cndmask_b32_e64 v9, v3, v9, s2
	v_cndmask_b32_e64 v8, v2, v8, s2
	ds_bpermute_b32 v11, v20, v7
	ds_bpermute_b32 v10, v20, v6
	ds_bpermute_b32 v13, v20, v9
	ds_bpermute_b32 v12, v20, v8
	s_waitcnt lgkmcnt(2)
	v_cmp_lt_f64_e64 s1, v[6:7], v[10:11]
	s_waitcnt lgkmcnt(0)
	v_cmp_lt_f64_e64 s2, v[8:9], v[12:13]
	s_delay_alu instid0(VALU_DEP_2) | instskip(SKIP_1) | instid1(VALU_DEP_3)
	v_cndmask_b32_e64 v7, v7, v11, s1
	v_cndmask_b32_e64 v6, v6, v10, s1
	v_cndmask_b32_e64 v9, v9, v13, s2
	v_cndmask_b32_e64 v8, v8, v12, s2
	ds_bpermute_b32 v11, v21, v7
	ds_bpermute_b32 v10, v21, v6
	ds_bpermute_b32 v13, v21, v9
	ds_bpermute_b32 v12, v21, v8
	s_waitcnt lgkmcnt(2)
	v_cmp_lt_f64_e64 s1, v[6:7], v[10:11]
	s_waitcnt lgkmcnt(0)
	v_cmp_lt_f64_e64 s2, v[8:9], v[12:13]
	s_delay_alu instid0(VALU_DEP_2) | instskip(SKIP_1) | instid1(VALU_DEP_3)
	;; [unrolled: 13-line block ×5, first 2 shown]
	v_cndmask_b32_e64 v7, v7, v11, s1
	v_cndmask_b32_e64 v6, v6, v10, s1
	;; [unrolled: 1-line block ×4, first 2 shown]
	s_mov_b32 s2, 0x652b82fe
	s_mov_b32 s3, 0x3ff71547
	v_add_f64 v[4:5], v[4:5], -v[6:7]
	s_delay_alu instid0(VALU_DEP_2) | instskip(NEXT) | instid1(VALU_DEP_2)
	v_add_f64 v[2:3], v[2:3], -v[8:9]
	v_mul_f64 v[6:7], v[4:5], s[2:3]
	v_cmp_nlt_f64_e64 s1, 0x40900000, v[4:5]
	s_delay_alu instid0(VALU_DEP_3) | instskip(SKIP_2) | instid1(VALU_DEP_3)
	v_mul_f64 v[8:9], v[2:3], s[2:3]
	s_mov_b32 s2, 0xfefa39ef
	s_mov_b32 s3, 0xbfe62e42
	v_rndne_f64_e32 v[6:7], v[6:7]
	s_delay_alu instid0(VALU_DEP_2) | instskip(NEXT) | instid1(VALU_DEP_2)
	v_rndne_f64_e32 v[8:9], v[8:9]
	v_fma_f64 v[10:11], v[6:7], s[2:3], v[4:5]
	v_cvt_i32_f64_e32 v25, v[6:7]
	s_delay_alu instid0(VALU_DEP_3)
	v_fma_f64 v[12:13], v[8:9], s[2:3], v[2:3]
	s_mov_b32 s2, 0x3b39803f
	s_mov_b32 s3, 0xbc7abc9e
	s_delay_alu instid0(VALU_DEP_3) | instid1(SALU_CYCLE_1)
	v_fma_f64 v[10:11], v[6:7], s[2:3], v[10:11]
	s_delay_alu instid0(VALU_DEP_2)
	v_fma_f64 v[12:13], v[8:9], s[2:3], v[12:13]
	s_mov_b32 s2, 0xfca7ab0c
	s_mov_b32 s3, 0x3e928af3
	s_delay_alu instid0(VALU_DEP_2) | instid1(SALU_CYCLE_1)
	v_fma_f64 v[15:16], v[10:11], s[4:5], s[2:3]
	s_delay_alu instid0(VALU_DEP_2) | instskip(SKIP_3) | instid1(VALU_DEP_3)
	v_fma_f64 v[17:18], v[12:13], s[4:5], s[2:3]
	s_mov_b32 s2, 0x623fde64
	s_mov_b32 s3, 0x3ec71dee
	v_cmp_ngt_f64_e64 s4, 0xc090cc00, v[2:3]
	v_fma_f64 v[15:16], v[10:11], v[15:16], s[2:3]
	s_delay_alu instid0(VALU_DEP_3)
	v_fma_f64 v[17:18], v[12:13], v[17:18], s[2:3]
	s_mov_b32 s2, 0x7c89e6b0
	s_mov_b32 s3, 0x3efa0199
	s_delay_alu instid0(VALU_DEP_2) | instid1(SALU_CYCLE_1)
	v_fma_f64 v[15:16], v[10:11], v[15:16], s[2:3]
	s_delay_alu instid0(VALU_DEP_2)
	v_fma_f64 v[17:18], v[12:13], v[17:18], s[2:3]
	s_mov_b32 s2, 0x14761f6e
	s_mov_b32 s3, 0x3f2a01a0
	s_delay_alu instid0(VALU_DEP_2) | instid1(SALU_CYCLE_1)
	v_fma_f64 v[15:16], v[10:11], v[15:16], s[2:3]
	s_delay_alu instid0(VALU_DEP_2)
	;; [unrolled: 6-line block ×6, first 2 shown]
	v_fma_f64 v[17:18], v[12:13], v[17:18], s[2:3]
	s_mov_b32 s2, 11
	s_mov_b32 s3, 0x3fe00000
	s_delay_alu instid0(VALU_DEP_2) | instid1(SALU_CYCLE_1)
	v_fma_f64 v[15:16], v[10:11], v[15:16], s[2:3]
	s_delay_alu instid0(VALU_DEP_2) | instskip(SKIP_2) | instid1(VALU_DEP_4)
	v_fma_f64 v[17:18], v[12:13], v[17:18], s[2:3]
	v_cmp_nlt_f64_e64 s3, 0x40900000, v[2:3]
	v_cmp_ngt_f64_e64 s2, 0xc090cc00, v[4:5]
	v_fma_f64 v[15:16], v[10:11], v[15:16], 1.0
	s_delay_alu instid0(VALU_DEP_4) | instskip(NEXT) | instid1(VALU_DEP_2)
	v_fma_f64 v[17:18], v[12:13], v[17:18], 1.0
	v_fma_f64 v[6:7], v[10:11], v[15:16], 1.0
	v_cvt_i32_f64_e32 v10, v[8:9]
	s_delay_alu instid0(VALU_DEP_3) | instskip(NEXT) | instid1(VALU_DEP_3)
	v_fma_f64 v[8:9], v[12:13], v[17:18], 1.0
	v_ldexp_f64 v[6:7], v[6:7], v25
	s_delay_alu instid0(VALU_DEP_2) | instskip(NEXT) | instid1(VALU_DEP_2)
	v_ldexp_f64 v[8:9], v[8:9], v10
	v_cndmask_b32_e64 v7, 0x7ff00000, v7, s1
	s_and_b32 s1, s2, s1
	s_delay_alu instid0(VALU_DEP_2) | instskip(NEXT) | instid1(VALU_DEP_2)
	v_cndmask_b32_e64 v4, 0x7ff00000, v9, s3
	v_cndmask_b32_e64 v5, 0, v7, s2
	s_delay_alu instid0(VALU_DEP_2) | instskip(SKIP_2) | instid1(SALU_CYCLE_1)
	v_cndmask_b32_e64 v3, 0, v4, s4
	v_cndmask_b32_e64 v4, 0, v6, s1
	s_and_b32 s1, s4, s3
	v_cndmask_b32_e64 v2, 0, v8, s1
	s_delay_alu instid0(VALU_DEP_2) | instskip(NEXT) | instid1(VALU_DEP_2)
	v_add_f64 v[6:7], v[4:5], 0
	v_add_f64 v[8:9], v[2:3], 0
	ds_bpermute_b32 v10, v19, v6
	ds_bpermute_b32 v11, v19, v7
	ds_bpermute_b32 v12, v19, v8
	ds_bpermute_b32 v13, v19, v9
	s_waitcnt lgkmcnt(2)
	v_add_f64 v[6:7], v[6:7], v[10:11]
	s_waitcnt lgkmcnt(0)
	v_add_f64 v[8:9], v[8:9], v[12:13]
	ds_bpermute_b32 v10, v20, v6
	ds_bpermute_b32 v11, v20, v7
	ds_bpermute_b32 v12, v20, v8
	ds_bpermute_b32 v13, v20, v9
	s_waitcnt lgkmcnt(2)
	v_add_f64 v[6:7], v[6:7], v[10:11]
	s_waitcnt lgkmcnt(0)
	;; [unrolled: 8-line block ×5, first 2 shown]
	v_add_f64 v[6:7], v[8:9], v[12:13]
	ds_bpermute_b32 v12, v24, v10
	ds_bpermute_b32 v13, v24, v11
	;; [unrolled: 1-line block ×4, first 2 shown]
	s_and_saveexec_b32 s1, vcc_lo
	s_cbranch_execz .LBB366_10
; %bb.5:
	v_add_co_u32 v0, vcc_lo, s16, v0
	v_add_co_ci_u32_e32 v1, vcc_lo, s17, v1, vcc_lo
	s_and_saveexec_b32 s1, s0
	s_cbranch_execz .LBB366_7
; %bb.6:
	s_waitcnt lgkmcnt(2)
	v_add_f64 v[10:11], v[10:11], v[12:13]
	s_delay_alu instid0(VALU_DEP_1) | instskip(SKIP_1) | instid1(VALU_DEP_2)
	v_div_scale_f64 v[12:13], null, v[10:11], v[10:11], v[4:5]
	v_div_scale_f64 v[19:20], vcc_lo, v[4:5], v[10:11], v[4:5]
	v_rcp_f64_e32 v[15:16], v[12:13]
	s_waitcnt_depctr 0xfff
	v_fma_f64 v[17:18], -v[12:13], v[15:16], 1.0
	s_delay_alu instid0(VALU_DEP_1) | instskip(NEXT) | instid1(VALU_DEP_1)
	v_fma_f64 v[15:16], v[15:16], v[17:18], v[15:16]
	v_fma_f64 v[17:18], -v[12:13], v[15:16], 1.0
	s_delay_alu instid0(VALU_DEP_1) | instskip(NEXT) | instid1(VALU_DEP_1)
	v_fma_f64 v[15:16], v[15:16], v[17:18], v[15:16]
	v_mul_f64 v[17:18], v[19:20], v[15:16]
	s_delay_alu instid0(VALU_DEP_1) | instskip(NEXT) | instid1(VALU_DEP_1)
	v_fma_f64 v[12:13], -v[12:13], v[17:18], v[19:20]
	v_div_fmas_f64 v[12:13], v[12:13], v[15:16], v[17:18]
	v_cmp_neq_f64_e32 vcc_lo, 0, v[10:11]
	s_delay_alu instid0(VALU_DEP_2) | instskip(NEXT) | instid1(VALU_DEP_1)
	v_div_fixup_f64 v[4:5], v[12:13], v[10:11], v[4:5]
	v_cndmask_b32_e32 v5, 0x7ff80000, v5, vcc_lo
	s_delay_alu instid0(VALU_DEP_2)
	v_cndmask_b32_e32 v4, 0, v4, vcc_lo
	global_store_b64 v[0:1], v[4:5], off
.LBB366_7:
	s_or_b32 exec_lo, exec_lo, s1
	v_cmp_ne_u32_e32 vcc_lo, 1, v14
	s_and_b32 exec_lo, exec_lo, vcc_lo
	s_cbranch_execz .LBB366_10
; %bb.8:
	s_and_b32 exec_lo, exec_lo, s0
	s_cbranch_execz .LBB366_10
; %bb.9:
	s_waitcnt lgkmcnt(0)
	v_add_f64 v[4:5], v[6:7], v[8:9]
	s_mov_b32 s23, 0
	s_delay_alu instid0(SALU_CYCLE_1) | instskip(NEXT) | instid1(SALU_CYCLE_1)
	s_lshl_b64 s[0:1], s[22:23], 3
	v_add_co_u32 v0, s0, v0, s0
	s_delay_alu instid0(VALU_DEP_1) | instskip(NEXT) | instid1(VALU_DEP_3)
	v_add_co_ci_u32_e64 v1, s0, s1, v1, s0
	v_div_scale_f64 v[6:7], null, v[4:5], v[4:5], v[2:3]
	v_div_scale_f64 v[12:13], vcc_lo, v[2:3], v[4:5], v[2:3]
	s_delay_alu instid0(VALU_DEP_2) | instskip(SKIP_2) | instid1(VALU_DEP_1)
	v_rcp_f64_e32 v[8:9], v[6:7]
	s_waitcnt_depctr 0xfff
	v_fma_f64 v[10:11], -v[6:7], v[8:9], 1.0
	v_fma_f64 v[8:9], v[8:9], v[10:11], v[8:9]
	s_delay_alu instid0(VALU_DEP_1) | instskip(NEXT) | instid1(VALU_DEP_1)
	v_fma_f64 v[10:11], -v[6:7], v[8:9], 1.0
	v_fma_f64 v[8:9], v[8:9], v[10:11], v[8:9]
	s_delay_alu instid0(VALU_DEP_1) | instskip(NEXT) | instid1(VALU_DEP_1)
	v_mul_f64 v[10:11], v[12:13], v[8:9]
	v_fma_f64 v[6:7], -v[6:7], v[10:11], v[12:13]
	s_delay_alu instid0(VALU_DEP_1) | instskip(SKIP_1) | instid1(VALU_DEP_2)
	v_div_fmas_f64 v[6:7], v[6:7], v[8:9], v[10:11]
	v_cmp_neq_f64_e32 vcc_lo, 0, v[4:5]
	v_div_fixup_f64 v[2:3], v[6:7], v[4:5], v[2:3]
	s_delay_alu instid0(VALU_DEP_1) | instskip(NEXT) | instid1(VALU_DEP_2)
	v_cndmask_b32_e32 v3, 0x7ff80000, v3, vcc_lo
	v_cndmask_b32_e32 v2, 0, v2, vcc_lo
	global_store_b64 v[0:1], v[2:3], off
.LBB366_10:
	s_nop 0
	s_sendmsg sendmsg(MSG_DEALLOC_VGPRS)
	s_endpgm
	.section	.rodata,"a",@progbits
	.p2align	6, 0x0
	.amdhsa_kernel _ZN12_GLOBAL__N_120softmax_warp_forwardIdddLi6ELb0ELb0ELi64EEEvPT0_PKT_iiiPKbib
		.amdhsa_group_segment_fixed_size 0
		.amdhsa_private_segment_fixed_size 0
		.amdhsa_kernarg_size 304
		.amdhsa_user_sgpr_count 15
		.amdhsa_user_sgpr_dispatch_ptr 0
		.amdhsa_user_sgpr_queue_ptr 0
		.amdhsa_user_sgpr_kernarg_segment_ptr 1
		.amdhsa_user_sgpr_dispatch_id 0
		.amdhsa_user_sgpr_private_segment_size 0
		.amdhsa_wavefront_size32 1
		.amdhsa_uses_dynamic_stack 0
		.amdhsa_enable_private_segment 0
		.amdhsa_system_sgpr_workgroup_id_x 1
		.amdhsa_system_sgpr_workgroup_id_y 0
		.amdhsa_system_sgpr_workgroup_id_z 0
		.amdhsa_system_sgpr_workgroup_info 0
		.amdhsa_system_vgpr_workitem_id 1
		.amdhsa_next_free_vgpr 26
		.amdhsa_next_free_sgpr 24
		.amdhsa_reserve_vcc 1
		.amdhsa_float_round_mode_32 0
		.amdhsa_float_round_mode_16_64 0
		.amdhsa_float_denorm_mode_32 3
		.amdhsa_float_denorm_mode_16_64 3
		.amdhsa_dx10_clamp 1
		.amdhsa_ieee_mode 1
		.amdhsa_fp16_overflow 0
		.amdhsa_workgroup_processor_mode 1
		.amdhsa_memory_ordered 1
		.amdhsa_forward_progress 0
		.amdhsa_shared_vgpr_count 0
		.amdhsa_exception_fp_ieee_invalid_op 0
		.amdhsa_exception_fp_denorm_src 0
		.amdhsa_exception_fp_ieee_div_zero 0
		.amdhsa_exception_fp_ieee_overflow 0
		.amdhsa_exception_fp_ieee_underflow 0
		.amdhsa_exception_fp_ieee_inexact 0
		.amdhsa_exception_int_div_zero 0
	.end_amdhsa_kernel
	.section	.text._ZN12_GLOBAL__N_120softmax_warp_forwardIdddLi6ELb0ELb0ELi64EEEvPT0_PKT_iiiPKbib,"axG",@progbits,_ZN12_GLOBAL__N_120softmax_warp_forwardIdddLi6ELb0ELb0ELi64EEEvPT0_PKT_iiiPKbib,comdat
.Lfunc_end366:
	.size	_ZN12_GLOBAL__N_120softmax_warp_forwardIdddLi6ELb0ELb0ELi64EEEvPT0_PKT_iiiPKbib, .Lfunc_end366-_ZN12_GLOBAL__N_120softmax_warp_forwardIdddLi6ELb0ELb0ELi64EEEvPT0_PKT_iiiPKbib
                                        ; -- End function
	.section	.AMDGPU.csdata,"",@progbits
; Kernel info:
; codeLenInByte = 2396
; NumSgprs: 26
; NumVgprs: 26
; ScratchSize: 0
; MemoryBound: 0
; FloatMode: 240
; IeeeMode: 1
; LDSByteSize: 0 bytes/workgroup (compile time only)
; SGPRBlocks: 3
; VGPRBlocks: 3
; NumSGPRsForWavesPerEU: 26
; NumVGPRsForWavesPerEU: 26
; Occupancy: 16
; WaveLimiterHint : 0
; COMPUTE_PGM_RSRC2:SCRATCH_EN: 0
; COMPUTE_PGM_RSRC2:USER_SGPR: 15
; COMPUTE_PGM_RSRC2:TRAP_HANDLER: 0
; COMPUTE_PGM_RSRC2:TGID_X_EN: 1
; COMPUTE_PGM_RSRC2:TGID_Y_EN: 0
; COMPUTE_PGM_RSRC2:TGID_Z_EN: 0
; COMPUTE_PGM_RSRC2:TIDIG_COMP_CNT: 1
	.section	.text._ZN12_GLOBAL__N_120softmax_warp_forwardIdddLi6ELb0ELb0ELi32EEEvPT0_PKT_iiiPKbib,"axG",@progbits,_ZN12_GLOBAL__N_120softmax_warp_forwardIdddLi6ELb0ELb0ELi32EEEvPT0_PKT_iiiPKbib,comdat
	.globl	_ZN12_GLOBAL__N_120softmax_warp_forwardIdddLi6ELb0ELb0ELi32EEEvPT0_PKT_iiiPKbib ; -- Begin function _ZN12_GLOBAL__N_120softmax_warp_forwardIdddLi6ELb0ELb0ELi32EEEvPT0_PKT_iiiPKbib
	.p2align	8
	.type	_ZN12_GLOBAL__N_120softmax_warp_forwardIdddLi6ELb0ELb0ELi32EEEvPT0_PKT_iiiPKbib,@function
_ZN12_GLOBAL__N_120softmax_warp_forwardIdddLi6ELb0ELb0ELi32EEEvPT0_PKT_iiiPKbib: ; @_ZN12_GLOBAL__N_120softmax_warp_forwardIdddLi6ELb0ELb0ELi32EEEvPT0_PKT_iiiPKbib
; %bb.0:
	s_clause 0x1
	s_load_b32 s2, s[0:1], 0x3c
	s_load_b256 s[16:23], s[0:1], 0x0
	v_bfe_u32 v1, v0, 10, 10
	v_and_b32_e32 v4, 0x3ff, v0
	s_waitcnt lgkmcnt(0)
	s_lshr_b32 s0, s2, 16
	s_delay_alu instid0(SALU_CYCLE_1) | instskip(NEXT) | instid1(SALU_CYCLE_1)
	s_mul_i32 s15, s15, s0
	v_add_lshl_u32 v2, s15, v1, 1
	s_delay_alu instid0(VALU_DEP_1) | instskip(SKIP_3) | instid1(VALU_DEP_3)
	v_mad_u64_u32 v[0:1], null, v2, s21, v[4:5]
	v_sub_nc_u32_e32 v18, s20, v2
	v_mov_b32_e32 v2, 0
	v_mov_b32_e32 v3, 0xfff00000
	v_cmp_lt_i32_e32 vcc_lo, 0, v18
	v_ashrrev_i32_e32 v1, 31, v0
	s_delay_alu instid0(VALU_DEP_3) | instskip(SKIP_2) | instid1(VALU_DEP_4)
	v_mov_b32_e32 v9, v3
	v_cmp_gt_i32_e64 s1, s22, v4
	v_mov_b32_e32 v8, v2
	v_lshlrev_b64 v[0:1], 3, v[0:1]
	s_delay_alu instid0(VALU_DEP_3) | instskip(NEXT) | instid1(VALU_DEP_1)
	s_and_b32 s2, vcc_lo, s1
	v_add_co_u32 v10, s0, s18, v0
	s_delay_alu instid0(VALU_DEP_1)
	v_add_co_ci_u32_e64 v11, s0, s19, v1, s0
	s_and_saveexec_b32 s0, s2
	s_cbranch_execz .LBB367_2
; %bb.1:
	global_load_b64 v[8:9], v[10:11], off
.LBB367_2:
	s_or_b32 exec_lo, exec_lo, s0
	v_add_nc_u32_e32 v4, 32, v4
	s_delay_alu instid0(VALU_DEP_1) | instskip(NEXT) | instid1(VALU_DEP_1)
	v_cmp_gt_i32_e64 s0, s22, v4
	s_and_b32 s3, vcc_lo, s0
	s_delay_alu instid0(SALU_CYCLE_1)
	s_and_saveexec_b32 s2, s3
	s_cbranch_execz .LBB367_4
; %bb.3:
	global_load_b64 v[2:3], v[10:11], off offset:256
.LBB367_4:
	s_or_b32 exec_lo, exec_lo, s2
	v_mov_b32_e32 v4, 0
	v_mov_b32_e32 v5, 0xfff00000
	v_cmp_lt_i32_e64 s2, 1, v18
	s_delay_alu instid0(VALU_DEP_2) | instskip(NEXT) | instid1(VALU_DEP_2)
	v_dual_mov_b32 v7, v5 :: v_dual_mov_b32 v6, v4
	s_and_b32 s3, s2, s1
	s_delay_alu instid0(SALU_CYCLE_1)
	s_and_saveexec_b32 s4, s3
	s_cbranch_execz .LBB367_6
; %bb.5:
	s_mov_b32 s23, 0
	s_delay_alu instid0(SALU_CYCLE_1) | instskip(NEXT) | instid1(SALU_CYCLE_1)
	s_lshl_b64 s[6:7], s[22:23], 3
	v_add_co_u32 v6, s3, v10, s6
	s_delay_alu instid0(VALU_DEP_1)
	v_add_co_ci_u32_e64 v7, s3, s7, v11, s3
	global_load_b64 v[6:7], v[6:7], off
.LBB367_6:
	s_or_b32 exec_lo, exec_lo, s4
	s_and_b32 s2, s2, s0
	s_delay_alu instid0(SALU_CYCLE_1)
	s_and_saveexec_b32 s3, s2
	s_cbranch_execz .LBB367_8
; %bb.7:
	s_mov_b32 s23, 0
	s_delay_alu instid0(SALU_CYCLE_1) | instskip(NEXT) | instid1(SALU_CYCLE_1)
	s_lshl_b64 s[4:5], s[22:23], 3
	v_add_co_u32 v4, s2, v10, s4
	s_delay_alu instid0(VALU_DEP_1)
	v_add_co_ci_u32_e64 v5, s2, s5, v11, s2
	global_load_b64 v[4:5], v[4:5], off offset:256
.LBB367_8:
	s_or_b32 exec_lo, exec_lo, s3
	s_waitcnt vmcnt(0)
	v_cmp_gt_f64_e64 s2, v[8:9], v[2:3]
	v_cmp_gt_f64_e64 s3, v[6:7], v[4:5]
	v_mbcnt_lo_u32_b32 v21, -1, 0
	s_mov_b32 s6, 0x6a5dcb37
	s_mov_b32 s7, 0x3e5ade15
	s_delay_alu instid0(VALU_DEP_1) | instskip(SKIP_2) | instid1(VALU_DEP_3)
	v_xor_b32_e32 v10, 16, v21
	v_xor_b32_e32 v11, 8, v21
	;; [unrolled: 1-line block ×3, first 2 shown]
	v_cmp_gt_i32_e64 s4, 32, v10
	s_delay_alu instid0(VALU_DEP_1) | instskip(NEXT) | instid1(VALU_DEP_4)
	v_cndmask_b32_e64 v10, v21, v10, s4
	v_cmp_gt_i32_e64 s4, 32, v11
	s_delay_alu instid0(VALU_DEP_2) | instskip(NEXT) | instid1(VALU_DEP_2)
	v_lshlrev_b32_e32 v10, 2, v10
	v_cndmask_b32_e64 v11, v21, v11, s4
	v_cmp_gt_i32_e64 s4, 32, v22
	s_delay_alu instid0(VALU_DEP_2) | instskip(NEXT) | instid1(VALU_DEP_2)
	v_lshlrev_b32_e32 v11, 2, v11
	v_cndmask_b32_e64 v22, v21, v22, s4
	s_delay_alu instid0(VALU_DEP_1)
	v_lshlrev_b32_e32 v37, 2, v22
	v_xor_b32_e32 v22, 2, v21
	v_cndmask_b32_e64 v13, v3, v9, s2
	v_cndmask_b32_e64 v12, v2, v8, s2
	;; [unrolled: 1-line block ×4, first 2 shown]
	v_cmp_gt_i32_e64 s4, 32, v22
	ds_bpermute_b32 v17, v10, v13
	ds_bpermute_b32 v16, v10, v12
	;; [unrolled: 1-line block ×4, first 2 shown]
	v_cndmask_b32_e64 v22, v21, v22, s4
	s_delay_alu instid0(VALU_DEP_1) | instskip(SKIP_1) | instid1(VALU_DEP_1)
	v_lshlrev_b32_e32 v38, 2, v22
	v_xor_b32_e32 v22, 1, v21
	v_cmp_gt_i32_e64 s4, 32, v22
	s_delay_alu instid0(VALU_DEP_1)
	v_cndmask_b32_e64 v21, v21, v22, s4
	s_waitcnt lgkmcnt(2)
	v_cmp_lt_f64_e64 s2, v[12:13], v[16:17]
	s_mov_b32 s4, 0x3b39803f
	s_waitcnt lgkmcnt(0)
	v_cmp_lt_f64_e64 s3, v[14:15], v[19:20]
	s_mov_b32 s5, 0xbc7abc9e
	v_lshlrev_b32_e32 v39, 2, v21
	s_delay_alu instid0(VALU_DEP_3) | instskip(SKIP_1) | instid1(VALU_DEP_4)
	v_cndmask_b32_e64 v13, v13, v17, s2
	v_cndmask_b32_e64 v12, v12, v16, s2
	v_cndmask_b32_e64 v15, v15, v20, s3
	v_cndmask_b32_e64 v14, v14, v19, s3
	ds_bpermute_b32 v17, v11, v13
	ds_bpermute_b32 v16, v11, v12
	ds_bpermute_b32 v20, v11, v15
	ds_bpermute_b32 v19, v11, v14
	s_waitcnt lgkmcnt(2)
	v_cmp_lt_f64_e64 s2, v[12:13], v[16:17]
	s_waitcnt lgkmcnt(0)
	v_cmp_lt_f64_e64 s3, v[14:15], v[19:20]
	s_delay_alu instid0(VALU_DEP_2) | instskip(SKIP_1) | instid1(VALU_DEP_3)
	v_cndmask_b32_e64 v13, v13, v17, s2
	v_cndmask_b32_e64 v12, v12, v16, s2
	v_cndmask_b32_e64 v15, v15, v20, s3
	v_cndmask_b32_e64 v14, v14, v19, s3
	ds_bpermute_b32 v17, v37, v13
	ds_bpermute_b32 v16, v37, v12
	ds_bpermute_b32 v20, v37, v15
	ds_bpermute_b32 v19, v37, v14
	s_waitcnt lgkmcnt(2)
	v_cmp_lt_f64_e64 s2, v[12:13], v[16:17]
	s_waitcnt lgkmcnt(0)
	v_cmp_lt_f64_e64 s3, v[14:15], v[19:20]
	s_delay_alu instid0(VALU_DEP_2) | instskip(SKIP_1) | instid1(VALU_DEP_3)
	;; [unrolled: 13-line block ×4, first 2 shown]
	v_cndmask_b32_e64 v13, v13, v17, s2
	v_cndmask_b32_e64 v12, v12, v16, s2
	;; [unrolled: 1-line block ×4, first 2 shown]
	s_mov_b32 s2, 0x652b82fe
	s_mov_b32 s3, 0x3ff71547
	v_add_f64 v[8:9], v[8:9], -v[12:13]
	v_add_f64 v[2:3], v[2:3], -v[12:13]
	;; [unrolled: 1-line block ×4, first 2 shown]
	s_delay_alu instid0(VALU_DEP_4) | instskip(NEXT) | instid1(VALU_DEP_4)
	v_mul_f64 v[12:13], v[8:9], s[2:3]
	v_mul_f64 v[16:17], v[2:3], s[2:3]
	s_delay_alu instid0(VALU_DEP_4) | instskip(NEXT) | instid1(VALU_DEP_4)
	v_mul_f64 v[14:15], v[6:7], s[2:3]
	v_mul_f64 v[19:20], v[4:5], s[2:3]
	s_mov_b32 s2, 0xfefa39ef
	s_mov_b32 s3, 0xbfe62e42
	v_cmp_nlt_f64_e64 s8, 0x40900000, v[4:5]
	v_cmp_ngt_f64_e64 s9, 0xc090cc00, v[4:5]
	v_rndne_f64_e32 v[12:13], v[12:13]
	v_rndne_f64_e32 v[16:17], v[16:17]
	;; [unrolled: 1-line block ×4, first 2 shown]
	s_delay_alu instid0(VALU_DEP_4) | instskip(NEXT) | instid1(VALU_DEP_4)
	v_fma_f64 v[21:22], v[12:13], s[2:3], v[8:9]
	v_fma_f64 v[25:26], v[16:17], s[2:3], v[2:3]
	s_delay_alu instid0(VALU_DEP_4) | instskip(NEXT) | instid1(VALU_DEP_4)
	v_fma_f64 v[23:24], v[14:15], s[2:3], v[6:7]
	v_fma_f64 v[27:28], v[19:20], s[2:3], v[4:5]
	s_mov_b32 s2, 0xfca7ab0c
	s_mov_b32 s3, 0x3e928af3
	v_cvt_i32_f64_e32 v40, v[12:13]
	v_fma_f64 v[21:22], v[12:13], s[4:5], v[21:22]
	v_fma_f64 v[25:26], v[16:17], s[4:5], v[25:26]
	;; [unrolled: 1-line block ×4, first 2 shown]
	s_mov_b32 s4, 0x623fde64
	s_mov_b32 s5, 0x3ec71dee
	s_delay_alu instid0(VALU_DEP_4) | instskip(NEXT) | instid1(VALU_DEP_4)
	v_fma_f64 v[29:30], v[21:22], s[6:7], s[2:3]
	v_fma_f64 v[33:34], v[25:26], s[6:7], s[2:3]
	s_delay_alu instid0(VALU_DEP_4) | instskip(NEXT) | instid1(VALU_DEP_4)
	v_fma_f64 v[31:32], v[23:24], s[6:7], s[2:3]
	v_fma_f64 v[35:36], v[27:28], s[6:7], s[2:3]
	s_mov_b32 s2, 0x7c89e6b0
	s_mov_b32 s3, 0x3efa0199
	v_cmp_nlt_f64_e64 s6, 0x40900000, v[2:3]
	v_cmp_ngt_f64_e64 s7, 0xc090cc00, v[2:3]
	v_fma_f64 v[29:30], v[21:22], v[29:30], s[4:5]
	v_fma_f64 v[33:34], v[25:26], v[33:34], s[4:5]
	;; [unrolled: 1-line block ×4, first 2 shown]
	s_mov_b32 s4, 0x14761f6e
	s_mov_b32 s5, 0x3f2a01a0
	s_delay_alu instid0(VALU_DEP_4) | instskip(NEXT) | instid1(VALU_DEP_4)
	v_fma_f64 v[29:30], v[21:22], v[29:30], s[2:3]
	v_fma_f64 v[33:34], v[25:26], v[33:34], s[2:3]
	s_delay_alu instid0(VALU_DEP_4) | instskip(NEXT) | instid1(VALU_DEP_4)
	v_fma_f64 v[31:32], v[23:24], v[31:32], s[2:3]
	v_fma_f64 v[35:36], v[27:28], v[35:36], s[2:3]
	s_mov_b32 s2, 0x1852b7b0
	s_mov_b32 s3, 0x3f56c16c
	s_delay_alu instid0(VALU_DEP_4) | instskip(NEXT) | instid1(VALU_DEP_4)
	v_fma_f64 v[29:30], v[21:22], v[29:30], s[4:5]
	v_fma_f64 v[33:34], v[25:26], v[33:34], s[4:5]
	s_delay_alu instid0(VALU_DEP_4) | instskip(NEXT) | instid1(VALU_DEP_4)
	v_fma_f64 v[31:32], v[23:24], v[31:32], s[4:5]
	v_fma_f64 v[35:36], v[27:28], v[35:36], s[4:5]
	;; [unrolled: 8-line block ×6, first 2 shown]
	v_cmp_nlt_f64_e64 s4, 0x40900000, v[6:7]
	v_cmp_ngt_f64_e64 s5, 0xc090cc00, v[6:7]
	v_fma_f64 v[29:30], v[21:22], v[29:30], s[2:3]
	v_fma_f64 v[33:34], v[25:26], v[33:34], s[2:3]
	;; [unrolled: 1-line block ×4, first 2 shown]
	v_cmp_nlt_f64_e64 s2, 0x40900000, v[8:9]
	v_cmp_ngt_f64_e64 s3, 0xc090cc00, v[8:9]
	v_fma_f64 v[29:30], v[21:22], v[29:30], 1.0
	v_fma_f64 v[33:34], v[25:26], v[33:34], 1.0
	;; [unrolled: 1-line block ×4, first 2 shown]
	s_delay_alu instid0(VALU_DEP_4) | instskip(SKIP_1) | instid1(VALU_DEP_4)
	v_fma_f64 v[12:13], v[21:22], v[29:30], 1.0
	v_cvt_i32_f64_e32 v21, v[14:15]
	v_fma_f64 v[14:15], v[23:24], v[31:32], 1.0
	v_cvt_i32_f64_e32 v22, v[16:17]
	;; [unrolled: 2-line block ×3, first 2 shown]
	v_fma_f64 v[19:20], v[27:28], v[35:36], 1.0
	v_ldexp_f64 v[12:13], v[12:13], v40
	v_ldexp_f64 v[14:15], v[14:15], v21
	v_ldexp_f64 v[16:17], v[16:17], v22
	s_delay_alu instid0(VALU_DEP_4) | instskip(NEXT) | instid1(VALU_DEP_4)
	v_ldexp_f64 v[19:20], v[19:20], v23
	v_cndmask_b32_e64 v13, 0x7ff00000, v13, s2
	s_and_b32 s2, s3, s2
	s_delay_alu instid0(VALU_DEP_4) | instskip(NEXT) | instid1(VALU_DEP_4)
	v_cndmask_b32_e64 v8, 0x7ff00000, v15, s4
	v_cndmask_b32_e64 v6, 0x7ff00000, v17, s6
	s_delay_alu instid0(VALU_DEP_3) | instskip(SKIP_1) | instid1(VALU_DEP_4)
	v_cndmask_b32_e64 v9, 0, v13, s3
	v_cndmask_b32_e64 v2, 0x7ff00000, v20, s8
	;; [unrolled: 1-line block ×4, first 2 shown]
	s_and_b32 s2, s5, s4
	v_cndmask_b32_e64 v7, 0, v6, s7
	v_cndmask_b32_e64 v4, 0, v14, s2
	s_and_b32 s2, s7, s6
	v_add_f64 v[12:13], v[8:9], 0
	v_cndmask_b32_e64 v6, 0, v16, s2
	s_and_b32 s2, s9, s8
	v_add_f64 v[14:15], v[4:5], 0
	v_cndmask_b32_e64 v3, 0, v2, s9
	v_cndmask_b32_e64 v2, 0, v19, s2
	v_add_f64 v[12:13], v[12:13], v[6:7]
	s_delay_alu instid0(VALU_DEP_2)
	v_add_f64 v[14:15], v[14:15], v[2:3]
	ds_bpermute_b32 v16, v10, v12
	ds_bpermute_b32 v17, v10, v13
	ds_bpermute_b32 v19, v10, v14
	ds_bpermute_b32 v20, v10, v15
	s_waitcnt lgkmcnt(2)
	v_add_f64 v[12:13], v[12:13], v[16:17]
	s_waitcnt lgkmcnt(0)
	v_add_f64 v[14:15], v[14:15], v[19:20]
	ds_bpermute_b32 v16, v11, v12
	ds_bpermute_b32 v17, v11, v13
	ds_bpermute_b32 v10, v11, v14
	ds_bpermute_b32 v11, v11, v15
	s_waitcnt lgkmcnt(2)
	v_add_f64 v[12:13], v[12:13], v[16:17]
	s_waitcnt lgkmcnt(0)
	;; [unrolled: 8-line block ×4, first 2 shown]
	v_add_f64 v[10:11], v[10:11], v[16:17]
	ds_bpermute_b32 v16, v39, v14
	ds_bpermute_b32 v17, v39, v15
	;; [unrolled: 1-line block ×4, first 2 shown]
	s_and_saveexec_b32 s2, vcc_lo
	s_cbranch_execz .LBB367_16
; %bb.9:
	v_add_co_u32 v0, vcc_lo, s16, v0
	v_add_co_ci_u32_e32 v1, vcc_lo, s17, v1, vcc_lo
	s_and_saveexec_b32 s3, s1
	s_cbranch_execz .LBB367_12
; %bb.10:
	s_waitcnt lgkmcnt(2)
	v_add_f64 v[14:15], v[14:15], v[16:17]
	s_delay_alu instid0(VALU_DEP_1) | instskip(SKIP_2) | instid1(VALU_DEP_3)
	v_div_scale_f64 v[16:17], null, v[14:15], v[14:15], v[8:9]
	v_div_scale_f64 v[23:24], vcc_lo, v[8:9], v[14:15], v[8:9]
	v_cmp_eq_f64_e64 s2, 0, v[14:15]
	v_rcp_f64_e32 v[19:20], v[16:17]
	s_waitcnt_depctr 0xfff
	v_fma_f64 v[21:22], -v[16:17], v[19:20], 1.0
	s_delay_alu instid0(VALU_DEP_1) | instskip(NEXT) | instid1(VALU_DEP_1)
	v_fma_f64 v[19:20], v[19:20], v[21:22], v[19:20]
	v_fma_f64 v[21:22], -v[16:17], v[19:20], 1.0
	s_delay_alu instid0(VALU_DEP_1) | instskip(NEXT) | instid1(VALU_DEP_1)
	v_fma_f64 v[19:20], v[19:20], v[21:22], v[19:20]
	v_mul_f64 v[21:22], v[23:24], v[19:20]
	s_delay_alu instid0(VALU_DEP_1) | instskip(NEXT) | instid1(VALU_DEP_1)
	v_fma_f64 v[16:17], -v[16:17], v[21:22], v[23:24]
	v_div_fmas_f64 v[16:17], v[16:17], v[19:20], v[21:22]
	s_delay_alu instid0(VALU_DEP_1) | instskip(NEXT) | instid1(VALU_DEP_1)
	v_div_fixup_f64 v[8:9], v[16:17], v[14:15], v[8:9]
	v_cndmask_b32_e64 v9, v9, 0x7ff80000, s2
	s_delay_alu instid0(VALU_DEP_2)
	v_cndmask_b32_e64 v8, v8, 0, s2
	global_store_b64 v[0:1], v[8:9], off
	s_and_b32 exec_lo, exec_lo, s0
	s_cbranch_execz .LBB367_12
; %bb.11:
	v_div_scale_f64 v[8:9], null, v[14:15], v[14:15], v[6:7]
	v_div_scale_f64 v[21:22], vcc_lo, v[6:7], v[14:15], v[6:7]
	s_delay_alu instid0(VALU_DEP_2) | instskip(SKIP_2) | instid1(VALU_DEP_1)
	v_rcp_f64_e32 v[16:17], v[8:9]
	s_waitcnt_depctr 0xfff
	v_fma_f64 v[19:20], -v[8:9], v[16:17], 1.0
	v_fma_f64 v[16:17], v[16:17], v[19:20], v[16:17]
	s_delay_alu instid0(VALU_DEP_1) | instskip(NEXT) | instid1(VALU_DEP_1)
	v_fma_f64 v[19:20], -v[8:9], v[16:17], 1.0
	v_fma_f64 v[16:17], v[16:17], v[19:20], v[16:17]
	s_delay_alu instid0(VALU_DEP_1) | instskip(NEXT) | instid1(VALU_DEP_1)
	v_mul_f64 v[19:20], v[21:22], v[16:17]
	v_fma_f64 v[8:9], -v[8:9], v[19:20], v[21:22]
	s_delay_alu instid0(VALU_DEP_1) | instskip(NEXT) | instid1(VALU_DEP_1)
	v_div_fmas_f64 v[8:9], v[8:9], v[16:17], v[19:20]
	v_div_fixup_f64 v[6:7], v[8:9], v[14:15], v[6:7]
	s_delay_alu instid0(VALU_DEP_1) | instskip(NEXT) | instid1(VALU_DEP_2)
	v_cndmask_b32_e64 v7, v7, 0x7ff80000, s2
	v_cndmask_b32_e64 v6, v6, 0, s2
	global_store_b64 v[0:1], v[6:7], off offset:256
.LBB367_12:
	s_or_b32 exec_lo, exec_lo, s3
	v_cmp_ne_u32_e32 vcc_lo, 1, v18
	s_and_b32 exec_lo, exec_lo, vcc_lo
	s_cbranch_execz .LBB367_16
; %bb.13:
	s_and_b32 exec_lo, exec_lo, s1
	s_cbranch_execz .LBB367_16
; %bb.14:
	s_waitcnt lgkmcnt(0)
	v_add_f64 v[6:7], v[10:11], v[12:13]
	s_mov_b32 s23, 0
	s_delay_alu instid0(SALU_CYCLE_1) | instskip(NEXT) | instid1(VALU_DEP_1)
	s_lshl_b64 s[2:3], s[22:23], 3
	v_div_scale_f64 v[8:9], null, v[6:7], v[6:7], v[4:5]
	v_div_scale_f64 v[14:15], vcc_lo, v[4:5], v[6:7], v[4:5]
	v_cmp_eq_f64_e64 s1, 0, v[6:7]
	s_delay_alu instid0(VALU_DEP_3) | instskip(SKIP_2) | instid1(VALU_DEP_1)
	v_rcp_f64_e32 v[10:11], v[8:9]
	s_waitcnt_depctr 0xfff
	v_fma_f64 v[12:13], -v[8:9], v[10:11], 1.0
	v_fma_f64 v[10:11], v[10:11], v[12:13], v[10:11]
	s_delay_alu instid0(VALU_DEP_1) | instskip(NEXT) | instid1(VALU_DEP_1)
	v_fma_f64 v[12:13], -v[8:9], v[10:11], 1.0
	v_fma_f64 v[10:11], v[10:11], v[12:13], v[10:11]
	s_delay_alu instid0(VALU_DEP_1) | instskip(NEXT) | instid1(VALU_DEP_1)
	v_mul_f64 v[12:13], v[14:15], v[10:11]
	v_fma_f64 v[8:9], -v[8:9], v[12:13], v[14:15]
	s_delay_alu instid0(VALU_DEP_1) | instskip(NEXT) | instid1(VALU_DEP_1)
	v_div_fmas_f64 v[8:9], v[8:9], v[10:11], v[12:13]
	v_div_fixup_f64 v[4:5], v[8:9], v[6:7], v[4:5]
	v_add_co_u32 v8, vcc_lo, v0, s2
	v_add_co_ci_u32_e32 v9, vcc_lo, s3, v1, vcc_lo
	s_delay_alu instid0(VALU_DEP_3) | instskip(NEXT) | instid1(VALU_DEP_4)
	v_cndmask_b32_e64 v5, v5, 0x7ff80000, s1
	v_cndmask_b32_e64 v4, v4, 0, s1
	global_store_b64 v[8:9], v[4:5], off
	s_and_b32 exec_lo, exec_lo, s0
	s_cbranch_execz .LBB367_16
; %bb.15:
	v_div_scale_f64 v[4:5], null, v[6:7], v[6:7], v[2:3]
	v_div_scale_f64 v[12:13], vcc_lo, v[2:3], v[6:7], v[2:3]
	s_ashr_i32 s23, s22, 31
	s_delay_alu instid0(SALU_CYCLE_1) | instskip(NEXT) | instid1(VALU_DEP_2)
	s_lshl_b64 s[2:3], s[22:23], 3
	v_rcp_f64_e32 v[8:9], v[4:5]
	s_waitcnt_depctr 0xfff
	v_fma_f64 v[10:11], -v[4:5], v[8:9], 1.0
	s_delay_alu instid0(VALU_DEP_1) | instskip(NEXT) | instid1(VALU_DEP_1)
	v_fma_f64 v[8:9], v[8:9], v[10:11], v[8:9]
	v_fma_f64 v[10:11], -v[4:5], v[8:9], 1.0
	s_delay_alu instid0(VALU_DEP_1) | instskip(NEXT) | instid1(VALU_DEP_1)
	v_fma_f64 v[8:9], v[8:9], v[10:11], v[8:9]
	v_mul_f64 v[10:11], v[12:13], v[8:9]
	s_delay_alu instid0(VALU_DEP_1) | instskip(NEXT) | instid1(VALU_DEP_1)
	v_fma_f64 v[4:5], -v[4:5], v[10:11], v[12:13]
	v_div_fmas_f64 v[4:5], v[4:5], v[8:9], v[10:11]
	v_add_co_u32 v0, vcc_lo, v0, s2
	v_add_co_ci_u32_e32 v1, vcc_lo, s3, v1, vcc_lo
	s_delay_alu instid0(VALU_DEP_3) | instskip(NEXT) | instid1(VALU_DEP_1)
	v_div_fixup_f64 v[2:3], v[4:5], v[6:7], v[2:3]
	v_cndmask_b32_e64 v3, v3, 0x7ff80000, s1
	s_delay_alu instid0(VALU_DEP_2)
	v_cndmask_b32_e64 v2, v2, 0, s1
	global_store_b64 v[0:1], v[2:3], off offset:256
.LBB367_16:
	s_nop 0
	s_sendmsg sendmsg(MSG_DEALLOC_VGPRS)
	s_endpgm
	.section	.rodata,"a",@progbits
	.p2align	6, 0x0
	.amdhsa_kernel _ZN12_GLOBAL__N_120softmax_warp_forwardIdddLi6ELb0ELb0ELi32EEEvPT0_PKT_iiiPKbib
		.amdhsa_group_segment_fixed_size 0
		.amdhsa_private_segment_fixed_size 0
		.amdhsa_kernarg_size 304
		.amdhsa_user_sgpr_count 15
		.amdhsa_user_sgpr_dispatch_ptr 0
		.amdhsa_user_sgpr_queue_ptr 0
		.amdhsa_user_sgpr_kernarg_segment_ptr 1
		.amdhsa_user_sgpr_dispatch_id 0
		.amdhsa_user_sgpr_private_segment_size 0
		.amdhsa_wavefront_size32 1
		.amdhsa_uses_dynamic_stack 0
		.amdhsa_enable_private_segment 0
		.amdhsa_system_sgpr_workgroup_id_x 1
		.amdhsa_system_sgpr_workgroup_id_y 0
		.amdhsa_system_sgpr_workgroup_id_z 0
		.amdhsa_system_sgpr_workgroup_info 0
		.amdhsa_system_vgpr_workitem_id 1
		.amdhsa_next_free_vgpr 41
		.amdhsa_next_free_sgpr 24
		.amdhsa_reserve_vcc 1
		.amdhsa_float_round_mode_32 0
		.amdhsa_float_round_mode_16_64 0
		.amdhsa_float_denorm_mode_32 3
		.amdhsa_float_denorm_mode_16_64 3
		.amdhsa_dx10_clamp 1
		.amdhsa_ieee_mode 1
		.amdhsa_fp16_overflow 0
		.amdhsa_workgroup_processor_mode 1
		.amdhsa_memory_ordered 1
		.amdhsa_forward_progress 0
		.amdhsa_shared_vgpr_count 0
		.amdhsa_exception_fp_ieee_invalid_op 0
		.amdhsa_exception_fp_denorm_src 0
		.amdhsa_exception_fp_ieee_div_zero 0
		.amdhsa_exception_fp_ieee_overflow 0
		.amdhsa_exception_fp_ieee_underflow 0
		.amdhsa_exception_fp_ieee_inexact 0
		.amdhsa_exception_int_div_zero 0
	.end_amdhsa_kernel
	.section	.text._ZN12_GLOBAL__N_120softmax_warp_forwardIdddLi6ELb0ELb0ELi32EEEvPT0_PKT_iiiPKbib,"axG",@progbits,_ZN12_GLOBAL__N_120softmax_warp_forwardIdddLi6ELb0ELb0ELi32EEEvPT0_PKT_iiiPKbib,comdat
.Lfunc_end367:
	.size	_ZN12_GLOBAL__N_120softmax_warp_forwardIdddLi6ELb0ELb0ELi32EEEvPT0_PKT_iiiPKbib, .Lfunc_end367-_ZN12_GLOBAL__N_120softmax_warp_forwardIdddLi6ELb0ELb0ELi32EEEvPT0_PKT_iiiPKbib
                                        ; -- End function
	.section	.AMDGPU.csdata,"",@progbits
; Kernel info:
; codeLenInByte = 3104
; NumSgprs: 26
; NumVgprs: 41
; ScratchSize: 0
; MemoryBound: 0
; FloatMode: 240
; IeeeMode: 1
; LDSByteSize: 0 bytes/workgroup (compile time only)
; SGPRBlocks: 3
; VGPRBlocks: 5
; NumSGPRsForWavesPerEU: 26
; NumVGPRsForWavesPerEU: 41
; Occupancy: 16
; WaveLimiterHint : 0
; COMPUTE_PGM_RSRC2:SCRATCH_EN: 0
; COMPUTE_PGM_RSRC2:USER_SGPR: 15
; COMPUTE_PGM_RSRC2:TRAP_HANDLER: 0
; COMPUTE_PGM_RSRC2:TGID_X_EN: 1
; COMPUTE_PGM_RSRC2:TGID_Y_EN: 0
; COMPUTE_PGM_RSRC2:TGID_Z_EN: 0
; COMPUTE_PGM_RSRC2:TIDIG_COMP_CNT: 1
	.section	.text._ZN12_GLOBAL__N_120softmax_warp_forwardIdddLi7ELb0ELb0ELi64EEEvPT0_PKT_iiiPKbib,"axG",@progbits,_ZN12_GLOBAL__N_120softmax_warp_forwardIdddLi7ELb0ELb0ELi64EEEvPT0_PKT_iiiPKbib,comdat
	.globl	_ZN12_GLOBAL__N_120softmax_warp_forwardIdddLi7ELb0ELb0ELi64EEEvPT0_PKT_iiiPKbib ; -- Begin function _ZN12_GLOBAL__N_120softmax_warp_forwardIdddLi7ELb0ELb0ELi64EEEvPT0_PKT_iiiPKbib
	.p2align	8
	.type	_ZN12_GLOBAL__N_120softmax_warp_forwardIdddLi7ELb0ELb0ELi64EEEvPT0_PKT_iiiPKbib,@function
_ZN12_GLOBAL__N_120softmax_warp_forwardIdddLi7ELb0ELb0ELi64EEEvPT0_PKT_iiiPKbib: ; @_ZN12_GLOBAL__N_120softmax_warp_forwardIdddLi7ELb0ELb0ELi64EEEvPT0_PKT_iiiPKbib
; %bb.0:
	s_clause 0x1
	s_load_b32 s2, s[0:1], 0x3c
	s_load_b256 s[16:23], s[0:1], 0x0
	v_bfe_u32 v1, v0, 10, 10
	v_and_b32_e32 v4, 0x3ff, v0
	s_waitcnt lgkmcnt(0)
	s_lshr_b32 s0, s2, 16
	s_delay_alu instid0(SALU_CYCLE_1) | instskip(NEXT) | instid1(SALU_CYCLE_1)
	s_mul_i32 s15, s15, s0
	v_add_lshl_u32 v2, s15, v1, 1
	s_delay_alu instid0(VALU_DEP_1) | instskip(SKIP_3) | instid1(VALU_DEP_3)
	v_mad_u64_u32 v[0:1], null, v2, s21, v[4:5]
	v_sub_nc_u32_e32 v18, s20, v2
	v_mov_b32_e32 v2, 0
	v_mov_b32_e32 v3, 0xfff00000
	v_cmp_lt_i32_e32 vcc_lo, 0, v18
	v_ashrrev_i32_e32 v1, 31, v0
	s_delay_alu instid0(VALU_DEP_3) | instskip(SKIP_2) | instid1(VALU_DEP_4)
	v_mov_b32_e32 v9, v3
	v_cmp_gt_i32_e64 s1, s22, v4
	v_mov_b32_e32 v8, v2
	v_lshlrev_b64 v[0:1], 3, v[0:1]
	s_delay_alu instid0(VALU_DEP_3) | instskip(NEXT) | instid1(VALU_DEP_1)
	s_and_b32 s2, vcc_lo, s1
	v_add_co_u32 v10, s0, s18, v0
	s_delay_alu instid0(VALU_DEP_1)
	v_add_co_ci_u32_e64 v11, s0, s19, v1, s0
	s_and_saveexec_b32 s0, s2
	s_cbranch_execz .LBB368_2
; %bb.1:
	global_load_b64 v[8:9], v[10:11], off
.LBB368_2:
	s_or_b32 exec_lo, exec_lo, s0
	v_add_nc_u32_e32 v4, 64, v4
	s_delay_alu instid0(VALU_DEP_1) | instskip(NEXT) | instid1(VALU_DEP_1)
	v_cmp_gt_i32_e64 s0, s22, v4
	s_and_b32 s3, vcc_lo, s0
	s_delay_alu instid0(SALU_CYCLE_1)
	s_and_saveexec_b32 s2, s3
	s_cbranch_execz .LBB368_4
; %bb.3:
	global_load_b64 v[2:3], v[10:11], off offset:512
.LBB368_4:
	s_or_b32 exec_lo, exec_lo, s2
	v_mov_b32_e32 v4, 0
	v_mov_b32_e32 v5, 0xfff00000
	v_cmp_lt_i32_e64 s2, 1, v18
	s_delay_alu instid0(VALU_DEP_2) | instskip(NEXT) | instid1(VALU_DEP_2)
	v_dual_mov_b32 v7, v5 :: v_dual_mov_b32 v6, v4
	s_and_b32 s3, s2, s1
	s_delay_alu instid0(SALU_CYCLE_1)
	s_and_saveexec_b32 s4, s3
	s_cbranch_execz .LBB368_6
; %bb.5:
	s_mov_b32 s23, 0
	s_delay_alu instid0(SALU_CYCLE_1) | instskip(NEXT) | instid1(SALU_CYCLE_1)
	s_lshl_b64 s[6:7], s[22:23], 3
	v_add_co_u32 v6, s3, v10, s6
	s_delay_alu instid0(VALU_DEP_1)
	v_add_co_ci_u32_e64 v7, s3, s7, v11, s3
	global_load_b64 v[6:7], v[6:7], off
.LBB368_6:
	s_or_b32 exec_lo, exec_lo, s4
	s_and_b32 s2, s2, s0
	s_delay_alu instid0(SALU_CYCLE_1)
	s_and_saveexec_b32 s3, s2
	s_cbranch_execz .LBB368_8
; %bb.7:
	s_mov_b32 s23, 0
	s_delay_alu instid0(SALU_CYCLE_1) | instskip(NEXT) | instid1(SALU_CYCLE_1)
	s_lshl_b64 s[4:5], s[22:23], 3
	v_add_co_u32 v4, s2, v10, s4
	s_delay_alu instid0(VALU_DEP_1)
	v_add_co_ci_u32_e64 v5, s2, s5, v11, s2
	global_load_b64 v[4:5], v[4:5], off offset:512
.LBB368_8:
	s_or_b32 exec_lo, exec_lo, s3
	s_waitcnt vmcnt(0)
	v_cmp_gt_f64_e64 s2, v[8:9], v[2:3]
	v_cmp_gt_f64_e64 s3, v[6:7], v[4:5]
	v_mbcnt_lo_u32_b32 v23, -1, 0
	s_mov_b32 s6, 0x6a5dcb37
	s_mov_b32 s7, 0x3e5ade15
	s_delay_alu instid0(VALU_DEP_1) | instskip(SKIP_2) | instid1(VALU_DEP_3)
	v_or_b32_e32 v10, 32, v23
	v_xor_b32_e32 v11, 16, v23
	v_xor_b32_e32 v24, 2, v23
	v_cmp_gt_i32_e64 s4, 64, v10
	s_delay_alu instid0(VALU_DEP_1) | instskip(NEXT) | instid1(VALU_DEP_4)
	v_cndmask_b32_e64 v10, v23, v10, s4
	v_cmp_gt_i32_e64 s4, 64, v11
	s_delay_alu instid0(VALU_DEP_2) | instskip(NEXT) | instid1(VALU_DEP_2)
	v_lshlrev_b32_e32 v10, 2, v10
	v_cndmask_b32_e64 v11, v23, v11, s4
	s_delay_alu instid0(VALU_DEP_1)
	v_lshlrev_b32_e32 v11, 2, v11
	v_cndmask_b32_e64 v13, v3, v9, s2
	v_cndmask_b32_e64 v12, v2, v8, s2
	;; [unrolled: 1-line block ×4, first 2 shown]
	ds_bpermute_b32 v17, v10, v13
	ds_bpermute_b32 v16, v10, v12
	;; [unrolled: 1-line block ×4, first 2 shown]
	s_waitcnt lgkmcnt(2)
	v_cmp_lt_f64_e64 s2, v[12:13], v[16:17]
	s_waitcnt lgkmcnt(0)
	v_cmp_lt_f64_e64 s3, v[14:15], v[19:20]
	s_delay_alu instid0(VALU_DEP_2) | instskip(SKIP_1) | instid1(VALU_DEP_3)
	v_cndmask_b32_e64 v17, v13, v17, s2
	v_cndmask_b32_e64 v16, v12, v16, s2
	v_cndmask_b32_e64 v15, v15, v20, s3
	v_cndmask_b32_e64 v14, v14, v19, s3
	v_xor_b32_e32 v12, 8, v23
	ds_bpermute_b32 v20, v11, v17
	ds_bpermute_b32 v19, v11, v16
	;; [unrolled: 1-line block ×4, first 2 shown]
	v_cmp_gt_i32_e64 s4, 64, v12
	v_xor_b32_e32 v13, 4, v23
	s_delay_alu instid0(VALU_DEP_2) | instskip(NEXT) | instid1(VALU_DEP_2)
	v_cndmask_b32_e64 v12, v23, v12, s4
	v_cmp_gt_i32_e64 s4, 64, v13
	s_delay_alu instid0(VALU_DEP_2) | instskip(NEXT) | instid1(VALU_DEP_2)
	v_lshlrev_b32_e32 v12, 2, v12
	v_cndmask_b32_e64 v13, v23, v13, s4
	v_cmp_gt_i32_e64 s4, 64, v24
	s_delay_alu instid0(VALU_DEP_2) | instskip(SKIP_2) | instid1(VALU_DEP_3)
	v_lshlrev_b32_e32 v13, 2, v13
	s_waitcnt lgkmcnt(2)
	v_cmp_lt_f64_e64 s2, v[16:17], v[19:20]
	v_cndmask_b32_e64 v24, v23, v24, s4
	s_waitcnt lgkmcnt(0)
	v_cmp_lt_f64_e64 s3, v[14:15], v[21:22]
	s_delay_alu instid0(VALU_DEP_2) | instskip(SKIP_1) | instid1(VALU_DEP_1)
	v_lshlrev_b32_e32 v39, 2, v24
	v_xor_b32_e32 v24, 1, v23
	v_cmp_gt_i32_e64 s4, 64, v24
	s_delay_alu instid0(VALU_DEP_1) | instskip(SKIP_2) | instid1(VALU_DEP_1)
	v_cndmask_b32_e64 v23, v23, v24, s4
	s_mov_b32 s4, 0x3b39803f
	s_mov_b32 s5, 0xbc7abc9e
	v_lshlrev_b32_e32 v40, 2, v23
	v_cndmask_b32_e64 v17, v17, v20, s2
	v_cndmask_b32_e64 v16, v16, v19, s2
	v_cndmask_b32_e64 v15, v15, v22, s3
	v_cndmask_b32_e64 v14, v14, v21, s3
	ds_bpermute_b32 v20, v12, v17
	ds_bpermute_b32 v19, v12, v16
	ds_bpermute_b32 v22, v12, v15
	ds_bpermute_b32 v21, v12, v14
	s_waitcnt lgkmcnt(2)
	v_cmp_lt_f64_e64 s2, v[16:17], v[19:20]
	s_waitcnt lgkmcnt(0)
	v_cmp_lt_f64_e64 s3, v[14:15], v[21:22]
	s_delay_alu instid0(VALU_DEP_2) | instskip(SKIP_1) | instid1(VALU_DEP_3)
	v_cndmask_b32_e64 v17, v17, v20, s2
	v_cndmask_b32_e64 v16, v16, v19, s2
	v_cndmask_b32_e64 v15, v15, v22, s3
	v_cndmask_b32_e64 v14, v14, v21, s3
	ds_bpermute_b32 v20, v13, v17
	ds_bpermute_b32 v19, v13, v16
	ds_bpermute_b32 v22, v13, v15
	ds_bpermute_b32 v21, v13, v14
	s_waitcnt lgkmcnt(2)
	v_cmp_lt_f64_e64 s2, v[16:17], v[19:20]
	s_waitcnt lgkmcnt(0)
	v_cmp_lt_f64_e64 s3, v[14:15], v[21:22]
	s_delay_alu instid0(VALU_DEP_2) | instskip(SKIP_1) | instid1(VALU_DEP_3)
	;; [unrolled: 13-line block ×4, first 2 shown]
	v_cndmask_b32_e64 v17, v17, v20, s2
	v_cndmask_b32_e64 v16, v16, v19, s2
	;; [unrolled: 1-line block ×4, first 2 shown]
	s_mov_b32 s2, 0x652b82fe
	s_mov_b32 s3, 0x3ff71547
	v_add_f64 v[8:9], v[8:9], -v[16:17]
	v_add_f64 v[2:3], v[2:3], -v[16:17]
	;; [unrolled: 1-line block ×4, first 2 shown]
	s_delay_alu instid0(VALU_DEP_4) | instskip(NEXT) | instid1(VALU_DEP_4)
	v_mul_f64 v[14:15], v[8:9], s[2:3]
	v_mul_f64 v[19:20], v[2:3], s[2:3]
	s_delay_alu instid0(VALU_DEP_4) | instskip(NEXT) | instid1(VALU_DEP_4)
	v_mul_f64 v[16:17], v[6:7], s[2:3]
	v_mul_f64 v[21:22], v[4:5], s[2:3]
	s_mov_b32 s2, 0xfefa39ef
	s_mov_b32 s3, 0xbfe62e42
	v_cmp_nlt_f64_e64 s8, 0x40900000, v[4:5]
	v_cmp_ngt_f64_e64 s9, 0xc090cc00, v[4:5]
	v_rndne_f64_e32 v[14:15], v[14:15]
	v_rndne_f64_e32 v[19:20], v[19:20]
	;; [unrolled: 1-line block ×4, first 2 shown]
	s_delay_alu instid0(VALU_DEP_4) | instskip(NEXT) | instid1(VALU_DEP_4)
	v_fma_f64 v[23:24], v[14:15], s[2:3], v[8:9]
	v_fma_f64 v[27:28], v[19:20], s[2:3], v[2:3]
	s_delay_alu instid0(VALU_DEP_4) | instskip(NEXT) | instid1(VALU_DEP_4)
	v_fma_f64 v[25:26], v[16:17], s[2:3], v[6:7]
	v_fma_f64 v[29:30], v[21:22], s[2:3], v[4:5]
	s_mov_b32 s2, 0xfca7ab0c
	s_mov_b32 s3, 0x3e928af3
	v_cvt_i32_f64_e32 v41, v[14:15]
	v_fma_f64 v[23:24], v[14:15], s[4:5], v[23:24]
	v_fma_f64 v[27:28], v[19:20], s[4:5], v[27:28]
	;; [unrolled: 1-line block ×4, first 2 shown]
	s_mov_b32 s4, 0x623fde64
	s_mov_b32 s5, 0x3ec71dee
	s_delay_alu instid0(VALU_DEP_4) | instskip(NEXT) | instid1(VALU_DEP_4)
	v_fma_f64 v[31:32], v[23:24], s[6:7], s[2:3]
	v_fma_f64 v[35:36], v[27:28], s[6:7], s[2:3]
	s_delay_alu instid0(VALU_DEP_4) | instskip(NEXT) | instid1(VALU_DEP_4)
	v_fma_f64 v[33:34], v[25:26], s[6:7], s[2:3]
	v_fma_f64 v[37:38], v[29:30], s[6:7], s[2:3]
	s_mov_b32 s2, 0x7c89e6b0
	s_mov_b32 s3, 0x3efa0199
	v_cmp_nlt_f64_e64 s6, 0x40900000, v[2:3]
	v_cmp_ngt_f64_e64 s7, 0xc090cc00, v[2:3]
	v_fma_f64 v[31:32], v[23:24], v[31:32], s[4:5]
	v_fma_f64 v[35:36], v[27:28], v[35:36], s[4:5]
	;; [unrolled: 1-line block ×4, first 2 shown]
	s_mov_b32 s4, 0x14761f6e
	s_mov_b32 s5, 0x3f2a01a0
	s_delay_alu instid0(VALU_DEP_4) | instskip(NEXT) | instid1(VALU_DEP_4)
	v_fma_f64 v[31:32], v[23:24], v[31:32], s[2:3]
	v_fma_f64 v[35:36], v[27:28], v[35:36], s[2:3]
	s_delay_alu instid0(VALU_DEP_4) | instskip(NEXT) | instid1(VALU_DEP_4)
	v_fma_f64 v[33:34], v[25:26], v[33:34], s[2:3]
	v_fma_f64 v[37:38], v[29:30], v[37:38], s[2:3]
	s_mov_b32 s2, 0x1852b7b0
	s_mov_b32 s3, 0x3f56c16c
	s_delay_alu instid0(VALU_DEP_4) | instskip(NEXT) | instid1(VALU_DEP_4)
	v_fma_f64 v[31:32], v[23:24], v[31:32], s[4:5]
	v_fma_f64 v[35:36], v[27:28], v[35:36], s[4:5]
	s_delay_alu instid0(VALU_DEP_4) | instskip(NEXT) | instid1(VALU_DEP_4)
	v_fma_f64 v[33:34], v[25:26], v[33:34], s[4:5]
	v_fma_f64 v[37:38], v[29:30], v[37:38], s[4:5]
	;; [unrolled: 8-line block ×6, first 2 shown]
	v_cmp_nlt_f64_e64 s4, 0x40900000, v[6:7]
	v_cmp_ngt_f64_e64 s5, 0xc090cc00, v[6:7]
	v_fma_f64 v[31:32], v[23:24], v[31:32], s[2:3]
	v_fma_f64 v[35:36], v[27:28], v[35:36], s[2:3]
	;; [unrolled: 1-line block ×4, first 2 shown]
	v_cmp_nlt_f64_e64 s2, 0x40900000, v[8:9]
	v_cmp_ngt_f64_e64 s3, 0xc090cc00, v[8:9]
	v_fma_f64 v[31:32], v[23:24], v[31:32], 1.0
	v_fma_f64 v[35:36], v[27:28], v[35:36], 1.0
	v_fma_f64 v[33:34], v[25:26], v[33:34], 1.0
	v_fma_f64 v[37:38], v[29:30], v[37:38], 1.0
	s_delay_alu instid0(VALU_DEP_4) | instskip(SKIP_1) | instid1(VALU_DEP_4)
	v_fma_f64 v[14:15], v[23:24], v[31:32], 1.0
	v_cvt_i32_f64_e32 v23, v[16:17]
	v_fma_f64 v[16:17], v[25:26], v[33:34], 1.0
	v_cvt_i32_f64_e32 v24, v[19:20]
	;; [unrolled: 2-line block ×3, first 2 shown]
	v_fma_f64 v[21:22], v[29:30], v[37:38], 1.0
	v_ldexp_f64 v[14:15], v[14:15], v41
	v_ldexp_f64 v[16:17], v[16:17], v23
	;; [unrolled: 1-line block ×3, first 2 shown]
	s_delay_alu instid0(VALU_DEP_4) | instskip(NEXT) | instid1(VALU_DEP_4)
	v_ldexp_f64 v[21:22], v[21:22], v25
	v_cndmask_b32_e64 v15, 0x7ff00000, v15, s2
	s_and_b32 s2, s3, s2
	s_delay_alu instid0(VALU_DEP_4) | instskip(NEXT) | instid1(VALU_DEP_4)
	v_cndmask_b32_e64 v8, 0x7ff00000, v17, s4
	v_cndmask_b32_e64 v6, 0x7ff00000, v20, s6
	s_delay_alu instid0(VALU_DEP_3) | instskip(SKIP_1) | instid1(VALU_DEP_4)
	v_cndmask_b32_e64 v9, 0, v15, s3
	v_cndmask_b32_e64 v2, 0x7ff00000, v22, s8
	;; [unrolled: 1-line block ×4, first 2 shown]
	s_and_b32 s2, s5, s4
	v_cndmask_b32_e64 v7, 0, v6, s7
	v_cndmask_b32_e64 v4, 0, v16, s2
	s_and_b32 s2, s7, s6
	v_add_f64 v[14:15], v[8:9], 0
	v_cndmask_b32_e64 v6, 0, v19, s2
	s_and_b32 s2, s9, s8
	v_add_f64 v[16:17], v[4:5], 0
	v_cndmask_b32_e64 v3, 0, v2, s9
	v_cndmask_b32_e64 v2, 0, v21, s2
	v_add_f64 v[14:15], v[14:15], v[6:7]
	s_delay_alu instid0(VALU_DEP_2)
	v_add_f64 v[16:17], v[16:17], v[2:3]
	ds_bpermute_b32 v19, v10, v14
	ds_bpermute_b32 v20, v10, v15
	ds_bpermute_b32 v21, v10, v16
	ds_bpermute_b32 v22, v10, v17
	s_waitcnt lgkmcnt(2)
	v_add_f64 v[14:15], v[14:15], v[19:20]
	s_waitcnt lgkmcnt(0)
	v_add_f64 v[16:17], v[16:17], v[21:22]
	ds_bpermute_b32 v19, v11, v14
	ds_bpermute_b32 v20, v11, v15
	ds_bpermute_b32 v10, v11, v16
	ds_bpermute_b32 v11, v11, v17
	s_waitcnt lgkmcnt(2)
	v_add_f64 v[14:15], v[14:15], v[19:20]
	s_waitcnt lgkmcnt(0)
	v_add_f64 v[10:11], v[16:17], v[10:11]
	ds_bpermute_b32 v16, v12, v14
	ds_bpermute_b32 v17, v12, v15
	ds_bpermute_b32 v19, v12, v10
	ds_bpermute_b32 v20, v12, v11
	s_waitcnt lgkmcnt(2)
	v_add_f64 v[14:15], v[14:15], v[16:17]
	s_waitcnt lgkmcnt(0)
	v_add_f64 v[10:11], v[10:11], v[19:20]
	ds_bpermute_b32 v16, v13, v14
	ds_bpermute_b32 v17, v13, v15
	ds_bpermute_b32 v12, v13, v10
	ds_bpermute_b32 v13, v13, v11
	s_waitcnt lgkmcnt(2)
	v_add_f64 v[14:15], v[14:15], v[16:17]
	s_waitcnt lgkmcnt(0)
	v_add_f64 v[10:11], v[10:11], v[12:13]
	ds_bpermute_b32 v12, v39, v14
	ds_bpermute_b32 v13, v39, v15
	ds_bpermute_b32 v16, v39, v10
	ds_bpermute_b32 v17, v39, v11
	s_waitcnt lgkmcnt(2)
	v_add_f64 v[14:15], v[14:15], v[12:13]
	s_waitcnt lgkmcnt(0)
	v_add_f64 v[10:11], v[10:11], v[16:17]
	ds_bpermute_b32 v16, v40, v14
	ds_bpermute_b32 v17, v40, v15
	;; [unrolled: 1-line block ×4, first 2 shown]
	s_and_saveexec_b32 s2, vcc_lo
	s_cbranch_execz .LBB368_16
; %bb.9:
	v_add_co_u32 v0, vcc_lo, s16, v0
	v_add_co_ci_u32_e32 v1, vcc_lo, s17, v1, vcc_lo
	s_and_saveexec_b32 s3, s1
	s_cbranch_execz .LBB368_12
; %bb.10:
	s_waitcnt lgkmcnt(2)
	v_add_f64 v[14:15], v[14:15], v[16:17]
	s_delay_alu instid0(VALU_DEP_1) | instskip(SKIP_2) | instid1(VALU_DEP_3)
	v_div_scale_f64 v[16:17], null, v[14:15], v[14:15], v[8:9]
	v_div_scale_f64 v[23:24], vcc_lo, v[8:9], v[14:15], v[8:9]
	v_cmp_eq_f64_e64 s2, 0, v[14:15]
	v_rcp_f64_e32 v[19:20], v[16:17]
	s_waitcnt_depctr 0xfff
	v_fma_f64 v[21:22], -v[16:17], v[19:20], 1.0
	s_delay_alu instid0(VALU_DEP_1) | instskip(NEXT) | instid1(VALU_DEP_1)
	v_fma_f64 v[19:20], v[19:20], v[21:22], v[19:20]
	v_fma_f64 v[21:22], -v[16:17], v[19:20], 1.0
	s_delay_alu instid0(VALU_DEP_1) | instskip(NEXT) | instid1(VALU_DEP_1)
	v_fma_f64 v[19:20], v[19:20], v[21:22], v[19:20]
	v_mul_f64 v[21:22], v[23:24], v[19:20]
	s_delay_alu instid0(VALU_DEP_1) | instskip(NEXT) | instid1(VALU_DEP_1)
	v_fma_f64 v[16:17], -v[16:17], v[21:22], v[23:24]
	v_div_fmas_f64 v[16:17], v[16:17], v[19:20], v[21:22]
	s_delay_alu instid0(VALU_DEP_1) | instskip(NEXT) | instid1(VALU_DEP_1)
	v_div_fixup_f64 v[8:9], v[16:17], v[14:15], v[8:9]
	v_cndmask_b32_e64 v9, v9, 0x7ff80000, s2
	s_delay_alu instid0(VALU_DEP_2)
	v_cndmask_b32_e64 v8, v8, 0, s2
	global_store_b64 v[0:1], v[8:9], off
	s_and_b32 exec_lo, exec_lo, s0
	s_cbranch_execz .LBB368_12
; %bb.11:
	v_div_scale_f64 v[8:9], null, v[14:15], v[14:15], v[6:7]
	v_div_scale_f64 v[21:22], vcc_lo, v[6:7], v[14:15], v[6:7]
	s_delay_alu instid0(VALU_DEP_2) | instskip(SKIP_2) | instid1(VALU_DEP_1)
	v_rcp_f64_e32 v[16:17], v[8:9]
	s_waitcnt_depctr 0xfff
	v_fma_f64 v[19:20], -v[8:9], v[16:17], 1.0
	v_fma_f64 v[16:17], v[16:17], v[19:20], v[16:17]
	s_delay_alu instid0(VALU_DEP_1) | instskip(NEXT) | instid1(VALU_DEP_1)
	v_fma_f64 v[19:20], -v[8:9], v[16:17], 1.0
	v_fma_f64 v[16:17], v[16:17], v[19:20], v[16:17]
	s_delay_alu instid0(VALU_DEP_1) | instskip(NEXT) | instid1(VALU_DEP_1)
	v_mul_f64 v[19:20], v[21:22], v[16:17]
	v_fma_f64 v[8:9], -v[8:9], v[19:20], v[21:22]
	s_delay_alu instid0(VALU_DEP_1) | instskip(NEXT) | instid1(VALU_DEP_1)
	v_div_fmas_f64 v[8:9], v[8:9], v[16:17], v[19:20]
	v_div_fixup_f64 v[6:7], v[8:9], v[14:15], v[6:7]
	s_delay_alu instid0(VALU_DEP_1) | instskip(NEXT) | instid1(VALU_DEP_2)
	v_cndmask_b32_e64 v7, v7, 0x7ff80000, s2
	v_cndmask_b32_e64 v6, v6, 0, s2
	global_store_b64 v[0:1], v[6:7], off offset:512
.LBB368_12:
	s_or_b32 exec_lo, exec_lo, s3
	v_cmp_ne_u32_e32 vcc_lo, 1, v18
	s_and_b32 exec_lo, exec_lo, vcc_lo
	s_cbranch_execz .LBB368_16
; %bb.13:
	s_and_b32 exec_lo, exec_lo, s1
	s_cbranch_execz .LBB368_16
; %bb.14:
	s_waitcnt lgkmcnt(0)
	v_add_f64 v[6:7], v[10:11], v[12:13]
	s_mov_b32 s23, 0
	s_delay_alu instid0(SALU_CYCLE_1) | instskip(NEXT) | instid1(VALU_DEP_1)
	s_lshl_b64 s[2:3], s[22:23], 3
	v_div_scale_f64 v[8:9], null, v[6:7], v[6:7], v[4:5]
	v_div_scale_f64 v[14:15], vcc_lo, v[4:5], v[6:7], v[4:5]
	v_cmp_eq_f64_e64 s1, 0, v[6:7]
	s_delay_alu instid0(VALU_DEP_3) | instskip(SKIP_2) | instid1(VALU_DEP_1)
	v_rcp_f64_e32 v[10:11], v[8:9]
	s_waitcnt_depctr 0xfff
	v_fma_f64 v[12:13], -v[8:9], v[10:11], 1.0
	v_fma_f64 v[10:11], v[10:11], v[12:13], v[10:11]
	s_delay_alu instid0(VALU_DEP_1) | instskip(NEXT) | instid1(VALU_DEP_1)
	v_fma_f64 v[12:13], -v[8:9], v[10:11], 1.0
	v_fma_f64 v[10:11], v[10:11], v[12:13], v[10:11]
	s_delay_alu instid0(VALU_DEP_1) | instskip(NEXT) | instid1(VALU_DEP_1)
	v_mul_f64 v[12:13], v[14:15], v[10:11]
	v_fma_f64 v[8:9], -v[8:9], v[12:13], v[14:15]
	s_delay_alu instid0(VALU_DEP_1) | instskip(NEXT) | instid1(VALU_DEP_1)
	v_div_fmas_f64 v[8:9], v[8:9], v[10:11], v[12:13]
	v_div_fixup_f64 v[4:5], v[8:9], v[6:7], v[4:5]
	v_add_co_u32 v8, vcc_lo, v0, s2
	v_add_co_ci_u32_e32 v9, vcc_lo, s3, v1, vcc_lo
	s_delay_alu instid0(VALU_DEP_3) | instskip(NEXT) | instid1(VALU_DEP_4)
	v_cndmask_b32_e64 v5, v5, 0x7ff80000, s1
	v_cndmask_b32_e64 v4, v4, 0, s1
	global_store_b64 v[8:9], v[4:5], off
	s_and_b32 exec_lo, exec_lo, s0
	s_cbranch_execz .LBB368_16
; %bb.15:
	v_div_scale_f64 v[4:5], null, v[6:7], v[6:7], v[2:3]
	v_div_scale_f64 v[12:13], vcc_lo, v[2:3], v[6:7], v[2:3]
	s_ashr_i32 s23, s22, 31
	s_delay_alu instid0(SALU_CYCLE_1) | instskip(NEXT) | instid1(VALU_DEP_2)
	s_lshl_b64 s[2:3], s[22:23], 3
	v_rcp_f64_e32 v[8:9], v[4:5]
	s_waitcnt_depctr 0xfff
	v_fma_f64 v[10:11], -v[4:5], v[8:9], 1.0
	s_delay_alu instid0(VALU_DEP_1) | instskip(NEXT) | instid1(VALU_DEP_1)
	v_fma_f64 v[8:9], v[8:9], v[10:11], v[8:9]
	v_fma_f64 v[10:11], -v[4:5], v[8:9], 1.0
	s_delay_alu instid0(VALU_DEP_1) | instskip(NEXT) | instid1(VALU_DEP_1)
	v_fma_f64 v[8:9], v[8:9], v[10:11], v[8:9]
	v_mul_f64 v[10:11], v[12:13], v[8:9]
	s_delay_alu instid0(VALU_DEP_1) | instskip(NEXT) | instid1(VALU_DEP_1)
	v_fma_f64 v[4:5], -v[4:5], v[10:11], v[12:13]
	v_div_fmas_f64 v[4:5], v[4:5], v[8:9], v[10:11]
	v_add_co_u32 v0, vcc_lo, v0, s2
	v_add_co_ci_u32_e32 v1, vcc_lo, s3, v1, vcc_lo
	s_delay_alu instid0(VALU_DEP_3) | instskip(NEXT) | instid1(VALU_DEP_1)
	v_div_fixup_f64 v[2:3], v[4:5], v[6:7], v[2:3]
	v_cndmask_b32_e64 v3, v3, 0x7ff80000, s1
	s_delay_alu instid0(VALU_DEP_2)
	v_cndmask_b32_e64 v2, v2, 0, s1
	global_store_b64 v[0:1], v[2:3], off offset:512
.LBB368_16:
	s_nop 0
	s_sendmsg sendmsg(MSG_DEALLOC_VGPRS)
	s_endpgm
	.section	.rodata,"a",@progbits
	.p2align	6, 0x0
	.amdhsa_kernel _ZN12_GLOBAL__N_120softmax_warp_forwardIdddLi7ELb0ELb0ELi64EEEvPT0_PKT_iiiPKbib
		.amdhsa_group_segment_fixed_size 0
		.amdhsa_private_segment_fixed_size 0
		.amdhsa_kernarg_size 304
		.amdhsa_user_sgpr_count 15
		.amdhsa_user_sgpr_dispatch_ptr 0
		.amdhsa_user_sgpr_queue_ptr 0
		.amdhsa_user_sgpr_kernarg_segment_ptr 1
		.amdhsa_user_sgpr_dispatch_id 0
		.amdhsa_user_sgpr_private_segment_size 0
		.amdhsa_wavefront_size32 1
		.amdhsa_uses_dynamic_stack 0
		.amdhsa_enable_private_segment 0
		.amdhsa_system_sgpr_workgroup_id_x 1
		.amdhsa_system_sgpr_workgroup_id_y 0
		.amdhsa_system_sgpr_workgroup_id_z 0
		.amdhsa_system_sgpr_workgroup_info 0
		.amdhsa_system_vgpr_workitem_id 1
		.amdhsa_next_free_vgpr 42
		.amdhsa_next_free_sgpr 24
		.amdhsa_reserve_vcc 1
		.amdhsa_float_round_mode_32 0
		.amdhsa_float_round_mode_16_64 0
		.amdhsa_float_denorm_mode_32 3
		.amdhsa_float_denorm_mode_16_64 3
		.amdhsa_dx10_clamp 1
		.amdhsa_ieee_mode 1
		.amdhsa_fp16_overflow 0
		.amdhsa_workgroup_processor_mode 1
		.amdhsa_memory_ordered 1
		.amdhsa_forward_progress 0
		.amdhsa_shared_vgpr_count 0
		.amdhsa_exception_fp_ieee_invalid_op 0
		.amdhsa_exception_fp_denorm_src 0
		.amdhsa_exception_fp_ieee_div_zero 0
		.amdhsa_exception_fp_ieee_overflow 0
		.amdhsa_exception_fp_ieee_underflow 0
		.amdhsa_exception_fp_ieee_inexact 0
		.amdhsa_exception_int_div_zero 0
	.end_amdhsa_kernel
	.section	.text._ZN12_GLOBAL__N_120softmax_warp_forwardIdddLi7ELb0ELb0ELi64EEEvPT0_PKT_iiiPKbib,"axG",@progbits,_ZN12_GLOBAL__N_120softmax_warp_forwardIdddLi7ELb0ELb0ELi64EEEvPT0_PKT_iiiPKbib,comdat
.Lfunc_end368:
	.size	_ZN12_GLOBAL__N_120softmax_warp_forwardIdddLi7ELb0ELb0ELi64EEEvPT0_PKT_iiiPKbib, .Lfunc_end368-_ZN12_GLOBAL__N_120softmax_warp_forwardIdddLi7ELb0ELb0ELi64EEEvPT0_PKT_iiiPKbib
                                        ; -- End function
	.section	.AMDGPU.csdata,"",@progbits
; Kernel info:
; codeLenInByte = 3280
; NumSgprs: 26
; NumVgprs: 42
; ScratchSize: 0
; MemoryBound: 0
; FloatMode: 240
; IeeeMode: 1
; LDSByteSize: 0 bytes/workgroup (compile time only)
; SGPRBlocks: 3
; VGPRBlocks: 5
; NumSGPRsForWavesPerEU: 26
; NumVGPRsForWavesPerEU: 42
; Occupancy: 16
; WaveLimiterHint : 0
; COMPUTE_PGM_RSRC2:SCRATCH_EN: 0
; COMPUTE_PGM_RSRC2:USER_SGPR: 15
; COMPUTE_PGM_RSRC2:TRAP_HANDLER: 0
; COMPUTE_PGM_RSRC2:TGID_X_EN: 1
; COMPUTE_PGM_RSRC2:TGID_Y_EN: 0
; COMPUTE_PGM_RSRC2:TGID_Z_EN: 0
; COMPUTE_PGM_RSRC2:TIDIG_COMP_CNT: 1
	.section	.text._ZN12_GLOBAL__N_120softmax_warp_forwardIdddLi7ELb0ELb0ELi32EEEvPT0_PKT_iiiPKbib,"axG",@progbits,_ZN12_GLOBAL__N_120softmax_warp_forwardIdddLi7ELb0ELb0ELi32EEEvPT0_PKT_iiiPKbib,comdat
	.globl	_ZN12_GLOBAL__N_120softmax_warp_forwardIdddLi7ELb0ELb0ELi32EEEvPT0_PKT_iiiPKbib ; -- Begin function _ZN12_GLOBAL__N_120softmax_warp_forwardIdddLi7ELb0ELb0ELi32EEEvPT0_PKT_iiiPKbib
	.p2align	8
	.type	_ZN12_GLOBAL__N_120softmax_warp_forwardIdddLi7ELb0ELb0ELi32EEEvPT0_PKT_iiiPKbib,@function
_ZN12_GLOBAL__N_120softmax_warp_forwardIdddLi7ELb0ELb0ELi32EEEvPT0_PKT_iiiPKbib: ; @_ZN12_GLOBAL__N_120softmax_warp_forwardIdddLi7ELb0ELb0ELi32EEEvPT0_PKT_iiiPKbib
; %bb.0:
	s_clause 0x1
	s_load_b32 s2, s[0:1], 0x3c
	s_load_b256 s[16:23], s[0:1], 0x0
	v_bfe_u32 v1, v0, 10, 10
	v_mov_b32_e32 v4, 0
	v_mov_b32_e32 v5, 0xfff00000
	s_delay_alu instid0(VALU_DEP_1) | instskip(NEXT) | instid1(VALU_DEP_3)
	v_dual_mov_b32 v17, v5 :: v_dual_and_b32 v8, 0x3ff, v0
	v_mov_b32_e32 v16, v4
	s_waitcnt lgkmcnt(0)
	s_lshr_b32 s0, s2, 16
	s_delay_alu instid0(VALU_DEP_2) | instskip(SKIP_1) | instid1(SALU_CYCLE_1)
	v_cmp_gt_i32_e64 s3, s22, v8
	s_mul_i32 s15, s15, s0
	v_add_lshl_u32 v2, s15, v1, 1
	s_delay_alu instid0(VALU_DEP_1) | instskip(SKIP_1) | instid1(VALU_DEP_1)
	v_mad_u64_u32 v[0:1], null, v2, s21, v[8:9]
	v_sub_nc_u32_e32 v26, s20, v2
	v_cmp_lt_i32_e32 vcc_lo, 0, v26
	s_delay_alu instid0(VALU_DEP_3) | instskip(SKIP_1) | instid1(VALU_DEP_1)
	v_ashrrev_i32_e32 v1, 31, v0
	s_and_b32 s1, vcc_lo, s3
	v_lshlrev_b64 v[0:1], 3, v[0:1]
	s_delay_alu instid0(VALU_DEP_1) | instskip(NEXT) | instid1(VALU_DEP_1)
	v_add_co_u32 v18, s0, s18, v0
	v_add_co_ci_u32_e64 v19, s0, s19, v1, s0
	s_and_saveexec_b32 s0, s1
	s_cbranch_execz .LBB369_2
; %bb.1:
	global_load_b64 v[16:17], v[18:19], off
.LBB369_2:
	s_or_b32 exec_lo, exec_lo, s0
	v_add_nc_u32_e32 v2, 32, v8
	s_delay_alu instid0(VALU_DEP_1) | instskip(NEXT) | instid1(VALU_DEP_1)
	v_cmp_gt_i32_e64 s2, s22, v2
	s_and_b32 s1, vcc_lo, s2
	s_delay_alu instid0(SALU_CYCLE_1)
	s_and_saveexec_b32 s0, s1
	s_cbranch_execz .LBB369_4
; %bb.3:
	global_load_b64 v[4:5], v[18:19], off offset:256
.LBB369_4:
	s_or_b32 exec_lo, exec_lo, s0
	v_add_nc_u32_e32 v6, 64, v8
	v_mov_b32_e32 v2, 0
	v_mov_b32_e32 v3, 0xfff00000
	s_delay_alu instid0(VALU_DEP_3) | instskip(NEXT) | instid1(VALU_DEP_2)
	v_cmp_gt_i32_e64 s1, s22, v6
	v_dual_mov_b32 v7, v3 :: v_dual_mov_b32 v6, v2
	s_delay_alu instid0(VALU_DEP_2) | instskip(NEXT) | instid1(SALU_CYCLE_1)
	s_and_b32 s4, vcc_lo, s1
	s_and_saveexec_b32 s0, s4
	s_cbranch_execz .LBB369_6
; %bb.5:
	global_load_b64 v[6:7], v[18:19], off offset:512
.LBB369_6:
	s_or_b32 exec_lo, exec_lo, s0
	v_add_nc_u32_e32 v8, 0x60, v8
	s_delay_alu instid0(VALU_DEP_1) | instskip(NEXT) | instid1(VALU_DEP_1)
	v_cmp_gt_i32_e64 s0, s22, v8
	s_and_b32 s5, vcc_lo, s0
	s_delay_alu instid0(SALU_CYCLE_1)
	s_and_saveexec_b32 s4, s5
	s_cbranch_execz .LBB369_8
; %bb.7:
	global_load_b64 v[2:3], v[18:19], off offset:768
.LBB369_8:
	s_or_b32 exec_lo, exec_lo, s4
	v_mov_b32_e32 v10, 0
	v_mov_b32_e32 v11, 0xfff00000
	v_cmp_lt_i32_e64 s4, 1, v26
	s_delay_alu instid0(VALU_DEP_2) | instskip(NEXT) | instid1(VALU_DEP_2)
	v_dual_mov_b32 v15, v11 :: v_dual_mov_b32 v14, v10
	s_and_b32 s5, s4, s3
	s_delay_alu instid0(SALU_CYCLE_1)
	s_and_saveexec_b32 s6, s5
	s_cbranch_execz .LBB369_10
; %bb.9:
	s_mov_b32 s23, 0
	s_delay_alu instid0(SALU_CYCLE_1) | instskip(NEXT) | instid1(SALU_CYCLE_1)
	s_lshl_b64 s[8:9], s[22:23], 3
	v_add_co_u32 v8, s5, v18, s8
	s_delay_alu instid0(VALU_DEP_1)
	v_add_co_ci_u32_e64 v9, s5, s9, v19, s5
	global_load_b64 v[14:15], v[8:9], off
.LBB369_10:
	s_or_b32 exec_lo, exec_lo, s6
	s_and_b32 s5, s4, s2
	s_delay_alu instid0(SALU_CYCLE_1)
	s_and_saveexec_b32 s6, s5
	s_cbranch_execz .LBB369_12
; %bb.11:
	s_mov_b32 s23, 0
	s_delay_alu instid0(SALU_CYCLE_1) | instskip(NEXT) | instid1(SALU_CYCLE_1)
	s_lshl_b64 s[8:9], s[22:23], 3
	v_add_co_u32 v8, s5, v18, s8
	s_delay_alu instid0(VALU_DEP_1)
	v_add_co_ci_u32_e64 v9, s5, s9, v19, s5
	global_load_b64 v[10:11], v[8:9], off offset:256
.LBB369_12:
	s_or_b32 exec_lo, exec_lo, s6
	v_mov_b32_e32 v8, 0
	v_mov_b32_e32 v9, 0xfff00000
	s_and_b32 s5, s4, s1
	s_delay_alu instid0(VALU_DEP_1)
	v_dual_mov_b32 v13, v9 :: v_dual_mov_b32 v12, v8
	s_and_saveexec_b32 s6, s5
	s_cbranch_execz .LBB369_14
; %bb.13:
	s_mov_b32 s23, 0
	s_delay_alu instid0(SALU_CYCLE_1) | instskip(NEXT) | instid1(SALU_CYCLE_1)
	s_lshl_b64 s[8:9], s[22:23], 3
	v_add_co_u32 v12, s5, v18, s8
	s_delay_alu instid0(VALU_DEP_1)
	v_add_co_ci_u32_e64 v13, s5, s9, v19, s5
	global_load_b64 v[12:13], v[12:13], off offset:512
.LBB369_14:
	s_or_b32 exec_lo, exec_lo, s6
	s_and_b32 s4, s4, s0
	s_delay_alu instid0(SALU_CYCLE_1)
	s_and_saveexec_b32 s5, s4
	s_cbranch_execz .LBB369_16
; %bb.15:
	s_mov_b32 s23, 0
	s_delay_alu instid0(SALU_CYCLE_1) | instskip(NEXT) | instid1(SALU_CYCLE_1)
	s_lshl_b64 s[6:7], s[22:23], 3
	v_add_co_u32 v8, s4, v18, s6
	s_delay_alu instid0(VALU_DEP_1)
	v_add_co_ci_u32_e64 v9, s4, s7, v19, s4
	global_load_b64 v[8:9], v[8:9], off offset:768
.LBB369_16:
	s_or_b32 exec_lo, exec_lo, s5
	s_waitcnt vmcnt(0)
	v_cmp_gt_f64_e64 s4, v[16:17], v[4:5]
	v_cmp_gt_f64_e64 s5, v[14:15], v[10:11]
	v_mbcnt_lo_u32_b32 v32, -1, 0
	s_mov_b32 s8, 0xfca7ab0c
	s_mov_b32 s10, 0x6a5dcb37
	;; [unrolled: 1-line block ×4, first 2 shown]
	s_delay_alu instid0(VALU_DEP_3) | instskip(SKIP_1) | instid1(VALU_DEP_4)
	v_cndmask_b32_e64 v19, v5, v17, s4
	v_cndmask_b32_e64 v18, v4, v16, s4
	;; [unrolled: 1-line block ×4, first 2 shown]
	s_delay_alu instid0(VALU_DEP_3) | instskip(NEXT) | instid1(VALU_DEP_2)
	v_cmp_gt_f64_e64 s4, v[18:19], v[6:7]
	v_cmp_gt_f64_e64 s5, v[20:21], v[12:13]
	s_delay_alu instid0(VALU_DEP_2) | instskip(SKIP_1) | instid1(VALU_DEP_3)
	v_cndmask_b32_e64 v23, v7, v19, s4
	v_cndmask_b32_e64 v22, v6, v18, s4
	;; [unrolled: 1-line block ×4, first 2 shown]
	v_xor_b32_e32 v18, 16, v32
	v_xor_b32_e32 v19, 8, v32
	v_cmp_gt_f64_e64 s4, v[22:23], v[2:3]
	s_delay_alu instid0(VALU_DEP_4) | instskip(NEXT) | instid1(VALU_DEP_4)
	v_cmp_gt_f64_e64 s5, v[20:21], v[8:9]
	v_cmp_gt_i32_e64 s6, 32, v18
	s_delay_alu instid0(VALU_DEP_1) | instskip(SKIP_1) | instid1(VALU_DEP_2)
	v_cndmask_b32_e64 v18, v32, v18, s6
	v_cmp_gt_i32_e64 s6, 32, v19
	v_lshlrev_b32_e32 v18, 2, v18
	s_delay_alu instid0(VALU_DEP_2) | instskip(NEXT) | instid1(VALU_DEP_1)
	v_cndmask_b32_e64 v19, v32, v19, s6
	v_lshlrev_b32_e32 v19, 2, v19
	v_cndmask_b32_e64 v23, v3, v23, s4
	v_cndmask_b32_e64 v22, v2, v22, s4
	;; [unrolled: 1-line block ×4, first 2 shown]
	ds_bpermute_b32 v25, v18, v23
	ds_bpermute_b32 v24, v18, v22
	;; [unrolled: 1-line block ×4, first 2 shown]
	s_waitcnt lgkmcnt(2)
	v_cmp_lt_f64_e64 s4, v[22:23], v[24:25]
	s_waitcnt lgkmcnt(0)
	v_cmp_lt_f64_e64 s5, v[20:21], v[27:28]
	s_delay_alu instid0(VALU_DEP_2) | instskip(SKIP_1) | instid1(VALU_DEP_3)
	v_cndmask_b32_e64 v25, v23, v25, s4
	v_cndmask_b32_e64 v24, v22, v24, s4
	v_cndmask_b32_e64 v21, v21, v28, s5
	v_cndmask_b32_e64 v20, v20, v27, s5
	v_xor_b32_e32 v22, 4, v32
	ds_bpermute_b32 v28, v19, v25
	ds_bpermute_b32 v27, v19, v24
	;; [unrolled: 1-line block ×4, first 2 shown]
	v_cmp_gt_i32_e64 s6, 32, v22
	v_xor_b32_e32 v23, 2, v32
	s_delay_alu instid0(VALU_DEP_2) | instskip(NEXT) | instid1(VALU_DEP_2)
	v_cndmask_b32_e64 v22, v32, v22, s6
	v_cmp_gt_i32_e64 s6, 32, v23
	s_delay_alu instid0(VALU_DEP_2) | instskip(NEXT) | instid1(VALU_DEP_2)
	v_lshlrev_b32_e32 v22, 2, v22
	v_cndmask_b32_e64 v23, v32, v23, s6
	s_delay_alu instid0(VALU_DEP_1) | instskip(SKIP_4) | instid1(VALU_DEP_2)
	v_lshlrev_b32_e32 v23, 2, v23
	s_waitcnt lgkmcnt(2)
	v_cmp_lt_f64_e64 s4, v[24:25], v[27:28]
	s_waitcnt lgkmcnt(0)
	v_cmp_lt_f64_e64 s5, v[20:21], v[29:30]
	v_cndmask_b32_e64 v25, v25, v28, s4
	v_cndmask_b32_e64 v24, v24, v27, s4
	s_delay_alu instid0(VALU_DEP_3)
	v_cndmask_b32_e64 v21, v21, v30, s5
	v_cndmask_b32_e64 v20, v20, v29, s5
	ds_bpermute_b32 v28, v22, v25
	ds_bpermute_b32 v27, v22, v24
	;; [unrolled: 1-line block ×4, first 2 shown]
	s_waitcnt lgkmcnt(2)
	v_cmp_lt_f64_e64 s4, v[24:25], v[27:28]
	s_waitcnt lgkmcnt(0)
	v_cmp_lt_f64_e64 s5, v[20:21], v[29:30]
	s_delay_alu instid0(VALU_DEP_2) | instskip(SKIP_1) | instid1(VALU_DEP_3)
	v_cndmask_b32_e64 v25, v25, v28, s4
	v_cndmask_b32_e64 v24, v24, v27, s4
	;; [unrolled: 1-line block ×4, first 2 shown]
	v_xor_b32_e32 v27, 1, v32
	ds_bpermute_b32 v29, v23, v25
	ds_bpermute_b32 v28, v23, v24
	;; [unrolled: 1-line block ×4, first 2 shown]
	v_cmp_gt_i32_e64 s6, 32, v27
	s_delay_alu instid0(VALU_DEP_1) | instskip(SKIP_2) | instid1(VALU_DEP_1)
	v_cndmask_b32_e64 v27, v32, v27, s6
	s_mov_b32 s6, 0xfefa39ef
	s_mov_b32 s7, 0xbfe62e42
	v_lshlrev_b32_e32 v27, 2, v27
	s_waitcnt lgkmcnt(2)
	v_cmp_lt_f64_e64 s4, v[24:25], v[28:29]
	s_waitcnt lgkmcnt(0)
	v_cmp_lt_f64_e64 s5, v[20:21], v[30:31]
	s_delay_alu instid0(VALU_DEP_2) | instskip(SKIP_1) | instid1(VALU_DEP_3)
	v_cndmask_b32_e64 v25, v25, v29, s4
	v_cndmask_b32_e64 v24, v24, v28, s4
	v_cndmask_b32_e64 v21, v21, v31, s5
	v_cndmask_b32_e64 v20, v20, v30, s5
	ds_bpermute_b32 v29, v27, v25
	ds_bpermute_b32 v28, v27, v24
	;; [unrolled: 1-line block ×4, first 2 shown]
	s_waitcnt lgkmcnt(2)
	v_cmp_lt_f64_e64 s4, v[24:25], v[28:29]
	s_waitcnt lgkmcnt(0)
	v_cmp_lt_f64_e64 s5, v[20:21], v[30:31]
	s_delay_alu instid0(VALU_DEP_2) | instskip(SKIP_1) | instid1(VALU_DEP_3)
	v_cndmask_b32_e64 v25, v25, v29, s4
	v_cndmask_b32_e64 v24, v24, v28, s4
	;; [unrolled: 1-line block ×4, first 2 shown]
	s_mov_b32 s4, 0x652b82fe
	s_mov_b32 s5, 0x3ff71547
	v_add_f64 v[16:17], v[16:17], -v[24:25]
	v_add_f64 v[4:5], v[4:5], -v[24:25]
	v_add_f64 v[14:15], v[14:15], -v[20:21]
	v_add_f64 v[10:11], v[10:11], -v[20:21]
	v_add_f64 v[6:7], v[6:7], -v[24:25]
	v_add_f64 v[12:13], v[12:13], -v[20:21]
	v_add_f64 v[2:3], v[2:3], -v[24:25]
	v_add_f64 v[24:25], v[8:9], -v[20:21]
	v_mul_f64 v[28:29], v[16:17], s[4:5]
	v_mul_f64 v[32:33], v[4:5], s[4:5]
	;; [unrolled: 1-line block ×8, first 2 shown]
	s_mov_b32 s4, 0x3b39803f
	s_mov_b32 s5, 0xbc7abc9e
	v_rndne_f64_e32 v[28:29], v[28:29]
	v_rndne_f64_e32 v[32:33], v[32:33]
	;; [unrolled: 1-line block ×8, first 2 shown]
	v_fma_f64 v[36:37], v[28:29], s[6:7], v[16:17]
	v_fma_f64 v[44:45], v[32:33], s[6:7], v[4:5]
	;; [unrolled: 1-line block ×8, first 2 shown]
	s_mov_b32 s6, 0x623fde64
	s_mov_b32 s7, 0x3ec71dee
	v_cvt_i32_f64_e32 v72, v[28:29]
	v_cvt_i32_f64_e32 v73, v[30:31]
	v_fma_f64 v[36:37], v[28:29], s[4:5], v[36:37]
	v_fma_f64 v[44:45], v[32:33], s[4:5], v[44:45]
	;; [unrolled: 1-line block ×8, first 2 shown]
	s_mov_b32 s4, 0x7c89e6b0
	s_mov_b32 s5, 0x3efa0199
	v_cvt_i32_f64_e32 v40, v[40:41]
	v_cvt_i32_f64_e32 v41, v[42:43]
	v_fma_f64 v[52:53], v[36:37], s[10:11], s[8:9]
	v_fma_f64 v[60:61], v[44:45], s[10:11], s[8:9]
	;; [unrolled: 1-line block ×8, first 2 shown]
	s_mov_b32 s8, 0x14761f6e
	s_mov_b32 s9, 0x3f2a01a0
	v_cmp_nlt_f64_e64 s10, 0x40900000, v[10:11]
	v_cmp_ngt_f64_e64 s11, 0xc090cc00, v[10:11]
	v_fma_f64 v[52:53], v[36:37], v[52:53], s[6:7]
	v_fma_f64 v[60:61], v[44:45], v[60:61], s[6:7]
	v_fma_f64 v[54:55], v[38:39], v[54:55], s[6:7]
	v_fma_f64 v[62:63], v[46:47], v[62:63], s[6:7]
	v_fma_f64 v[64:65], v[48:49], v[64:65], s[6:7]
	v_fma_f64 v[66:67], v[50:51], v[66:67], s[6:7]
	v_fma_f64 v[68:69], v[56:57], v[68:69], s[6:7]
	v_fma_f64 v[70:71], v[58:59], v[70:71], s[6:7]
	s_mov_b32 s6, 0x1852b7b0
	s_mov_b32 s7, 0x3f56c16c
	v_fma_f64 v[52:53], v[36:37], v[52:53], s[4:5]
	v_fma_f64 v[60:61], v[44:45], v[60:61], s[4:5]
	v_fma_f64 v[54:55], v[38:39], v[54:55], s[4:5]
	v_fma_f64 v[62:63], v[46:47], v[62:63], s[4:5]
	v_fma_f64 v[64:65], v[48:49], v[64:65], s[4:5]
	v_fma_f64 v[66:67], v[50:51], v[66:67], s[4:5]
	v_fma_f64 v[68:69], v[56:57], v[68:69], s[4:5]
	v_fma_f64 v[70:71], v[58:59], v[70:71], s[4:5]
	s_mov_b32 s4, 0x11122322
	s_mov_b32 s5, 0x3f811111
	;; [unrolled: 10-line block ×5, first 2 shown]
	v_fma_f64 v[52:53], v[36:37], v[52:53], s[8:9]
	v_fma_f64 v[60:61], v[44:45], v[60:61], s[8:9]
	;; [unrolled: 1-line block ×8, first 2 shown]
	v_cmp_nlt_f64_e64 s8, 0x40900000, v[4:5]
	v_cmp_ngt_f64_e64 s9, 0xc090cc00, v[4:5]
	v_fma_f64 v[52:53], v[36:37], v[52:53], s[6:7]
	v_fma_f64 v[60:61], v[44:45], v[60:61], s[6:7]
	v_fma_f64 v[54:55], v[38:39], v[54:55], s[6:7]
	v_fma_f64 v[62:63], v[46:47], v[62:63], s[6:7]
	v_fma_f64 v[64:65], v[48:49], v[64:65], s[6:7]
	v_fma_f64 v[66:67], v[50:51], v[66:67], s[6:7]
	v_fma_f64 v[68:69], v[56:57], v[68:69], s[6:7]
	v_fma_f64 v[70:71], v[58:59], v[70:71], s[6:7]
	v_cmp_nlt_f64_e64 s6, 0x40900000, v[14:15]
	v_cmp_ngt_f64_e64 s7, 0xc090cc00, v[14:15]
	v_fma_f64 v[52:53], v[36:37], v[52:53], s[4:5]
	v_fma_f64 v[60:61], v[44:45], v[60:61], s[4:5]
	;; [unrolled: 1-line block ×6, first 2 shown]
	v_fma_f64 v[52:53], v[36:37], v[52:53], 1.0
	v_fma_f64 v[60:61], v[44:45], v[60:61], 1.0
	v_fma_f64 v[54:55], v[38:39], v[54:55], 1.0
	v_fma_f64 v[62:63], v[46:47], v[62:63], 1.0
	s_delay_alu instid0(VALU_DEP_4) | instskip(SKIP_1) | instid1(VALU_DEP_4)
	v_fma_f64 v[28:29], v[36:37], v[52:53], 1.0
	v_fma_f64 v[36:37], v[56:57], v[68:69], s[4:5]
	v_fma_f64 v[30:31], v[38:39], v[54:55], 1.0
	v_fma_f64 v[38:39], v[58:59], v[70:71], s[4:5]
	v_fma_f64 v[52:53], v[48:49], v[64:65], 1.0
	v_fma_f64 v[54:55], v[50:51], v[66:67], 1.0
	v_cvt_i32_f64_e32 v64, v[32:33]
	v_fma_f64 v[32:33], v[44:45], v[60:61], 1.0
	v_cvt_i32_f64_e32 v44, v[34:35]
	v_fma_f64 v[34:35], v[46:47], v[62:63], 1.0
	v_cmp_nlt_f64_e64 s4, 0x40900000, v[16:17]
	v_cmp_ngt_f64_e64 s5, 0xc090cc00, v[16:17]
	v_cvt_i32_f64_e32 v45, v[8:9]
	v_cvt_i32_f64_e32 v46, v[20:21]
	v_ldexp_f64 v[28:29], v[28:29], v72
	v_fma_f64 v[8:9], v[56:57], v[36:37], 1.0
	v_ldexp_f64 v[30:31], v[30:31], v73
	v_fma_f64 v[20:21], v[58:59], v[38:39], 1.0
	v_fma_f64 v[36:37], v[48:49], v[52:53], 1.0
	v_fma_f64 v[38:39], v[50:51], v[54:55], 1.0
	v_ldexp_f64 v[32:33], v[32:33], v64
	v_ldexp_f64 v[34:35], v[34:35], v44
	v_cndmask_b32_e64 v29, 0x7ff00000, v29, s4
	s_and_b32 s4, s5, s4
	v_cndmask_b32_e64 v31, 0x7ff00000, v31, s6
	v_fma_f64 v[14:15], v[56:57], v[8:9], 1.0
	v_fma_f64 v[16:17], v[58:59], v[20:21], 1.0
	v_cndmask_b32_e64 v20, 0, v28, s4
	s_and_b32 s4, s7, s6
	v_cndmask_b32_e64 v21, 0, v29, s5
	v_cndmask_b32_e64 v9, 0, v31, s7
	;; [unrolled: 1-line block ×3, first 2 shown]
	v_ldexp_f64 v[36:37], v[36:37], v45
	v_ldexp_f64 v[38:39], v[38:39], v46
	v_add_f64 v[4:5], v[20:21], 0
	v_cndmask_b32_e64 v33, 0x7ff00000, v33, s8
	v_add_f64 v[10:11], v[8:9], 0
	v_cndmask_b32_e64 v35, 0x7ff00000, v35, s10
	v_cmp_nlt_f64_e64 s4, 0x40900000, v[6:7]
	v_cmp_nlt_f64_e64 s6, 0x40900000, v[12:13]
	v_cmp_ngt_f64_e64 s5, 0xc090cc00, v[6:7]
	s_and_b32 s8, s9, s8
	v_cmp_ngt_f64_e64 s7, 0xc090cc00, v[12:13]
	v_cndmask_b32_e64 v7, 0, v35, s11
	v_ldexp_f64 v[28:29], v[14:15], v40
	v_cndmask_b32_e64 v14, 0, v32, s8
	s_and_b32 s8, s11, s10
	v_cndmask_b32_e64 v15, 0, v33, s9
	v_cndmask_b32_e64 v6, 0, v34, s8
	v_cmp_nlt_f64_e64 s8, 0x40900000, v[2:3]
	v_ldexp_f64 v[16:17], v[16:17], v41
	v_cmp_nlt_f64_e64 s10, 0x40900000, v[24:25]
	v_cmp_ngt_f64_e64 s9, 0xc090cc00, v[2:3]
	v_add_f64 v[30:31], v[4:5], v[14:15]
	v_cmp_ngt_f64_e64 s11, 0xc090cc00, v[24:25]
	v_add_f64 v[10:11], v[10:11], v[6:7]
	v_cndmask_b32_e64 v37, 0x7ff00000, v37, s4
	v_cndmask_b32_e64 v39, 0x7ff00000, v39, s6
	s_and_b32 s4, s5, s4
	s_delay_alu instid0(SALU_CYCLE_1)
	v_cndmask_b32_e64 v12, 0, v36, s4
	s_and_b32 s4, s7, s6
	v_cndmask_b32_e64 v13, 0, v37, s5
	v_cndmask_b32_e64 v5, 0, v39, s7
	;; [unrolled: 1-line block ×5, first 2 shown]
	s_and_b32 s4, s9, s8
	v_add_f64 v[24:25], v[30:31], v[12:13]
	v_add_f64 v[29:30], v[10:11], v[4:5]
	v_cndmask_b32_e64 v10, 0, v28, s4
	s_and_b32 s4, s11, s10
	v_cndmask_b32_e64 v11, 0, v32, s9
	v_cndmask_b32_e64 v3, 0, v2, s11
	v_cndmask_b32_e64 v2, 0, v16, s4
	s_delay_alu instid0(VALU_DEP_3) | instskip(NEXT) | instid1(VALU_DEP_2)
	v_add_f64 v[16:17], v[24:25], v[10:11]
	v_add_f64 v[24:25], v[29:30], v[2:3]
	ds_bpermute_b32 v28, v18, v16
	ds_bpermute_b32 v29, v18, v17
	ds_bpermute_b32 v30, v18, v24
	ds_bpermute_b32 v31, v18, v25
	s_waitcnt lgkmcnt(2)
	v_add_f64 v[16:17], v[16:17], v[28:29]
	s_waitcnt lgkmcnt(0)
	v_add_f64 v[24:25], v[24:25], v[30:31]
	ds_bpermute_b32 v28, v19, v16
	ds_bpermute_b32 v29, v19, v17
	ds_bpermute_b32 v18, v19, v24
	ds_bpermute_b32 v19, v19, v25
	s_waitcnt lgkmcnt(2)
	v_add_f64 v[16:17], v[16:17], v[28:29]
	s_waitcnt lgkmcnt(0)
	;; [unrolled: 8-line block ×4, first 2 shown]
	v_add_f64 v[16:17], v[18:19], v[28:29]
	ds_bpermute_b32 v24, v27, v22
	ds_bpermute_b32 v25, v27, v23
	;; [unrolled: 1-line block ×4, first 2 shown]
	s_and_saveexec_b32 s4, vcc_lo
	s_cbranch_execz .LBB369_28
; %bb.17:
	v_add_co_u32 v0, vcc_lo, s16, v0
	v_add_co_ci_u32_e32 v1, vcc_lo, s17, v1, vcc_lo
	s_and_saveexec_b32 s5, s3
	s_cbranch_execz .LBB369_22
; %bb.18:
	s_waitcnt lgkmcnt(2)
	v_add_f64 v[22:23], v[22:23], v[24:25]
	s_delay_alu instid0(VALU_DEP_1) | instskip(SKIP_2) | instid1(VALU_DEP_3)
	v_div_scale_f64 v[24:25], null, v[22:23], v[22:23], v[20:21]
	v_div_scale_f64 v[31:32], vcc_lo, v[20:21], v[22:23], v[20:21]
	v_cmp_eq_f64_e64 s4, 0, v[22:23]
	v_rcp_f64_e32 v[27:28], v[24:25]
	s_waitcnt_depctr 0xfff
	v_fma_f64 v[29:30], -v[24:25], v[27:28], 1.0
	s_delay_alu instid0(VALU_DEP_1) | instskip(NEXT) | instid1(VALU_DEP_1)
	v_fma_f64 v[27:28], v[27:28], v[29:30], v[27:28]
	v_fma_f64 v[29:30], -v[24:25], v[27:28], 1.0
	s_delay_alu instid0(VALU_DEP_1) | instskip(NEXT) | instid1(VALU_DEP_1)
	v_fma_f64 v[27:28], v[27:28], v[29:30], v[27:28]
	v_mul_f64 v[29:30], v[31:32], v[27:28]
	s_delay_alu instid0(VALU_DEP_1) | instskip(NEXT) | instid1(VALU_DEP_1)
	v_fma_f64 v[24:25], -v[24:25], v[29:30], v[31:32]
	v_div_fmas_f64 v[24:25], v[24:25], v[27:28], v[29:30]
	s_delay_alu instid0(VALU_DEP_1) | instskip(NEXT) | instid1(VALU_DEP_1)
	v_div_fixup_f64 v[20:21], v[24:25], v[22:23], v[20:21]
	v_cndmask_b32_e64 v21, v21, 0x7ff80000, s4
	s_delay_alu instid0(VALU_DEP_2)
	v_cndmask_b32_e64 v20, v20, 0, s4
	global_store_b64 v[0:1], v[20:21], off
	s_and_b32 exec_lo, exec_lo, s2
	s_cbranch_execz .LBB369_22
; %bb.19:
	v_div_scale_f64 v[20:21], null, v[22:23], v[22:23], v[14:15]
	v_div_scale_f64 v[29:30], vcc_lo, v[14:15], v[22:23], v[14:15]
	s_delay_alu instid0(VALU_DEP_2) | instskip(SKIP_2) | instid1(VALU_DEP_1)
	v_rcp_f64_e32 v[24:25], v[20:21]
	s_waitcnt_depctr 0xfff
	v_fma_f64 v[27:28], -v[20:21], v[24:25], 1.0
	v_fma_f64 v[24:25], v[24:25], v[27:28], v[24:25]
	s_delay_alu instid0(VALU_DEP_1) | instskip(NEXT) | instid1(VALU_DEP_1)
	v_fma_f64 v[27:28], -v[20:21], v[24:25], 1.0
	v_fma_f64 v[24:25], v[24:25], v[27:28], v[24:25]
	s_delay_alu instid0(VALU_DEP_1) | instskip(NEXT) | instid1(VALU_DEP_1)
	v_mul_f64 v[27:28], v[29:30], v[24:25]
	v_fma_f64 v[20:21], -v[20:21], v[27:28], v[29:30]
	s_delay_alu instid0(VALU_DEP_1) | instskip(NEXT) | instid1(VALU_DEP_1)
	v_div_fmas_f64 v[20:21], v[20:21], v[24:25], v[27:28]
	v_div_fixup_f64 v[14:15], v[20:21], v[22:23], v[14:15]
	s_delay_alu instid0(VALU_DEP_1) | instskip(NEXT) | instid1(VALU_DEP_2)
	v_cndmask_b32_e64 v15, v15, 0x7ff80000, s4
	v_cndmask_b32_e64 v14, v14, 0, s4
	global_store_b64 v[0:1], v[14:15], off offset:256
	s_and_b32 exec_lo, exec_lo, s1
	s_cbranch_execz .LBB369_22
; %bb.20:
	v_div_scale_f64 v[14:15], null, v[22:23], v[22:23], v[12:13]
	v_div_scale_f64 v[27:28], vcc_lo, v[12:13], v[22:23], v[12:13]
	s_delay_alu instid0(VALU_DEP_2) | instskip(SKIP_2) | instid1(VALU_DEP_1)
	v_rcp_f64_e32 v[20:21], v[14:15]
	s_waitcnt_depctr 0xfff
	v_fma_f64 v[24:25], -v[14:15], v[20:21], 1.0
	v_fma_f64 v[20:21], v[20:21], v[24:25], v[20:21]
	s_delay_alu instid0(VALU_DEP_1) | instskip(NEXT) | instid1(VALU_DEP_1)
	v_fma_f64 v[24:25], -v[14:15], v[20:21], 1.0
	v_fma_f64 v[20:21], v[20:21], v[24:25], v[20:21]
	s_delay_alu instid0(VALU_DEP_1) | instskip(NEXT) | instid1(VALU_DEP_1)
	v_mul_f64 v[24:25], v[27:28], v[20:21]
	v_fma_f64 v[14:15], -v[14:15], v[24:25], v[27:28]
	s_delay_alu instid0(VALU_DEP_1) | instskip(NEXT) | instid1(VALU_DEP_1)
	v_div_fmas_f64 v[14:15], v[14:15], v[20:21], v[24:25]
	v_div_fixup_f64 v[12:13], v[14:15], v[22:23], v[12:13]
	s_delay_alu instid0(VALU_DEP_1) | instskip(NEXT) | instid1(VALU_DEP_2)
	v_cndmask_b32_e64 v13, v13, 0x7ff80000, s4
	v_cndmask_b32_e64 v12, v12, 0, s4
	global_store_b64 v[0:1], v[12:13], off offset:512
	;; [unrolled: 23-line block ×3, first 2 shown]
.LBB369_22:
	s_or_b32 exec_lo, exec_lo, s5
	v_cmp_ne_u32_e32 vcc_lo, 1, v26
	s_and_b32 exec_lo, exec_lo, vcc_lo
	s_cbranch_execz .LBB369_28
; %bb.23:
	s_and_b32 exec_lo, exec_lo, s3
	s_cbranch_execz .LBB369_28
; %bb.24:
	s_waitcnt lgkmcnt(0)
	v_add_f64 v[10:11], v[16:17], v[18:19]
	s_ashr_i32 s23, s22, 31
	s_delay_alu instid0(SALU_CYCLE_1) | instskip(NEXT) | instid1(VALU_DEP_1)
	s_lshl_b64 s[4:5], s[22:23], 3
	v_div_scale_f64 v[12:13], null, v[10:11], v[10:11], v[8:9]
	v_div_scale_f64 v[18:19], vcc_lo, v[8:9], v[10:11], v[8:9]
	v_cmp_eq_f64_e64 s3, 0, v[10:11]
	s_delay_alu instid0(VALU_DEP_3) | instskip(SKIP_2) | instid1(VALU_DEP_1)
	v_rcp_f64_e32 v[14:15], v[12:13]
	s_waitcnt_depctr 0xfff
	v_fma_f64 v[16:17], -v[12:13], v[14:15], 1.0
	v_fma_f64 v[14:15], v[14:15], v[16:17], v[14:15]
	s_delay_alu instid0(VALU_DEP_1) | instskip(NEXT) | instid1(VALU_DEP_1)
	v_fma_f64 v[16:17], -v[12:13], v[14:15], 1.0
	v_fma_f64 v[14:15], v[14:15], v[16:17], v[14:15]
	s_delay_alu instid0(VALU_DEP_1) | instskip(NEXT) | instid1(VALU_DEP_1)
	v_mul_f64 v[16:17], v[18:19], v[14:15]
	v_fma_f64 v[12:13], -v[12:13], v[16:17], v[18:19]
	s_delay_alu instid0(VALU_DEP_1) | instskip(SKIP_2) | instid1(VALU_DEP_3)
	v_div_fmas_f64 v[12:13], v[12:13], v[14:15], v[16:17]
	v_add_co_u32 v0, vcc_lo, v0, s4
	v_add_co_ci_u32_e32 v1, vcc_lo, s5, v1, vcc_lo
	v_div_fixup_f64 v[8:9], v[12:13], v[10:11], v[8:9]
	s_delay_alu instid0(VALU_DEP_1) | instskip(NEXT) | instid1(VALU_DEP_2)
	v_cndmask_b32_e64 v9, v9, 0x7ff80000, s3
	v_cndmask_b32_e64 v8, v8, 0, s3
	global_store_b64 v[0:1], v[8:9], off
	s_and_b32 exec_lo, exec_lo, s2
	s_cbranch_execz .LBB369_28
; %bb.25:
	v_div_scale_f64 v[8:9], null, v[10:11], v[10:11], v[6:7]
	v_div_scale_f64 v[16:17], vcc_lo, v[6:7], v[10:11], v[6:7]
	s_delay_alu instid0(VALU_DEP_2) | instskip(SKIP_2) | instid1(VALU_DEP_1)
	v_rcp_f64_e32 v[12:13], v[8:9]
	s_waitcnt_depctr 0xfff
	v_fma_f64 v[14:15], -v[8:9], v[12:13], 1.0
	v_fma_f64 v[12:13], v[12:13], v[14:15], v[12:13]
	s_delay_alu instid0(VALU_DEP_1) | instskip(NEXT) | instid1(VALU_DEP_1)
	v_fma_f64 v[14:15], -v[8:9], v[12:13], 1.0
	v_fma_f64 v[12:13], v[12:13], v[14:15], v[12:13]
	s_delay_alu instid0(VALU_DEP_1) | instskip(NEXT) | instid1(VALU_DEP_1)
	v_mul_f64 v[14:15], v[16:17], v[12:13]
	v_fma_f64 v[8:9], -v[8:9], v[14:15], v[16:17]
	s_delay_alu instid0(VALU_DEP_1) | instskip(NEXT) | instid1(VALU_DEP_1)
	v_div_fmas_f64 v[8:9], v[8:9], v[12:13], v[14:15]
	v_div_fixup_f64 v[6:7], v[8:9], v[10:11], v[6:7]
	s_delay_alu instid0(VALU_DEP_1) | instskip(NEXT) | instid1(VALU_DEP_2)
	v_cndmask_b32_e64 v7, v7, 0x7ff80000, s3
	v_cndmask_b32_e64 v6, v6, 0, s3
	global_store_b64 v[0:1], v[6:7], off offset:256
	s_and_b32 exec_lo, exec_lo, s1
	s_cbranch_execz .LBB369_28
; %bb.26:
	v_div_scale_f64 v[6:7], null, v[10:11], v[10:11], v[4:5]
	v_div_scale_f64 v[14:15], vcc_lo, v[4:5], v[10:11], v[4:5]
	s_delay_alu instid0(VALU_DEP_2) | instskip(SKIP_2) | instid1(VALU_DEP_1)
	v_rcp_f64_e32 v[8:9], v[6:7]
	s_waitcnt_depctr 0xfff
	v_fma_f64 v[12:13], -v[6:7], v[8:9], 1.0
	v_fma_f64 v[8:9], v[8:9], v[12:13], v[8:9]
	s_delay_alu instid0(VALU_DEP_1) | instskip(NEXT) | instid1(VALU_DEP_1)
	v_fma_f64 v[12:13], -v[6:7], v[8:9], 1.0
	v_fma_f64 v[8:9], v[8:9], v[12:13], v[8:9]
	s_delay_alu instid0(VALU_DEP_1) | instskip(NEXT) | instid1(VALU_DEP_1)
	v_mul_f64 v[12:13], v[14:15], v[8:9]
	v_fma_f64 v[6:7], -v[6:7], v[12:13], v[14:15]
	s_delay_alu instid0(VALU_DEP_1) | instskip(NEXT) | instid1(VALU_DEP_1)
	v_div_fmas_f64 v[6:7], v[6:7], v[8:9], v[12:13]
	v_div_fixup_f64 v[4:5], v[6:7], v[10:11], v[4:5]
	s_delay_alu instid0(VALU_DEP_1) | instskip(NEXT) | instid1(VALU_DEP_2)
	v_cndmask_b32_e64 v5, v5, 0x7ff80000, s3
	v_cndmask_b32_e64 v4, v4, 0, s3
	global_store_b64 v[0:1], v[4:5], off offset:512
	;; [unrolled: 23-line block ×3, first 2 shown]
.LBB369_28:
	s_nop 0
	s_sendmsg sendmsg(MSG_DEALLOC_VGPRS)
	s_endpgm
	.section	.rodata,"a",@progbits
	.p2align	6, 0x0
	.amdhsa_kernel _ZN12_GLOBAL__N_120softmax_warp_forwardIdddLi7ELb0ELb0ELi32EEEvPT0_PKT_iiiPKbib
		.amdhsa_group_segment_fixed_size 0
		.amdhsa_private_segment_fixed_size 0
		.amdhsa_kernarg_size 304
		.amdhsa_user_sgpr_count 15
		.amdhsa_user_sgpr_dispatch_ptr 0
		.amdhsa_user_sgpr_queue_ptr 0
		.amdhsa_user_sgpr_kernarg_segment_ptr 1
		.amdhsa_user_sgpr_dispatch_id 0
		.amdhsa_user_sgpr_private_segment_size 0
		.amdhsa_wavefront_size32 1
		.amdhsa_uses_dynamic_stack 0
		.amdhsa_enable_private_segment 0
		.amdhsa_system_sgpr_workgroup_id_x 1
		.amdhsa_system_sgpr_workgroup_id_y 0
		.amdhsa_system_sgpr_workgroup_id_z 0
		.amdhsa_system_sgpr_workgroup_info 0
		.amdhsa_system_vgpr_workitem_id 1
		.amdhsa_next_free_vgpr 74
		.amdhsa_next_free_sgpr 24
		.amdhsa_reserve_vcc 1
		.amdhsa_float_round_mode_32 0
		.amdhsa_float_round_mode_16_64 0
		.amdhsa_float_denorm_mode_32 3
		.amdhsa_float_denorm_mode_16_64 3
		.amdhsa_dx10_clamp 1
		.amdhsa_ieee_mode 1
		.amdhsa_fp16_overflow 0
		.amdhsa_workgroup_processor_mode 1
		.amdhsa_memory_ordered 1
		.amdhsa_forward_progress 0
		.amdhsa_shared_vgpr_count 0
		.amdhsa_exception_fp_ieee_invalid_op 0
		.amdhsa_exception_fp_denorm_src 0
		.amdhsa_exception_fp_ieee_div_zero 0
		.amdhsa_exception_fp_ieee_overflow 0
		.amdhsa_exception_fp_ieee_underflow 0
		.amdhsa_exception_fp_ieee_inexact 0
		.amdhsa_exception_int_div_zero 0
	.end_amdhsa_kernel
	.section	.text._ZN12_GLOBAL__N_120softmax_warp_forwardIdddLi7ELb0ELb0ELi32EEEvPT0_PKT_iiiPKbib,"axG",@progbits,_ZN12_GLOBAL__N_120softmax_warp_forwardIdddLi7ELb0ELb0ELi32EEEvPT0_PKT_iiiPKbib,comdat
.Lfunc_end369:
	.size	_ZN12_GLOBAL__N_120softmax_warp_forwardIdddLi7ELb0ELb0ELi32EEEvPT0_PKT_iiiPKbib, .Lfunc_end369-_ZN12_GLOBAL__N_120softmax_warp_forwardIdddLi7ELb0ELb0ELi32EEEvPT0_PKT_iiiPKbib
                                        ; -- End function
	.section	.AMDGPU.csdata,"",@progbits
; Kernel info:
; codeLenInByte = 4736
; NumSgprs: 26
; NumVgprs: 74
; ScratchSize: 0
; MemoryBound: 0
; FloatMode: 240
; IeeeMode: 1
; LDSByteSize: 0 bytes/workgroup (compile time only)
; SGPRBlocks: 3
; VGPRBlocks: 9
; NumSGPRsForWavesPerEU: 26
; NumVGPRsForWavesPerEU: 74
; Occupancy: 16
; WaveLimiterHint : 0
; COMPUTE_PGM_RSRC2:SCRATCH_EN: 0
; COMPUTE_PGM_RSRC2:USER_SGPR: 15
; COMPUTE_PGM_RSRC2:TRAP_HANDLER: 0
; COMPUTE_PGM_RSRC2:TGID_X_EN: 1
; COMPUTE_PGM_RSRC2:TGID_Y_EN: 0
; COMPUTE_PGM_RSRC2:TGID_Z_EN: 0
; COMPUTE_PGM_RSRC2:TIDIG_COMP_CNT: 1
	.section	.text._ZN12_GLOBAL__N_120softmax_warp_forwardIdddLi8ELb0ELb0ELi64EEEvPT0_PKT_iiiPKbib,"axG",@progbits,_ZN12_GLOBAL__N_120softmax_warp_forwardIdddLi8ELb0ELb0ELi64EEEvPT0_PKT_iiiPKbib,comdat
	.globl	_ZN12_GLOBAL__N_120softmax_warp_forwardIdddLi8ELb0ELb0ELi64EEEvPT0_PKT_iiiPKbib ; -- Begin function _ZN12_GLOBAL__N_120softmax_warp_forwardIdddLi8ELb0ELb0ELi64EEEvPT0_PKT_iiiPKbib
	.p2align	8
	.type	_ZN12_GLOBAL__N_120softmax_warp_forwardIdddLi8ELb0ELb0ELi64EEEvPT0_PKT_iiiPKbib,@function
_ZN12_GLOBAL__N_120softmax_warp_forwardIdddLi8ELb0ELb0ELi64EEEvPT0_PKT_iiiPKbib: ; @_ZN12_GLOBAL__N_120softmax_warp_forwardIdddLi8ELb0ELb0ELi64EEEvPT0_PKT_iiiPKbib
; %bb.0:
	s_clause 0x1
	s_load_b32 s2, s[0:1], 0x3c
	s_load_b256 s[16:23], s[0:1], 0x0
	v_bfe_u32 v1, v0, 10, 10
	v_mov_b32_e32 v4, 0
	v_mov_b32_e32 v5, 0xfff00000
	s_delay_alu instid0(VALU_DEP_1) | instskip(NEXT) | instid1(VALU_DEP_3)
	v_dual_mov_b32 v9, v5 :: v_dual_and_b32 v10, 0x3ff, v0
	v_mov_b32_e32 v8, v4
	s_waitcnt lgkmcnt(0)
	s_lshr_b32 s0, s2, 16
	s_delay_alu instid0(VALU_DEP_2) | instskip(SKIP_1) | instid1(VALU_DEP_1)
	v_cmp_gt_i32_e32 vcc_lo, s22, v10
	v_mad_u64_u32 v[2:3], null, s15, s0, v[1:2]
	v_mad_u64_u32 v[0:1], null, v2, s21, v[10:11]
	v_sub_nc_u32_e32 v14, s20, v2
	s_delay_alu instid0(VALU_DEP_1) | instskip(NEXT) | instid1(VALU_DEP_3)
	v_cmp_lt_i32_e64 s3, 0, v14
	v_ashrrev_i32_e32 v1, 31, v0
	s_delay_alu instid0(VALU_DEP_2) | instskip(NEXT) | instid1(VALU_DEP_1)
	s_and_b32 s1, s3, vcc_lo
	v_lshlrev_b64 v[0:1], 3, v[0:1]
	s_delay_alu instid0(VALU_DEP_1) | instskip(NEXT) | instid1(VALU_DEP_1)
	v_add_co_u32 v11, s0, s18, v0
	v_add_co_ci_u32_e64 v12, s0, s19, v1, s0
	s_and_saveexec_b32 s0, s1
	s_cbranch_execz .LBB370_2
; %bb.1:
	global_load_b64 v[8:9], v[11:12], off
.LBB370_2:
	s_or_b32 exec_lo, exec_lo, s0
	v_add_nc_u32_e32 v2, 64, v10
	s_delay_alu instid0(VALU_DEP_1) | instskip(NEXT) | instid1(VALU_DEP_1)
	v_cmp_gt_i32_e64 s2, s22, v2
	s_and_b32 s1, s3, s2
	s_delay_alu instid0(SALU_CYCLE_1)
	s_and_saveexec_b32 s0, s1
	s_cbranch_execz .LBB370_4
; %bb.3:
	global_load_b64 v[4:5], v[11:12], off offset:512
.LBB370_4:
	s_or_b32 exec_lo, exec_lo, s0
	v_add_nc_u32_e32 v6, 0x80, v10
	v_mov_b32_e32 v2, 0
	v_mov_b32_e32 v3, 0xfff00000
	s_delay_alu instid0(VALU_DEP_3) | instskip(NEXT) | instid1(VALU_DEP_2)
	v_cmp_gt_i32_e64 s1, s22, v6
	v_dual_mov_b32 v7, v3 :: v_dual_mov_b32 v6, v2
	s_delay_alu instid0(VALU_DEP_2) | instskip(NEXT) | instid1(SALU_CYCLE_1)
	s_and_b32 s4, s3, s1
	s_and_saveexec_b32 s0, s4
	s_cbranch_execz .LBB370_6
; %bb.5:
	global_load_b64 v[6:7], v[11:12], off offset:1024
.LBB370_6:
	s_or_b32 exec_lo, exec_lo, s0
	v_add_nc_u32_e32 v10, 0xc0, v10
	s_delay_alu instid0(VALU_DEP_1) | instskip(NEXT) | instid1(VALU_DEP_1)
	v_cmp_gt_i32_e64 s0, s22, v10
	s_and_b32 s4, s3, s0
	s_delay_alu instid0(SALU_CYCLE_1)
	s_and_saveexec_b32 s3, s4
	s_cbranch_execz .LBB370_8
; %bb.7:
	global_load_b64 v[2:3], v[11:12], off offset:1536
.LBB370_8:
	s_or_b32 exec_lo, exec_lo, s3
	s_waitcnt vmcnt(0)
	v_cmp_gt_f64_e64 s3, v[8:9], v[4:5]
	v_mbcnt_lo_u32_b32 v15, -1, 0
	s_mov_b32 s6, 0xfefa39ef
	s_mov_b32 s7, 0xbfe62e42
	;; [unrolled: 1-line block ×4, first 2 shown]
	v_or_b32_e32 v12, 32, v15
	v_xor_b32_e32 v16, 16, v15
	s_mov_b32 s9, 0x3e928af3
	s_mov_b32 s11, 0x3e5ade15
	s_delay_alu instid0(VALU_DEP_2) | instskip(NEXT) | instid1(VALU_DEP_1)
	v_cmp_gt_i32_e64 s4, 64, v12
	v_cndmask_b32_e64 v12, v15, v12, s4
	v_cmp_gt_i32_e64 s4, 64, v16
	s_delay_alu instid0(VALU_DEP_2) | instskip(NEXT) | instid1(VALU_DEP_2)
	v_lshlrev_b32_e32 v35, 2, v12
	v_cndmask_b32_e64 v16, v15, v16, s4
	s_delay_alu instid0(VALU_DEP_1) | instskip(SKIP_1) | instid1(VALU_DEP_1)
	v_lshlrev_b32_e32 v36, 2, v16
	v_xor_b32_e32 v16, 8, v15
	v_cmp_gt_i32_e64 s4, 64, v16
	s_delay_alu instid0(VALU_DEP_1) | instskip(SKIP_2) | instid1(VALU_DEP_3)
	v_cndmask_b32_e64 v16, v15, v16, s4
	v_cndmask_b32_e64 v11, v5, v9, s3
	;; [unrolled: 1-line block ×3, first 2 shown]
	v_lshlrev_b32_e32 v37, 2, v16
	v_xor_b32_e32 v16, 4, v15
	s_delay_alu instid0(VALU_DEP_3) | instskip(NEXT) | instid1(VALU_DEP_2)
	v_cmp_gt_f64_e64 s3, v[10:11], v[6:7]
	v_cmp_gt_i32_e64 s4, 64, v16
	s_delay_alu instid0(VALU_DEP_1) | instskip(NEXT) | instid1(VALU_DEP_1)
	v_cndmask_b32_e64 v16, v15, v16, s4
	v_lshlrev_b32_e32 v38, 2, v16
	v_xor_b32_e32 v16, 2, v15
	s_delay_alu instid0(VALU_DEP_1) | instskip(NEXT) | instid1(VALU_DEP_1)
	v_cmp_gt_i32_e64 s4, 64, v16
	v_cndmask_b32_e64 v16, v15, v16, s4
	s_delay_alu instid0(VALU_DEP_1) | instskip(SKIP_1) | instid1(VALU_DEP_1)
	v_lshlrev_b32_e32 v39, 2, v16
	v_xor_b32_e32 v16, 1, v15
	v_cmp_gt_i32_e64 s4, 64, v16
	v_cndmask_b32_e64 v11, v7, v11, s3
	v_cndmask_b32_e64 v10, v6, v10, s3
	s_delay_alu instid0(VALU_DEP_3) | instskip(SKIP_2) | instid1(VALU_DEP_2)
	v_cndmask_b32_e64 v15, v15, v16, s4
	s_mov_b32 s4, 0x652b82fe
	s_mov_b32 s5, 0x3ff71547
	v_cmp_gt_f64_e64 s3, v[10:11], v[2:3]
	s_delay_alu instid0(VALU_DEP_2) | instskip(NEXT) | instid1(VALU_DEP_2)
	v_lshlrev_b32_e32 v40, 2, v15
	v_cndmask_b32_e64 v11, v3, v11, s3
	v_cndmask_b32_e64 v10, v2, v10, s3
	ds_bpermute_b32 v13, v35, v11
	ds_bpermute_b32 v12, v35, v10
	s_waitcnt lgkmcnt(0)
	v_cmp_lt_f64_e64 s3, v[10:11], v[12:13]
	s_delay_alu instid0(VALU_DEP_1)
	v_cndmask_b32_e64 v11, v11, v13, s3
	v_cndmask_b32_e64 v10, v10, v12, s3
	ds_bpermute_b32 v13, v36, v11
	ds_bpermute_b32 v12, v36, v10
	s_waitcnt lgkmcnt(0)
	v_cmp_lt_f64_e64 s3, v[10:11], v[12:13]
	s_delay_alu instid0(VALU_DEP_1)
	;; [unrolled: 7-line block ×5, first 2 shown]
	v_cndmask_b32_e64 v11, v11, v13, s3
	v_cndmask_b32_e64 v10, v10, v12, s3
	ds_bpermute_b32 v13, v40, v11
	ds_bpermute_b32 v12, v40, v10
	s_waitcnt lgkmcnt(0)
	v_cmp_lt_f64_e64 s3, v[10:11], v[12:13]
	s_delay_alu instid0(VALU_DEP_1) | instskip(SKIP_1) | instid1(VALU_DEP_1)
	v_cndmask_b32_e64 v11, v11, v13, s3
	v_cndmask_b32_e64 v10, v10, v12, s3
	v_add_f64 v[8:9], v[8:9], -v[10:11]
	v_add_f64 v[4:5], v[4:5], -v[10:11]
	v_add_f64 v[6:7], v[6:7], -v[10:11]
	v_add_f64 v[2:3], v[2:3], -v[10:11]
	s_delay_alu instid0(VALU_DEP_4) | instskip(NEXT) | instid1(VALU_DEP_4)
	v_mul_f64 v[12:13], v[8:9], s[4:5]
	v_mul_f64 v[15:16], v[4:5], s[4:5]
	s_delay_alu instid0(VALU_DEP_4) | instskip(NEXT) | instid1(VALU_DEP_4)
	v_mul_f64 v[10:11], v[6:7], s[4:5]
	v_mul_f64 v[19:20], v[2:3], s[4:5]
	s_mov_b32 s4, 0x3b39803f
	s_mov_b32 s5, 0xbc7abc9e
	v_cmp_nlt_f64_e64 s3, 0x40900000, v[8:9]
	v_rndne_f64_e32 v[12:13], v[12:13]
	v_rndne_f64_e32 v[15:16], v[15:16]
	;; [unrolled: 1-line block ×4, first 2 shown]
	s_delay_alu instid0(VALU_DEP_4) | instskip(NEXT) | instid1(VALU_DEP_4)
	v_fma_f64 v[17:18], v[12:13], s[6:7], v[8:9]
	v_fma_f64 v[21:22], v[15:16], s[6:7], v[4:5]
	s_delay_alu instid0(VALU_DEP_4) | instskip(NEXT) | instid1(VALU_DEP_4)
	v_fma_f64 v[23:24], v[10:11], s[6:7], v[6:7]
	v_fma_f64 v[27:28], v[19:20], s[6:7], v[2:3]
	s_mov_b32 s6, 0x623fde64
	s_mov_b32 s7, 0x3ec71dee
	v_cvt_i32_f64_e32 v41, v[12:13]
	v_fma_f64 v[17:18], v[12:13], s[4:5], v[17:18]
	v_fma_f64 v[21:22], v[15:16], s[4:5], v[21:22]
	;; [unrolled: 1-line block ×4, first 2 shown]
	s_mov_b32 s4, 0x7c89e6b0
	s_mov_b32 s5, 0x3efa0199
	v_cvt_i32_f64_e32 v19, v[19:20]
	v_fma_f64 v[25:26], v[17:18], s[10:11], s[8:9]
	v_fma_f64 v[29:30], v[21:22], s[10:11], s[8:9]
	v_fma_f64 v[31:32], v[23:24], s[10:11], s[8:9]
	v_fma_f64 v[33:34], v[27:28], s[10:11], s[8:9]
	s_mov_b32 s8, 0x14761f6e
	s_mov_b32 s9, 0x3f2a01a0
	s_delay_alu instid0(VALU_DEP_4) | instskip(NEXT) | instid1(VALU_DEP_4)
	v_fma_f64 v[25:26], v[17:18], v[25:26], s[6:7]
	v_fma_f64 v[29:30], v[21:22], v[29:30], s[6:7]
	s_delay_alu instid0(VALU_DEP_4) | instskip(NEXT) | instid1(VALU_DEP_4)
	v_fma_f64 v[31:32], v[23:24], v[31:32], s[6:7]
	v_fma_f64 v[33:34], v[27:28], v[33:34], s[6:7]
	s_mov_b32 s6, 0x1852b7b0
	s_mov_b32 s7, 0x3f56c16c
	s_delay_alu instid0(VALU_DEP_4) | instskip(NEXT) | instid1(VALU_DEP_4)
	v_fma_f64 v[25:26], v[17:18], v[25:26], s[4:5]
	v_fma_f64 v[29:30], v[21:22], v[29:30], s[4:5]
	s_delay_alu instid0(VALU_DEP_4) | instskip(NEXT) | instid1(VALU_DEP_4)
	v_fma_f64 v[31:32], v[23:24], v[31:32], s[4:5]
	v_fma_f64 v[33:34], v[27:28], v[33:34], s[4:5]
	;; [unrolled: 8-line block ×6, first 2 shown]
	s_delay_alu instid0(VALU_DEP_4) | instskip(NEXT) | instid1(VALU_DEP_4)
	v_fma_f64 v[25:26], v[17:18], v[25:26], s[6:7]
	v_fma_f64 v[29:30], v[21:22], v[29:30], s[6:7]
	s_delay_alu instid0(VALU_DEP_4) | instskip(NEXT) | instid1(VALU_DEP_4)
	v_fma_f64 v[31:32], v[23:24], v[31:32], s[6:7]
	v_fma_f64 v[33:34], v[27:28], v[33:34], s[6:7]
	v_cmp_ngt_f64_e64 s6, 0xc090cc00, v[4:5]
	v_fma_f64 v[25:26], v[17:18], v[25:26], s[4:5]
	v_fma_f64 v[29:30], v[21:22], v[29:30], s[4:5]
	;; [unrolled: 1-line block ×3, first 2 shown]
	s_delay_alu instid0(VALU_DEP_3) | instskip(NEXT) | instid1(VALU_DEP_3)
	v_fma_f64 v[25:26], v[17:18], v[25:26], 1.0
	v_fma_f64 v[29:30], v[21:22], v[29:30], 1.0
	s_delay_alu instid0(VALU_DEP_2)
	v_fma_f64 v[12:13], v[17:18], v[25:26], 1.0
	v_fma_f64 v[17:18], v[27:28], v[33:34], s[4:5]
	v_fma_f64 v[25:26], v[23:24], v[31:32], 1.0
	v_cvt_i32_f64_e32 v31, v[15:16]
	v_fma_f64 v[15:16], v[21:22], v[29:30], 1.0
	v_cmp_ngt_f64_e64 s4, 0xc090cc00, v[8:9]
	v_cvt_i32_f64_e32 v21, v[10:11]
	v_cmp_nlt_f64_e64 s5, 0x40900000, v[4:5]
	v_ldexp_f64 v[12:13], v[12:13], v41
	v_fma_f64 v[10:11], v[27:28], v[17:18], 1.0
	v_fma_f64 v[17:18], v[23:24], v[25:26], 1.0
	v_ldexp_f64 v[15:16], v[15:16], v31
	s_delay_alu instid0(VALU_DEP_4) | instskip(SKIP_1) | instid1(VALU_DEP_4)
	v_cndmask_b32_e64 v13, 0x7ff00000, v13, s3
	s_and_b32 s3, s4, s3
	v_fma_f64 v[8:9], v[27:28], v[10:11], 1.0
	v_cndmask_b32_e64 v10, 0, v12, s3
	v_ldexp_f64 v[17:18], v[17:18], v21
	v_cndmask_b32_e64 v11, 0, v13, s4
	v_cndmask_b32_e64 v16, 0x7ff00000, v16, s5
	v_cmp_nlt_f64_e64 s3, 0x40900000, v[6:7]
	v_cmp_ngt_f64_e64 s4, 0xc090cc00, v[6:7]
	s_and_b32 s5, s6, s5
	v_add_f64 v[4:5], v[10:11], 0
	v_cndmask_b32_e64 v7, 0, v16, s6
	v_cndmask_b32_e64 v6, 0, v15, s5
	v_cmp_nlt_f64_e64 s5, 0x40900000, v[2:3]
	v_cmp_ngt_f64_e64 s6, 0xc090cc00, v[2:3]
	v_ldexp_f64 v[8:9], v[8:9], v19
	v_cndmask_b32_e64 v18, 0x7ff00000, v18, s3
	s_and_b32 s3, s4, s3
	v_add_f64 v[12:13], v[4:5], v[6:7]
	v_cndmask_b32_e64 v4, 0, v17, s3
	s_delay_alu instid0(VALU_DEP_3) | instskip(SKIP_4) | instid1(VALU_DEP_2)
	v_cndmask_b32_e64 v5, 0, v18, s4
	s_mov_b32 s4, exec_lo
	s_and_b32 s3, s6, s5
	v_cndmask_b32_e64 v9, 0x7ff00000, v9, s5
	v_cndmask_b32_e64 v2, 0, v8, s3
	;; [unrolled: 1-line block ×3, first 2 shown]
	v_add_f64 v[12:13], v[12:13], v[4:5]
	s_delay_alu instid0(VALU_DEP_1)
	v_add_f64 v[8:9], v[12:13], v[2:3]
	ds_bpermute_b32 v12, v35, v8
	ds_bpermute_b32 v13, v35, v9
	s_waitcnt lgkmcnt(0)
	v_add_f64 v[8:9], v[8:9], v[12:13]
	ds_bpermute_b32 v12, v36, v8
	ds_bpermute_b32 v13, v36, v9
	s_waitcnt lgkmcnt(0)
	;; [unrolled: 4-line block ×5, first 2 shown]
	v_add_f64 v[8:9], v[8:9], v[12:13]
	ds_bpermute_b32 v12, v40, v8
	ds_bpermute_b32 v13, v40, v9
	v_cmpx_lt_i32_e32 0, v14
	s_cbranch_execz .LBB370_14
; %bb.9:
	s_and_b32 exec_lo, exec_lo, vcc_lo
	s_cbranch_execz .LBB370_14
; %bb.10:
	s_waitcnt lgkmcnt(0)
	v_add_f64 v[8:9], v[8:9], v[12:13]
	s_delay_alu instid0(VALU_DEP_1) | instskip(SKIP_2) | instid1(VALU_DEP_3)
	v_div_scale_f64 v[12:13], null, v[8:9], v[8:9], v[10:11]
	v_div_scale_f64 v[18:19], vcc_lo, v[10:11], v[8:9], v[10:11]
	v_cmp_eq_f64_e64 s3, 0, v[8:9]
	v_rcp_f64_e32 v[14:15], v[12:13]
	s_waitcnt_depctr 0xfff
	v_fma_f64 v[16:17], -v[12:13], v[14:15], 1.0
	s_delay_alu instid0(VALU_DEP_1) | instskip(NEXT) | instid1(VALU_DEP_1)
	v_fma_f64 v[14:15], v[14:15], v[16:17], v[14:15]
	v_fma_f64 v[16:17], -v[12:13], v[14:15], 1.0
	s_delay_alu instid0(VALU_DEP_1) | instskip(NEXT) | instid1(VALU_DEP_1)
	v_fma_f64 v[14:15], v[14:15], v[16:17], v[14:15]
	v_mul_f64 v[16:17], v[18:19], v[14:15]
	s_delay_alu instid0(VALU_DEP_1) | instskip(NEXT) | instid1(VALU_DEP_1)
	v_fma_f64 v[12:13], -v[12:13], v[16:17], v[18:19]
	v_div_fmas_f64 v[12:13], v[12:13], v[14:15], v[16:17]
	v_add_co_u32 v0, vcc_lo, s16, v0
	v_add_co_ci_u32_e32 v1, vcc_lo, s17, v1, vcc_lo
	s_delay_alu instid0(VALU_DEP_3) | instskip(NEXT) | instid1(VALU_DEP_1)
	v_div_fixup_f64 v[10:11], v[12:13], v[8:9], v[10:11]
	v_cndmask_b32_e64 v11, v11, 0x7ff80000, s3
	s_delay_alu instid0(VALU_DEP_2)
	v_cndmask_b32_e64 v10, v10, 0, s3
	global_store_b64 v[0:1], v[10:11], off
	s_and_b32 exec_lo, exec_lo, s2
	s_cbranch_execz .LBB370_14
; %bb.11:
	v_div_scale_f64 v[10:11], null, v[8:9], v[8:9], v[6:7]
	v_div_scale_f64 v[16:17], vcc_lo, v[6:7], v[8:9], v[6:7]
	s_delay_alu instid0(VALU_DEP_2) | instskip(SKIP_2) | instid1(VALU_DEP_1)
	v_rcp_f64_e32 v[12:13], v[10:11]
	s_waitcnt_depctr 0xfff
	v_fma_f64 v[14:15], -v[10:11], v[12:13], 1.0
	v_fma_f64 v[12:13], v[12:13], v[14:15], v[12:13]
	s_delay_alu instid0(VALU_DEP_1) | instskip(NEXT) | instid1(VALU_DEP_1)
	v_fma_f64 v[14:15], -v[10:11], v[12:13], 1.0
	v_fma_f64 v[12:13], v[12:13], v[14:15], v[12:13]
	s_delay_alu instid0(VALU_DEP_1) | instskip(NEXT) | instid1(VALU_DEP_1)
	v_mul_f64 v[14:15], v[16:17], v[12:13]
	v_fma_f64 v[10:11], -v[10:11], v[14:15], v[16:17]
	s_delay_alu instid0(VALU_DEP_1) | instskip(NEXT) | instid1(VALU_DEP_1)
	v_div_fmas_f64 v[10:11], v[10:11], v[12:13], v[14:15]
	v_div_fixup_f64 v[6:7], v[10:11], v[8:9], v[6:7]
	s_delay_alu instid0(VALU_DEP_1) | instskip(NEXT) | instid1(VALU_DEP_2)
	v_cndmask_b32_e64 v7, v7, 0x7ff80000, s3
	v_cndmask_b32_e64 v6, v6, 0, s3
	global_store_b64 v[0:1], v[6:7], off offset:512
	s_and_b32 exec_lo, exec_lo, s1
	s_cbranch_execz .LBB370_14
; %bb.12:
	v_div_scale_f64 v[6:7], null, v[8:9], v[8:9], v[4:5]
	v_div_scale_f64 v[14:15], vcc_lo, v[4:5], v[8:9], v[4:5]
	s_delay_alu instid0(VALU_DEP_2) | instskip(SKIP_2) | instid1(VALU_DEP_1)
	v_rcp_f64_e32 v[10:11], v[6:7]
	s_waitcnt_depctr 0xfff
	v_fma_f64 v[12:13], -v[6:7], v[10:11], 1.0
	v_fma_f64 v[10:11], v[10:11], v[12:13], v[10:11]
	s_delay_alu instid0(VALU_DEP_1) | instskip(NEXT) | instid1(VALU_DEP_1)
	v_fma_f64 v[12:13], -v[6:7], v[10:11], 1.0
	v_fma_f64 v[10:11], v[10:11], v[12:13], v[10:11]
	s_delay_alu instid0(VALU_DEP_1) | instskip(NEXT) | instid1(VALU_DEP_1)
	v_mul_f64 v[12:13], v[14:15], v[10:11]
	v_fma_f64 v[6:7], -v[6:7], v[12:13], v[14:15]
	s_delay_alu instid0(VALU_DEP_1) | instskip(NEXT) | instid1(VALU_DEP_1)
	v_div_fmas_f64 v[6:7], v[6:7], v[10:11], v[12:13]
	v_div_fixup_f64 v[4:5], v[6:7], v[8:9], v[4:5]
	s_delay_alu instid0(VALU_DEP_1) | instskip(NEXT) | instid1(VALU_DEP_2)
	v_cndmask_b32_e64 v5, v5, 0x7ff80000, s3
	v_cndmask_b32_e64 v4, v4, 0, s3
	global_store_b64 v[0:1], v[4:5], off offset:1024
	;; [unrolled: 23-line block ×3, first 2 shown]
.LBB370_14:
	s_nop 0
	s_sendmsg sendmsg(MSG_DEALLOC_VGPRS)
	s_endpgm
	.section	.rodata,"a",@progbits
	.p2align	6, 0x0
	.amdhsa_kernel _ZN12_GLOBAL__N_120softmax_warp_forwardIdddLi8ELb0ELb0ELi64EEEvPT0_PKT_iiiPKbib
		.amdhsa_group_segment_fixed_size 0
		.amdhsa_private_segment_fixed_size 0
		.amdhsa_kernarg_size 304
		.amdhsa_user_sgpr_count 15
		.amdhsa_user_sgpr_dispatch_ptr 0
		.amdhsa_user_sgpr_queue_ptr 0
		.amdhsa_user_sgpr_kernarg_segment_ptr 1
		.amdhsa_user_sgpr_dispatch_id 0
		.amdhsa_user_sgpr_private_segment_size 0
		.amdhsa_wavefront_size32 1
		.amdhsa_uses_dynamic_stack 0
		.amdhsa_enable_private_segment 0
		.amdhsa_system_sgpr_workgroup_id_x 1
		.amdhsa_system_sgpr_workgroup_id_y 0
		.amdhsa_system_sgpr_workgroup_id_z 0
		.amdhsa_system_sgpr_workgroup_info 0
		.amdhsa_system_vgpr_workitem_id 1
		.amdhsa_next_free_vgpr 42
		.amdhsa_next_free_sgpr 24
		.amdhsa_reserve_vcc 1
		.amdhsa_float_round_mode_32 0
		.amdhsa_float_round_mode_16_64 0
		.amdhsa_float_denorm_mode_32 3
		.amdhsa_float_denorm_mode_16_64 3
		.amdhsa_dx10_clamp 1
		.amdhsa_ieee_mode 1
		.amdhsa_fp16_overflow 0
		.amdhsa_workgroup_processor_mode 1
		.amdhsa_memory_ordered 1
		.amdhsa_forward_progress 0
		.amdhsa_shared_vgpr_count 0
		.amdhsa_exception_fp_ieee_invalid_op 0
		.amdhsa_exception_fp_denorm_src 0
		.amdhsa_exception_fp_ieee_div_zero 0
		.amdhsa_exception_fp_ieee_overflow 0
		.amdhsa_exception_fp_ieee_underflow 0
		.amdhsa_exception_fp_ieee_inexact 0
		.amdhsa_exception_int_div_zero 0
	.end_amdhsa_kernel
	.section	.text._ZN12_GLOBAL__N_120softmax_warp_forwardIdddLi8ELb0ELb0ELi64EEEvPT0_PKT_iiiPKbib,"axG",@progbits,_ZN12_GLOBAL__N_120softmax_warp_forwardIdddLi8ELb0ELb0ELi64EEEvPT0_PKT_iiiPKbib,comdat
.Lfunc_end370:
	.size	_ZN12_GLOBAL__N_120softmax_warp_forwardIdddLi8ELb0ELb0ELi64EEEvPT0_PKT_iiiPKbib, .Lfunc_end370-_ZN12_GLOBAL__N_120softmax_warp_forwardIdddLi8ELb0ELb0ELi64EEEvPT0_PKT_iiiPKbib
                                        ; -- End function
	.section	.AMDGPU.csdata,"",@progbits
; Kernel info:
; codeLenInByte = 2772
; NumSgprs: 26
; NumVgprs: 42
; ScratchSize: 0
; MemoryBound: 0
; FloatMode: 240
; IeeeMode: 1
; LDSByteSize: 0 bytes/workgroup (compile time only)
; SGPRBlocks: 3
; VGPRBlocks: 5
; NumSGPRsForWavesPerEU: 26
; NumVGPRsForWavesPerEU: 42
; Occupancy: 16
; WaveLimiterHint : 0
; COMPUTE_PGM_RSRC2:SCRATCH_EN: 0
; COMPUTE_PGM_RSRC2:USER_SGPR: 15
; COMPUTE_PGM_RSRC2:TRAP_HANDLER: 0
; COMPUTE_PGM_RSRC2:TGID_X_EN: 1
; COMPUTE_PGM_RSRC2:TGID_Y_EN: 0
; COMPUTE_PGM_RSRC2:TGID_Z_EN: 0
; COMPUTE_PGM_RSRC2:TIDIG_COMP_CNT: 1
	.section	.text._ZN12_GLOBAL__N_120softmax_warp_forwardIdddLi8ELb0ELb0ELi32EEEvPT0_PKT_iiiPKbib,"axG",@progbits,_ZN12_GLOBAL__N_120softmax_warp_forwardIdddLi8ELb0ELb0ELi32EEEvPT0_PKT_iiiPKbib,comdat
	.globl	_ZN12_GLOBAL__N_120softmax_warp_forwardIdddLi8ELb0ELb0ELi32EEEvPT0_PKT_iiiPKbib ; -- Begin function _ZN12_GLOBAL__N_120softmax_warp_forwardIdddLi8ELb0ELb0ELi32EEEvPT0_PKT_iiiPKbib
	.p2align	8
	.type	_ZN12_GLOBAL__N_120softmax_warp_forwardIdddLi8ELb0ELb0ELi32EEEvPT0_PKT_iiiPKbib,@function
_ZN12_GLOBAL__N_120softmax_warp_forwardIdddLi8ELb0ELb0ELi32EEEvPT0_PKT_iiiPKbib: ; @_ZN12_GLOBAL__N_120softmax_warp_forwardIdddLi8ELb0ELb0ELi32EEEvPT0_PKT_iiiPKbib
; %bb.0:
	s_clause 0x1
	s_load_b32 s2, s[0:1], 0x3c
	s_load_b256 s[16:23], s[0:1], 0x0
	v_bfe_u32 v1, v0, 10, 10
	v_mov_b32_e32 v12, 0
	v_mov_b32_e32 v13, 0xfff00000
	s_delay_alu instid0(VALU_DEP_1) | instskip(NEXT) | instid1(VALU_DEP_3)
	v_dual_mov_b32 v17, v13 :: v_dual_and_b32 v18, 0x3ff, v0
	v_mov_b32_e32 v16, v12
	s_waitcnt lgkmcnt(0)
	s_lshr_b32 s0, s2, 16
	s_delay_alu instid0(VALU_DEP_2) | instskip(SKIP_1) | instid1(VALU_DEP_1)
	v_cmp_gt_i32_e32 vcc_lo, s22, v18
	v_mad_u64_u32 v[2:3], null, s15, s0, v[1:2]
	v_mad_u64_u32 v[0:1], null, v2, s21, v[18:19]
	v_sub_nc_u32_e32 v22, s20, v2
	s_delay_alu instid0(VALU_DEP_1) | instskip(NEXT) | instid1(VALU_DEP_3)
	v_cmp_lt_i32_e64 s7, 0, v22
	v_ashrrev_i32_e32 v1, 31, v0
	s_delay_alu instid0(VALU_DEP_2) | instskip(NEXT) | instid1(VALU_DEP_1)
	s_and_b32 s1, s7, vcc_lo
	v_lshlrev_b64 v[0:1], 3, v[0:1]
	s_delay_alu instid0(VALU_DEP_1) | instskip(NEXT) | instid1(VALU_DEP_1)
	v_add_co_u32 v19, s0, s18, v0
	v_add_co_ci_u32_e64 v20, s0, s19, v1, s0
	s_and_saveexec_b32 s0, s1
	s_cbranch_execz .LBB371_2
; %bb.1:
	global_load_b64 v[16:17], v[19:20], off
.LBB371_2:
	s_or_b32 exec_lo, exec_lo, s0
	v_add_nc_u32_e32 v2, 32, v18
	s_delay_alu instid0(VALU_DEP_1) | instskip(NEXT) | instid1(VALU_DEP_1)
	v_cmp_gt_i32_e64 s6, s22, v2
	s_and_b32 s1, s7, s6
	s_delay_alu instid0(SALU_CYCLE_1)
	s_and_saveexec_b32 s0, s1
	s_cbranch_execz .LBB371_4
; %bb.3:
	global_load_b64 v[12:13], v[19:20], off offset:256
.LBB371_4:
	s_or_b32 exec_lo, exec_lo, s0
	v_add_nc_u32_e32 v2, 64, v18
	v_mov_b32_e32 v8, 0
	v_mov_b32_e32 v9, 0xfff00000
	s_delay_alu instid0(VALU_DEP_3) | instskip(NEXT) | instid1(VALU_DEP_2)
	v_cmp_gt_i32_e64 s5, s22, v2
	v_dual_mov_b32 v15, v9 :: v_dual_mov_b32 v14, v8
	s_delay_alu instid0(VALU_DEP_2) | instskip(NEXT) | instid1(SALU_CYCLE_1)
	s_and_b32 s1, s7, s5
	s_and_saveexec_b32 s0, s1
	s_cbranch_execz .LBB371_6
; %bb.5:
	global_load_b64 v[14:15], v[19:20], off offset:512
.LBB371_6:
	s_or_b32 exec_lo, exec_lo, s0
	v_add_nc_u32_e32 v2, 0x60, v18
	s_delay_alu instid0(VALU_DEP_1) | instskip(NEXT) | instid1(VALU_DEP_1)
	v_cmp_gt_i32_e64 s4, s22, v2
	s_and_b32 s1, s7, s4
	s_delay_alu instid0(SALU_CYCLE_1)
	s_and_saveexec_b32 s0, s1
	s_cbranch_execz .LBB371_8
; %bb.7:
	global_load_b64 v[8:9], v[19:20], off offset:768
.LBB371_8:
	s_or_b32 exec_lo, exec_lo, s0
	v_mov_b32_e32 v4, 0
	v_mov_b32_e32 v5, 0xfff00000
	s_delay_alu instid0(VALU_DEP_1) | instskip(NEXT) | instid1(VALU_DEP_1)
	v_dual_mov_b32 v11, v5 :: v_dual_add_nc_u32 v2, 0x80, v18
	v_cmp_gt_i32_e64 s3, s22, v2
	s_delay_alu instid0(VALU_DEP_4) | instskip(NEXT) | instid1(VALU_DEP_2)
	v_mov_b32_e32 v10, v4
	s_and_b32 s1, s7, s3
	s_delay_alu instid0(SALU_CYCLE_1)
	s_and_saveexec_b32 s0, s1
	s_cbranch_execz .LBB371_10
; %bb.9:
	global_load_b64 v[10:11], v[19:20], off offset:1024
.LBB371_10:
	s_or_b32 exec_lo, exec_lo, s0
	v_add_nc_u32_e32 v2, 0xa0, v18
	s_delay_alu instid0(VALU_DEP_1) | instskip(NEXT) | instid1(VALU_DEP_1)
	v_cmp_gt_i32_e64 s2, s22, v2
	s_and_b32 s1, s7, s2
	s_delay_alu instid0(SALU_CYCLE_1)
	s_and_saveexec_b32 s0, s1
	s_cbranch_execz .LBB371_12
; %bb.11:
	global_load_b64 v[4:5], v[19:20], off offset:1280
.LBB371_12:
	s_or_b32 exec_lo, exec_lo, s0
	v_add_nc_u32_e32 v6, 0xc0, v18
	v_mov_b32_e32 v2, 0
	v_mov_b32_e32 v3, 0xfff00000
	s_delay_alu instid0(VALU_DEP_3) | instskip(NEXT) | instid1(VALU_DEP_2)
	v_cmp_gt_i32_e64 s1, s22, v6
	v_dual_mov_b32 v7, v3 :: v_dual_mov_b32 v6, v2
	s_delay_alu instid0(VALU_DEP_2) | instskip(NEXT) | instid1(SALU_CYCLE_1)
	s_and_b32 s8, s7, s1
	s_and_saveexec_b32 s0, s8
	s_cbranch_execz .LBB371_14
; %bb.13:
	global_load_b64 v[6:7], v[19:20], off offset:1536
.LBB371_14:
	s_or_b32 exec_lo, exec_lo, s0
	v_add_nc_u32_e32 v18, 0xe0, v18
	s_delay_alu instid0(VALU_DEP_1) | instskip(NEXT) | instid1(VALU_DEP_1)
	v_cmp_gt_i32_e64 s0, s22, v18
	s_and_b32 s8, s7, s0
	s_delay_alu instid0(SALU_CYCLE_1)
	s_and_saveexec_b32 s7, s8
	s_cbranch_execz .LBB371_16
; %bb.15:
	global_load_b64 v[2:3], v[19:20], off offset:1792
.LBB371_16:
	s_or_b32 exec_lo, exec_lo, s7
	s_waitcnt vmcnt(0)
	v_cmp_gt_f64_e64 s7, v[16:17], v[12:13]
	v_mbcnt_lo_u32_b32 v28, -1, 0
	s_mov_b32 s10, 0xfefa39ef
	s_mov_b32 s11, 0xbfe62e42
	;; [unrolled: 1-line block ×4, first 2 shown]
	v_xor_b32_e32 v20, 16, v28
	v_xor_b32_e32 v21, 8, v28
	s_mov_b32 s12, 0xfca7ab0c
	s_mov_b32 s18, 0x6a5dcb37
	;; [unrolled: 1-line block ×3, first 2 shown]
	v_cmp_gt_i32_e64 s8, 32, v20
	s_mov_b32 s19, 0x3e5ade15
	s_mov_b32 s20, 0x623fde64
	;; [unrolled: 1-line block ×4, first 2 shown]
	v_cndmask_b32_e64 v20, v28, v20, s8
	v_cmp_gt_i32_e64 s8, 32, v21
	s_mov_b32 s23, 0x3efa0199
	s_mov_b32 s24, 0x1852b7b0
	;; [unrolled: 1-line block ×3, first 2 shown]
	v_lshlrev_b32_e32 v20, 2, v20
	v_cndmask_b32_e64 v21, v28, v21, s8
	s_delay_alu instid0(VALU_DEP_1) | instskip(SKIP_2) | instid1(VALU_DEP_1)
	v_lshlrev_b32_e32 v21, 2, v21
	v_cndmask_b32_e64 v19, v13, v17, s7
	v_cndmask_b32_e64 v18, v12, v16, s7
	v_cmp_gt_f64_e64 s7, v[18:19], v[14:15]
	s_delay_alu instid0(VALU_DEP_1) | instskip(SKIP_1) | instid1(VALU_DEP_1)
	v_cndmask_b32_e64 v19, v15, v19, s7
	v_cndmask_b32_e64 v18, v14, v18, s7
	v_cmp_gt_f64_e64 s7, v[18:19], v[8:9]
	s_delay_alu instid0(VALU_DEP_1) | instskip(SKIP_1) | instid1(VALU_DEP_1)
	;; [unrolled: 4-line block ×5, first 2 shown]
	v_cndmask_b32_e64 v19, v7, v19, s7
	v_cndmask_b32_e64 v18, v6, v18, s7
	v_cmp_gt_f64_e64 s7, v[18:19], v[2:3]
	s_delay_alu instid0(VALU_DEP_1)
	v_cndmask_b32_e64 v19, v3, v19, s7
	v_cndmask_b32_e64 v18, v2, v18, s7
	ds_bpermute_b32 v24, v20, v19
	ds_bpermute_b32 v23, v20, v18
	s_waitcnt lgkmcnt(0)
	v_cmp_lt_f64_e64 s7, v[18:19], v[23:24]
	s_delay_alu instid0(VALU_DEP_1)
	v_cndmask_b32_e64 v19, v19, v24, s7
	v_cndmask_b32_e64 v18, v18, v23, s7
	v_xor_b32_e32 v23, 4, v28
	ds_bpermute_b32 v25, v21, v19
	ds_bpermute_b32 v24, v21, v18
	v_cmp_gt_i32_e64 s8, 32, v23
	s_delay_alu instid0(VALU_DEP_1) | instskip(NEXT) | instid1(VALU_DEP_1)
	v_cndmask_b32_e64 v23, v28, v23, s8
	v_lshlrev_b32_e32 v23, 2, v23
	s_waitcnt lgkmcnt(0)
	v_cmp_lt_f64_e64 s7, v[18:19], v[24:25]
	s_delay_alu instid0(VALU_DEP_1)
	v_cndmask_b32_e64 v19, v19, v25, s7
	v_cndmask_b32_e64 v18, v18, v24, s7
	v_xor_b32_e32 v24, 2, v28
	ds_bpermute_b32 v26, v23, v19
	ds_bpermute_b32 v25, v23, v18
	v_cmp_gt_i32_e64 s8, 32, v24
	s_delay_alu instid0(VALU_DEP_1) | instskip(NEXT) | instid1(VALU_DEP_1)
	v_cndmask_b32_e64 v24, v28, v24, s8
	v_lshlrev_b32_e32 v24, 2, v24
	s_waitcnt lgkmcnt(0)
	v_cmp_lt_f64_e64 s7, v[18:19], v[25:26]
	s_delay_alu instid0(VALU_DEP_1)
	v_cndmask_b32_e64 v19, v19, v26, s7
	v_cndmask_b32_e64 v18, v18, v25, s7
	v_xor_b32_e32 v25, 1, v28
	ds_bpermute_b32 v27, v24, v19
	ds_bpermute_b32 v26, v24, v18
	v_cmp_gt_i32_e64 s8, 32, v25
	s_delay_alu instid0(VALU_DEP_1) | instskip(SKIP_2) | instid1(VALU_DEP_1)
	v_cndmask_b32_e64 v25, v28, v25, s8
	s_mov_b32 s8, 0x652b82fe
	s_mov_b32 s9, 0x3ff71547
	v_lshlrev_b32_e32 v25, 2, v25
	s_waitcnt lgkmcnt(0)
	v_cmp_lt_f64_e64 s7, v[18:19], v[26:27]
	s_delay_alu instid0(VALU_DEP_1)
	v_cndmask_b32_e64 v19, v19, v27, s7
	v_cndmask_b32_e64 v18, v18, v26, s7
	ds_bpermute_b32 v27, v25, v19
	ds_bpermute_b32 v26, v25, v18
	s_waitcnt lgkmcnt(0)
	v_cmp_lt_f64_e64 s7, v[18:19], v[26:27]
	s_delay_alu instid0(VALU_DEP_1) | instskip(SKIP_1) | instid1(VALU_DEP_1)
	v_cndmask_b32_e64 v19, v19, v27, s7
	v_cndmask_b32_e64 v18, v18, v26, s7
	v_add_f64 v[16:17], v[16:17], -v[18:19]
	v_add_f64 v[12:13], v[12:13], -v[18:19]
	;; [unrolled: 1-line block ×8, first 2 shown]
	v_mul_f64 v[26:27], v[16:17], s[8:9]
	v_mul_f64 v[28:29], v[12:13], s[8:9]
	;; [unrolled: 1-line block ×8, first 2 shown]
	s_mov_b32 s8, 0x14761f6e
	s_mov_b32 s9, 0x3f2a01a0
	v_cmp_nlt_f64_e64 s7, 0x40900000, v[16:17]
	v_rndne_f64_e32 v[26:27], v[26:27]
	v_rndne_f64_e32 v[28:29], v[28:29]
	;; [unrolled: 1-line block ×8, first 2 shown]
	v_fma_f64 v[32:33], v[26:27], s[10:11], v[16:17]
	v_fma_f64 v[36:37], v[28:29], s[10:11], v[12:13]
	;; [unrolled: 1-line block ×8, first 2 shown]
	s_mov_b32 s10, 0x11122322
	s_mov_b32 s11, 0x3f811111
	v_cvt_i32_f64_e32 v72, v[26:27]
	v_fma_f64 v[32:33], v[26:27], s[14:15], v[32:33]
	v_fma_f64 v[36:37], v[28:29], s[14:15], v[36:37]
	;; [unrolled: 1-line block ×8, first 2 shown]
	s_mov_b32 s14, 0x555502a1
	s_mov_b32 s15, 0x3fa55555
	v_cvt_i32_f64_e32 v38, v[38:39]
	v_cvt_i32_f64_e32 v39, v[44:45]
	v_fma_f64 v[42:43], v[32:33], s[18:19], s[12:13]
	v_fma_f64 v[48:49], v[36:37], s[18:19], s[12:13]
	;; [unrolled: 1-line block ×8, first 2 shown]
	s_mov_b32 s12, 0x55555511
	s_mov_b32 s13, 0x3fc55555
	;; [unrolled: 1-line block ×4, first 2 shown]
	v_fma_f64 v[42:43], v[32:33], v[42:43], s[20:21]
	v_fma_f64 v[48:49], v[36:37], v[48:49], s[20:21]
	;; [unrolled: 1-line block ×24, first 2 shown]
	v_cmp_ngt_f64_e64 s8, 0xc090cc00, v[16:17]
	v_cmp_nlt_f64_e64 s9, 0x40900000, v[12:13]
	v_fma_f64 v[42:43], v[32:33], v[42:43], s[24:25]
	v_fma_f64 v[48:49], v[36:37], v[48:49], s[24:25]
	;; [unrolled: 1-line block ×29, first 2 shown]
	v_fma_f64 v[42:43], v[32:33], v[42:43], 1.0
	v_fma_f64 v[48:49], v[36:37], v[48:49], 1.0
	;; [unrolled: 1-line block ×3, first 2 shown]
	s_delay_alu instid0(VALU_DEP_3)
	v_fma_f64 v[26:27], v[32:33], v[42:43], 1.0
	v_fma_f64 v[32:33], v[64:65], v[70:71], s[24:25]
	v_fma_f64 v[42:43], v[60:61], v[68:69], s[10:11]
	v_cvt_i32_f64_e32 v68, v[28:29]
	v_fma_f64 v[28:29], v[36:37], v[48:49], 1.0
	v_cvt_i32_f64_e32 v48, v[30:31]
	v_fma_f64 v[36:37], v[62:63], v[66:67], s[12:13]
	v_fma_f64 v[40:41], v[40:41], v[52:53], 1.0
	v_cvt_i32_f64_e32 v49, v[34:35]
	v_fma_f64 v[34:35], v[50:51], v[18:19], 1.0
	v_ldexp_f64 v[26:27], v[26:27], v72
	v_fma_f64 v[30:31], v[64:65], v[32:33], s[10:11]
	v_fma_f64 v[32:33], v[60:61], v[42:43], s[14:15]
	v_fma_f64 v[42:43], v[46:47], v[58:59], 1.0
	v_ldexp_f64 v[28:29], v[28:29], v68
	v_cmp_ngt_f64_e64 s10, 0xc090cc00, v[12:13]
	v_ldexp_f64 v[40:41], v[40:41], v48
	v_cndmask_b32_e64 v27, 0x7ff00000, v27, s7
	s_and_b32 s7, s8, s7
	v_fma_f64 v[16:17], v[64:65], v[30:31], s[14:15]
	v_cndmask_b32_e64 v18, 0, v26, s7
	v_fma_f64 v[30:31], v[60:61], v[32:33], s[12:13]
	v_cndmask_b32_e64 v19, 0, v27, s8
	v_fma_f64 v[32:33], v[62:63], v[36:37], s[18:19]
	v_fma_f64 v[36:37], v[46:47], v[42:43], 1.0
	v_cndmask_b32_e64 v42, 0x7ff00000, v29, s9
	v_cmp_nlt_f64_e64 s7, 0x40900000, v[14:15]
	v_add_f64 v[12:13], v[18:19], 0
	v_cmp_ngt_f64_e64 s8, 0xc090cc00, v[14:15]
	s_and_b32 s9, s10, s9
	v_fma_f64 v[26:27], v[64:65], v[16:17], s[12:13]
	v_cndmask_b32_e64 v17, 0, v42, s10
	v_cndmask_b32_e64 v16, 0, v28, s9
	v_fma_f64 v[29:30], v[60:61], v[30:31], s[18:19]
	v_fma_f64 v[31:32], v[62:63], v[32:33], 1.0
	v_fma_f64 v[33:34], v[50:51], v[34:35], 1.0
	v_ldexp_f64 v[35:36], v[36:37], v49
	v_cndmask_b32_e64 v37, 0x7ff00000, v41, s7
	v_add_f64 v[12:13], v[12:13], v[16:17]
	v_cmp_nlt_f64_e64 s9, 0x40900000, v[8:9]
	v_cmp_ngt_f64_e64 s10, 0xc090cc00, v[8:9]
	s_and_b32 s7, s8, s7
	v_cndmask_b32_e64 v15, 0, v37, s8
	v_cndmask_b32_e64 v14, 0, v40, s7
	v_cmp_nlt_f64_e64 s7, 0x40900000, v[10:11]
	v_cmp_ngt_f64_e64 s8, 0xc090cc00, v[10:11]
	v_fma_f64 v[26:27], v[64:65], v[26:27], s[18:19]
	v_fma_f64 v[28:29], v[60:61], v[29:30], 1.0
	v_fma_f64 v[30:31], v[62:63], v[31:32], 1.0
	v_ldexp_f64 v[32:33], v[33:34], v38
	v_add_f64 v[8:9], v[12:13], v[14:15]
	v_cndmask_b32_e64 v34, 0x7ff00000, v36, s9
	s_and_b32 s9, s10, s9
	v_cvt_i32_f64_e32 v36, v[56:57]
	v_cndmask_b32_e64 v12, 0, v35, s9
	v_cmp_nlt_f64_e64 s9, 0x40900000, v[4:5]
	v_cndmask_b32_e64 v13, 0, v34, s10
	v_cmp_ngt_f64_e64 s10, 0xc090cc00, v[4:5]
	v_cvt_i32_f64_e32 v34, v[54:55]
	v_fma_f64 v[26:27], v[64:65], v[26:27], 1.0
	v_fma_f64 v[28:29], v[60:61], v[28:29], 1.0
	v_ldexp_f64 v[30:31], v[30:31], v39
	v_cndmask_b32_e64 v33, 0x7ff00000, v33, s7
	s_and_b32 s7, s8, s7
	v_add_f64 v[8:9], v[8:9], v[12:13]
	v_cndmask_b32_e64 v10, 0, v32, s7
	s_delay_alu instid0(VALU_DEP_3)
	v_cndmask_b32_e64 v11, 0, v33, s8
	v_cmp_nlt_f64_e64 s7, 0x40900000, v[6:7]
	v_cmp_ngt_f64_e64 s8, 0xc090cc00, v[6:7]
	v_fma_f64 v[26:27], v[64:65], v[26:27], 1.0
	v_ldexp_f64 v[28:29], v[28:29], v36
	v_cndmask_b32_e64 v31, 0x7ff00000, v31, s9
	s_and_b32 s9, s10, s9
	s_delay_alu instid0(SALU_CYCLE_1) | instskip(SKIP_1) | instid1(VALU_DEP_3)
	v_cndmask_b32_e64 v6, 0, v30, s9
	v_add_f64 v[4:5], v[8:9], v[10:11]
	v_cndmask_b32_e64 v7, 0, v31, s10
	v_cmp_nlt_f64_e64 s9, 0x40900000, v[2:3]
	v_cmp_ngt_f64_e64 s10, 0xc090cc00, v[2:3]
	v_ldexp_f64 v[8:9], v[26:27], v34
	v_cndmask_b32_e64 v29, 0x7ff00000, v29, s7
	s_and_b32 s7, s8, s7
	v_add_f64 v[26:27], v[4:5], v[6:7]
	s_delay_alu instid0(VALU_DEP_2)
	v_cndmask_b32_e64 v5, 0, v29, s8
	v_cndmask_b32_e64 v4, 0, v28, s7
	s_and_b32 s7, s10, s9
	s_mov_b32 s8, exec_lo
	v_cndmask_b32_e64 v9, 0x7ff00000, v9, s9
	v_cndmask_b32_e64 v2, 0, v8, s7
	s_delay_alu instid0(VALU_DEP_2) | instskip(SKIP_1) | instid1(VALU_DEP_1)
	v_cndmask_b32_e64 v3, 0, v9, s10
	v_add_f64 v[26:27], v[26:27], v[4:5]
	v_add_f64 v[8:9], v[26:27], v[2:3]
	ds_bpermute_b32 v26, v20, v8
	ds_bpermute_b32 v27, v20, v9
	s_waitcnt lgkmcnt(0)
	v_add_f64 v[8:9], v[8:9], v[26:27]
	ds_bpermute_b32 v20, v21, v8
	ds_bpermute_b32 v21, v21, v9
	s_waitcnt lgkmcnt(0)
	;; [unrolled: 4-line block ×4, first 2 shown]
	v_add_f64 v[8:9], v[8:9], v[20:21]
	ds_bpermute_b32 v20, v25, v8
	ds_bpermute_b32 v21, v25, v9
	v_cmpx_lt_i32_e32 0, v22
	s_cbranch_execz .LBB371_26
; %bb.17:
	s_and_b32 exec_lo, exec_lo, vcc_lo
	s_cbranch_execz .LBB371_26
; %bb.18:
	s_waitcnt lgkmcnt(0)
	v_add_f64 v[8:9], v[8:9], v[20:21]
	s_delay_alu instid0(VALU_DEP_1) | instskip(SKIP_2) | instid1(VALU_DEP_3)
	v_div_scale_f64 v[20:21], null, v[8:9], v[8:9], v[18:19]
	v_div_scale_f64 v[26:27], vcc_lo, v[18:19], v[8:9], v[18:19]
	v_cmp_eq_f64_e64 s7, 0, v[8:9]
	v_rcp_f64_e32 v[22:23], v[20:21]
	s_waitcnt_depctr 0xfff
	v_fma_f64 v[24:25], -v[20:21], v[22:23], 1.0
	s_delay_alu instid0(VALU_DEP_1) | instskip(NEXT) | instid1(VALU_DEP_1)
	v_fma_f64 v[22:23], v[22:23], v[24:25], v[22:23]
	v_fma_f64 v[24:25], -v[20:21], v[22:23], 1.0
	s_delay_alu instid0(VALU_DEP_1) | instskip(NEXT) | instid1(VALU_DEP_1)
	v_fma_f64 v[22:23], v[22:23], v[24:25], v[22:23]
	v_mul_f64 v[24:25], v[26:27], v[22:23]
	s_delay_alu instid0(VALU_DEP_1) | instskip(NEXT) | instid1(VALU_DEP_1)
	v_fma_f64 v[20:21], -v[20:21], v[24:25], v[26:27]
	v_div_fmas_f64 v[20:21], v[20:21], v[22:23], v[24:25]
	v_add_co_u32 v0, vcc_lo, s16, v0
	v_add_co_ci_u32_e32 v1, vcc_lo, s17, v1, vcc_lo
	s_delay_alu instid0(VALU_DEP_3) | instskip(NEXT) | instid1(VALU_DEP_1)
	v_div_fixup_f64 v[18:19], v[20:21], v[8:9], v[18:19]
	v_cndmask_b32_e64 v19, v19, 0x7ff80000, s7
	s_delay_alu instid0(VALU_DEP_2)
	v_cndmask_b32_e64 v18, v18, 0, s7
	global_store_b64 v[0:1], v[18:19], off
	s_and_b32 exec_lo, exec_lo, s6
	s_cbranch_execz .LBB371_26
; %bb.19:
	v_div_scale_f64 v[18:19], null, v[8:9], v[8:9], v[16:17]
	v_div_scale_f64 v[24:25], vcc_lo, v[16:17], v[8:9], v[16:17]
	s_delay_alu instid0(VALU_DEP_2) | instskip(SKIP_2) | instid1(VALU_DEP_1)
	v_rcp_f64_e32 v[20:21], v[18:19]
	s_waitcnt_depctr 0xfff
	v_fma_f64 v[22:23], -v[18:19], v[20:21], 1.0
	v_fma_f64 v[20:21], v[20:21], v[22:23], v[20:21]
	s_delay_alu instid0(VALU_DEP_1) | instskip(NEXT) | instid1(VALU_DEP_1)
	v_fma_f64 v[22:23], -v[18:19], v[20:21], 1.0
	v_fma_f64 v[20:21], v[20:21], v[22:23], v[20:21]
	s_delay_alu instid0(VALU_DEP_1) | instskip(NEXT) | instid1(VALU_DEP_1)
	v_mul_f64 v[22:23], v[24:25], v[20:21]
	v_fma_f64 v[18:19], -v[18:19], v[22:23], v[24:25]
	s_delay_alu instid0(VALU_DEP_1) | instskip(NEXT) | instid1(VALU_DEP_1)
	v_div_fmas_f64 v[18:19], v[18:19], v[20:21], v[22:23]
	v_div_fixup_f64 v[16:17], v[18:19], v[8:9], v[16:17]
	s_delay_alu instid0(VALU_DEP_1) | instskip(NEXT) | instid1(VALU_DEP_2)
	v_cndmask_b32_e64 v17, v17, 0x7ff80000, s7
	v_cndmask_b32_e64 v16, v16, 0, s7
	global_store_b64 v[0:1], v[16:17], off offset:256
	s_and_b32 exec_lo, exec_lo, s5
	s_cbranch_execz .LBB371_26
; %bb.20:
	v_div_scale_f64 v[16:17], null, v[8:9], v[8:9], v[14:15]
	v_div_scale_f64 v[22:23], vcc_lo, v[14:15], v[8:9], v[14:15]
	s_delay_alu instid0(VALU_DEP_2) | instskip(SKIP_2) | instid1(VALU_DEP_1)
	v_rcp_f64_e32 v[18:19], v[16:17]
	s_waitcnt_depctr 0xfff
	v_fma_f64 v[20:21], -v[16:17], v[18:19], 1.0
	v_fma_f64 v[18:19], v[18:19], v[20:21], v[18:19]
	s_delay_alu instid0(VALU_DEP_1) | instskip(NEXT) | instid1(VALU_DEP_1)
	v_fma_f64 v[20:21], -v[16:17], v[18:19], 1.0
	v_fma_f64 v[18:19], v[18:19], v[20:21], v[18:19]
	s_delay_alu instid0(VALU_DEP_1) | instskip(NEXT) | instid1(VALU_DEP_1)
	v_mul_f64 v[20:21], v[22:23], v[18:19]
	v_fma_f64 v[16:17], -v[16:17], v[20:21], v[22:23]
	s_delay_alu instid0(VALU_DEP_1) | instskip(NEXT) | instid1(VALU_DEP_1)
	v_div_fmas_f64 v[16:17], v[16:17], v[18:19], v[20:21]
	v_div_fixup_f64 v[14:15], v[16:17], v[8:9], v[14:15]
	s_delay_alu instid0(VALU_DEP_1) | instskip(NEXT) | instid1(VALU_DEP_2)
	v_cndmask_b32_e64 v15, v15, 0x7ff80000, s7
	v_cndmask_b32_e64 v14, v14, 0, s7
	global_store_b64 v[0:1], v[14:15], off offset:512
	;; [unrolled: 23-line block ×7, first 2 shown]
.LBB371_26:
	s_nop 0
	s_sendmsg sendmsg(MSG_DEALLOC_VGPRS)
	s_endpgm
	.section	.rodata,"a",@progbits
	.p2align	6, 0x0
	.amdhsa_kernel _ZN12_GLOBAL__N_120softmax_warp_forwardIdddLi8ELb0ELb0ELi32EEEvPT0_PKT_iiiPKbib
		.amdhsa_group_segment_fixed_size 0
		.amdhsa_private_segment_fixed_size 0
		.amdhsa_kernarg_size 304
		.amdhsa_user_sgpr_count 15
		.amdhsa_user_sgpr_dispatch_ptr 0
		.amdhsa_user_sgpr_queue_ptr 0
		.amdhsa_user_sgpr_kernarg_segment_ptr 1
		.amdhsa_user_sgpr_dispatch_id 0
		.amdhsa_user_sgpr_private_segment_size 0
		.amdhsa_wavefront_size32 1
		.amdhsa_uses_dynamic_stack 0
		.amdhsa_enable_private_segment 0
		.amdhsa_system_sgpr_workgroup_id_x 1
		.amdhsa_system_sgpr_workgroup_id_y 0
		.amdhsa_system_sgpr_workgroup_id_z 0
		.amdhsa_system_sgpr_workgroup_info 0
		.amdhsa_system_vgpr_workitem_id 1
		.amdhsa_next_free_vgpr 73
		.amdhsa_next_free_sgpr 26
		.amdhsa_reserve_vcc 1
		.amdhsa_float_round_mode_32 0
		.amdhsa_float_round_mode_16_64 0
		.amdhsa_float_denorm_mode_32 3
		.amdhsa_float_denorm_mode_16_64 3
		.amdhsa_dx10_clamp 1
		.amdhsa_ieee_mode 1
		.amdhsa_fp16_overflow 0
		.amdhsa_workgroup_processor_mode 1
		.amdhsa_memory_ordered 1
		.amdhsa_forward_progress 0
		.amdhsa_shared_vgpr_count 0
		.amdhsa_exception_fp_ieee_invalid_op 0
		.amdhsa_exception_fp_denorm_src 0
		.amdhsa_exception_fp_ieee_div_zero 0
		.amdhsa_exception_fp_ieee_overflow 0
		.amdhsa_exception_fp_ieee_underflow 0
		.amdhsa_exception_fp_ieee_inexact 0
		.amdhsa_exception_int_div_zero 0
	.end_amdhsa_kernel
	.section	.text._ZN12_GLOBAL__N_120softmax_warp_forwardIdddLi8ELb0ELb0ELi32EEEvPT0_PKT_iiiPKbib,"axG",@progbits,_ZN12_GLOBAL__N_120softmax_warp_forwardIdddLi8ELb0ELb0ELi32EEEvPT0_PKT_iiiPKbib,comdat
.Lfunc_end371:
	.size	_ZN12_GLOBAL__N_120softmax_warp_forwardIdddLi8ELb0ELb0ELi32EEEvPT0_PKT_iiiPKbib, .Lfunc_end371-_ZN12_GLOBAL__N_120softmax_warp_forwardIdddLi8ELb0ELb0ELi32EEEvPT0_PKT_iiiPKbib
                                        ; -- End function
	.section	.AMDGPU.csdata,"",@progbits
; Kernel info:
; codeLenInByte = 4304
; NumSgprs: 28
; NumVgprs: 73
; ScratchSize: 0
; MemoryBound: 0
; FloatMode: 240
; IeeeMode: 1
; LDSByteSize: 0 bytes/workgroup (compile time only)
; SGPRBlocks: 3
; VGPRBlocks: 9
; NumSGPRsForWavesPerEU: 28
; NumVGPRsForWavesPerEU: 73
; Occupancy: 16
; WaveLimiterHint : 0
; COMPUTE_PGM_RSRC2:SCRATCH_EN: 0
; COMPUTE_PGM_RSRC2:USER_SGPR: 15
; COMPUTE_PGM_RSRC2:TRAP_HANDLER: 0
; COMPUTE_PGM_RSRC2:TGID_X_EN: 1
; COMPUTE_PGM_RSRC2:TGID_Y_EN: 0
; COMPUTE_PGM_RSRC2:TGID_Z_EN: 0
; COMPUTE_PGM_RSRC2:TIDIG_COMP_CNT: 1
	.section	.text._ZN12_GLOBAL__N_120softmax_warp_forwardIdddLi9ELb0ELb0ELi64EEEvPT0_PKT_iiiPKbib,"axG",@progbits,_ZN12_GLOBAL__N_120softmax_warp_forwardIdddLi9ELb0ELb0ELi64EEEvPT0_PKT_iiiPKbib,comdat
	.globl	_ZN12_GLOBAL__N_120softmax_warp_forwardIdddLi9ELb0ELb0ELi64EEEvPT0_PKT_iiiPKbib ; -- Begin function _ZN12_GLOBAL__N_120softmax_warp_forwardIdddLi9ELb0ELb0ELi64EEEvPT0_PKT_iiiPKbib
	.p2align	8
	.type	_ZN12_GLOBAL__N_120softmax_warp_forwardIdddLi9ELb0ELb0ELi64EEEvPT0_PKT_iiiPKbib,@function
_ZN12_GLOBAL__N_120softmax_warp_forwardIdddLi9ELb0ELb0ELi64EEEvPT0_PKT_iiiPKbib: ; @_ZN12_GLOBAL__N_120softmax_warp_forwardIdddLi9ELb0ELb0ELi64EEEvPT0_PKT_iiiPKbib
; %bb.0:
	s_clause 0x1
	s_load_b32 s2, s[0:1], 0x3c
	s_load_b256 s[16:23], s[0:1], 0x0
	v_bfe_u32 v1, v0, 10, 10
	v_mov_b32_e32 v12, 0
	v_mov_b32_e32 v13, 0xfff00000
	s_delay_alu instid0(VALU_DEP_1) | instskip(NEXT) | instid1(VALU_DEP_3)
	v_dual_mov_b32 v17, v13 :: v_dual_and_b32 v18, 0x3ff, v0
	v_mov_b32_e32 v16, v12
	s_waitcnt lgkmcnt(0)
	s_lshr_b32 s0, s2, 16
	s_delay_alu instid0(VALU_DEP_2) | instskip(SKIP_1) | instid1(VALU_DEP_1)
	v_cmp_gt_i32_e32 vcc_lo, s22, v18
	v_mad_u64_u32 v[2:3], null, s15, s0, v[1:2]
	v_mad_u64_u32 v[0:1], null, v2, s21, v[18:19]
	v_sub_nc_u32_e32 v22, s20, v2
	s_delay_alu instid0(VALU_DEP_1) | instskip(NEXT) | instid1(VALU_DEP_3)
	v_cmp_lt_i32_e64 s7, 0, v22
	v_ashrrev_i32_e32 v1, 31, v0
	s_delay_alu instid0(VALU_DEP_2) | instskip(NEXT) | instid1(VALU_DEP_1)
	s_and_b32 s1, s7, vcc_lo
	v_lshlrev_b64 v[0:1], 3, v[0:1]
	s_delay_alu instid0(VALU_DEP_1) | instskip(NEXT) | instid1(VALU_DEP_1)
	v_add_co_u32 v19, s0, s18, v0
	v_add_co_ci_u32_e64 v20, s0, s19, v1, s0
	s_and_saveexec_b32 s0, s1
	s_cbranch_execz .LBB372_2
; %bb.1:
	global_load_b64 v[16:17], v[19:20], off
.LBB372_2:
	s_or_b32 exec_lo, exec_lo, s0
	v_add_nc_u32_e32 v2, 64, v18
	s_delay_alu instid0(VALU_DEP_1) | instskip(NEXT) | instid1(VALU_DEP_1)
	v_cmp_gt_i32_e64 s6, s22, v2
	s_and_b32 s1, s7, s6
	s_delay_alu instid0(SALU_CYCLE_1)
	s_and_saveexec_b32 s0, s1
	s_cbranch_execz .LBB372_4
; %bb.3:
	global_load_b64 v[12:13], v[19:20], off offset:512
.LBB372_4:
	s_or_b32 exec_lo, exec_lo, s0
	v_mov_b32_e32 v8, 0
	v_mov_b32_e32 v9, 0xfff00000
	s_delay_alu instid0(VALU_DEP_1) | instskip(NEXT) | instid1(VALU_DEP_1)
	v_dual_mov_b32 v15, v9 :: v_dual_add_nc_u32 v2, 0x80, v18
	v_cmp_gt_i32_e64 s5, s22, v2
	s_delay_alu instid0(VALU_DEP_4) | instskip(NEXT) | instid1(VALU_DEP_2)
	v_mov_b32_e32 v14, v8
	s_and_b32 s1, s7, s5
	s_delay_alu instid0(SALU_CYCLE_1)
	s_and_saveexec_b32 s0, s1
	s_cbranch_execz .LBB372_6
; %bb.5:
	global_load_b64 v[14:15], v[19:20], off offset:1024
.LBB372_6:
	s_or_b32 exec_lo, exec_lo, s0
	v_add_nc_u32_e32 v2, 0xc0, v18
	s_delay_alu instid0(VALU_DEP_1) | instskip(NEXT) | instid1(VALU_DEP_1)
	v_cmp_gt_i32_e64 s4, s22, v2
	s_and_b32 s1, s7, s4
	s_delay_alu instid0(SALU_CYCLE_1)
	s_and_saveexec_b32 s0, s1
	s_cbranch_execz .LBB372_8
; %bb.7:
	global_load_b64 v[8:9], v[19:20], off offset:1536
.LBB372_8:
	s_or_b32 exec_lo, exec_lo, s0
	v_mov_b32_e32 v4, 0
	v_mov_b32_e32 v5, 0xfff00000
	s_delay_alu instid0(VALU_DEP_1) | instskip(NEXT) | instid1(VALU_DEP_1)
	v_dual_mov_b32 v11, v5 :: v_dual_add_nc_u32 v2, 0x100, v18
	v_cmp_gt_i32_e64 s3, s22, v2
	s_delay_alu instid0(VALU_DEP_4) | instskip(NEXT) | instid1(VALU_DEP_2)
	v_mov_b32_e32 v10, v4
	s_and_b32 s1, s7, s3
	s_delay_alu instid0(SALU_CYCLE_1)
	s_and_saveexec_b32 s0, s1
	s_cbranch_execz .LBB372_10
; %bb.9:
	global_load_b64 v[10:11], v[19:20], off offset:2048
.LBB372_10:
	s_or_b32 exec_lo, exec_lo, s0
	v_add_nc_u32_e32 v2, 0x140, v18
	s_delay_alu instid0(VALU_DEP_1) | instskip(NEXT) | instid1(VALU_DEP_1)
	v_cmp_gt_i32_e64 s2, s22, v2
	s_and_b32 s1, s7, s2
	s_delay_alu instid0(SALU_CYCLE_1)
	s_and_saveexec_b32 s0, s1
	s_cbranch_execz .LBB372_12
; %bb.11:
	global_load_b64 v[4:5], v[19:20], off offset:2560
.LBB372_12:
	s_or_b32 exec_lo, exec_lo, s0
	v_add_nc_u32_e32 v6, 0x180, v18
	v_mov_b32_e32 v2, 0
	v_mov_b32_e32 v3, 0xfff00000
	s_delay_alu instid0(VALU_DEP_3) | instskip(NEXT) | instid1(VALU_DEP_2)
	v_cmp_gt_i32_e64 s1, s22, v6
	v_dual_mov_b32 v7, v3 :: v_dual_mov_b32 v6, v2
	s_delay_alu instid0(VALU_DEP_2) | instskip(NEXT) | instid1(SALU_CYCLE_1)
	s_and_b32 s8, s7, s1
	s_and_saveexec_b32 s0, s8
	s_cbranch_execz .LBB372_14
; %bb.13:
	global_load_b64 v[6:7], v[19:20], off offset:3072
.LBB372_14:
	s_or_b32 exec_lo, exec_lo, s0
	v_add_nc_u32_e32 v18, 0x1c0, v18
	s_delay_alu instid0(VALU_DEP_1) | instskip(NEXT) | instid1(VALU_DEP_1)
	v_cmp_gt_i32_e64 s0, s22, v18
	s_and_b32 s8, s7, s0
	s_delay_alu instid0(SALU_CYCLE_1)
	s_and_saveexec_b32 s7, s8
	s_cbranch_execz .LBB372_16
; %bb.15:
	global_load_b64 v[2:3], v[19:20], off offset:3584
.LBB372_16:
	s_or_b32 exec_lo, exec_lo, s7
	s_waitcnt vmcnt(0)
	v_cmp_gt_f64_e64 s7, v[16:17], v[12:13]
	v_mbcnt_lo_u32_b32 v29, -1, 0
	s_mov_b32 s10, 0xfefa39ef
	s_mov_b32 s11, 0xbfe62e42
	s_mov_b32 s14, 0x3b39803f
	s_mov_b32 s15, 0xbc7abc9e
	v_or_b32_e32 v20, 32, v29
	v_xor_b32_e32 v21, 16, v29
	s_mov_b32 s12, 0xfca7ab0c
	s_mov_b32 s18, 0x6a5dcb37
	;; [unrolled: 1-line block ×3, first 2 shown]
	v_cmp_gt_i32_e64 s8, 64, v20
	s_mov_b32 s19, 0x3e5ade15
	s_mov_b32 s20, 0x623fde64
	;; [unrolled: 1-line block ×4, first 2 shown]
	v_cndmask_b32_e64 v20, v29, v20, s8
	v_cmp_gt_i32_e64 s8, 64, v21
	s_mov_b32 s23, 0x3efa0199
	s_mov_b32 s24, 0x1852b7b0
	s_mov_b32 s25, 0x3f56c16c
	v_lshlrev_b32_e32 v20, 2, v20
	v_cndmask_b32_e64 v21, v29, v21, s8
	s_delay_alu instid0(VALU_DEP_1) | instskip(SKIP_2) | instid1(VALU_DEP_1)
	v_lshlrev_b32_e32 v21, 2, v21
	v_cndmask_b32_e64 v19, v13, v17, s7
	v_cndmask_b32_e64 v18, v12, v16, s7
	v_cmp_gt_f64_e64 s7, v[18:19], v[14:15]
	s_delay_alu instid0(VALU_DEP_1) | instskip(SKIP_1) | instid1(VALU_DEP_1)
	v_cndmask_b32_e64 v19, v15, v19, s7
	v_cndmask_b32_e64 v18, v14, v18, s7
	v_cmp_gt_f64_e64 s7, v[18:19], v[8:9]
	s_delay_alu instid0(VALU_DEP_1) | instskip(SKIP_1) | instid1(VALU_DEP_1)
	;; [unrolled: 4-line block ×5, first 2 shown]
	v_cndmask_b32_e64 v19, v7, v19, s7
	v_cndmask_b32_e64 v18, v6, v18, s7
	v_cmp_gt_f64_e64 s7, v[18:19], v[2:3]
	s_delay_alu instid0(VALU_DEP_1)
	v_cndmask_b32_e64 v19, v3, v19, s7
	v_cndmask_b32_e64 v18, v2, v18, s7
	ds_bpermute_b32 v24, v20, v19
	ds_bpermute_b32 v23, v20, v18
	s_waitcnt lgkmcnt(0)
	v_cmp_lt_f64_e64 s7, v[18:19], v[23:24]
	s_delay_alu instid0(VALU_DEP_1)
	v_cndmask_b32_e64 v19, v19, v24, s7
	v_cndmask_b32_e64 v18, v18, v23, s7
	v_xor_b32_e32 v23, 8, v29
	ds_bpermute_b32 v25, v21, v19
	ds_bpermute_b32 v24, v21, v18
	v_cmp_gt_i32_e64 s8, 64, v23
	s_delay_alu instid0(VALU_DEP_1) | instskip(NEXT) | instid1(VALU_DEP_1)
	v_cndmask_b32_e64 v23, v29, v23, s8
	v_lshlrev_b32_e32 v23, 2, v23
	s_waitcnt lgkmcnt(0)
	v_cmp_lt_f64_e64 s7, v[18:19], v[24:25]
	s_delay_alu instid0(VALU_DEP_1)
	v_cndmask_b32_e64 v19, v19, v25, s7
	v_cndmask_b32_e64 v18, v18, v24, s7
	v_xor_b32_e32 v24, 4, v29
	ds_bpermute_b32 v26, v23, v19
	ds_bpermute_b32 v25, v23, v18
	v_cmp_gt_i32_e64 s8, 64, v24
	s_delay_alu instid0(VALU_DEP_1) | instskip(NEXT) | instid1(VALU_DEP_1)
	v_cndmask_b32_e64 v24, v29, v24, s8
	v_lshlrev_b32_e32 v24, 2, v24
	;; [unrolled: 12-line block ×3, first 2 shown]
	s_waitcnt lgkmcnt(0)
	v_cmp_lt_f64_e64 s7, v[18:19], v[26:27]
	s_delay_alu instid0(VALU_DEP_1)
	v_cndmask_b32_e64 v19, v19, v27, s7
	v_cndmask_b32_e64 v18, v18, v26, s7
	v_xor_b32_e32 v26, 1, v29
	ds_bpermute_b32 v28, v25, v19
	ds_bpermute_b32 v27, v25, v18
	v_cmp_gt_i32_e64 s8, 64, v26
	s_delay_alu instid0(VALU_DEP_1) | instskip(SKIP_2) | instid1(VALU_DEP_1)
	v_cndmask_b32_e64 v26, v29, v26, s8
	s_mov_b32 s8, 0x652b82fe
	s_mov_b32 s9, 0x3ff71547
	v_lshlrev_b32_e32 v26, 2, v26
	s_waitcnt lgkmcnt(0)
	v_cmp_lt_f64_e64 s7, v[18:19], v[27:28]
	s_delay_alu instid0(VALU_DEP_1)
	v_cndmask_b32_e64 v19, v19, v28, s7
	v_cndmask_b32_e64 v18, v18, v27, s7
	ds_bpermute_b32 v28, v26, v19
	ds_bpermute_b32 v27, v26, v18
	s_waitcnt lgkmcnt(0)
	v_cmp_lt_f64_e64 s7, v[18:19], v[27:28]
	s_delay_alu instid0(VALU_DEP_1) | instskip(SKIP_1) | instid1(VALU_DEP_1)
	v_cndmask_b32_e64 v19, v19, v28, s7
	v_cndmask_b32_e64 v18, v18, v27, s7
	v_add_f64 v[16:17], v[16:17], -v[18:19]
	v_add_f64 v[12:13], v[12:13], -v[18:19]
	;; [unrolled: 1-line block ×8, first 2 shown]
	v_mul_f64 v[27:28], v[16:17], s[8:9]
	v_mul_f64 v[29:30], v[12:13], s[8:9]
	;; [unrolled: 1-line block ×8, first 2 shown]
	s_mov_b32 s8, 0x14761f6e
	s_mov_b32 s9, 0x3f2a01a0
	v_cmp_nlt_f64_e64 s7, 0x40900000, v[16:17]
	v_rndne_f64_e32 v[27:28], v[27:28]
	v_rndne_f64_e32 v[29:30], v[29:30]
	;; [unrolled: 1-line block ×8, first 2 shown]
	v_fma_f64 v[33:34], v[27:28], s[10:11], v[16:17]
	v_fma_f64 v[37:38], v[29:30], s[10:11], v[12:13]
	;; [unrolled: 1-line block ×8, first 2 shown]
	s_mov_b32 s10, 0x11122322
	s_mov_b32 s11, 0x3f811111
	v_cvt_i32_f64_e32 v73, v[27:28]
	v_fma_f64 v[33:34], v[27:28], s[14:15], v[33:34]
	v_fma_f64 v[37:38], v[29:30], s[14:15], v[37:38]
	;; [unrolled: 1-line block ×8, first 2 shown]
	s_mov_b32 s14, 0x555502a1
	s_mov_b32 s15, 0x3fa55555
	v_cvt_i32_f64_e32 v39, v[39:40]
	v_cvt_i32_f64_e32 v40, v[45:46]
	v_fma_f64 v[43:44], v[33:34], s[18:19], s[12:13]
	v_fma_f64 v[49:50], v[37:38], s[18:19], s[12:13]
	;; [unrolled: 1-line block ×8, first 2 shown]
	s_mov_b32 s12, 0x55555511
	s_mov_b32 s13, 0x3fc55555
	s_mov_b32 s18, 11
	s_mov_b32 s19, 0x3fe00000
	v_fma_f64 v[43:44], v[33:34], v[43:44], s[20:21]
	v_fma_f64 v[49:50], v[37:38], v[49:50], s[20:21]
	;; [unrolled: 1-line block ×24, first 2 shown]
	v_cmp_ngt_f64_e64 s8, 0xc090cc00, v[16:17]
	v_cmp_nlt_f64_e64 s9, 0x40900000, v[12:13]
	v_fma_f64 v[43:44], v[33:34], v[43:44], s[24:25]
	v_fma_f64 v[49:50], v[37:38], v[49:50], s[24:25]
	;; [unrolled: 1-line block ×29, first 2 shown]
	v_fma_f64 v[43:44], v[33:34], v[43:44], 1.0
	v_fma_f64 v[49:50], v[37:38], v[49:50], 1.0
	;; [unrolled: 1-line block ×3, first 2 shown]
	s_delay_alu instid0(VALU_DEP_3)
	v_fma_f64 v[27:28], v[33:34], v[43:44], 1.0
	v_fma_f64 v[33:34], v[65:66], v[71:72], s[24:25]
	v_fma_f64 v[43:44], v[61:62], v[69:70], s[10:11]
	v_cvt_i32_f64_e32 v69, v[29:30]
	v_fma_f64 v[29:30], v[37:38], v[49:50], 1.0
	v_cvt_i32_f64_e32 v49, v[31:32]
	v_fma_f64 v[37:38], v[63:64], v[67:68], s[12:13]
	v_fma_f64 v[41:42], v[41:42], v[53:54], 1.0
	v_cvt_i32_f64_e32 v50, v[35:36]
	v_fma_f64 v[35:36], v[51:52], v[18:19], 1.0
	v_ldexp_f64 v[27:28], v[27:28], v73
	v_fma_f64 v[31:32], v[65:66], v[33:34], s[10:11]
	v_fma_f64 v[33:34], v[61:62], v[43:44], s[14:15]
	v_fma_f64 v[43:44], v[47:48], v[59:60], 1.0
	v_ldexp_f64 v[29:30], v[29:30], v69
	v_cmp_ngt_f64_e64 s10, 0xc090cc00, v[12:13]
	v_ldexp_f64 v[41:42], v[41:42], v49
	v_cndmask_b32_e64 v28, 0x7ff00000, v28, s7
	s_and_b32 s7, s8, s7
	v_fma_f64 v[16:17], v[65:66], v[31:32], s[14:15]
	v_cndmask_b32_e64 v18, 0, v27, s7
	v_fma_f64 v[31:32], v[61:62], v[33:34], s[12:13]
	v_cndmask_b32_e64 v19, 0, v28, s8
	v_fma_f64 v[33:34], v[63:64], v[37:38], s[18:19]
	v_fma_f64 v[37:38], v[47:48], v[43:44], 1.0
	v_cndmask_b32_e64 v43, 0x7ff00000, v30, s9
	v_cmp_nlt_f64_e64 s7, 0x40900000, v[14:15]
	v_add_f64 v[12:13], v[18:19], 0
	v_cmp_ngt_f64_e64 s8, 0xc090cc00, v[14:15]
	s_and_b32 s9, s10, s9
	v_fma_f64 v[27:28], v[65:66], v[16:17], s[12:13]
	v_cndmask_b32_e64 v17, 0, v43, s10
	v_cndmask_b32_e64 v16, 0, v29, s9
	v_fma_f64 v[30:31], v[61:62], v[31:32], s[18:19]
	v_fma_f64 v[32:33], v[63:64], v[33:34], 1.0
	v_fma_f64 v[34:35], v[51:52], v[35:36], 1.0
	v_ldexp_f64 v[36:37], v[37:38], v50
	v_cndmask_b32_e64 v38, 0x7ff00000, v42, s7
	v_add_f64 v[12:13], v[12:13], v[16:17]
	v_cmp_nlt_f64_e64 s9, 0x40900000, v[8:9]
	v_cmp_ngt_f64_e64 s10, 0xc090cc00, v[8:9]
	s_and_b32 s7, s8, s7
	v_cndmask_b32_e64 v15, 0, v38, s8
	v_cndmask_b32_e64 v14, 0, v41, s7
	v_cmp_nlt_f64_e64 s7, 0x40900000, v[10:11]
	v_cmp_ngt_f64_e64 s8, 0xc090cc00, v[10:11]
	v_fma_f64 v[27:28], v[65:66], v[27:28], s[18:19]
	v_fma_f64 v[29:30], v[61:62], v[30:31], 1.0
	v_fma_f64 v[31:32], v[63:64], v[32:33], 1.0
	v_ldexp_f64 v[33:34], v[34:35], v39
	v_add_f64 v[8:9], v[12:13], v[14:15]
	v_cndmask_b32_e64 v35, 0x7ff00000, v37, s9
	s_and_b32 s9, s10, s9
	v_cvt_i32_f64_e32 v37, v[57:58]
	v_cndmask_b32_e64 v12, 0, v36, s9
	v_cmp_nlt_f64_e64 s9, 0x40900000, v[4:5]
	v_cndmask_b32_e64 v13, 0, v35, s10
	v_cmp_ngt_f64_e64 s10, 0xc090cc00, v[4:5]
	v_cvt_i32_f64_e32 v35, v[55:56]
	v_fma_f64 v[27:28], v[65:66], v[27:28], 1.0
	v_fma_f64 v[29:30], v[61:62], v[29:30], 1.0
	v_ldexp_f64 v[31:32], v[31:32], v40
	v_cndmask_b32_e64 v34, 0x7ff00000, v34, s7
	s_and_b32 s7, s8, s7
	v_add_f64 v[8:9], v[8:9], v[12:13]
	v_cndmask_b32_e64 v10, 0, v33, s7
	s_delay_alu instid0(VALU_DEP_3)
	v_cndmask_b32_e64 v11, 0, v34, s8
	v_cmp_nlt_f64_e64 s7, 0x40900000, v[6:7]
	v_cmp_ngt_f64_e64 s8, 0xc090cc00, v[6:7]
	v_fma_f64 v[27:28], v[65:66], v[27:28], 1.0
	v_ldexp_f64 v[29:30], v[29:30], v37
	v_cndmask_b32_e64 v32, 0x7ff00000, v32, s9
	s_and_b32 s9, s10, s9
	s_delay_alu instid0(SALU_CYCLE_1) | instskip(SKIP_1) | instid1(VALU_DEP_3)
	v_cndmask_b32_e64 v6, 0, v31, s9
	v_add_f64 v[4:5], v[8:9], v[10:11]
	v_cndmask_b32_e64 v7, 0, v32, s10
	v_cmp_nlt_f64_e64 s9, 0x40900000, v[2:3]
	v_cmp_ngt_f64_e64 s10, 0xc090cc00, v[2:3]
	v_ldexp_f64 v[8:9], v[27:28], v35
	v_cndmask_b32_e64 v30, 0x7ff00000, v30, s7
	s_and_b32 s7, s8, s7
	v_add_f64 v[27:28], v[4:5], v[6:7]
	s_delay_alu instid0(VALU_DEP_2)
	v_cndmask_b32_e64 v5, 0, v30, s8
	v_cndmask_b32_e64 v4, 0, v29, s7
	s_and_b32 s7, s10, s9
	s_mov_b32 s8, exec_lo
	v_cndmask_b32_e64 v9, 0x7ff00000, v9, s9
	v_cndmask_b32_e64 v2, 0, v8, s7
	s_delay_alu instid0(VALU_DEP_2) | instskip(SKIP_1) | instid1(VALU_DEP_1)
	v_cndmask_b32_e64 v3, 0, v9, s10
	v_add_f64 v[27:28], v[27:28], v[4:5]
	v_add_f64 v[8:9], v[27:28], v[2:3]
	ds_bpermute_b32 v27, v20, v8
	ds_bpermute_b32 v28, v20, v9
	s_waitcnt lgkmcnt(0)
	v_add_f64 v[8:9], v[8:9], v[27:28]
	ds_bpermute_b32 v20, v21, v8
	ds_bpermute_b32 v21, v21, v9
	s_waitcnt lgkmcnt(0)
	;; [unrolled: 4-line block ×5, first 2 shown]
	v_add_f64 v[8:9], v[8:9], v[20:21]
	ds_bpermute_b32 v20, v26, v8
	ds_bpermute_b32 v21, v26, v9
	v_cmpx_lt_i32_e32 0, v22
	s_cbranch_execz .LBB372_26
; %bb.17:
	s_and_b32 exec_lo, exec_lo, vcc_lo
	s_cbranch_execz .LBB372_26
; %bb.18:
	s_waitcnt lgkmcnt(0)
	v_add_f64 v[8:9], v[8:9], v[20:21]
	s_delay_alu instid0(VALU_DEP_1) | instskip(SKIP_2) | instid1(VALU_DEP_3)
	v_div_scale_f64 v[20:21], null, v[8:9], v[8:9], v[18:19]
	v_div_scale_f64 v[26:27], vcc_lo, v[18:19], v[8:9], v[18:19]
	v_cmp_eq_f64_e64 s7, 0, v[8:9]
	v_rcp_f64_e32 v[22:23], v[20:21]
	s_waitcnt_depctr 0xfff
	v_fma_f64 v[24:25], -v[20:21], v[22:23], 1.0
	s_delay_alu instid0(VALU_DEP_1) | instskip(NEXT) | instid1(VALU_DEP_1)
	v_fma_f64 v[22:23], v[22:23], v[24:25], v[22:23]
	v_fma_f64 v[24:25], -v[20:21], v[22:23], 1.0
	s_delay_alu instid0(VALU_DEP_1) | instskip(NEXT) | instid1(VALU_DEP_1)
	v_fma_f64 v[22:23], v[22:23], v[24:25], v[22:23]
	v_mul_f64 v[24:25], v[26:27], v[22:23]
	s_delay_alu instid0(VALU_DEP_1) | instskip(NEXT) | instid1(VALU_DEP_1)
	v_fma_f64 v[20:21], -v[20:21], v[24:25], v[26:27]
	v_div_fmas_f64 v[20:21], v[20:21], v[22:23], v[24:25]
	v_add_co_u32 v0, vcc_lo, s16, v0
	v_add_co_ci_u32_e32 v1, vcc_lo, s17, v1, vcc_lo
	s_delay_alu instid0(VALU_DEP_3) | instskip(NEXT) | instid1(VALU_DEP_1)
	v_div_fixup_f64 v[18:19], v[20:21], v[8:9], v[18:19]
	v_cndmask_b32_e64 v19, v19, 0x7ff80000, s7
	s_delay_alu instid0(VALU_DEP_2)
	v_cndmask_b32_e64 v18, v18, 0, s7
	global_store_b64 v[0:1], v[18:19], off
	s_and_b32 exec_lo, exec_lo, s6
	s_cbranch_execz .LBB372_26
; %bb.19:
	v_div_scale_f64 v[18:19], null, v[8:9], v[8:9], v[16:17]
	v_div_scale_f64 v[24:25], vcc_lo, v[16:17], v[8:9], v[16:17]
	s_delay_alu instid0(VALU_DEP_2) | instskip(SKIP_2) | instid1(VALU_DEP_1)
	v_rcp_f64_e32 v[20:21], v[18:19]
	s_waitcnt_depctr 0xfff
	v_fma_f64 v[22:23], -v[18:19], v[20:21], 1.0
	v_fma_f64 v[20:21], v[20:21], v[22:23], v[20:21]
	s_delay_alu instid0(VALU_DEP_1) | instskip(NEXT) | instid1(VALU_DEP_1)
	v_fma_f64 v[22:23], -v[18:19], v[20:21], 1.0
	v_fma_f64 v[20:21], v[20:21], v[22:23], v[20:21]
	s_delay_alu instid0(VALU_DEP_1) | instskip(NEXT) | instid1(VALU_DEP_1)
	v_mul_f64 v[22:23], v[24:25], v[20:21]
	v_fma_f64 v[18:19], -v[18:19], v[22:23], v[24:25]
	s_delay_alu instid0(VALU_DEP_1) | instskip(NEXT) | instid1(VALU_DEP_1)
	v_div_fmas_f64 v[18:19], v[18:19], v[20:21], v[22:23]
	v_div_fixup_f64 v[16:17], v[18:19], v[8:9], v[16:17]
	s_delay_alu instid0(VALU_DEP_1) | instskip(NEXT) | instid1(VALU_DEP_2)
	v_cndmask_b32_e64 v17, v17, 0x7ff80000, s7
	v_cndmask_b32_e64 v16, v16, 0, s7
	global_store_b64 v[0:1], v[16:17], off offset:512
	s_and_b32 exec_lo, exec_lo, s5
	s_cbranch_execz .LBB372_26
; %bb.20:
	v_div_scale_f64 v[16:17], null, v[8:9], v[8:9], v[14:15]
	v_div_scale_f64 v[22:23], vcc_lo, v[14:15], v[8:9], v[14:15]
	s_delay_alu instid0(VALU_DEP_2) | instskip(SKIP_2) | instid1(VALU_DEP_1)
	v_rcp_f64_e32 v[18:19], v[16:17]
	s_waitcnt_depctr 0xfff
	v_fma_f64 v[20:21], -v[16:17], v[18:19], 1.0
	v_fma_f64 v[18:19], v[18:19], v[20:21], v[18:19]
	s_delay_alu instid0(VALU_DEP_1) | instskip(NEXT) | instid1(VALU_DEP_1)
	v_fma_f64 v[20:21], -v[16:17], v[18:19], 1.0
	v_fma_f64 v[18:19], v[18:19], v[20:21], v[18:19]
	s_delay_alu instid0(VALU_DEP_1) | instskip(NEXT) | instid1(VALU_DEP_1)
	v_mul_f64 v[20:21], v[22:23], v[18:19]
	v_fma_f64 v[16:17], -v[16:17], v[20:21], v[22:23]
	s_delay_alu instid0(VALU_DEP_1) | instskip(NEXT) | instid1(VALU_DEP_1)
	v_div_fmas_f64 v[16:17], v[16:17], v[18:19], v[20:21]
	v_div_fixup_f64 v[14:15], v[16:17], v[8:9], v[14:15]
	s_delay_alu instid0(VALU_DEP_1) | instskip(NEXT) | instid1(VALU_DEP_2)
	v_cndmask_b32_e64 v15, v15, 0x7ff80000, s7
	v_cndmask_b32_e64 v14, v14, 0, s7
	global_store_b64 v[0:1], v[14:15], off offset:1024
	;; [unrolled: 23-line block ×7, first 2 shown]
.LBB372_26:
	s_nop 0
	s_sendmsg sendmsg(MSG_DEALLOC_VGPRS)
	s_endpgm
	.section	.rodata,"a",@progbits
	.p2align	6, 0x0
	.amdhsa_kernel _ZN12_GLOBAL__N_120softmax_warp_forwardIdddLi9ELb0ELb0ELi64EEEvPT0_PKT_iiiPKbib
		.amdhsa_group_segment_fixed_size 0
		.amdhsa_private_segment_fixed_size 0
		.amdhsa_kernarg_size 304
		.amdhsa_user_sgpr_count 15
		.amdhsa_user_sgpr_dispatch_ptr 0
		.amdhsa_user_sgpr_queue_ptr 0
		.amdhsa_user_sgpr_kernarg_segment_ptr 1
		.amdhsa_user_sgpr_dispatch_id 0
		.amdhsa_user_sgpr_private_segment_size 0
		.amdhsa_wavefront_size32 1
		.amdhsa_uses_dynamic_stack 0
		.amdhsa_enable_private_segment 0
		.amdhsa_system_sgpr_workgroup_id_x 1
		.amdhsa_system_sgpr_workgroup_id_y 0
		.amdhsa_system_sgpr_workgroup_id_z 0
		.amdhsa_system_sgpr_workgroup_info 0
		.amdhsa_system_vgpr_workitem_id 1
		.amdhsa_next_free_vgpr 74
		.amdhsa_next_free_sgpr 26
		.amdhsa_reserve_vcc 1
		.amdhsa_float_round_mode_32 0
		.amdhsa_float_round_mode_16_64 0
		.amdhsa_float_denorm_mode_32 3
		.amdhsa_float_denorm_mode_16_64 3
		.amdhsa_dx10_clamp 1
		.amdhsa_ieee_mode 1
		.amdhsa_fp16_overflow 0
		.amdhsa_workgroup_processor_mode 1
		.amdhsa_memory_ordered 1
		.amdhsa_forward_progress 0
		.amdhsa_shared_vgpr_count 0
		.amdhsa_exception_fp_ieee_invalid_op 0
		.amdhsa_exception_fp_denorm_src 0
		.amdhsa_exception_fp_ieee_div_zero 0
		.amdhsa_exception_fp_ieee_overflow 0
		.amdhsa_exception_fp_ieee_underflow 0
		.amdhsa_exception_fp_ieee_inexact 0
		.amdhsa_exception_int_div_zero 0
	.end_amdhsa_kernel
	.section	.text._ZN12_GLOBAL__N_120softmax_warp_forwardIdddLi9ELb0ELb0ELi64EEEvPT0_PKT_iiiPKbib,"axG",@progbits,_ZN12_GLOBAL__N_120softmax_warp_forwardIdddLi9ELb0ELb0ELi64EEEvPT0_PKT_iiiPKbib,comdat
.Lfunc_end372:
	.size	_ZN12_GLOBAL__N_120softmax_warp_forwardIdddLi9ELb0ELb0ELi64EEEvPT0_PKT_iiiPKbib, .Lfunc_end372-_ZN12_GLOBAL__N_120softmax_warp_forwardIdddLi9ELb0ELb0ELi64EEEvPT0_PKT_iiiPKbib
                                        ; -- End function
	.section	.AMDGPU.csdata,"",@progbits
; Kernel info:
; codeLenInByte = 4416
; NumSgprs: 28
; NumVgprs: 74
; ScratchSize: 0
; MemoryBound: 0
; FloatMode: 240
; IeeeMode: 1
; LDSByteSize: 0 bytes/workgroup (compile time only)
; SGPRBlocks: 3
; VGPRBlocks: 9
; NumSGPRsForWavesPerEU: 28
; NumVGPRsForWavesPerEU: 74
; Occupancy: 16
; WaveLimiterHint : 0
; COMPUTE_PGM_RSRC2:SCRATCH_EN: 0
; COMPUTE_PGM_RSRC2:USER_SGPR: 15
; COMPUTE_PGM_RSRC2:TRAP_HANDLER: 0
; COMPUTE_PGM_RSRC2:TGID_X_EN: 1
; COMPUTE_PGM_RSRC2:TGID_Y_EN: 0
; COMPUTE_PGM_RSRC2:TGID_Z_EN: 0
; COMPUTE_PGM_RSRC2:TIDIG_COMP_CNT: 1
	.section	.text._ZN12_GLOBAL__N_120softmax_warp_forwardIdddLi9ELb0ELb0ELi32EEEvPT0_PKT_iiiPKbib,"axG",@progbits,_ZN12_GLOBAL__N_120softmax_warp_forwardIdddLi9ELb0ELb0ELi32EEEvPT0_PKT_iiiPKbib,comdat
	.globl	_ZN12_GLOBAL__N_120softmax_warp_forwardIdddLi9ELb0ELb0ELi32EEEvPT0_PKT_iiiPKbib ; -- Begin function _ZN12_GLOBAL__N_120softmax_warp_forwardIdddLi9ELb0ELb0ELi32EEEvPT0_PKT_iiiPKbib
	.p2align	8
	.type	_ZN12_GLOBAL__N_120softmax_warp_forwardIdddLi9ELb0ELb0ELi32EEEvPT0_PKT_iiiPKbib,@function
_ZN12_GLOBAL__N_120softmax_warp_forwardIdddLi9ELb0ELb0ELi32EEEvPT0_PKT_iiiPKbib: ; @_ZN12_GLOBAL__N_120softmax_warp_forwardIdddLi9ELb0ELb0ELi32EEEvPT0_PKT_iiiPKbib
; %bb.0:
	s_clause 0x1
	s_load_b32 s2, s[0:1], 0x3c
	s_load_b256 s[36:43], s[0:1], 0x0
	v_bfe_u32 v1, v0, 10, 10
	v_mov_b32_e32 v22, 0
	v_mov_b32_e32 v23, 0xfff00000
	v_and_b32_e32 v30, 0x3ff, v0
	s_delay_alu instid0(VALU_DEP_2) | instskip(SKIP_2) | instid1(VALU_DEP_2)
	v_dual_mov_b32 v12, v22 :: v_dual_mov_b32 v13, v23
	s_waitcnt lgkmcnt(0)
	s_lshr_b32 s0, s2, 16
	v_cmp_gt_i32_e32 vcc_lo, s42, v30
	v_mad_u64_u32 v[2:3], null, s15, s0, v[1:2]
	s_delay_alu instid0(VALU_DEP_1) | instskip(SKIP_1) | instid1(VALU_DEP_1)
	v_mad_u64_u32 v[0:1], null, v2, s41, v[30:31]
	v_sub_nc_u32_e32 v44, s40, v2
	v_cmp_lt_i32_e64 s15, 0, v44
	s_delay_alu instid0(VALU_DEP_3) | instskip(NEXT) | instid1(VALU_DEP_2)
	v_ashrrev_i32_e32 v1, 31, v0
	s_and_b32 s1, s15, vcc_lo
	s_delay_alu instid0(VALU_DEP_1) | instskip(NEXT) | instid1(VALU_DEP_1)
	v_lshlrev_b64 v[0:1], 3, v[0:1]
	v_add_co_u32 v36, s0, s38, v0
	s_delay_alu instid0(VALU_DEP_1)
	v_add_co_ci_u32_e64 v37, s0, s39, v1, s0
	s_and_saveexec_b32 s0, s1
	s_cbranch_execz .LBB373_2
; %bb.1:
	global_load_b64 v[12:13], v[36:37], off
.LBB373_2:
	s_or_b32 exec_lo, exec_lo, s0
	v_add_nc_u32_e32 v2, 32, v30
	s_delay_alu instid0(VALU_DEP_1) | instskip(NEXT) | instid1(VALU_DEP_1)
	v_cmp_gt_i32_e64 s14, s42, v2
	s_and_b32 s1, s15, s14
	s_delay_alu instid0(SALU_CYCLE_1)
	s_and_saveexec_b32 s0, s1
	s_cbranch_execz .LBB373_4
; %bb.3:
	global_load_b64 v[22:23], v[36:37], off offset:256
.LBB373_4:
	s_or_b32 exec_lo, exec_lo, s0
	v_add_nc_u32_e32 v2, 64, v30
	v_mov_b32_e32 v32, 0
	v_mov_b32_e32 v33, 0xfff00000
	s_delay_alu instid0(VALU_DEP_2) | instskip(NEXT) | instid1(VALU_DEP_4)
	v_mov_b32_e32 v28, v32
	v_cmp_gt_i32_e64 s13, s42, v2
	s_delay_alu instid0(VALU_DEP_3) | instskip(NEXT) | instid1(VALU_DEP_2)
	v_mov_b32_e32 v29, v33
	s_and_b32 s1, s15, s13
	s_delay_alu instid0(SALU_CYCLE_1)
	s_and_saveexec_b32 s0, s1
	s_cbranch_execz .LBB373_6
; %bb.5:
	global_load_b64 v[28:29], v[36:37], off offset:512
.LBB373_6:
	s_or_b32 exec_lo, exec_lo, s0
	v_add_nc_u32_e32 v2, 0x60, v30
	s_delay_alu instid0(VALU_DEP_1) | instskip(NEXT) | instid1(VALU_DEP_1)
	v_cmp_gt_i32_e64 s12, s42, v2
	s_and_b32 s1, s15, s12
	s_delay_alu instid0(SALU_CYCLE_1)
	s_and_saveexec_b32 s0, s1
	s_cbranch_execz .LBB373_8
; %bb.7:
	global_load_b64 v[32:33], v[36:37], off offset:768
.LBB373_8:
	s_or_b32 exec_lo, exec_lo, s0
	v_mov_b32_e32 v24, 0
	v_mov_b32_e32 v25, 0xfff00000
	s_delay_alu instid0(VALU_DEP_1) | instskip(NEXT) | instid1(VALU_DEP_1)
	v_dual_mov_b32 v35, v25 :: v_dual_add_nc_u32 v2, 0x80, v30
	v_cmp_gt_i32_e64 s11, s42, v2
	s_delay_alu instid0(VALU_DEP_4) | instskip(NEXT) | instid1(VALU_DEP_2)
	v_mov_b32_e32 v34, v24
	s_and_b32 s1, s15, s11
	s_delay_alu instid0(SALU_CYCLE_1)
	s_and_saveexec_b32 s0, s1
	s_cbranch_execz .LBB373_10
; %bb.9:
	global_load_b64 v[34:35], v[36:37], off offset:1024
.LBB373_10:
	s_or_b32 exec_lo, exec_lo, s0
	v_add_nc_u32_e32 v2, 0xa0, v30
	s_delay_alu instid0(VALU_DEP_1) | instskip(NEXT) | instid1(VALU_DEP_1)
	v_cmp_gt_i32_e64 s10, s42, v2
	s_and_b32 s1, s15, s10
	s_delay_alu instid0(SALU_CYCLE_1)
	s_and_saveexec_b32 s0, s1
	s_cbranch_execz .LBB373_12
; %bb.11:
	global_load_b64 v[24:25], v[36:37], off offset:1280
.LBB373_12:
	s_or_b32 exec_lo, exec_lo, s0
	v_mov_b32_e32 v18, 0
	v_mov_b32_e32 v19, 0xfff00000
	s_delay_alu instid0(VALU_DEP_1) | instskip(NEXT) | instid1(VALU_DEP_1)
	v_dual_mov_b32 v27, v19 :: v_dual_add_nc_u32 v2, 0xc0, v30
	v_cmp_gt_i32_e64 s9, s42, v2
	s_delay_alu instid0(VALU_DEP_4) | instskip(NEXT) | instid1(VALU_DEP_2)
	;; [unrolled: 26-line block ×5, first 2 shown]
	v_mov_b32_e32 v10, v4
	s_and_b32 s1, s15, s3
	s_delay_alu instid0(SALU_CYCLE_1)
	s_and_saveexec_b32 s0, s1
	s_cbranch_execz .LBB373_26
; %bb.25:
	global_load_b64 v[10:11], v[36:37], off offset:3072
.LBB373_26:
	s_or_b32 exec_lo, exec_lo, s0
	v_add_nc_u32_e32 v2, 0x1a0, v30
	s_delay_alu instid0(VALU_DEP_1) | instskip(NEXT) | instid1(VALU_DEP_1)
	v_cmp_gt_i32_e64 s2, s42, v2
	s_and_b32 s1, s15, s2
	s_delay_alu instid0(SALU_CYCLE_1)
	s_and_saveexec_b32 s0, s1
	s_cbranch_execz .LBB373_28
; %bb.27:
	global_load_b64 v[4:5], v[36:37], off offset:3328
.LBB373_28:
	s_or_b32 exec_lo, exec_lo, s0
	v_add_nc_u32_e32 v6, 0x1c0, v30
	v_mov_b32_e32 v2, 0
	v_mov_b32_e32 v3, 0xfff00000
	s_delay_alu instid0(VALU_DEP_3) | instskip(NEXT) | instid1(VALU_DEP_2)
	v_cmp_gt_i32_e64 s1, s42, v6
	v_dual_mov_b32 v7, v3 :: v_dual_mov_b32 v6, v2
	s_delay_alu instid0(VALU_DEP_2) | instskip(NEXT) | instid1(SALU_CYCLE_1)
	s_and_b32 s16, s15, s1
	s_and_saveexec_b32 s0, s16
	s_cbranch_execz .LBB373_30
; %bb.29:
	global_load_b64 v[6:7], v[36:37], off offset:3584
.LBB373_30:
	s_or_b32 exec_lo, exec_lo, s0
	v_add_nc_u32_e32 v30, 0x1e0, v30
	s_delay_alu instid0(VALU_DEP_1) | instskip(NEXT) | instid1(VALU_DEP_1)
	v_cmp_gt_i32_e64 s0, s42, v30
	s_and_b32 s16, s15, s0
	s_delay_alu instid0(SALU_CYCLE_1)
	s_and_saveexec_b32 s15, s16
	s_cbranch_execz .LBB373_32
; %bb.31:
	global_load_b64 v[2:3], v[36:37], off offset:3840
.LBB373_32:
	s_or_b32 exec_lo, exec_lo, s15
	s_waitcnt vmcnt(0)
	v_cmp_gt_f64_e64 s15, v[12:13], v[22:23]
	v_mbcnt_lo_u32_b32 v38, -1, 0
	s_mov_b32 s28, 0xfefa39ef
	s_mov_b32 s29, 0xbfe62e42
	;; [unrolled: 1-line block ×4, first 2 shown]
	v_xor_b32_e32 v36, 16, v38
	v_xor_b32_e32 v39, 8, v38
	s_mov_b32 s30, 0xfca7ab0c
	s_mov_b32 s34, 0x6a5dcb37
	;; [unrolled: 1-line block ×3, first 2 shown]
	v_cmp_gt_i32_e64 s16, 32, v36
	s_mov_b32 s35, 0x3e5ade15
	s_mov_b32 s38, 0x623fde64
	;; [unrolled: 1-line block ×4, first 2 shown]
	v_cndmask_b32_e64 v36, v38, v36, s16
	v_cmp_gt_i32_e64 s16, 32, v39
	s_mov_b32 s45, 0x3efa0199
	s_mov_b32 s40, 0x14761f6e
	;; [unrolled: 1-line block ×3, first 2 shown]
	v_lshlrev_b32_e32 v45, 2, v36
	v_cndmask_b32_e64 v39, v38, v39, s16
	s_mov_b32 s54, 0x1852b7b0
	s_mov_b32 s55, 0x3f56c16c
	;; [unrolled: 1-line block ×4, first 2 shown]
	v_lshlrev_b32_e32 v46, 2, v39
	v_xor_b32_e32 v39, 4, v38
	s_mov_b32 s50, 0x555502a1
	s_mov_b32 s51, 0x3fa55555
	;; [unrolled: 1-line block ×4, first 2 shown]
	v_cmp_gt_i32_e64 s16, 32, v39
	s_mov_b32 s46, 11
	s_mov_b32 s47, 0x3fe00000
	s_delay_alu instid0(VALU_DEP_1) | instskip(SKIP_2) | instid1(VALU_DEP_3)
	v_cndmask_b32_e64 v39, v38, v39, s16
	v_cndmask_b32_e64 v31, v23, v13, s15
	;; [unrolled: 1-line block ×3, first 2 shown]
	v_lshlrev_b32_e32 v47, 2, v39
	v_xor_b32_e32 v39, 2, v38
	s_delay_alu instid0(VALU_DEP_3) | instskip(NEXT) | instid1(VALU_DEP_2)
	v_cmp_gt_f64_e64 s15, v[30:31], v[28:29]
	v_cmp_gt_i32_e64 s16, 32, v39
	s_delay_alu instid0(VALU_DEP_1) | instskip(NEXT) | instid1(VALU_DEP_1)
	v_cndmask_b32_e64 v39, v38, v39, s16
	v_lshlrev_b32_e32 v48, 2, v39
	v_xor_b32_e32 v39, 1, v38
	s_delay_alu instid0(VALU_DEP_1) | instskip(NEXT) | instid1(VALU_DEP_1)
	v_cmp_gt_i32_e64 s16, 32, v39
	v_cndmask_b32_e64 v38, v38, v39, s16
	s_mov_b32 s16, 0x652b82fe
	s_mov_b32 s17, 0x3ff71547
	s_delay_alu instid0(VALU_DEP_1) | instskip(SKIP_2) | instid1(VALU_DEP_1)
	v_lshlrev_b32_e32 v49, 2, v38
	v_cndmask_b32_e64 v31, v29, v31, s15
	v_cndmask_b32_e64 v30, v28, v30, s15
	v_cmp_gt_f64_e64 s15, v[30:31], v[32:33]
	s_delay_alu instid0(VALU_DEP_1) | instskip(SKIP_1) | instid1(VALU_DEP_1)
	v_cndmask_b32_e64 v31, v33, v31, s15
	v_cndmask_b32_e64 v30, v32, v30, s15
	v_cmp_gt_f64_e64 s15, v[30:31], v[34:35]
	s_delay_alu instid0(VALU_DEP_1) | instskip(SKIP_1) | instid1(VALU_DEP_1)
	;; [unrolled: 4-line block ×12, first 2 shown]
	v_cndmask_b32_e64 v31, v7, v31, s15
	v_cndmask_b32_e64 v30, v6, v30, s15
	v_cmp_gt_f64_e64 s15, v[30:31], v[2:3]
	s_delay_alu instid0(VALU_DEP_1)
	v_cndmask_b32_e64 v31, v3, v31, s15
	v_cndmask_b32_e64 v30, v2, v30, s15
	ds_bpermute_b32 v37, v45, v31
	ds_bpermute_b32 v36, v45, v30
	s_waitcnt lgkmcnt(0)
	v_cmp_lt_f64_e64 s15, v[30:31], v[36:37]
	s_delay_alu instid0(VALU_DEP_1)
	v_cndmask_b32_e64 v31, v31, v37, s15
	v_cndmask_b32_e64 v30, v30, v36, s15
	ds_bpermute_b32 v37, v46, v31
	ds_bpermute_b32 v36, v46, v30
	s_waitcnt lgkmcnt(0)
	v_cmp_lt_f64_e64 s15, v[30:31], v[36:37]
	;; [unrolled: 7-line block ×5, first 2 shown]
	s_delay_alu instid0(VALU_DEP_1) | instskip(SKIP_1) | instid1(VALU_DEP_1)
	v_cndmask_b32_e64 v31, v31, v37, s15
	v_cndmask_b32_e64 v30, v30, v36, s15
	v_add_f64 v[12:13], v[12:13], -v[30:31]
	v_add_f64 v[22:23], v[22:23], -v[30:31]
	;; [unrolled: 1-line block ×14, first 2 shown]
	v_mul_f64 v[36:37], v[12:13], s[16:17]
	v_mul_f64 v[40:41], v[22:23], s[16:17]
	;; [unrolled: 1-line block ×4, first 2 shown]
	v_cmp_nlt_f64_e64 s15, 0x40900000, v[12:13]
	v_mul_f64 v[60:61], v[18:19], s[16:17]
	v_mul_f64 v[70:71], v[20:21], s[16:17]
	v_cmp_ngt_f64_e64 s18, 0xc090cc00, v[22:23]
	v_cmp_nlt_f64_e64 s19, 0x40900000, v[28:29]
	v_cmp_ngt_f64_e64 s20, 0xc090cc00, v[28:29]
	v_cmp_nlt_f64_e64 s23, 0x40900000, v[34:35]
	;; [unrolled: 2-line block ×3, first 2 shown]
	v_cmp_ngt_f64_e64 s22, 0xc090cc00, v[32:33]
	v_rndne_f64_e32 v[38:39], v[36:37]
	v_add_f64 v[36:37], v[24:25], -v[30:31]
	v_add_f64 v[24:25], v[26:27], -v[30:31]
	v_rndne_f64_e32 v[52:53], v[40:41]
	v_mul_f64 v[26:27], v[34:35], s[16:17]
	v_rndne_f64_e32 v[54:55], v[42:43]
	v_rndne_f64_e32 v[50:51], v[50:51]
	v_fma_f64 v[40:41], v[38:39], s[28:29], v[12:13]
	v_mul_f64 v[42:43], v[36:37], s[16:17]
	v_mul_f64 v[56:57], v[24:25], s[16:17]
	v_fma_f64 v[58:59], v[52:53], s[28:29], v[22:23]
	v_rndne_f64_e32 v[62:63], v[26:27]
	v_fma_f64 v[26:27], v[54:55], s[28:29], v[28:29]
	v_fma_f64 v[68:69], v[50:51], s[28:29], v[32:33]
	v_cvt_i32_f64_e32 v94, v[38:39]
	v_cvt_i32_f64_e32 v95, v[52:53]
	v_cmp_nlt_f64_e64 s25, 0x40900000, v[36:37]
	v_cmp_ngt_f64_e64 s26, 0xc090cc00, v[36:37]
	v_fma_f64 v[64:65], v[38:39], s[42:43], v[40:41]
	v_rndne_f64_e32 v[66:67], v[42:43]
	v_rndne_f64_e32 v[42:43], v[56:57]
	v_fma_f64 v[56:57], v[52:53], s[42:43], v[58:59]
	v_rndne_f64_e32 v[40:41], v[60:61]
	v_fma_f64 v[60:61], v[54:55], s[42:43], v[26:27]
	v_fma_f64 v[68:69], v[50:51], s[42:43], v[68:69]
	v_rndne_f64_e32 v[26:27], v[70:71]
	v_fma_f64 v[58:59], v[62:63], s[28:29], v[34:35]
	v_cvt_i32_f64_e32 v96, v[62:63]
	v_fma_f64 v[72:73], v[64:65], s[34:35], s[30:31]
	v_fma_f64 v[74:75], v[66:67], s[28:29], v[36:37]
	;; [unrolled: 1-line block ×76, first 2 shown]
	v_mul_f64 v[88:89], v[14:15], s[16:17]
	v_fma_f64 v[90:91], v[78:79], v[92:93], s[50:51]
	v_cvt_i32_f64_e32 v92, v[54:55]
	v_fma_f64 v[54:55], v[60:61], v[80:81], s[46:47]
	v_cvt_i32_f64_e32 v93, v[50:51]
	v_mul_f64 v[50:51], v[16:17], s[16:17]
	v_fma_f64 v[38:39], v[68:69], v[38:39], s[46:47]
	v_fma_f64 v[86:87], v[58:59], v[86:87], s[48:49]
	v_fma_f64 v[72:73], v[64:65], v[72:73], 1.0
	v_fma_f64 v[30:31], v[74:75], v[30:31], s[48:49]
	v_fma_f64 v[52:53], v[84:85], v[52:53], s[50:51]
	;; [unrolled: 1-line block ×3, first 2 shown]
	v_fma_f64 v[76:77], v[56:57], v[76:77], 1.0
	v_rndne_f64_e32 v[82:83], v[88:89]
	v_fma_f64 v[88:89], v[78:79], v[90:91], s[48:49]
	v_fma_f64 v[54:55], v[60:61], v[54:55], 1.0
	v_rndne_f64_e32 v[50:51], v[50:51]
	v_fma_f64 v[38:39], v[68:69], v[38:39], 1.0
	v_fma_f64 v[86:87], v[58:59], v[86:87], s[46:47]
	v_fma_f64 v[64:65], v[64:65], v[72:73], 1.0
	v_mul_f64 v[72:73], v[8:9], s[16:17]
	v_fma_f64 v[52:53], v[84:85], v[52:53], s[48:49]
	v_fma_f64 v[30:31], v[74:75], v[30:31], s[46:47]
	;; [unrolled: 1-line block ×3, first 2 shown]
	v_fma_f64 v[56:57], v[56:57], v[76:77], 1.0
	v_fma_f64 v[76:77], v[82:83], s[28:29], v[14:15]
	v_fma_f64 v[88:89], v[78:79], v[88:89], s[46:47]
	v_fma_f64 v[54:55], v[60:61], v[54:55], 1.0
	v_mul_f64 v[60:61], v[10:11], s[16:17]
	v_fma_f64 v[38:39], v[68:69], v[38:39], 1.0
	v_fma_f64 v[68:69], v[50:51], s[28:29], v[16:17]
	v_fma_f64 v[86:87], v[58:59], v[86:87], 1.0
	v_ldexp_f64 v[62:63], v[64:65], v94
	v_rndne_f64_e32 v[72:73], v[72:73]
	v_fma_f64 v[52:53], v[84:85], v[52:53], s[46:47]
	v_fma_f64 v[30:31], v[74:75], v[30:31], 1.0
	v_fma_f64 v[80:81], v[70:71], v[80:81], 1.0
	v_cvt_i32_f64_e32 v94, v[66:67]
	v_fma_f64 v[76:77], v[82:83], s[42:43], v[76:77]
	v_fma_f64 v[88:89], v[78:79], v[88:89], 1.0
	v_mul_f64 v[66:67], v[2:3], s[16:17]
	v_rndne_f64_e32 v[60:61], v[60:61]
	v_ldexp_f64 v[56:57], v[56:57], v95
	v_ldexp_f64 v[54:55], v[54:55], v92
	v_fma_f64 v[68:69], v[50:51], s[42:43], v[68:69]
	v_fma_f64 v[58:59], v[58:59], v[86:87], 1.0
	v_mul_f64 v[86:87], v[4:5], s[16:17]
	v_ldexp_f64 v[38:39], v[38:39], v93
	v_cvt_i32_f64_e32 v95, v[42:43]
	v_cvt_i32_f64_e32 v82, v[82:83]
	v_cndmask_b32_e64 v63, 0x7ff00000, v63, s15
	v_fma_f64 v[52:53], v[84:85], v[52:53], 1.0
	v_fma_f64 v[30:31], v[74:75], v[30:31], 1.0
	v_fma_f64 v[74:75], v[72:73], s[28:29], v[8:9]
	v_fma_f64 v[70:71], v[70:71], v[80:81], 1.0
	v_fma_f64 v[80:81], v[76:77], s[34:35], s[30:31]
	v_fma_f64 v[78:79], v[78:79], v[88:89], 1.0
	v_mul_f64 v[88:89], v[6:7], s[16:17]
	v_fma_f64 v[64:65], v[60:61], s[28:29], v[10:11]
	v_cmp_ngt_f64_e64 s16, 0xc090cc00, v[12:13]
	v_cmp_nlt_f64_e64 s17, 0x40900000, v[22:23]
	v_rndne_f64_e32 v[66:67], v[66:67]
	v_ldexp_f64 v[58:59], v[58:59], v96
	v_rndne_f64_e32 v[86:87], v[86:87]
	v_cndmask_b32_e64 v39, 0x7ff00000, v39, s21
	v_fma_f64 v[52:53], v[84:85], v[52:53], 1.0
	v_fma_f64 v[84:85], v[68:69], s[34:35], s[30:31]
	v_fma_f64 v[74:75], v[72:73], s[42:43], v[74:75]
	v_ldexp_f64 v[92:93], v[30:31], v94
	v_fma_f64 v[80:81], v[76:77], v[80:81], s[38:39]
	v_cndmask_b32_e64 v94, 0x7ff00000, v55, s19
	v_rndne_f64_e32 v[88:89], v[88:89]
	v_fma_f64 v[64:65], v[60:61], s[42:43], v[64:65]
	s_and_b32 s15, s16, s15
	v_cndmask_b32_e64 v35, 0, v63, s16
	v_cndmask_b32_e64 v34, 0, v62, s15
	s_and_b32 s15, s18, s17
	v_fma_f64 v[90:91], v[86:87], s[28:29], v[4:5]
	v_fma_f64 v[36:37], v[66:67], s[28:29], v[2:3]
	v_cndmask_b32_e64 v32, 0, v56, s15
	v_add_f64 v[42:43], v[34:35], 0
	v_cndmask_b32_e64 v57, 0x7ff00000, v57, s17
	s_and_b32 s15, s20, s19
	v_cndmask_b32_e64 v59, 0x7ff00000, v59, s23
	v_ldexp_f64 v[70:71], v[70:71], v95
	v_cmp_ngt_f64_e64 s16, 0xc090cc00, v[24:25]
	v_cndmask_b32_e64 v33, 0, v57, s18
	s_and_b32 s17, s26, s25
	v_cmp_ngt_f64_e64 s18, 0xc090cc00, v[18:19]
	v_fma_f64 v[84:85], v[68:69], v[84:85], s[38:39]
	v_fma_f64 v[12:13], v[74:75], s[34:35], s[30:31]
	v_cndmask_b32_e64 v93, 0x7ff00000, v93, s25
	v_fma_f64 v[80:81], v[76:77], v[80:81], s[44:45]
	v_fma_f64 v[22:23], v[88:89], s[28:29], v[6:7]
	;; [unrolled: 1-line block ×5, first 2 shown]
	v_add_f64 v[42:43], v[42:43], v[32:33]
	v_fma_f64 v[30:31], v[68:69], v[84:85], s[44:45]
	v_fma_f64 v[12:13], v[74:75], v[12:13], s[38:39]
	;; [unrolled: 1-line block ×5, first 2 shown]
	v_cndmask_b32_e64 v29, 0, v39, s22
	v_fma_f64 v[22:23], v[90:91], s[34:35], s[30:31]
	v_fma_f64 v[84:85], v[68:69], v[30:31], s[40:41]
	;; [unrolled: 1-line block ×3, first 2 shown]
	v_cndmask_b32_e64 v30, 0, v54, s15
	v_fma_f64 v[80:81], v[76:77], v[80:81], s[54:55]
	s_and_b32 s15, s22, s21
	v_cndmask_b32_e64 v31, 0, v94, s20
	v_fma_f64 v[54:55], v[64:65], v[55:56], s[44:45]
	v_cvt_i32_f64_e32 v94, v[40:41]
	v_cndmask_b32_e64 v28, 0, v38, s15
	v_fma_f64 v[38:39], v[62:63], s[34:35], s[30:31]
	s_and_b32 s15, s24, s23
	v_fma_f64 v[40:41], v[90:91], v[22:23], s[38:39]
	v_cndmask_b32_e64 v23, 0, v59, s24
	v_cndmask_b32_e64 v22, 0, v58, s15
	v_fma_f64 v[58:59], v[36:37], s[34:35], s[30:31]
	v_add_f64 v[42:43], v[42:43], v[30:31]
	v_cmp_nlt_f64_e64 s15, 0x40900000, v[24:25]
	v_fma_f64 v[56:57], v[68:69], v[84:85], s[54:55]
	v_fma_f64 v[12:13], v[74:75], v[12:13], s[40:41]
	v_cvt_i32_f64_e32 v84, v[26:27]
	v_fma_f64 v[80:81], v[76:77], v[80:81], s[52:53]
	v_cndmask_b32_e64 v27, 0, v93, s26
	v_cndmask_b32_e64 v26, 0, v92, s17
	v_fma_f64 v[54:55], v[64:65], v[54:55], s[40:41]
	v_ldexp_f64 v[78:79], v[78:79], v94
	v_cmp_nlt_f64_e64 s17, 0x40900000, v[18:19]
	v_fma_f64 v[38:39], v[62:63], v[38:39], s[38:39]
	v_fma_f64 v[40:41], v[90:91], v[40:41], s[44:45]
	;; [unrolled: 1-line block ×3, first 2 shown]
	v_add_f64 v[42:43], v[42:43], v[28:29]
	v_cndmask_b32_e64 v71, 0x7ff00000, v71, s15
	s_and_b32 s15, s16, s15
	s_delay_alu instid0(SALU_CYCLE_1) | instskip(SKIP_1) | instid1(VALU_DEP_3)
	v_cndmask_b32_e64 v24, 0, v70, s15
	v_cmp_nlt_f64_e64 s15, 0x40900000, v[20:21]
	v_cndmask_b32_e64 v25, 0, v71, s16
	v_cmp_ngt_f64_e64 s16, 0xc090cc00, v[20:21]
	v_cvt_i32_f64_e32 v70, v[50:51]
	v_fma_f64 v[56:57], v[68:69], v[56:57], s[52:53]
	v_fma_f64 v[12:13], v[74:75], v[12:13], s[54:55]
	v_ldexp_f64 v[52:53], v[52:53], v84
	v_fma_f64 v[80:81], v[76:77], v[80:81], s[50:51]
	v_fma_f64 v[54:55], v[64:65], v[54:55], s[54:55]
	v_cndmask_b32_e64 v79, 0x7ff00000, v79, s17
	v_fma_f64 v[38:39], v[62:63], v[38:39], s[44:45]
	s_and_b32 s17, s18, s17
	v_fma_f64 v[40:41], v[90:91], v[40:41], s[40:41]
	v_cndmask_b32_e64 v20, 0, v78, s17
	v_cndmask_b32_e64 v21, 0, v79, s18
	v_fma_f64 v[58:59], v[36:37], v[58:59], s[44:45]
	v_add_f64 v[42:43], v[42:43], v[22:23]
	v_cmp_nlt_f64_e64 s17, 0x40900000, v[14:15]
	v_cmp_ngt_f64_e64 s18, 0xc090cc00, v[14:15]
	v_fma_f64 v[56:57], v[68:69], v[56:57], s[50:51]
	v_fma_f64 v[12:13], v[74:75], v[12:13], s[52:53]
	;; [unrolled: 1-line block ×7, first 2 shown]
	v_add_f64 v[42:43], v[42:43], v[26:27]
	v_fma_f64 v[56:57], v[68:69], v[56:57], s[48:49]
	v_fma_f64 v[12:13], v[74:75], v[12:13], s[50:51]
	;; [unrolled: 1-line block ×7, first 2 shown]
	v_add_f64 v[18:19], v[42:43], v[24:25]
	v_fma_f64 v[56:57], v[68:69], v[56:57], s[46:47]
	v_fma_f64 v[12:13], v[74:75], v[12:13], s[48:49]
	v_fma_f64 v[80:81], v[76:77], v[80:81], 1.0
	v_fma_f64 v[54:55], v[64:65], v[54:55], s[48:49]
	v_fma_f64 v[38:39], v[62:63], v[38:39], s[52:53]
	;; [unrolled: 1-line block ×4, first 2 shown]
	v_add_f64 v[58:59], v[18:19], v[20:21]
	v_fma_f64 v[56:57], v[68:69], v[56:57], 1.0
	v_fma_f64 v[12:13], v[74:75], v[12:13], s[46:47]
	v_fma_f64 v[76:77], v[76:77], v[80:81], 1.0
	v_fma_f64 v[50:51], v[64:65], v[54:55], s[46:47]
	v_fma_f64 v[38:39], v[62:63], v[38:39], s[50:51]
	;; [unrolled: 1-line block ×4, first 2 shown]
	v_fma_f64 v[54:55], v[68:69], v[56:57], 1.0
	v_fma_f64 v[12:13], v[74:75], v[12:13], 1.0
	v_cndmask_b32_e64 v68, 0x7ff00000, v53, s15
	v_ldexp_f64 v[56:57], v[76:77], v82
	s_and_b32 s15, s16, s15
	v_cvt_i32_f64_e32 v69, v[72:73]
	v_cndmask_b32_e64 v18, 0, v52, s15
	v_cndmask_b32_e64 v19, 0, v68, s16
	v_cmp_nlt_f64_e64 s15, 0x40900000, v[16:17]
	v_fma_f64 v[38:39], v[62:63], v[38:39], s[48:49]
	v_fma_f64 v[50:51], v[64:65], v[50:51], 1.0
	v_fma_f64 v[40:41], v[90:91], v[40:41], s[46:47]
	v_add_f64 v[14:15], v[58:59], v[18:19]
	v_cmp_ngt_f64_e64 s16, 0xc090cc00, v[16:17]
	v_fma_f64 v[42:43], v[36:37], v[42:43], s[48:49]
	v_cvt_i32_f64_e32 v52, v[60:61]
	v_ldexp_f64 v[53:54], v[54:55], v70
	v_fma_f64 v[12:13], v[74:75], v[12:13], 1.0
	v_cndmask_b32_e64 v55, 0x7ff00000, v57, s17
	s_and_b32 s17, s18, s17
	s_delay_alu instid0(SALU_CYCLE_1) | instskip(SKIP_1) | instid1(VALU_DEP_3)
	v_cndmask_b32_e64 v16, 0, v56, s17
	v_cmp_nlt_f64_e64 s17, 0x40900000, v[8:9]
	v_cndmask_b32_e64 v17, 0, v55, s18
	v_fma_f64 v[38:39], v[62:63], v[38:39], s[46:47]
	v_fma_f64 v[50:51], v[64:65], v[50:51], 1.0
	v_fma_f64 v[40:41], v[90:91], v[40:41], 1.0
	v_cmp_ngt_f64_e64 s18, 0xc090cc00, v[8:9]
	v_cvt_i32_f64_e32 v56, v[86:87]
	v_fma_f64 v[42:43], v[36:37], v[42:43], s[46:47]
	v_cndmask_b32_e64 v57, 0x7ff00000, v54, s15
	v_add_f64 v[54:55], v[14:15], v[16:17]
	v_ldexp_f64 v[12:13], v[12:13], v69
	s_and_b32 s15, s16, s15
	s_delay_alu instid0(VALU_DEP_3)
	v_cndmask_b32_e64 v15, 0, v57, s16
	v_cndmask_b32_e64 v14, 0, v53, s15
	v_cmp_nlt_f64_e64 s15, 0x40900000, v[10:11]
	v_cmp_ngt_f64_e64 s16, 0xc090cc00, v[10:11]
	v_fma_f64 v[38:39], v[62:63], v[38:39], 1.0
	v_ldexp_f64 v[50:51], v[50:51], v52
	v_fma_f64 v[40:41], v[90:91], v[40:41], 1.0
	v_cvt_i32_f64_e32 v52, v[88:89]
	v_cvt_i32_f64_e32 v53, v[66:67]
	v_fma_f64 v[42:43], v[36:37], v[42:43], 1.0
	v_add_f64 v[8:9], v[54:55], v[14:15]
	v_cndmask_b32_e64 v13, 0x7ff00000, v13, s17
	s_and_b32 s17, s18, s17
	s_delay_alu instid0(SALU_CYCLE_1) | instskip(SKIP_1) | instid1(VALU_DEP_3)
	v_cndmask_b32_e64 v12, 0, v12, s17
	v_cmp_nlt_f64_e64 s17, 0x40900000, v[4:5]
	v_cndmask_b32_e64 v13, 0, v13, s18
	v_cmp_ngt_f64_e64 s18, 0xc090cc00, v[4:5]
	v_fma_f64 v[38:39], v[62:63], v[38:39], 1.0
	v_cndmask_b32_e64 v51, 0x7ff00000, v51, s15
	v_ldexp_f64 v[40:41], v[40:41], v56
	s_and_b32 s15, s16, s15
	s_delay_alu instid0(SALU_CYCLE_1) | instskip(NEXT) | instid1(VALU_DEP_3)
	v_cndmask_b32_e64 v10, 0, v50, s15
	v_cndmask_b32_e64 v11, 0, v51, s16
	v_fma_f64 v[36:37], v[36:37], v[42:43], 1.0
	v_cmp_nlt_f64_e64 s15, 0x40900000, v[6:7]
	v_cmp_ngt_f64_e64 s16, 0xc090cc00, v[6:7]
	v_add_f64 v[8:9], v[8:9], v[12:13]
	v_ldexp_f64 v[38:39], v[38:39], v52
	v_cndmask_b32_e64 v41, 0x7ff00000, v41, s17
	s_and_b32 s17, s18, s17
	s_delay_alu instid0(SALU_CYCLE_1) | instskip(SKIP_1) | instid1(VALU_DEP_3)
	v_cndmask_b32_e64 v6, 0, v40, s17
	v_cmp_nlt_f64_e64 s17, 0x40900000, v[2:3]
	v_cndmask_b32_e64 v7, 0, v41, s18
	v_cmp_ngt_f64_e64 s18, 0xc090cc00, v[2:3]
	v_add_f64 v[4:5], v[8:9], v[10:11]
	v_ldexp_f64 v[8:9], v[36:37], v53
	v_cndmask_b32_e64 v39, 0x7ff00000, v39, s15
	s_and_b32 s15, s16, s15
	s_delay_alu instid0(VALU_DEP_3) | instskip(NEXT) | instid1(VALU_DEP_2)
	v_add_f64 v[36:37], v[4:5], v[6:7]
	v_cndmask_b32_e64 v5, 0, v39, s16
	v_cndmask_b32_e64 v4, 0, v38, s15
	;; [unrolled: 1-line block ×3, first 2 shown]
	s_and_b32 s15, s18, s17
	s_mov_b32 s16, exec_lo
	v_cndmask_b32_e64 v2, 0, v8, s15
	s_delay_alu instid0(VALU_DEP_2) | instskip(SKIP_1) | instid1(VALU_DEP_1)
	v_cndmask_b32_e64 v3, 0, v9, s18
	v_add_f64 v[36:37], v[36:37], v[4:5]
	v_add_f64 v[8:9], v[36:37], v[2:3]
	ds_bpermute_b32 v36, v45, v8
	ds_bpermute_b32 v37, v45, v9
	s_waitcnt lgkmcnt(0)
	v_add_f64 v[8:9], v[8:9], v[36:37]
	ds_bpermute_b32 v36, v46, v8
	ds_bpermute_b32 v37, v46, v9
	s_waitcnt lgkmcnt(0)
	;; [unrolled: 4-line block ×4, first 2 shown]
	v_add_f64 v[8:9], v[8:9], v[36:37]
	ds_bpermute_b32 v36, v49, v8
	ds_bpermute_b32 v37, v49, v9
	v_cmpx_lt_i32_e32 0, v44
	s_cbranch_execz .LBB373_50
; %bb.33:
	s_and_b32 exec_lo, exec_lo, vcc_lo
	s_cbranch_execz .LBB373_50
; %bb.34:
	s_waitcnt lgkmcnt(0)
	v_add_f64 v[8:9], v[8:9], v[36:37]
	s_delay_alu instid0(VALU_DEP_1) | instskip(SKIP_2) | instid1(VALU_DEP_3)
	v_div_scale_f64 v[36:37], null, v[8:9], v[8:9], v[34:35]
	v_div_scale_f64 v[42:43], vcc_lo, v[34:35], v[8:9], v[34:35]
	v_cmp_eq_f64_e64 s15, 0, v[8:9]
	v_rcp_f64_e32 v[38:39], v[36:37]
	s_waitcnt_depctr 0xfff
	v_fma_f64 v[40:41], -v[36:37], v[38:39], 1.0
	s_delay_alu instid0(VALU_DEP_1) | instskip(NEXT) | instid1(VALU_DEP_1)
	v_fma_f64 v[38:39], v[38:39], v[40:41], v[38:39]
	v_fma_f64 v[40:41], -v[36:37], v[38:39], 1.0
	s_delay_alu instid0(VALU_DEP_1) | instskip(NEXT) | instid1(VALU_DEP_1)
	v_fma_f64 v[38:39], v[38:39], v[40:41], v[38:39]
	v_mul_f64 v[40:41], v[42:43], v[38:39]
	s_delay_alu instid0(VALU_DEP_1) | instskip(NEXT) | instid1(VALU_DEP_1)
	v_fma_f64 v[36:37], -v[36:37], v[40:41], v[42:43]
	v_div_fmas_f64 v[36:37], v[36:37], v[38:39], v[40:41]
	v_add_co_u32 v0, vcc_lo, s36, v0
	v_add_co_ci_u32_e32 v1, vcc_lo, s37, v1, vcc_lo
	s_delay_alu instid0(VALU_DEP_3) | instskip(NEXT) | instid1(VALU_DEP_1)
	v_div_fixup_f64 v[34:35], v[36:37], v[8:9], v[34:35]
	v_cndmask_b32_e64 v35, v35, 0x7ff80000, s15
	s_delay_alu instid0(VALU_DEP_2)
	v_cndmask_b32_e64 v34, v34, 0, s15
	global_store_b64 v[0:1], v[34:35], off
	s_and_b32 exec_lo, exec_lo, s14
	s_cbranch_execz .LBB373_50
; %bb.35:
	v_div_scale_f64 v[34:35], null, v[8:9], v[8:9], v[32:33]
	v_div_scale_f64 v[40:41], vcc_lo, v[32:33], v[8:9], v[32:33]
	s_delay_alu instid0(VALU_DEP_2) | instskip(SKIP_2) | instid1(VALU_DEP_1)
	v_rcp_f64_e32 v[36:37], v[34:35]
	s_waitcnt_depctr 0xfff
	v_fma_f64 v[38:39], -v[34:35], v[36:37], 1.0
	v_fma_f64 v[36:37], v[36:37], v[38:39], v[36:37]
	s_delay_alu instid0(VALU_DEP_1) | instskip(NEXT) | instid1(VALU_DEP_1)
	v_fma_f64 v[38:39], -v[34:35], v[36:37], 1.0
	v_fma_f64 v[36:37], v[36:37], v[38:39], v[36:37]
	s_delay_alu instid0(VALU_DEP_1) | instskip(NEXT) | instid1(VALU_DEP_1)
	v_mul_f64 v[38:39], v[40:41], v[36:37]
	v_fma_f64 v[34:35], -v[34:35], v[38:39], v[40:41]
	s_delay_alu instid0(VALU_DEP_1) | instskip(NEXT) | instid1(VALU_DEP_1)
	v_div_fmas_f64 v[34:35], v[34:35], v[36:37], v[38:39]
	v_div_fixup_f64 v[32:33], v[34:35], v[8:9], v[32:33]
	s_delay_alu instid0(VALU_DEP_1) | instskip(NEXT) | instid1(VALU_DEP_2)
	v_cndmask_b32_e64 v33, v33, 0x7ff80000, s15
	v_cndmask_b32_e64 v32, v32, 0, s15
	global_store_b64 v[0:1], v[32:33], off offset:256
	s_and_b32 exec_lo, exec_lo, s13
	s_cbranch_execz .LBB373_50
; %bb.36:
	v_div_scale_f64 v[32:33], null, v[8:9], v[8:9], v[30:31]
	v_div_scale_f64 v[38:39], vcc_lo, v[30:31], v[8:9], v[30:31]
	s_delay_alu instid0(VALU_DEP_2) | instskip(SKIP_2) | instid1(VALU_DEP_1)
	v_rcp_f64_e32 v[34:35], v[32:33]
	s_waitcnt_depctr 0xfff
	v_fma_f64 v[36:37], -v[32:33], v[34:35], 1.0
	v_fma_f64 v[34:35], v[34:35], v[36:37], v[34:35]
	s_delay_alu instid0(VALU_DEP_1) | instskip(NEXT) | instid1(VALU_DEP_1)
	v_fma_f64 v[36:37], -v[32:33], v[34:35], 1.0
	v_fma_f64 v[34:35], v[34:35], v[36:37], v[34:35]
	s_delay_alu instid0(VALU_DEP_1) | instskip(NEXT) | instid1(VALU_DEP_1)
	v_mul_f64 v[36:37], v[38:39], v[34:35]
	v_fma_f64 v[32:33], -v[32:33], v[36:37], v[38:39]
	s_delay_alu instid0(VALU_DEP_1) | instskip(NEXT) | instid1(VALU_DEP_1)
	v_div_fmas_f64 v[32:33], v[32:33], v[34:35], v[36:37]
	v_div_fixup_f64 v[30:31], v[32:33], v[8:9], v[30:31]
	s_delay_alu instid0(VALU_DEP_1) | instskip(NEXT) | instid1(VALU_DEP_2)
	v_cndmask_b32_e64 v31, v31, 0x7ff80000, s15
	v_cndmask_b32_e64 v30, v30, 0, s15
	global_store_b64 v[0:1], v[30:31], off offset:512
	;; [unrolled: 23-line block ×15, first 2 shown]
.LBB373_50:
	s_nop 0
	s_sendmsg sendmsg(MSG_DEALLOC_VGPRS)
	s_endpgm
	.section	.rodata,"a",@progbits
	.p2align	6, 0x0
	.amdhsa_kernel _ZN12_GLOBAL__N_120softmax_warp_forwardIdddLi9ELb0ELb0ELi32EEEvPT0_PKT_iiiPKbib
		.amdhsa_group_segment_fixed_size 0
		.amdhsa_private_segment_fixed_size 0
		.amdhsa_kernarg_size 304
		.amdhsa_user_sgpr_count 15
		.amdhsa_user_sgpr_dispatch_ptr 0
		.amdhsa_user_sgpr_queue_ptr 0
		.amdhsa_user_sgpr_kernarg_segment_ptr 1
		.amdhsa_user_sgpr_dispatch_id 0
		.amdhsa_user_sgpr_private_segment_size 0
		.amdhsa_wavefront_size32 1
		.amdhsa_uses_dynamic_stack 0
		.amdhsa_enable_private_segment 0
		.amdhsa_system_sgpr_workgroup_id_x 1
		.amdhsa_system_sgpr_workgroup_id_y 0
		.amdhsa_system_sgpr_workgroup_id_z 0
		.amdhsa_system_sgpr_workgroup_info 0
		.amdhsa_system_vgpr_workitem_id 1
		.amdhsa_next_free_vgpr 97
		.amdhsa_next_free_sgpr 56
		.amdhsa_reserve_vcc 1
		.amdhsa_float_round_mode_32 0
		.amdhsa_float_round_mode_16_64 0
		.amdhsa_float_denorm_mode_32 3
		.amdhsa_float_denorm_mode_16_64 3
		.amdhsa_dx10_clamp 1
		.amdhsa_ieee_mode 1
		.amdhsa_fp16_overflow 0
		.amdhsa_workgroup_processor_mode 1
		.amdhsa_memory_ordered 1
		.amdhsa_forward_progress 0
		.amdhsa_shared_vgpr_count 0
		.amdhsa_exception_fp_ieee_invalid_op 0
		.amdhsa_exception_fp_denorm_src 0
		.amdhsa_exception_fp_ieee_div_zero 0
		.amdhsa_exception_fp_ieee_overflow 0
		.amdhsa_exception_fp_ieee_underflow 0
		.amdhsa_exception_fp_ieee_inexact 0
		.amdhsa_exception_int_div_zero 0
	.end_amdhsa_kernel
	.section	.text._ZN12_GLOBAL__N_120softmax_warp_forwardIdddLi9ELb0ELb0ELi32EEEvPT0_PKT_iiiPKbib,"axG",@progbits,_ZN12_GLOBAL__N_120softmax_warp_forwardIdddLi9ELb0ELb0ELi32EEEvPT0_PKT_iiiPKbib,comdat
.Lfunc_end373:
	.size	_ZN12_GLOBAL__N_120softmax_warp_forwardIdddLi9ELb0ELb0ELi32EEEvPT0_PKT_iiiPKbib, .Lfunc_end373-_ZN12_GLOBAL__N_120softmax_warp_forwardIdddLi9ELb0ELb0ELi32EEEvPT0_PKT_iiiPKbib
                                        ; -- End function
	.section	.AMDGPU.csdata,"",@progbits
; Kernel info:
; codeLenInByte = 7776
; NumSgprs: 58
; NumVgprs: 97
; ScratchSize: 0
; MemoryBound: 0
; FloatMode: 240
; IeeeMode: 1
; LDSByteSize: 0 bytes/workgroup (compile time only)
; SGPRBlocks: 7
; VGPRBlocks: 12
; NumSGPRsForWavesPerEU: 58
; NumVGPRsForWavesPerEU: 97
; Occupancy: 12
; WaveLimiterHint : 0
; COMPUTE_PGM_RSRC2:SCRATCH_EN: 0
; COMPUTE_PGM_RSRC2:USER_SGPR: 15
; COMPUTE_PGM_RSRC2:TRAP_HANDLER: 0
; COMPUTE_PGM_RSRC2:TGID_X_EN: 1
; COMPUTE_PGM_RSRC2:TGID_Y_EN: 0
; COMPUTE_PGM_RSRC2:TGID_Z_EN: 0
; COMPUTE_PGM_RSRC2:TIDIG_COMP_CNT: 1
	.section	.text._ZN12_GLOBAL__N_120softmax_warp_forwardIdddLi10ELb0ELb0ELi64EEEvPT0_PKT_iiiPKbib,"axG",@progbits,_ZN12_GLOBAL__N_120softmax_warp_forwardIdddLi10ELb0ELb0ELi64EEEvPT0_PKT_iiiPKbib,comdat
	.globl	_ZN12_GLOBAL__N_120softmax_warp_forwardIdddLi10ELb0ELb0ELi64EEEvPT0_PKT_iiiPKbib ; -- Begin function _ZN12_GLOBAL__N_120softmax_warp_forwardIdddLi10ELb0ELb0ELi64EEEvPT0_PKT_iiiPKbib
	.p2align	8
	.type	_ZN12_GLOBAL__N_120softmax_warp_forwardIdddLi10ELb0ELb0ELi64EEEvPT0_PKT_iiiPKbib,@function
_ZN12_GLOBAL__N_120softmax_warp_forwardIdddLi10ELb0ELb0ELi64EEEvPT0_PKT_iiiPKbib: ; @_ZN12_GLOBAL__N_120softmax_warp_forwardIdddLi10ELb0ELb0ELi64EEEvPT0_PKT_iiiPKbib
; %bb.0:
	s_clause 0x1
	s_load_b32 s2, s[0:1], 0x3c
	s_load_b256 s[36:43], s[0:1], 0x0
	v_bfe_u32 v1, v0, 10, 10
	v_mov_b32_e32 v30, 0
	v_mov_b32_e32 v31, 0xfff00000
	v_and_b32_e32 v34, 0x3ff, v0
	s_delay_alu instid0(VALU_DEP_2) | instskip(SKIP_2) | instid1(VALU_DEP_2)
	v_dual_mov_b32 v16, v30 :: v_dual_mov_b32 v17, v31
	s_waitcnt lgkmcnt(0)
	s_lshr_b32 s0, s2, 16
	v_cmp_gt_i32_e32 vcc_lo, s42, v34
	v_mad_u64_u32 v[2:3], null, s15, s0, v[1:2]
	s_delay_alu instid0(VALU_DEP_1) | instskip(SKIP_1) | instid1(VALU_DEP_1)
	v_mad_u64_u32 v[0:1], null, v2, s41, v[34:35]
	v_sub_nc_u32_e32 v40, s40, v2
	v_cmp_lt_i32_e64 s15, 0, v40
	s_delay_alu instid0(VALU_DEP_3) | instskip(NEXT) | instid1(VALU_DEP_2)
	v_ashrrev_i32_e32 v1, 31, v0
	s_and_b32 s1, s15, vcc_lo
	s_delay_alu instid0(VALU_DEP_1) | instskip(NEXT) | instid1(VALU_DEP_1)
	v_lshlrev_b64 v[0:1], 3, v[0:1]
	v_add_co_u32 v35, s0, s38, v0
	s_delay_alu instid0(VALU_DEP_1)
	v_add_co_ci_u32_e64 v36, s0, s39, v1, s0
	s_and_saveexec_b32 s0, s1
	s_cbranch_execz .LBB374_2
; %bb.1:
	global_load_b64 v[16:17], v[35:36], off
.LBB374_2:
	s_or_b32 exec_lo, exec_lo, s0
	v_add_nc_u32_e32 v2, 64, v34
	s_delay_alu instid0(VALU_DEP_1) | instskip(NEXT) | instid1(VALU_DEP_1)
	v_cmp_gt_i32_e64 s14, s42, v2
	s_and_b32 s1, s15, s14
	s_delay_alu instid0(SALU_CYCLE_1)
	s_and_saveexec_b32 s0, s1
	s_cbranch_execz .LBB374_4
; %bb.3:
	global_load_b64 v[30:31], v[35:36], off offset:512
.LBB374_4:
	s_or_b32 exec_lo, exec_lo, s0
	v_mov_b32_e32 v26, 0
	v_mov_b32_e32 v27, 0xfff00000
	s_delay_alu instid0(VALU_DEP_1) | instskip(NEXT) | instid1(VALU_DEP_1)
	v_dual_mov_b32 v33, v27 :: v_dual_add_nc_u32 v2, 0x80, v34
	v_cmp_gt_i32_e64 s13, s42, v2
	s_delay_alu instid0(VALU_DEP_4) | instskip(NEXT) | instid1(VALU_DEP_2)
	v_mov_b32_e32 v32, v26
	s_and_b32 s1, s15, s13
	s_delay_alu instid0(SALU_CYCLE_1)
	s_and_saveexec_b32 s0, s1
	s_cbranch_execz .LBB374_6
; %bb.5:
	global_load_b64 v[32:33], v[35:36], off offset:1024
.LBB374_6:
	s_or_b32 exec_lo, exec_lo, s0
	v_add_nc_u32_e32 v2, 0xc0, v34
	s_delay_alu instid0(VALU_DEP_1) | instskip(NEXT) | instid1(VALU_DEP_1)
	v_cmp_gt_i32_e64 s12, s42, v2
	s_and_b32 s1, s15, s12
	s_delay_alu instid0(SALU_CYCLE_1)
	s_and_saveexec_b32 s0, s1
	s_cbranch_execz .LBB374_8
; %bb.7:
	global_load_b64 v[26:27], v[35:36], off offset:1536
.LBB374_8:
	s_or_b32 exec_lo, exec_lo, s0
	v_mov_b32_e32 v22, 0
	v_mov_b32_e32 v23, 0xfff00000
	s_delay_alu instid0(VALU_DEP_1) | instskip(NEXT) | instid1(VALU_DEP_1)
	v_dual_mov_b32 v29, v23 :: v_dual_add_nc_u32 v2, 0x100, v34
	v_cmp_gt_i32_e64 s11, s42, v2
	s_delay_alu instid0(VALU_DEP_4) | instskip(NEXT) | instid1(VALU_DEP_2)
	v_mov_b32_e32 v28, v22
	s_and_b32 s1, s15, s11
	s_delay_alu instid0(SALU_CYCLE_1)
	s_and_saveexec_b32 s0, s1
	s_cbranch_execz .LBB374_10
; %bb.9:
	global_load_b64 v[28:29], v[35:36], off offset:2048
.LBB374_10:
	;; [unrolled: 26-line block ×3, first 2 shown]
	s_or_b32 exec_lo, exec_lo, s0
	v_add_nc_u32_e32 v2, 0x1c0, v34
	s_delay_alu instid0(VALU_DEP_1) | instskip(NEXT) | instid1(VALU_DEP_1)
	v_cmp_gt_i32_e64 s8, s42, v2
	s_and_b32 s1, s15, s8
	s_delay_alu instid0(SALU_CYCLE_1)
	s_and_saveexec_b32 s0, s1
	s_cbranch_execz .LBB374_16
; %bb.15:
	global_load_b64 v[18:19], v[35:36], off offset:3584
.LBB374_16:
	s_or_b32 exec_lo, exec_lo, s0
	v_mov_b32_e32 v10, 0
	v_mov_b32_e32 v11, 0xfff00000
	s_delay_alu instid0(VALU_DEP_1) | instskip(NEXT) | instid1(VALU_DEP_1)
	v_dual_mov_b32 v21, v11 :: v_dual_add_nc_u32 v2, 0x200, v34
	v_cmp_gt_i32_e64 s7, s42, v2
	s_delay_alu instid0(VALU_DEP_4) | instskip(NEXT) | instid1(VALU_DEP_2)
	v_mov_b32_e32 v20, v10
	s_and_b32 s0, s15, s7
	s_delay_alu instid0(SALU_CYCLE_1)
	s_and_saveexec_b32 s1, s0
	s_cbranch_execz .LBB374_18
; %bb.17:
	v_add_co_u32 v2, s0, 0x1000, v35
	s_delay_alu instid0(VALU_DEP_1)
	v_add_co_ci_u32_e64 v3, s0, 0, v36, s0
	global_load_b64 v[20:21], v[2:3], off
.LBB374_18:
	s_or_b32 exec_lo, exec_lo, s1
	v_add_nc_u32_e32 v2, 0x240, v34
	s_delay_alu instid0(VALU_DEP_1) | instskip(NEXT) | instid1(VALU_DEP_1)
	v_cmp_gt_i32_e64 s6, s42, v2
	s_and_b32 s0, s15, s6
	s_delay_alu instid0(SALU_CYCLE_1)
	s_and_saveexec_b32 s1, s0
	s_cbranch_execz .LBB374_20
; %bb.19:
	v_add_co_u32 v2, s0, 0x1000, v35
	s_delay_alu instid0(VALU_DEP_1)
	v_add_co_ci_u32_e64 v3, s0, 0, v36, s0
	global_load_b64 v[10:11], v[2:3], off offset:512
.LBB374_20:
	s_or_b32 exec_lo, exec_lo, s1
	v_mov_b32_e32 v6, 0
	v_mov_b32_e32 v7, 0xfff00000
	s_delay_alu instid0(VALU_DEP_1) | instskip(NEXT) | instid1(VALU_DEP_1)
	v_dual_mov_b32 v15, v7 :: v_dual_add_nc_u32 v2, 0x280, v34
	v_cmp_gt_i32_e64 s5, s42, v2
	s_delay_alu instid0(VALU_DEP_4) | instskip(NEXT) | instid1(VALU_DEP_2)
	v_mov_b32_e32 v14, v6
	s_and_b32 s0, s15, s5
	s_delay_alu instid0(SALU_CYCLE_1)
	s_and_saveexec_b32 s1, s0
	s_cbranch_execz .LBB374_22
; %bb.21:
	v_add_co_u32 v2, s0, 0x1000, v35
	s_delay_alu instid0(VALU_DEP_1)
	v_add_co_ci_u32_e64 v3, s0, 0, v36, s0
	global_load_b64 v[14:15], v[2:3], off offset:1024
.LBB374_22:
	s_or_b32 exec_lo, exec_lo, s1
	v_add_nc_u32_e32 v2, 0x2c0, v34
	s_delay_alu instid0(VALU_DEP_1) | instskip(NEXT) | instid1(VALU_DEP_1)
	v_cmp_gt_i32_e64 s4, s42, v2
	s_and_b32 s0, s15, s4
	s_delay_alu instid0(SALU_CYCLE_1)
	s_and_saveexec_b32 s1, s0
	s_cbranch_execz .LBB374_24
; %bb.23:
	v_add_co_u32 v2, s0, 0x1000, v35
	s_delay_alu instid0(VALU_DEP_1)
	v_add_co_ci_u32_e64 v3, s0, 0, v36, s0
	global_load_b64 v[6:7], v[2:3], off offset:1536
.LBB374_24:
	s_or_b32 exec_lo, exec_lo, s1
	v_mov_b32_e32 v4, 0
	v_mov_b32_e32 v5, 0xfff00000
	s_delay_alu instid0(VALU_DEP_1) | instskip(NEXT) | instid1(VALU_DEP_1)
	v_dual_mov_b32 v13, v5 :: v_dual_add_nc_u32 v2, 0x300, v34
	v_cmp_gt_i32_e64 s3, s42, v2
	s_delay_alu instid0(VALU_DEP_4) | instskip(NEXT) | instid1(VALU_DEP_2)
	v_mov_b32_e32 v12, v4
	s_and_b32 s0, s15, s3
	s_delay_alu instid0(SALU_CYCLE_1)
	s_and_saveexec_b32 s1, s0
	s_cbranch_execz .LBB374_26
; %bb.25:
	v_add_co_u32 v2, s0, 0x1000, v35
	s_delay_alu instid0(VALU_DEP_1)
	v_add_co_ci_u32_e64 v3, s0, 0, v36, s0
	global_load_b64 v[12:13], v[2:3], off offset:2048
.LBB374_26:
	s_or_b32 exec_lo, exec_lo, s1
	v_add_nc_u32_e32 v2, 0x340, v34
	s_delay_alu instid0(VALU_DEP_1) | instskip(NEXT) | instid1(VALU_DEP_1)
	v_cmp_gt_i32_e64 s2, s42, v2
	s_and_b32 s0, s15, s2
	s_delay_alu instid0(SALU_CYCLE_1)
	s_and_saveexec_b32 s1, s0
	s_cbranch_execz .LBB374_28
; %bb.27:
	v_add_co_u32 v2, s0, 0x1000, v35
	s_delay_alu instid0(VALU_DEP_1)
	v_add_co_ci_u32_e64 v3, s0, 0, v36, s0
	global_load_b64 v[4:5], v[2:3], off offset:2560
.LBB374_28:
	s_or_b32 exec_lo, exec_lo, s1
	v_add_nc_u32_e32 v8, 0x380, v34
	v_mov_b32_e32 v2, 0
	v_mov_b32_e32 v3, 0xfff00000
	s_delay_alu instid0(VALU_DEP_3) | instskip(NEXT) | instid1(VALU_DEP_2)
	v_cmp_gt_i32_e64 s1, s42, v8
	v_dual_mov_b32 v9, v3 :: v_dual_mov_b32 v8, v2
	s_delay_alu instid0(VALU_DEP_2) | instskip(NEXT) | instid1(SALU_CYCLE_1)
	s_and_b32 s0, s15, s1
	s_and_saveexec_b32 s16, s0
	s_cbranch_execz .LBB374_30
; %bb.29:
	v_add_co_u32 v8, s0, 0x1000, v35
	s_delay_alu instid0(VALU_DEP_1)
	v_add_co_ci_u32_e64 v9, s0, 0, v36, s0
	global_load_b64 v[8:9], v[8:9], off offset:3072
.LBB374_30:
	s_or_b32 exec_lo, exec_lo, s16
	v_add_nc_u32_e32 v34, 0x3c0, v34
	s_delay_alu instid0(VALU_DEP_1) | instskip(NEXT) | instid1(VALU_DEP_1)
	v_cmp_gt_i32_e64 s0, s42, v34
	s_and_b32 s15, s15, s0
	s_delay_alu instid0(SALU_CYCLE_1)
	s_and_saveexec_b32 s16, s15
	s_cbranch_execz .LBB374_32
; %bb.31:
	v_add_co_u32 v2, s15, 0x1000, v35
	s_delay_alu instid0(VALU_DEP_1)
	v_add_co_ci_u32_e64 v3, s15, 0, v36, s15
	global_load_b64 v[2:3], v[2:3], off offset:3584
.LBB374_32:
	s_or_b32 exec_lo, exec_lo, s16
	s_waitcnt vmcnt(0)
	v_cmp_gt_f64_e64 s15, v[16:17], v[30:31]
	v_mbcnt_lo_u32_b32 v38, -1, 0
	s_mov_b32 s28, 0xfefa39ef
	s_mov_b32 s29, 0xbfe62e42
	s_mov_b32 s30, 0x3b39803f
	s_mov_b32 s31, 0xbc7abc9e
	v_or_b32_e32 v36, 32, v38
	v_xor_b32_e32 v39, 16, v38
	s_mov_b32 s34, 0xfca7ab0c
	s_mov_b32 s38, 0x6a5dcb37
	;; [unrolled: 1-line block ×3, first 2 shown]
	v_cmp_gt_i32_e64 s16, 64, v36
	s_mov_b32 s39, 0x3e5ade15
	s_mov_b32 s40, 0x623fde64
	;; [unrolled: 1-line block ×4, first 2 shown]
	v_cndmask_b32_e64 v36, v38, v36, s16
	v_cmp_gt_i32_e64 s16, 64, v39
	s_mov_b32 s43, 0x3efa0199
	s_mov_b32 s44, 0x14761f6e
	;; [unrolled: 1-line block ×3, first 2 shown]
	v_lshlrev_b32_e32 v41, 2, v36
	v_cndmask_b32_e64 v39, v38, v39, s16
	s_mov_b32 s54, 0x1852b7b0
	s_mov_b32 s55, 0x3f56c16c
	;; [unrolled: 1-line block ×4, first 2 shown]
	v_lshlrev_b32_e32 v42, 2, v39
	v_xor_b32_e32 v39, 8, v38
	s_mov_b32 s50, 0x555502a1
	s_mov_b32 s51, 0x3fa55555
	;; [unrolled: 1-line block ×4, first 2 shown]
	v_cmp_gt_i32_e64 s16, 64, v39
	s_mov_b32 s46, 11
	s_mov_b32 s47, 0x3fe00000
	s_delay_alu instid0(VALU_DEP_1) | instskip(SKIP_2) | instid1(VALU_DEP_3)
	v_cndmask_b32_e64 v39, v38, v39, s16
	v_cndmask_b32_e64 v35, v31, v17, s15
	;; [unrolled: 1-line block ×3, first 2 shown]
	v_lshlrev_b32_e32 v43, 2, v39
	v_xor_b32_e32 v39, 4, v38
	s_delay_alu instid0(VALU_DEP_3) | instskip(NEXT) | instid1(VALU_DEP_2)
	v_cmp_gt_f64_e64 s15, v[34:35], v[32:33]
	v_cmp_gt_i32_e64 s16, 64, v39
	s_delay_alu instid0(VALU_DEP_1) | instskip(NEXT) | instid1(VALU_DEP_1)
	v_cndmask_b32_e64 v39, v38, v39, s16
	v_lshlrev_b32_e32 v44, 2, v39
	v_xor_b32_e32 v39, 2, v38
	s_delay_alu instid0(VALU_DEP_1) | instskip(NEXT) | instid1(VALU_DEP_1)
	v_cmp_gt_i32_e64 s16, 64, v39
	v_cndmask_b32_e64 v39, v38, v39, s16
	s_delay_alu instid0(VALU_DEP_1) | instskip(SKIP_1) | instid1(VALU_DEP_1)
	v_lshlrev_b32_e32 v45, 2, v39
	v_xor_b32_e32 v39, 1, v38
	v_cmp_gt_i32_e64 s16, 64, v39
	v_cndmask_b32_e64 v35, v33, v35, s15
	v_cndmask_b32_e64 v34, v32, v34, s15
	s_delay_alu instid0(VALU_DEP_3) | instskip(SKIP_2) | instid1(VALU_DEP_2)
	v_cndmask_b32_e64 v38, v38, v39, s16
	s_mov_b32 s16, 0x652b82fe
	s_mov_b32 s17, 0x3ff71547
	v_cmp_gt_f64_e64 s15, v[34:35], v[26:27]
	s_delay_alu instid0(VALU_DEP_2) | instskip(NEXT) | instid1(VALU_DEP_2)
	v_lshlrev_b32_e32 v46, 2, v38
	v_cndmask_b32_e64 v35, v27, v35, s15
	v_cndmask_b32_e64 v34, v26, v34, s15
	s_delay_alu instid0(VALU_DEP_1) | instskip(NEXT) | instid1(VALU_DEP_1)
	v_cmp_gt_f64_e64 s15, v[34:35], v[28:29]
	v_cndmask_b32_e64 v35, v29, v35, s15
	v_cndmask_b32_e64 v34, v28, v34, s15
	s_delay_alu instid0(VALU_DEP_1) | instskip(NEXT) | instid1(VALU_DEP_1)
	v_cmp_gt_f64_e64 s15, v[34:35], v[22:23]
	;; [unrolled: 4-line block ×12, first 2 shown]
	v_cndmask_b32_e64 v35, v3, v35, s15
	v_cndmask_b32_e64 v34, v2, v34, s15
	ds_bpermute_b32 v37, v41, v35
	ds_bpermute_b32 v36, v41, v34
	s_waitcnt lgkmcnt(0)
	v_cmp_lt_f64_e64 s15, v[34:35], v[36:37]
	s_delay_alu instid0(VALU_DEP_1)
	v_cndmask_b32_e64 v35, v35, v37, s15
	v_cndmask_b32_e64 v34, v34, v36, s15
	ds_bpermute_b32 v37, v42, v35
	ds_bpermute_b32 v36, v42, v34
	s_waitcnt lgkmcnt(0)
	v_cmp_lt_f64_e64 s15, v[34:35], v[36:37]
	s_delay_alu instid0(VALU_DEP_1)
	v_cndmask_b32_e64 v35, v35, v37, s15
	v_cndmask_b32_e64 v34, v34, v36, s15
	ds_bpermute_b32 v37, v43, v35
	ds_bpermute_b32 v36, v43, v34
	s_waitcnt lgkmcnt(0)
	v_cmp_lt_f64_e64 s15, v[34:35], v[36:37]
	s_delay_alu instid0(VALU_DEP_1)
	v_cndmask_b32_e64 v35, v35, v37, s15
	v_cndmask_b32_e64 v34, v34, v36, s15
	ds_bpermute_b32 v37, v44, v35
	ds_bpermute_b32 v36, v44, v34
	s_waitcnt lgkmcnt(0)
	v_cmp_lt_f64_e64 s15, v[34:35], v[36:37]
	s_delay_alu instid0(VALU_DEP_1)
	v_cndmask_b32_e64 v35, v35, v37, s15
	v_cndmask_b32_e64 v34, v34, v36, s15
	ds_bpermute_b32 v37, v45, v35
	ds_bpermute_b32 v36, v45, v34
	s_waitcnt lgkmcnt(0)
	v_cmp_lt_f64_e64 s15, v[34:35], v[36:37]
	s_delay_alu instid0(VALU_DEP_1)
	v_cndmask_b32_e64 v35, v35, v37, s15
	v_cndmask_b32_e64 v34, v34, v36, s15
	ds_bpermute_b32 v37, v46, v35
	ds_bpermute_b32 v36, v46, v34
	s_waitcnt lgkmcnt(0)
	v_cmp_lt_f64_e64 s15, v[34:35], v[36:37]
	s_delay_alu instid0(VALU_DEP_1) | instskip(SKIP_1) | instid1(VALU_DEP_1)
	v_cndmask_b32_e64 v35, v35, v37, s15
	v_cndmask_b32_e64 v34, v34, v36, s15
	v_add_f64 v[16:17], v[16:17], -v[34:35]
	v_add_f64 v[30:31], v[30:31], -v[34:35]
	;; [unrolled: 1-line block ×14, first 2 shown]
	v_mul_f64 v[36:37], v[16:17], s[16:17]
	v_mul_f64 v[47:48], v[30:31], s[16:17]
	;; [unrolled: 1-line block ×4, first 2 shown]
	v_cmp_nlt_f64_e64 s15, 0x40900000, v[16:17]
	v_cmp_ngt_f64_e64 s18, 0xc090cc00, v[30:31]
	v_mul_f64 v[71:72], v[20:21], s[16:17]
	v_cmp_nlt_f64_e64 s19, 0x40900000, v[32:33]
	v_cmp_nlt_f64_e64 s23, 0x40900000, v[28:29]
	v_cmp_ngt_f64_e64 s24, 0xc090cc00, v[28:29]
	v_cmp_nlt_f64_e64 s21, 0x40900000, v[26:27]
	v_cmp_ngt_f64_e64 s22, 0xc090cc00, v[26:27]
	v_cmp_ngt_f64_e64 s20, 0xc090cc00, v[32:33]
	v_rndne_f64_e32 v[38:39], v[36:37]
	v_add_f64 v[36:37], v[22:23], -v[34:35]
	v_rndne_f64_e32 v[47:48], v[47:48]
	v_add_f64 v[22:23], v[24:25], -v[34:35]
	v_mul_f64 v[24:25], v[28:29], s[16:17]
	v_rndne_f64_e32 v[49:50], v[49:50]
	v_rndne_f64_e32 v[51:52], v[51:52]
	;; [unrolled: 1-line block ×3, first 2 shown]
	v_fma_f64 v[53:54], v[38:39], s[28:29], v[16:17]
	v_mul_f64 v[55:56], v[36:37], s[16:17]
	v_fma_f64 v[57:58], v[47:48], s[28:29], v[30:31]
	v_mul_f64 v[59:60], v[22:23], s[16:17]
	v_rndne_f64_e32 v[61:62], v[24:25]
	v_mul_f64 v[24:25], v[18:19], s[16:17]
	v_fma_f64 v[63:64], v[49:50], s[28:29], v[32:33]
	v_fma_f64 v[65:66], v[51:52], s[28:29], v[26:27]
	;; [unrolled: 1-line block ×3, first 2 shown]
	v_cvt_i32_f64_e32 v93, v[38:39]
	v_cvt_i32_f64_e32 v94, v[47:48]
	;; [unrolled: 1-line block ×4, first 2 shown]
	v_cmp_nlt_f64_e64 s25, 0x40900000, v[36:37]
	v_cmp_ngt_f64_e64 s26, 0xc090cc00, v[36:37]
	v_fma_f64 v[53:54], v[38:39], s[30:31], v[53:54]
	v_rndne_f64_e32 v[55:56], v[55:56]
	v_fma_f64 v[57:58], v[47:48], s[30:31], v[57:58]
	v_rndne_f64_e32 v[59:60], v[59:60]
	;; [unrolled: 2-line block ×3, first 2 shown]
	v_fma_f64 v[63:64], v[49:50], s[30:31], v[63:64]
	v_fma_f64 v[65:66], v[51:52], s[30:31], v[65:66]
	;; [unrolled: 1-line block ×80, first 2 shown]
	v_mul_f64 v[85:86], v[10:11], s[16:17]
	v_fma_f64 v[47:48], v[65:66], v[47:48], s[46:47]
	v_fma_f64 v[67:68], v[53:54], v[67:68], 1.0
	v_fma_f64 v[89:90], v[73:74], v[89:90], s[48:49]
	v_fma_f64 v[75:76], v[57:58], v[75:76], 1.0
	v_fma_f64 v[34:35], v[77:78], v[34:35], s[48:49]
	v_fma_f64 v[38:39], v[69:70], v[38:39], s[46:47]
	;; [unrolled: 1-line block ×4, first 2 shown]
	v_fma_f64 v[81:82], v[63:64], v[81:82], 1.0
	v_rndne_f64_e32 v[85:86], v[85:86]
	v_fma_f64 v[47:48], v[65:66], v[47:48], 1.0
	v_fma_f64 v[53:54], v[53:54], v[67:68], 1.0
	v_mul_f64 v[67:68], v[14:15], s[16:17]
	v_fma_f64 v[89:90], v[73:74], v[89:90], s[46:47]
	v_fma_f64 v[57:58], v[57:58], v[75:76], 1.0
	v_mul_f64 v[75:76], v[6:7], s[16:17]
	v_fma_f64 v[34:35], v[77:78], v[34:35], s[46:47]
	v_fma_f64 v[38:39], v[69:70], v[38:39], 1.0
	v_fma_f64 v[83:84], v[79:80], v[83:84], s[46:47]
	v_fma_f64 v[63:64], v[63:64], v[81:82], 1.0
	v_fma_f64 v[81:82], v[85:86], s[28:29], v[10:11]
	v_fma_f64 v[49:50], v[87:88], v[49:50], s[48:49]
	v_fma_f64 v[47:48], v[65:66], v[47:48], 1.0
	v_mul_f64 v[65:66], v[12:13], s[16:17]
	v_ldexp_f64 v[51:52], v[53:54], v93
	v_rndne_f64_e32 v[67:68], v[67:68]
	v_fma_f64 v[89:90], v[73:74], v[89:90], 1.0
	v_cvt_i32_f64_e32 v93, v[61:62]
	v_rndne_f64_e32 v[75:76], v[75:76]
	v_fma_f64 v[34:35], v[77:78], v[34:35], 1.0
	v_fma_f64 v[38:39], v[69:70], v[38:39], 1.0
	;; [unrolled: 1-line block ×3, first 2 shown]
	v_mul_f64 v[53:54], v[8:9], s[16:17]
	v_fma_f64 v[81:82], v[85:86], s[30:31], v[81:82]
	v_fma_f64 v[49:50], v[87:88], v[49:50], s[46:47]
	v_ldexp_f64 v[57:58], v[57:58], v94
	v_rndne_f64_e32 v[65:66], v[65:66]
	v_cvt_i32_f64_e32 v94, v[59:60]
	v_ldexp_f64 v[47:48], v[47:48], v96
	v_cvt_i32_f64_e32 v85, v[85:86]
	v_cndmask_b32_e64 v52, 0x7ff00000, v52, s15
	v_fma_f64 v[69:70], v[67:68], s[28:29], v[14:15]
	v_fma_f64 v[73:74], v[73:74], v[89:90], 1.0
	v_mul_f64 v[89:90], v[4:5], s[16:17]
	v_fma_f64 v[77:78], v[77:78], v[34:35], 1.0
	v_fma_f64 v[34:35], v[75:76], s[28:29], v[6:7]
	v_fma_f64 v[79:80], v[79:80], v[83:84], 1.0
	v_rndne_f64_e32 v[53:54], v[53:54]
	v_fma_f64 v[83:84], v[81:82], s[38:39], s[34:35]
	v_fma_f64 v[49:50], v[87:88], v[49:50], 1.0
	v_ldexp_f64 v[38:39], v[38:39], v93
	v_fma_f64 v[61:62], v[65:66], s[28:29], v[12:13]
	v_cndmask_b32_e64 v48, 0x7ff00000, v48, s21
	v_fma_f64 v[69:70], v[67:68], s[30:31], v[69:70]
	v_rndne_f64_e32 v[89:90], v[89:90]
	v_ldexp_f64 v[77:78], v[77:78], v94
	v_fma_f64 v[91:92], v[75:76], s[30:31], v[34:35]
	v_fma_f64 v[26:27], v[53:54], s[28:29], v[8:9]
	;; [unrolled: 1-line block ×3, first 2 shown]
	v_fma_f64 v[49:50], v[87:88], v[49:50], 1.0
	v_cvt_i32_f64_e32 v87, v[55:56]
	v_ldexp_f64 v[55:56], v[63:64], v95
	v_mul_f64 v[63:64], v[2:3], s[16:17]
	v_cmp_ngt_f64_e64 s16, 0xc090cc00, v[16:17]
	v_fma_f64 v[61:62], v[65:66], s[30:31], v[61:62]
	v_cmp_nlt_f64_e64 s17, 0x40900000, v[30:31]
	v_cvt_i32_f64_e32 v95, v[24:25]
	v_cndmask_b32_e64 v39, 0x7ff00000, v39, s23
	v_cvt_i32_f64_e32 v65, v[65:66]
	v_fma_f64 v[34:35], v[69:70], s[38:39], s[34:35]
	v_fma_f64 v[16:17], v[89:90], s[28:29], v[4:5]
	;; [unrolled: 1-line block ×4, first 2 shown]
	v_ldexp_f64 v[73:74], v[73:74], v87
	v_cndmask_b32_e64 v93, 0x7ff00000, v56, s19
	v_rndne_f64_e32 v[63:64], v[63:64]
	s_and_b32 s15, s16, s15
	v_cndmask_b32_e64 v58, 0x7ff00000, v58, s17
	v_ldexp_f64 v[79:80], v[79:80], v95
	s_delay_alu instid0(VALU_DEP_2)
	v_cndmask_b32_e64 v33, 0, v58, s18
	v_fma_f64 v[34:35], v[69:70], v[34:35], s[40:41]
	v_fma_f64 v[87:88], v[89:90], s[30:31], v[16:17]
	;; [unrolled: 1-line block ×5, first 2 shown]
	v_cndmask_b32_e64 v74, 0x7ff00000, v74, s25
	v_fma_f64 v[36:37], v[63:64], s[28:29], v[2:3]
	v_fma_f64 v[30:31], v[69:70], v[34:35], s[42:43]
	v_cndmask_b32_e64 v34, 0, v51, s15
	s_and_b32 s15, s18, s17
	v_cndmask_b32_e64 v35, 0, v52, s16
	v_cndmask_b32_e64 v32, 0, v57, s15
	v_fma_f64 v[56:57], v[87:88], s[38:39], s[34:35]
	v_fma_f64 v[16:17], v[61:62], v[16:17], s[40:41]
	;; [unrolled: 1-line block ×3, first 2 shown]
	v_add_f64 v[24:25], v[34:35], 0
	v_fma_f64 v[51:52], v[53:54], s[30:31], v[26:27]
	v_fma_f64 v[83:84], v[81:82], v[83:84], s[54:55]
	s_and_b32 s15, s20, s19
	v_fma_f64 v[36:37], v[63:64], s[30:31], v[36:37]
	v_cndmask_b32_e64 v27, 0, v48, s22
	v_cmp_ngt_f64_e64 s16, 0xc090cc00, v[22:23]
	s_and_b32 s17, s26, s25
	v_cmp_ngt_f64_e64 s18, 0xc090cc00, v[18:19]
	v_cvt_i32_f64_e32 v53, v[53:54]
	v_fma_f64 v[58:59], v[69:70], v[30:31], s[44:45]
	v_cndmask_b32_e64 v30, 0, v55, s15
	v_cndmask_b32_e64 v31, 0, v93, s20
	v_cvt_i32_f64_e32 v93, v[71:72]
	s_and_b32 s15, s22, s21
	v_fma_f64 v[55:56], v[87:88], v[56:57], s[40:41]
	v_fma_f64 v[16:17], v[61:62], v[16:17], s[42:43]
	;; [unrolled: 1-line block ×3, first 2 shown]
	v_add_f64 v[71:72], v[24:25], v[32:33]
	v_cndmask_b32_e64 v26, 0, v47, s15
	v_fma_f64 v[47:48], v[51:52], s[38:39], s[34:35]
	s_and_b32 s15, s24, s23
	v_cndmask_b32_e64 v25, 0, v39, s24
	v_cndmask_b32_e64 v24, 0, v38, s15
	v_fma_f64 v[38:39], v[36:37], s[38:39], s[34:35]
	v_cmp_nlt_f64_e64 s15, 0x40900000, v[22:23]
	v_fma_f64 v[57:58], v[69:70], v[58:59], s[54:55]
	v_fma_f64 v[59:60], v[81:82], v[83:84], s[52:53]
	v_ldexp_f64 v[49:50], v[49:50], v93
	v_fma_f64 v[55:56], v[87:88], v[55:56], s[42:43]
	v_fma_f64 v[16:17], v[61:62], v[16:17], s[44:45]
	;; [unrolled: 1-line block ×3, first 2 shown]
	v_add_f64 v[71:72], v[71:72], v[30:31]
	v_fma_f64 v[47:48], v[51:52], v[47:48], s[40:41]
	v_fma_f64 v[38:39], v[36:37], v[38:39], s[40:41]
	v_cndmask_b32_e64 v78, 0x7ff00000, v78, s15
	s_and_b32 s15, s16, s15
	s_delay_alu instid0(SALU_CYCLE_1) | instskip(SKIP_1) | instid1(VALU_DEP_3)
	v_cndmask_b32_e64 v22, 0, v77, s15
	v_cmp_nlt_f64_e64 s15, 0x40900000, v[20:21]
	v_cndmask_b32_e64 v23, 0, v78, s16
	v_cmp_ngt_f64_e64 s16, 0xc090cc00, v[20:21]
	v_fma_f64 v[57:58], v[69:70], v[57:58], s[52:53]
	v_fma_f64 v[59:60], v[81:82], v[59:60], s[50:51]
	;; [unrolled: 1-line block ×5, first 2 shown]
	v_add_f64 v[71:72], v[71:72], v[26:27]
	v_fma_f64 v[47:48], v[51:52], v[47:48], s[42:43]
	v_fma_f64 v[38:39], v[36:37], v[38:39], s[42:43]
	v_cndmask_b32_e64 v50, 0x7ff00000, v50, s15
	s_and_b32 s15, s16, s15
	v_fma_f64 v[57:58], v[69:70], v[57:58], s[50:51]
	v_fma_f64 v[59:60], v[81:82], v[59:60], s[48:49]
	;; [unrolled: 1-line block ×5, first 2 shown]
	v_add_f64 v[71:72], v[71:72], v[24:25]
	v_fma_f64 v[47:48], v[51:52], v[47:48], s[44:45]
	v_fma_f64 v[38:39], v[36:37], v[38:39], s[44:45]
	;; [unrolled: 1-line block ×7, first 2 shown]
	v_cndmask_b32_e64 v29, 0, v74, s26
	v_cndmask_b32_e64 v28, 0, v73, s17
	v_fma_f64 v[47:48], v[51:52], v[47:48], s[54:55]
	v_cmp_nlt_f64_e64 s17, 0x40900000, v[18:19]
	s_delay_alu instid0(VALU_DEP_3)
	v_add_f64 v[71:72], v[71:72], v[28:29]
	v_fma_f64 v[38:39], v[36:37], v[38:39], s[54:55]
	v_fma_f64 v[57:58], v[69:70], v[57:58], s[46:47]
	v_fma_f64 v[59:60], v[81:82], v[59:60], 1.0
	v_fma_f64 v[55:56], v[87:88], v[55:56], s[50:51]
	v_fma_f64 v[16:17], v[61:62], v[16:17], s[48:49]
	v_fma_f64 v[73:74], v[91:92], v[83:84], s[46:47]
	v_fma_f64 v[47:48], v[51:52], v[47:48], s[52:53]
	v_cndmask_b32_e64 v80, 0x7ff00000, v80, s17
	s_and_b32 s17, s18, s17
	v_add_f64 v[18:19], v[71:72], v[22:23]
	v_fma_f64 v[38:39], v[36:37], v[38:39], s[52:53]
	s_delay_alu instid0(VALU_DEP_3)
	v_cndmask_b32_e64 v21, 0, v80, s18
	v_cndmask_b32_e64 v20, 0, v79, s17
	v_cvt_i32_f64_e32 v71, v[67:68]
	v_cmp_nlt_f64_e64 s17, 0x40900000, v[10:11]
	v_cmp_ngt_f64_e64 s18, 0xc090cc00, v[10:11]
	v_cvt_i32_f64_e32 v72, v[75:76]
	v_fma_f64 v[57:58], v[69:70], v[57:58], 1.0
	v_fma_f64 v[59:60], v[81:82], v[59:60], 1.0
	v_fma_f64 v[55:56], v[87:88], v[55:56], s[48:49]
	v_fma_f64 v[16:17], v[61:62], v[16:17], s[46:47]
	v_fma_f64 v[67:68], v[91:92], v[73:74], 1.0
	v_fma_f64 v[47:48], v[51:52], v[47:48], s[50:51]
	v_fma_f64 v[38:39], v[36:37], v[38:39], s[50:51]
	v_fma_f64 v[57:58], v[69:70], v[57:58], 1.0
	v_add_f64 v[69:70], v[18:19], v[20:21]
	v_ldexp_f64 v[59:60], v[59:60], v85
	v_cndmask_b32_e64 v19, 0, v50, s16
	v_cndmask_b32_e64 v18, 0, v49, s15
	v_fma_f64 v[55:56], v[87:88], v[55:56], s[46:47]
	v_fma_f64 v[16:17], v[61:62], v[16:17], 1.0
	v_fma_f64 v[67:68], v[91:92], v[67:68], 1.0
	v_cmp_nlt_f64_e64 s15, 0x40900000, v[14:15]
	v_cmp_ngt_f64_e64 s16, 0xc090cc00, v[14:15]
	v_fma_f64 v[47:48], v[51:52], v[47:48], s[48:49]
	v_fma_f64 v[38:39], v[36:37], v[38:39], s[48:49]
	v_ldexp_f64 v[57:58], v[57:58], v71
	v_add_f64 v[10:11], v[69:70], v[18:19]
	v_cndmask_b32_e64 v71, 0x7ff00000, v60, s17
	s_and_b32 s17, s18, s17
	v_fma_f64 v[49:50], v[87:88], v[55:56], 1.0
	v_fma_f64 v[55:56], v[61:62], v[16:17], 1.0
	s_delay_alu instid0(VALU_DEP_3)
	v_cndmask_b32_e64 v17, 0, v71, s18
	v_cndmask_b32_e64 v16, 0, v59, s17
	v_ldexp_f64 v[60:61], v[67:68], v72
	v_fma_f64 v[47:48], v[51:52], v[47:48], s[46:47]
	v_cmp_nlt_f64_e64 s17, 0x40900000, v[6:7]
	v_cmp_ngt_f64_e64 s18, 0xc090cc00, v[6:7]
	v_cvt_i32_f64_e32 v59, v[89:90]
	v_fma_f64 v[38:39], v[36:37], v[38:39], s[46:47]
	v_cndmask_b32_e64 v58, 0x7ff00000, v58, s15
	v_add_f64 v[10:11], v[10:11], v[16:17]
	s_and_b32 s15, s16, s15
	s_delay_alu instid0(SALU_CYCLE_1) | instskip(NEXT) | instid1(VALU_DEP_3)
	v_cndmask_b32_e64 v14, 0, v57, s15
	v_cndmask_b32_e64 v15, 0, v58, s16
	v_fma_f64 v[49:50], v[87:88], v[49:50], 1.0
	v_ldexp_f64 v[55:56], v[55:56], v65
	v_cmp_nlt_f64_e64 s15, 0x40900000, v[12:13]
	v_cmp_ngt_f64_e64 s16, 0xc090cc00, v[12:13]
	v_fma_f64 v[47:48], v[51:52], v[47:48], 1.0
	v_cndmask_b32_e64 v61, 0x7ff00000, v61, s17
	s_and_b32 s17, s18, s17
	s_delay_alu instid0(SALU_CYCLE_1) | instskip(SKIP_1) | instid1(VALU_DEP_3)
	v_cndmask_b32_e64 v12, 0, v60, s17
	v_cmp_nlt_f64_e64 s17, 0x40900000, v[4:5]
	v_cndmask_b32_e64 v13, 0, v61, s18
	v_cmp_ngt_f64_e64 s18, 0xc090cc00, v[4:5]
	v_add_f64 v[6:7], v[10:11], v[14:15]
	v_fma_f64 v[10:11], v[36:37], v[38:39], 1.0
	v_fma_f64 v[38:39], v[51:52], v[47:48], 1.0
	v_ldexp_f64 v[47:48], v[49:50], v59
	v_cndmask_b32_e64 v49, 0x7ff00000, v56, s15
	s_and_b32 s15, s16, s15
	v_cvt_i32_f64_e32 v50, v[63:64]
	v_add_f64 v[6:7], v[6:7], v[12:13]
	v_fma_f64 v[36:37], v[36:37], v[10:11], 1.0
	v_cndmask_b32_e64 v11, 0, v49, s16
	v_cndmask_b32_e64 v10, 0, v55, s15
	v_cmp_nlt_f64_e64 s15, 0x40900000, v[8:9]
	v_cmp_ngt_f64_e64 s16, 0xc090cc00, v[8:9]
	v_ldexp_f64 v[38:39], v[38:39], v53
	v_cndmask_b32_e64 v48, 0x7ff00000, v48, s17
	s_and_b32 s17, s18, s17
	v_add_f64 v[4:5], v[6:7], v[10:11]
	s_delay_alu instid0(VALU_DEP_2)
	v_cndmask_b32_e64 v7, 0, v48, s18
	v_cndmask_b32_e64 v6, 0, v47, s17
	v_ldexp_f64 v[36:37], v[36:37], v50
	v_cmp_nlt_f64_e64 s17, 0x40900000, v[2:3]
	v_cmp_ngt_f64_e64 s18, 0xc090cc00, v[2:3]
	v_cndmask_b32_e64 v39, 0x7ff00000, v39, s15
	s_and_b32 s15, s16, s15
	v_add_f64 v[8:9], v[4:5], v[6:7]
	s_delay_alu instid0(VALU_DEP_2) | instskip(SKIP_4) | instid1(SALU_CYCLE_1)
	v_cndmask_b32_e64 v5, 0, v39, s16
	v_cndmask_b32_e64 v4, 0, v38, s15
	s_mov_b32 s16, exec_lo
	v_cndmask_b32_e64 v37, 0x7ff00000, v37, s17
	s_and_b32 s15, s18, s17
	v_cndmask_b32_e64 v2, 0, v36, s15
	s_delay_alu instid0(VALU_DEP_2) | instskip(SKIP_1) | instid1(VALU_DEP_1)
	v_cndmask_b32_e64 v3, 0, v37, s18
	v_add_f64 v[8:9], v[8:9], v[4:5]
	v_add_f64 v[8:9], v[8:9], v[2:3]
	ds_bpermute_b32 v36, v41, v8
	ds_bpermute_b32 v37, v41, v9
	s_waitcnt lgkmcnt(0)
	v_add_f64 v[8:9], v[8:9], v[36:37]
	ds_bpermute_b32 v36, v42, v8
	ds_bpermute_b32 v37, v42, v9
	s_waitcnt lgkmcnt(0)
	;; [unrolled: 4-line block ×5, first 2 shown]
	v_add_f64 v[8:9], v[8:9], v[36:37]
	ds_bpermute_b32 v36, v46, v8
	ds_bpermute_b32 v37, v46, v9
	v_cmpx_lt_i32_e32 0, v40
	s_cbranch_execz .LBB374_50
; %bb.33:
	s_and_b32 exec_lo, exec_lo, vcc_lo
	s_cbranch_execz .LBB374_50
; %bb.34:
	s_waitcnt lgkmcnt(0)
	v_add_f64 v[8:9], v[8:9], v[36:37]
	s_delay_alu instid0(VALU_DEP_1) | instskip(SKIP_2) | instid1(VALU_DEP_3)
	v_div_scale_f64 v[36:37], null, v[8:9], v[8:9], v[34:35]
	v_div_scale_f64 v[42:43], vcc_lo, v[34:35], v[8:9], v[34:35]
	v_cmp_eq_f64_e64 s15, 0, v[8:9]
	v_rcp_f64_e32 v[38:39], v[36:37]
	s_waitcnt_depctr 0xfff
	v_fma_f64 v[40:41], -v[36:37], v[38:39], 1.0
	s_delay_alu instid0(VALU_DEP_1) | instskip(NEXT) | instid1(VALU_DEP_1)
	v_fma_f64 v[38:39], v[38:39], v[40:41], v[38:39]
	v_fma_f64 v[40:41], -v[36:37], v[38:39], 1.0
	s_delay_alu instid0(VALU_DEP_1) | instskip(NEXT) | instid1(VALU_DEP_1)
	v_fma_f64 v[38:39], v[38:39], v[40:41], v[38:39]
	v_mul_f64 v[40:41], v[42:43], v[38:39]
	s_delay_alu instid0(VALU_DEP_1) | instskip(NEXT) | instid1(VALU_DEP_1)
	v_fma_f64 v[36:37], -v[36:37], v[40:41], v[42:43]
	v_div_fmas_f64 v[36:37], v[36:37], v[38:39], v[40:41]
	v_add_co_u32 v0, vcc_lo, s36, v0
	v_add_co_ci_u32_e32 v1, vcc_lo, s37, v1, vcc_lo
	s_delay_alu instid0(VALU_DEP_3) | instskip(NEXT) | instid1(VALU_DEP_1)
	v_div_fixup_f64 v[34:35], v[36:37], v[8:9], v[34:35]
	v_cndmask_b32_e64 v35, v35, 0x7ff80000, s15
	s_delay_alu instid0(VALU_DEP_2)
	v_cndmask_b32_e64 v34, v34, 0, s15
	global_store_b64 v[0:1], v[34:35], off
	s_and_b32 exec_lo, exec_lo, s14
	s_cbranch_execz .LBB374_50
; %bb.35:
	v_div_scale_f64 v[34:35], null, v[8:9], v[8:9], v[32:33]
	v_div_scale_f64 v[40:41], vcc_lo, v[32:33], v[8:9], v[32:33]
	s_delay_alu instid0(VALU_DEP_2) | instskip(SKIP_2) | instid1(VALU_DEP_1)
	v_rcp_f64_e32 v[36:37], v[34:35]
	s_waitcnt_depctr 0xfff
	v_fma_f64 v[38:39], -v[34:35], v[36:37], 1.0
	v_fma_f64 v[36:37], v[36:37], v[38:39], v[36:37]
	s_delay_alu instid0(VALU_DEP_1) | instskip(NEXT) | instid1(VALU_DEP_1)
	v_fma_f64 v[38:39], -v[34:35], v[36:37], 1.0
	v_fma_f64 v[36:37], v[36:37], v[38:39], v[36:37]
	s_delay_alu instid0(VALU_DEP_1) | instskip(NEXT) | instid1(VALU_DEP_1)
	v_mul_f64 v[38:39], v[40:41], v[36:37]
	v_fma_f64 v[34:35], -v[34:35], v[38:39], v[40:41]
	s_delay_alu instid0(VALU_DEP_1) | instskip(NEXT) | instid1(VALU_DEP_1)
	v_div_fmas_f64 v[34:35], v[34:35], v[36:37], v[38:39]
	v_div_fixup_f64 v[32:33], v[34:35], v[8:9], v[32:33]
	s_delay_alu instid0(VALU_DEP_1) | instskip(NEXT) | instid1(VALU_DEP_2)
	v_cndmask_b32_e64 v33, v33, 0x7ff80000, s15
	v_cndmask_b32_e64 v32, v32, 0, s15
	global_store_b64 v[0:1], v[32:33], off offset:512
	s_and_b32 exec_lo, exec_lo, s13
	s_cbranch_execz .LBB374_50
; %bb.36:
	v_div_scale_f64 v[32:33], null, v[8:9], v[8:9], v[30:31]
	v_div_scale_f64 v[38:39], vcc_lo, v[30:31], v[8:9], v[30:31]
	s_delay_alu instid0(VALU_DEP_2) | instskip(SKIP_2) | instid1(VALU_DEP_1)
	v_rcp_f64_e32 v[34:35], v[32:33]
	s_waitcnt_depctr 0xfff
	v_fma_f64 v[36:37], -v[32:33], v[34:35], 1.0
	v_fma_f64 v[34:35], v[34:35], v[36:37], v[34:35]
	s_delay_alu instid0(VALU_DEP_1) | instskip(NEXT) | instid1(VALU_DEP_1)
	v_fma_f64 v[36:37], -v[32:33], v[34:35], 1.0
	v_fma_f64 v[34:35], v[34:35], v[36:37], v[34:35]
	s_delay_alu instid0(VALU_DEP_1) | instskip(NEXT) | instid1(VALU_DEP_1)
	v_mul_f64 v[36:37], v[38:39], v[34:35]
	v_fma_f64 v[32:33], -v[32:33], v[36:37], v[38:39]
	s_delay_alu instid0(VALU_DEP_1) | instskip(NEXT) | instid1(VALU_DEP_1)
	v_div_fmas_f64 v[32:33], v[32:33], v[34:35], v[36:37]
	v_div_fixup_f64 v[30:31], v[32:33], v[8:9], v[30:31]
	s_delay_alu instid0(VALU_DEP_1) | instskip(NEXT) | instid1(VALU_DEP_2)
	v_cndmask_b32_e64 v31, v31, 0x7ff80000, s15
	v_cndmask_b32_e64 v30, v30, 0, s15
	global_store_b64 v[0:1], v[30:31], off offset:1024
	;; [unrolled: 23-line block ×7, first 2 shown]
	s_and_b32 exec_lo, exec_lo, s7
	s_cbranch_execz .LBB374_50
; %bb.42:
	v_div_scale_f64 v[20:21], null, v[8:9], v[8:9], v[18:19]
	v_div_scale_f64 v[26:27], vcc_lo, v[18:19], v[8:9], v[18:19]
	s_delay_alu instid0(VALU_DEP_2) | instskip(SKIP_2) | instid1(VALU_DEP_1)
	v_rcp_f64_e32 v[22:23], v[20:21]
	s_waitcnt_depctr 0xfff
	v_fma_f64 v[24:25], -v[20:21], v[22:23], 1.0
	v_fma_f64 v[22:23], v[22:23], v[24:25], v[22:23]
	s_delay_alu instid0(VALU_DEP_1) | instskip(NEXT) | instid1(VALU_DEP_1)
	v_fma_f64 v[24:25], -v[20:21], v[22:23], 1.0
	v_fma_f64 v[22:23], v[22:23], v[24:25], v[22:23]
	s_delay_alu instid0(VALU_DEP_1) | instskip(NEXT) | instid1(VALU_DEP_1)
	v_mul_f64 v[24:25], v[26:27], v[22:23]
	v_fma_f64 v[20:21], -v[20:21], v[24:25], v[26:27]
	s_delay_alu instid0(VALU_DEP_1) | instskip(SKIP_2) | instid1(VALU_DEP_3)
	v_div_fmas_f64 v[20:21], v[20:21], v[22:23], v[24:25]
	v_add_co_u32 v0, vcc_lo, 0x1000, v0
	v_add_co_ci_u32_e32 v1, vcc_lo, 0, v1, vcc_lo
	v_div_fixup_f64 v[18:19], v[20:21], v[8:9], v[18:19]
	s_delay_alu instid0(VALU_DEP_1) | instskip(NEXT) | instid1(VALU_DEP_2)
	v_cndmask_b32_e64 v19, v19, 0x7ff80000, s15
	v_cndmask_b32_e64 v18, v18, 0, s15
	global_store_b64 v[0:1], v[18:19], off
	s_and_b32 exec_lo, exec_lo, s6
	s_cbranch_execz .LBB374_50
; %bb.43:
	v_div_scale_f64 v[18:19], null, v[8:9], v[8:9], v[16:17]
	v_div_scale_f64 v[24:25], vcc_lo, v[16:17], v[8:9], v[16:17]
	s_delay_alu instid0(VALU_DEP_2) | instskip(SKIP_2) | instid1(VALU_DEP_1)
	v_rcp_f64_e32 v[20:21], v[18:19]
	s_waitcnt_depctr 0xfff
	v_fma_f64 v[22:23], -v[18:19], v[20:21], 1.0
	v_fma_f64 v[20:21], v[20:21], v[22:23], v[20:21]
	s_delay_alu instid0(VALU_DEP_1) | instskip(NEXT) | instid1(VALU_DEP_1)
	v_fma_f64 v[22:23], -v[18:19], v[20:21], 1.0
	v_fma_f64 v[20:21], v[20:21], v[22:23], v[20:21]
	s_delay_alu instid0(VALU_DEP_1) | instskip(NEXT) | instid1(VALU_DEP_1)
	v_mul_f64 v[22:23], v[24:25], v[20:21]
	v_fma_f64 v[18:19], -v[18:19], v[22:23], v[24:25]
	s_delay_alu instid0(VALU_DEP_1) | instskip(NEXT) | instid1(VALU_DEP_1)
	v_div_fmas_f64 v[18:19], v[18:19], v[20:21], v[22:23]
	v_div_fixup_f64 v[16:17], v[18:19], v[8:9], v[16:17]
	s_delay_alu instid0(VALU_DEP_1) | instskip(NEXT) | instid1(VALU_DEP_2)
	v_cndmask_b32_e64 v17, v17, 0x7ff80000, s15
	v_cndmask_b32_e64 v16, v16, 0, s15
	global_store_b64 v[0:1], v[16:17], off offset:512
	s_and_b32 exec_lo, exec_lo, s5
	s_cbranch_execz .LBB374_50
; %bb.44:
	v_div_scale_f64 v[16:17], null, v[8:9], v[8:9], v[14:15]
	v_div_scale_f64 v[22:23], vcc_lo, v[14:15], v[8:9], v[14:15]
	s_delay_alu instid0(VALU_DEP_2) | instskip(SKIP_2) | instid1(VALU_DEP_1)
	v_rcp_f64_e32 v[18:19], v[16:17]
	s_waitcnt_depctr 0xfff
	v_fma_f64 v[20:21], -v[16:17], v[18:19], 1.0
	v_fma_f64 v[18:19], v[18:19], v[20:21], v[18:19]
	s_delay_alu instid0(VALU_DEP_1) | instskip(NEXT) | instid1(VALU_DEP_1)
	v_fma_f64 v[20:21], -v[16:17], v[18:19], 1.0
	v_fma_f64 v[18:19], v[18:19], v[20:21], v[18:19]
	s_delay_alu instid0(VALU_DEP_1) | instskip(NEXT) | instid1(VALU_DEP_1)
	v_mul_f64 v[20:21], v[22:23], v[18:19]
	v_fma_f64 v[16:17], -v[16:17], v[20:21], v[22:23]
	s_delay_alu instid0(VALU_DEP_1) | instskip(NEXT) | instid1(VALU_DEP_1)
	v_div_fmas_f64 v[16:17], v[16:17], v[18:19], v[20:21]
	v_div_fixup_f64 v[14:15], v[16:17], v[8:9], v[14:15]
	s_delay_alu instid0(VALU_DEP_1) | instskip(NEXT) | instid1(VALU_DEP_2)
	v_cndmask_b32_e64 v15, v15, 0x7ff80000, s15
	v_cndmask_b32_e64 v14, v14, 0, s15
	global_store_b64 v[0:1], v[14:15], off offset:1024
	;; [unrolled: 23-line block ×7, first 2 shown]
.LBB374_50:
	s_nop 0
	s_sendmsg sendmsg(MSG_DEALLOC_VGPRS)
	s_endpgm
	.section	.rodata,"a",@progbits
	.p2align	6, 0x0
	.amdhsa_kernel _ZN12_GLOBAL__N_120softmax_warp_forwardIdddLi10ELb0ELb0ELi64EEEvPT0_PKT_iiiPKbib
		.amdhsa_group_segment_fixed_size 0
		.amdhsa_private_segment_fixed_size 0
		.amdhsa_kernarg_size 304
		.amdhsa_user_sgpr_count 15
		.amdhsa_user_sgpr_dispatch_ptr 0
		.amdhsa_user_sgpr_queue_ptr 0
		.amdhsa_user_sgpr_kernarg_segment_ptr 1
		.amdhsa_user_sgpr_dispatch_id 0
		.amdhsa_user_sgpr_private_segment_size 0
		.amdhsa_wavefront_size32 1
		.amdhsa_uses_dynamic_stack 0
		.amdhsa_enable_private_segment 0
		.amdhsa_system_sgpr_workgroup_id_x 1
		.amdhsa_system_sgpr_workgroup_id_y 0
		.amdhsa_system_sgpr_workgroup_id_z 0
		.amdhsa_system_sgpr_workgroup_info 0
		.amdhsa_system_vgpr_workitem_id 1
		.amdhsa_next_free_vgpr 97
		.amdhsa_next_free_sgpr 56
		.amdhsa_reserve_vcc 1
		.amdhsa_float_round_mode_32 0
		.amdhsa_float_round_mode_16_64 0
		.amdhsa_float_denorm_mode_32 3
		.amdhsa_float_denorm_mode_16_64 3
		.amdhsa_dx10_clamp 1
		.amdhsa_ieee_mode 1
		.amdhsa_fp16_overflow 0
		.amdhsa_workgroup_processor_mode 1
		.amdhsa_memory_ordered 1
		.amdhsa_forward_progress 0
		.amdhsa_shared_vgpr_count 0
		.amdhsa_exception_fp_ieee_invalid_op 0
		.amdhsa_exception_fp_denorm_src 0
		.amdhsa_exception_fp_ieee_div_zero 0
		.amdhsa_exception_fp_ieee_overflow 0
		.amdhsa_exception_fp_ieee_underflow 0
		.amdhsa_exception_fp_ieee_inexact 0
		.amdhsa_exception_int_div_zero 0
	.end_amdhsa_kernel
	.section	.text._ZN12_GLOBAL__N_120softmax_warp_forwardIdddLi10ELb0ELb0ELi64EEEvPT0_PKT_iiiPKbib,"axG",@progbits,_ZN12_GLOBAL__N_120softmax_warp_forwardIdddLi10ELb0ELb0ELi64EEEvPT0_PKT_iiiPKbib,comdat
.Lfunc_end374:
	.size	_ZN12_GLOBAL__N_120softmax_warp_forwardIdddLi10ELb0ELb0ELi64EEEvPT0_PKT_iiiPKbib, .Lfunc_end374-_ZN12_GLOBAL__N_120softmax_warp_forwardIdddLi10ELb0ELb0ELi64EEEvPT0_PKT_iiiPKbib
                                        ; -- End function
	.section	.AMDGPU.csdata,"",@progbits
; Kernel info:
; codeLenInByte = 8100
; NumSgprs: 58
; NumVgprs: 97
; ScratchSize: 0
; MemoryBound: 0
; FloatMode: 240
; IeeeMode: 1
; LDSByteSize: 0 bytes/workgroup (compile time only)
; SGPRBlocks: 7
; VGPRBlocks: 12
; NumSGPRsForWavesPerEU: 58
; NumVGPRsForWavesPerEU: 97
; Occupancy: 12
; WaveLimiterHint : 0
; COMPUTE_PGM_RSRC2:SCRATCH_EN: 0
; COMPUTE_PGM_RSRC2:USER_SGPR: 15
; COMPUTE_PGM_RSRC2:TRAP_HANDLER: 0
; COMPUTE_PGM_RSRC2:TGID_X_EN: 1
; COMPUTE_PGM_RSRC2:TGID_Y_EN: 0
; COMPUTE_PGM_RSRC2:TGID_Z_EN: 0
; COMPUTE_PGM_RSRC2:TIDIG_COMP_CNT: 1
	.section	.text._ZN12_GLOBAL__N_120softmax_warp_forwardIdddLi10ELb0ELb0ELi32EEEvPT0_PKT_iiiPKbib,"axG",@progbits,_ZN12_GLOBAL__N_120softmax_warp_forwardIdddLi10ELb0ELb0ELi32EEEvPT0_PKT_iiiPKbib,comdat
	.globl	_ZN12_GLOBAL__N_120softmax_warp_forwardIdddLi10ELb0ELb0ELi32EEEvPT0_PKT_iiiPKbib ; -- Begin function _ZN12_GLOBAL__N_120softmax_warp_forwardIdddLi10ELb0ELb0ELi32EEEvPT0_PKT_iiiPKbib
	.p2align	8
	.type	_ZN12_GLOBAL__N_120softmax_warp_forwardIdddLi10ELb0ELb0ELi32EEEvPT0_PKT_iiiPKbib,@function
_ZN12_GLOBAL__N_120softmax_warp_forwardIdddLi10ELb0ELb0ELi32EEEvPT0_PKT_iiiPKbib: ; @_ZN12_GLOBAL__N_120softmax_warp_forwardIdddLi10ELb0ELb0ELi32EEEvPT0_PKT_iiiPKbib
; %bb.0:
	s_clause 0x1
	s_load_b32 s2, s[0:1], 0x3c
	s_load_b256 s[36:43], s[0:1], 0x0
	v_bfe_u32 v1, v0, 10, 10
	v_mov_b32_e32 v4, 0
	v_mov_b32_e32 v5, 0xfff00000
	v_and_b32_e32 v66, 0x3ff, v0
	s_waitcnt lgkmcnt(0)
	s_lshr_b32 s0, s2, 16
	s_delay_alu instid0(SALU_CYCLE_1) | instskip(NEXT) | instid1(VALU_DEP_1)
	v_mad_u64_u32 v[2:3], null, s15, s0, v[1:2]
	v_mad_u64_u32 v[0:1], null, v2, s41, v[66:67]
	v_sub_nc_u32_e32 v70, s40, v2
	v_dual_mov_b32 v2, v4 :: v_dual_mov_b32 v3, v5
	v_cmp_gt_i32_e32 vcc_lo, s42, v66
	s_delay_alu instid0(VALU_DEP_3) | instskip(SKIP_1) | instid1(VALU_DEP_2)
	v_cmp_lt_i32_e64 s31, 0, v70
	v_ashrrev_i32_e32 v1, 31, v0
	s_and_b32 s1, s31, vcc_lo
	s_delay_alu instid0(VALU_DEP_1) | instskip(NEXT) | instid1(VALU_DEP_1)
	v_lshlrev_b64 v[0:1], 3, v[0:1]
	v_add_co_u32 v67, s0, s38, v0
	s_delay_alu instid0(VALU_DEP_1)
	v_add_co_ci_u32_e64 v68, s0, s39, v1, s0
	s_and_saveexec_b32 s0, s1
	s_cbranch_execz .LBB375_2
; %bb.1:
	global_load_b64 v[2:3], v[67:68], off
.LBB375_2:
	s_or_b32 exec_lo, exec_lo, s0
	v_add_nc_u32_e32 v6, 32, v66
	s_delay_alu instid0(VALU_DEP_1) | instskip(NEXT) | instid1(VALU_DEP_1)
	v_cmp_gt_i32_e64 s30, s42, v6
	s_and_b32 s1, s31, s30
	s_delay_alu instid0(SALU_CYCLE_1)
	s_and_saveexec_b32 s0, s1
	s_cbranch_execz .LBB375_4
; %bb.3:
	global_load_b64 v[4:5], v[67:68], off offset:256
.LBB375_4:
	s_or_b32 exec_lo, exec_lo, s0
	v_add_nc_u32_e32 v6, 64, v66
	v_mov_b32_e32 v8, 0
	v_mov_b32_e32 v9, 0xfff00000
	s_delay_alu instid0(VALU_DEP_3) | instskip(NEXT) | instid1(VALU_DEP_2)
	v_cmp_gt_i32_e64 s29, s42, v6
	v_dual_mov_b32 v6, v8 :: v_dual_mov_b32 v7, v9
	s_delay_alu instid0(VALU_DEP_2) | instskip(NEXT) | instid1(SALU_CYCLE_1)
	s_and_b32 s1, s31, s29
	s_and_saveexec_b32 s0, s1
	s_cbranch_execz .LBB375_6
; %bb.5:
	global_load_b64 v[6:7], v[67:68], off offset:512
.LBB375_6:
	s_or_b32 exec_lo, exec_lo, s0
	v_add_nc_u32_e32 v10, 0x60, v66
	s_delay_alu instid0(VALU_DEP_1) | instskip(NEXT) | instid1(VALU_DEP_1)
	v_cmp_gt_i32_e64 s28, s42, v10
	s_and_b32 s1, s31, s28
	s_delay_alu instid0(SALU_CYCLE_1)
	s_and_saveexec_b32 s0, s1
	s_cbranch_execz .LBB375_8
; %bb.7:
	global_load_b64 v[8:9], v[67:68], off offset:768
.LBB375_8:
	s_or_b32 exec_lo, exec_lo, s0
	v_mov_b32_e32 v12, 0
	v_mov_b32_e32 v13, 0xfff00000
	v_add_nc_u32_e32 v10, 0x80, v66
	s_delay_alu instid0(VALU_DEP_1) | instskip(NEXT) | instid1(VALU_DEP_3)
	v_cmp_gt_i32_e64 s27, s42, v10
	v_dual_mov_b32 v10, v12 :: v_dual_mov_b32 v11, v13
	s_delay_alu instid0(VALU_DEP_2) | instskip(NEXT) | instid1(SALU_CYCLE_1)
	s_and_b32 s1, s31, s27
	s_and_saveexec_b32 s0, s1
	s_cbranch_execz .LBB375_10
; %bb.9:
	global_load_b64 v[10:11], v[67:68], off offset:1024
.LBB375_10:
	s_or_b32 exec_lo, exec_lo, s0
	v_add_nc_u32_e32 v14, 0xa0, v66
	s_delay_alu instid0(VALU_DEP_1) | instskip(NEXT) | instid1(VALU_DEP_1)
	v_cmp_gt_i32_e64 s26, s42, v14
	s_and_b32 s1, s31, s26
	s_delay_alu instid0(SALU_CYCLE_1)
	s_and_saveexec_b32 s0, s1
	s_cbranch_execz .LBB375_12
; %bb.11:
	global_load_b64 v[12:13], v[67:68], off offset:1280
.LBB375_12:
	s_or_b32 exec_lo, exec_lo, s0
	v_mov_b32_e32 v16, 0
	v_mov_b32_e32 v17, 0xfff00000
	v_add_nc_u32_e32 v14, 0xc0, v66
	s_delay_alu instid0(VALU_DEP_1) | instskip(NEXT) | instid1(VALU_DEP_3)
	;; [unrolled: 25-line block ×7, first 2 shown]
	v_cmp_gt_i32_e64 s15, s42, v34
	v_dual_mov_b32 v34, v36 :: v_dual_mov_b32 v35, v37
	s_delay_alu instid0(VALU_DEP_2) | instskip(NEXT) | instid1(SALU_CYCLE_1)
	s_and_b32 s0, s31, s15
	s_and_saveexec_b32 s1, s0
	s_cbranch_execz .LBB375_34
; %bb.33:
	v_add_co_u32 v34, s0, 0x1000, v67
	s_delay_alu instid0(VALU_DEP_1)
	v_add_co_ci_u32_e64 v35, s0, 0, v68, s0
	global_load_b64 v[34:35], v[34:35], off
.LBB375_34:
	s_or_b32 exec_lo, exec_lo, s1
	v_add_nc_u32_e32 v38, 0x220, v66
	s_delay_alu instid0(VALU_DEP_1) | instskip(NEXT) | instid1(VALU_DEP_1)
	v_cmp_gt_i32_e64 s14, s42, v38
	s_and_b32 s0, s31, s14
	s_delay_alu instid0(SALU_CYCLE_1)
	s_and_saveexec_b32 s1, s0
	s_cbranch_execz .LBB375_36
; %bb.35:
	v_add_co_u32 v36, s0, 0x1000, v67
	s_delay_alu instid0(VALU_DEP_1)
	v_add_co_ci_u32_e64 v37, s0, 0, v68, s0
	global_load_b64 v[36:37], v[36:37], off offset:256
.LBB375_36:
	s_or_b32 exec_lo, exec_lo, s1
	v_mov_b32_e32 v40, 0
	v_mov_b32_e32 v41, 0xfff00000
	v_add_nc_u32_e32 v38, 0x240, v66
	s_delay_alu instid0(VALU_DEP_1) | instskip(NEXT) | instid1(VALU_DEP_3)
	v_cmp_gt_i32_e64 s13, s42, v38
	v_dual_mov_b32 v38, v40 :: v_dual_mov_b32 v39, v41
	s_delay_alu instid0(VALU_DEP_2) | instskip(NEXT) | instid1(SALU_CYCLE_1)
	s_and_b32 s0, s31, s13
	s_and_saveexec_b32 s1, s0
	s_cbranch_execz .LBB375_38
; %bb.37:
	v_add_co_u32 v38, s0, 0x1000, v67
	s_delay_alu instid0(VALU_DEP_1)
	v_add_co_ci_u32_e64 v39, s0, 0, v68, s0
	global_load_b64 v[38:39], v[38:39], off offset:512
.LBB375_38:
	s_or_b32 exec_lo, exec_lo, s1
	v_add_nc_u32_e32 v42, 0x260, v66
	s_delay_alu instid0(VALU_DEP_1) | instskip(NEXT) | instid1(VALU_DEP_1)
	v_cmp_gt_i32_e64 s12, s42, v42
	s_and_b32 s0, s31, s12
	s_delay_alu instid0(SALU_CYCLE_1)
	s_and_saveexec_b32 s1, s0
	s_cbranch_execz .LBB375_40
; %bb.39:
	v_add_co_u32 v40, s0, 0x1000, v67
	s_delay_alu instid0(VALU_DEP_1)
	v_add_co_ci_u32_e64 v41, s0, 0, v68, s0
	global_load_b64 v[40:41], v[40:41], off offset:768
.LBB375_40:
	s_or_b32 exec_lo, exec_lo, s1
	v_mov_b32_e32 v44, 0
	v_mov_b32_e32 v45, 0xfff00000
	v_add_nc_u32_e32 v42, 0x280, v66
	s_delay_alu instid0(VALU_DEP_1) | instskip(NEXT) | instid1(VALU_DEP_3)
	v_cmp_gt_i32_e64 s11, s42, v42
	v_dual_mov_b32 v42, v44 :: v_dual_mov_b32 v43, v45
	s_delay_alu instid0(VALU_DEP_2) | instskip(NEXT) | instid1(SALU_CYCLE_1)
	s_and_b32 s0, s31, s11
	s_and_saveexec_b32 s1, s0
	s_cbranch_execz .LBB375_42
; %bb.41:
	v_add_co_u32 v42, s0, 0x1000, v67
	s_delay_alu instid0(VALU_DEP_1)
	v_add_co_ci_u32_e64 v43, s0, 0, v68, s0
	global_load_b64 v[42:43], v[42:43], off offset:1024
.LBB375_42:
	;; [unrolled: 31-line block ×3, first 2 shown]
	s_or_b32 exec_lo, exec_lo, s1
	v_add_nc_u32_e32 v50, 0x2e0, v66
	s_delay_alu instid0(VALU_DEP_1) | instskip(NEXT) | instid1(VALU_DEP_1)
	v_cmp_gt_i32_e64 s8, s42, v50
	s_and_b32 s0, s31, s8
	s_delay_alu instid0(SALU_CYCLE_1)
	s_and_saveexec_b32 s1, s0
	s_cbranch_execz .LBB375_48
; %bb.47:
	v_add_co_u32 v48, s0, 0x1000, v67
	s_delay_alu instid0(VALU_DEP_1)
	v_add_co_ci_u32_e64 v49, s0, 0, v68, s0
	global_load_b64 v[48:49], v[48:49], off offset:1792
.LBB375_48:
	s_or_b32 exec_lo, exec_lo, s1
	v_mov_b32_e32 v54, 0
	v_mov_b32_e32 v55, 0xfff00000
	v_add_nc_u32_e32 v50, 0x300, v66
	s_delay_alu instid0(VALU_DEP_2) | instskip(NEXT) | instid1(VALU_DEP_2)
	v_dual_mov_b32 v52, v54 :: v_dual_mov_b32 v53, v55
	v_cmp_gt_i32_e64 s7, s42, v50
	s_delay_alu instid0(VALU_DEP_1) | instskip(NEXT) | instid1(SALU_CYCLE_1)
	s_and_b32 s0, s31, s7
	s_and_saveexec_b32 s1, s0
	s_cbranch_execz .LBB375_50
; %bb.49:
	v_add_co_u32 v50, s0, 0x1000, v67
	s_delay_alu instid0(VALU_DEP_1)
	v_add_co_ci_u32_e64 v51, s0, 0, v68, s0
	global_load_b64 v[52:53], v[50:51], off offset:2048
.LBB375_50:
	s_or_b32 exec_lo, exec_lo, s1
	v_add_nc_u32_e32 v50, 0x320, v66
	s_delay_alu instid0(VALU_DEP_1) | instskip(NEXT) | instid1(VALU_DEP_1)
	v_cmp_gt_i32_e64 s6, s42, v50
	s_and_b32 s0, s31, s6
	s_delay_alu instid0(SALU_CYCLE_1)
	s_and_saveexec_b32 s1, s0
	s_cbranch_execz .LBB375_52
; %bb.51:
	v_add_co_u32 v50, s0, 0x1000, v67
	s_delay_alu instid0(VALU_DEP_1)
	v_add_co_ci_u32_e64 v51, s0, 0, v68, s0
	global_load_b64 v[54:55], v[50:51], off offset:2304
.LBB375_52:
	s_or_b32 exec_lo, exec_lo, s1
	v_mov_b32_e32 v62, 0
	v_mov_b32_e32 v63, 0xfff00000
	v_add_nc_u32_e32 v50, 0x340, v66
	s_delay_alu instid0(VALU_DEP_2) | instskip(NEXT) | instid1(VALU_DEP_2)
	v_dual_mov_b32 v60, v62 :: v_dual_mov_b32 v61, v63
	v_cmp_gt_i32_e64 s5, s42, v50
	s_delay_alu instid0(VALU_DEP_1) | instskip(NEXT) | instid1(SALU_CYCLE_1)
	s_and_b32 s0, s31, s5
	s_and_saveexec_b32 s1, s0
	s_cbranch_execz .LBB375_54
; %bb.53:
	v_add_co_u32 v50, s0, 0x1000, v67
	s_delay_alu instid0(VALU_DEP_1)
	v_add_co_ci_u32_e64 v51, s0, 0, v68, s0
	global_load_b64 v[60:61], v[50:51], off offset:2560
.LBB375_54:
	s_or_b32 exec_lo, exec_lo, s1
	v_add_nc_u32_e32 v50, 0x360, v66
	s_delay_alu instid0(VALU_DEP_1) | instskip(NEXT) | instid1(VALU_DEP_1)
	v_cmp_gt_i32_e64 s4, s42, v50
	s_and_b32 s0, s31, s4
	s_delay_alu instid0(SALU_CYCLE_1)
	s_and_saveexec_b32 s1, s0
	s_cbranch_execz .LBB375_56
; %bb.55:
	v_add_co_u32 v50, s0, 0x1000, v67
	s_delay_alu instid0(VALU_DEP_1)
	v_add_co_ci_u32_e64 v51, s0, 0, v68, s0
	global_load_b64 v[62:63], v[50:51], off offset:2816
.LBB375_56:
	s_or_b32 exec_lo, exec_lo, s1
	v_mov_b32_e32 v58, 0
	v_mov_b32_e32 v59, 0xfff00000
	s_delay_alu instid0(VALU_DEP_1) | instskip(NEXT) | instid1(VALU_DEP_1)
	v_dual_mov_b32 v65, v59 :: v_dual_add_nc_u32 v50, 0x380, v66
	v_cmp_gt_i32_e64 s3, s42, v50
	s_delay_alu instid0(VALU_DEP_4) | instskip(NEXT) | instid1(VALU_DEP_2)
	v_mov_b32_e32 v64, v58
	s_and_b32 s0, s31, s3
	s_delay_alu instid0(SALU_CYCLE_1)
	s_and_saveexec_b32 s1, s0
	s_cbranch_execz .LBB375_58
; %bb.57:
	v_add_co_u32 v50, s0, 0x1000, v67
	s_delay_alu instid0(VALU_DEP_1)
	v_add_co_ci_u32_e64 v51, s0, 0, v68, s0
	global_load_b64 v[64:65], v[50:51], off offset:3072
.LBB375_58:
	s_or_b32 exec_lo, exec_lo, s1
	v_add_nc_u32_e32 v50, 0x3a0, v66
	s_delay_alu instid0(VALU_DEP_1) | instskip(NEXT) | instid1(VALU_DEP_1)
	v_cmp_gt_i32_e64 s2, s42, v50
	s_and_b32 s0, s31, s2
	s_delay_alu instid0(SALU_CYCLE_1)
	s_and_saveexec_b32 s1, s0
	s_cbranch_execz .LBB375_60
; %bb.59:
	v_add_co_u32 v50, s0, 0x1000, v67
	s_delay_alu instid0(VALU_DEP_1)
	v_add_co_ci_u32_e64 v51, s0, 0, v68, s0
	global_load_b64 v[58:59], v[50:51], off offset:3328
.LBB375_60:
	s_or_b32 exec_lo, exec_lo, s1
	v_add_nc_u32_e32 v56, 0x3c0, v66
	v_mov_b32_e32 v50, 0
	v_mov_b32_e32 v51, 0xfff00000
	s_delay_alu instid0(VALU_DEP_3) | instskip(NEXT) | instid1(VALU_DEP_2)
	v_cmp_gt_i32_e64 s1, s42, v56
	v_dual_mov_b32 v57, v51 :: v_dual_mov_b32 v56, v50
	s_delay_alu instid0(VALU_DEP_2) | instskip(NEXT) | instid1(SALU_CYCLE_1)
	s_and_b32 s0, s31, s1
	s_and_saveexec_b32 s33, s0
	s_cbranch_execz .LBB375_62
; %bb.61:
	v_add_co_u32 v56, s0, 0x1000, v67
	s_delay_alu instid0(VALU_DEP_1)
	v_add_co_ci_u32_e64 v57, s0, 0, v68, s0
	global_load_b64 v[56:57], v[56:57], off offset:3584
.LBB375_62:
	s_or_b32 exec_lo, exec_lo, s33
	v_add_nc_u32_e32 v66, 0x3e0, v66
	s_delay_alu instid0(VALU_DEP_1) | instskip(NEXT) | instid1(VALU_DEP_1)
	v_cmp_gt_i32_e64 s0, s42, v66
	s_and_b32 s31, s31, s0
	s_delay_alu instid0(SALU_CYCLE_1)
	s_and_saveexec_b32 s33, s31
	s_cbranch_execz .LBB375_64
; %bb.63:
	v_add_co_u32 v50, s31, 0x1000, v67
	s_delay_alu instid0(VALU_DEP_1)
	v_add_co_ci_u32_e64 v51, s31, 0, v68, s31
	global_load_b64 v[50:51], v[50:51], off offset:3840
.LBB375_64:
	s_or_b32 exec_lo, exec_lo, s33
	s_waitcnt vmcnt(0)
	v_cmp_gt_f64_e64 s31, v[2:3], v[4:5]
	v_mbcnt_lo_u32_b32 v75, -1, 0
	s_mov_b32 s38, 0x652b82fe
	s_mov_b32 s39, 0x3ff71547
	;; [unrolled: 1-line block ×4, first 2 shown]
	v_xor_b32_e32 v68, 16, v75
	s_mov_b32 s40, 0x3b39803f
	s_mov_b32 s41, 0xbc7abc9e
	;; [unrolled: 1-line block ×22, first 2 shown]
	s_delay_alu instid0(VALU_DEP_3) | instskip(SKIP_1) | instid1(VALU_DEP_1)
	v_cndmask_b32_e64 v67, v5, v3, s31
	v_cndmask_b32_e64 v66, v4, v2, s31
	v_cmp_gt_f64_e64 s31, v[66:67], v[6:7]
	s_delay_alu instid0(VALU_DEP_1) | instskip(SKIP_1) | instid1(VALU_DEP_1)
	v_cndmask_b32_e64 v67, v7, v67, s31
	v_cndmask_b32_e64 v66, v6, v66, s31
	v_cmp_gt_f64_e64 s31, v[66:67], v[8:9]
	s_delay_alu instid0(VALU_DEP_1) | instskip(SKIP_1) | instid1(VALU_DEP_1)
	;; [unrolled: 4-line block ×29, first 2 shown]
	v_cndmask_b32_e64 v67, v57, v67, s31
	v_cndmask_b32_e64 v66, v56, v66, s31
	v_cmp_gt_f64_e64 s31, v[66:67], v[50:51]
	s_delay_alu instid0(VALU_DEP_1) | instskip(SKIP_2) | instid1(VALU_DEP_1)
	v_cndmask_b32_e64 v67, v51, v67, s31
	v_cndmask_b32_e64 v66, v50, v66, s31
	v_cmp_gt_i32_e64 s31, 32, v68
	v_cndmask_b32_e64 v68, v75, v68, s31
	s_delay_alu instid0(VALU_DEP_1) | instskip(SKIP_4) | instid1(VALU_DEP_1)
	v_lshlrev_b32_e32 v71, 2, v68
	ds_bpermute_b32 v68, v71, v66
	ds_bpermute_b32 v69, v71, v67
	s_waitcnt lgkmcnt(0)
	v_cmp_lt_f64_e64 s31, v[66:67], v[68:69]
	v_cndmask_b32_e64 v66, v66, v68, s31
	v_xor_b32_e32 v68, 8, v75
	v_cndmask_b32_e64 v67, v67, v69, s31
	s_delay_alu instid0(VALU_DEP_2) | instskip(NEXT) | instid1(VALU_DEP_1)
	v_cmp_gt_i32_e64 s31, 32, v68
	v_cndmask_b32_e64 v68, v75, v68, s31
	s_delay_alu instid0(VALU_DEP_1) | instskip(SKIP_4) | instid1(VALU_DEP_1)
	v_lshlrev_b32_e32 v72, 2, v68
	ds_bpermute_b32 v68, v72, v66
	ds_bpermute_b32 v69, v72, v67
	s_waitcnt lgkmcnt(0)
	v_cmp_lt_f64_e64 s31, v[66:67], v[68:69]
	v_cndmask_b32_e64 v66, v66, v68, s31
	v_xor_b32_e32 v68, 4, v75
	v_cndmask_b32_e64 v67, v67, v69, s31
	s_delay_alu instid0(VALU_DEP_2) | instskip(NEXT) | instid1(VALU_DEP_1)
	;; [unrolled: 12-line block ×4, first 2 shown]
	v_cmp_gt_i32_e64 s31, 32, v68
	v_cndmask_b32_e64 v68, v75, v68, s31
	s_delay_alu instid0(VALU_DEP_1) | instskip(SKIP_4) | instid1(VALU_DEP_1)
	v_lshlrev_b32_e32 v75, 2, v68
	ds_bpermute_b32 v68, v75, v66
	ds_bpermute_b32 v69, v75, v67
	s_waitcnt lgkmcnt(0)
	v_cmp_lt_f64_e64 s31, v[66:67], v[68:69]
	v_cndmask_b32_e64 v67, v67, v69, s31
	v_cndmask_b32_e64 v66, v66, v68, s31
	s_delay_alu instid0(VALU_DEP_1)
	v_add_f64 v[2:3], v[2:3], -v[66:67]
	v_add_f64 v[4:5], v[4:5], -v[66:67]
	;; [unrolled: 1-line block ×32, first 2 shown]
	v_mul_f64 v[68:69], v[2:3], s[38:39]
	v_cmp_nlt_f64_e64 s31, 0x40900000, v[2:3]
	v_cmp_ngt_f64_e64 s33, 0xc090cc00, v[2:3]
	s_delay_alu instid0(VALU_DEP_4) | instskip(NEXT) | instid1(VALU_DEP_4)
	v_mul_f64 v[66:67], v[50:51], s[38:39]
	v_rndne_f64_e32 v[68:69], v[68:69]
	s_delay_alu instid0(VALU_DEP_2) | instskip(NEXT) | instid1(VALU_DEP_2)
	v_rndne_f64_e32 v[66:67], v[66:67]
	v_fma_f64 v[76:77], v[68:69], s[34:35], v[2:3]
	s_delay_alu instid0(VALU_DEP_1) | instskip(SKIP_1) | instid1(VALU_DEP_2)
	v_fma_f64 v[76:77], v[68:69], s[40:41], v[76:77]
	v_cvt_i32_f64_e32 v68, v[68:69]
	v_fma_f64 v[78:79], v[76:77], s[44:45], s[42:43]
	s_delay_alu instid0(VALU_DEP_1) | instskip(NEXT) | instid1(VALU_DEP_1)
	v_fma_f64 v[78:79], v[76:77], v[78:79], s[46:47]
	v_fma_f64 v[78:79], v[76:77], v[78:79], s[48:49]
	s_delay_alu instid0(VALU_DEP_1) | instskip(NEXT) | instid1(VALU_DEP_1)
	v_fma_f64 v[78:79], v[76:77], v[78:79], s[50:51]
	;; [unrolled: 3-line block ×4, first 2 shown]
	v_fma_f64 v[78:79], v[76:77], v[78:79], s[60:61]
	s_delay_alu instid0(VALU_DEP_1) | instskip(NEXT) | instid1(VALU_DEP_1)
	v_fma_f64 v[78:79], v[76:77], v[78:79], 1.0
	v_fma_f64 v[76:77], v[76:77], v[78:79], 1.0
	s_delay_alu instid0(VALU_DEP_1) | instskip(SKIP_1) | instid1(VALU_DEP_2)
	v_ldexp_f64 v[68:69], v[76:77], v68
	v_mul_f64 v[76:77], v[4:5], s[38:39]
	v_cndmask_b32_e64 v69, 0x7ff00000, v69, s31
	s_delay_alu instid0(VALU_DEP_2)
	v_rndne_f64_e32 v[76:77], v[76:77]
	s_and_b32 s31, s33, s31
	s_delay_alu instid0(VALU_DEP_4) | instid1(SALU_CYCLE_1)
	v_cndmask_b32_e64 v2, 0, v68, s31
	v_cmp_nlt_f64_e64 s31, 0x40900000, v[4:5]
	v_cndmask_b32_e64 v3, 0, v69, s33
	v_cmp_ngt_f64_e64 s33, 0xc090cc00, v[4:5]
	s_delay_alu instid0(VALU_DEP_2) | instskip(SKIP_1) | instid1(VALU_DEP_1)
	v_add_f64 v[68:69], v[2:3], 0
	v_fma_f64 v[78:79], v[76:77], s[34:35], v[4:5]
	v_fma_f64 v[78:79], v[76:77], s[40:41], v[78:79]
	v_cvt_i32_f64_e32 v76, v[76:77]
	s_delay_alu instid0(VALU_DEP_2) | instskip(NEXT) | instid1(VALU_DEP_1)
	v_fma_f64 v[80:81], v[78:79], s[44:45], s[42:43]
	v_fma_f64 v[80:81], v[78:79], v[80:81], s[46:47]
	s_delay_alu instid0(VALU_DEP_1) | instskip(NEXT) | instid1(VALU_DEP_1)
	v_fma_f64 v[80:81], v[78:79], v[80:81], s[48:49]
	v_fma_f64 v[80:81], v[78:79], v[80:81], s[50:51]
	s_delay_alu instid0(VALU_DEP_1) | instskip(NEXT) | instid1(VALU_DEP_1)
	;; [unrolled: 3-line block ×4, first 2 shown]
	v_fma_f64 v[80:81], v[78:79], v[80:81], s[60:61]
	v_fma_f64 v[80:81], v[78:79], v[80:81], 1.0
	s_delay_alu instid0(VALU_DEP_1) | instskip(NEXT) | instid1(VALU_DEP_1)
	v_fma_f64 v[78:79], v[78:79], v[80:81], 1.0
	v_ldexp_f64 v[76:77], v[78:79], v76
	s_delay_alu instid0(VALU_DEP_1)
	v_cndmask_b32_e64 v77, 0x7ff00000, v77, s31
	s_and_b32 s31, s33, s31
	s_delay_alu instid0(VALU_DEP_2) | instid1(SALU_CYCLE_1)
	v_cndmask_b32_e64 v4, 0, v76, s31
	v_cmp_nlt_f64_e64 s31, 0x40900000, v[6:7]
	s_delay_alu instid0(VALU_DEP_3) | instskip(SKIP_2) | instid1(VALU_DEP_3)
	v_cndmask_b32_e64 v5, 0, v77, s33
	v_mul_f64 v[76:77], v[6:7], s[38:39]
	v_cmp_ngt_f64_e64 s33, 0xc090cc00, v[6:7]
	v_add_f64 v[68:69], v[68:69], v[4:5]
	s_delay_alu instid0(VALU_DEP_3) | instskip(NEXT) | instid1(VALU_DEP_1)
	v_rndne_f64_e32 v[76:77], v[76:77]
	v_fma_f64 v[78:79], v[76:77], s[34:35], v[6:7]
	s_delay_alu instid0(VALU_DEP_1) | instskip(SKIP_1) | instid1(VALU_DEP_2)
	v_fma_f64 v[78:79], v[76:77], s[40:41], v[78:79]
	v_cvt_i32_f64_e32 v76, v[76:77]
	v_fma_f64 v[80:81], v[78:79], s[44:45], s[42:43]
	s_delay_alu instid0(VALU_DEP_1) | instskip(NEXT) | instid1(VALU_DEP_1)
	v_fma_f64 v[80:81], v[78:79], v[80:81], s[46:47]
	v_fma_f64 v[80:81], v[78:79], v[80:81], s[48:49]
	s_delay_alu instid0(VALU_DEP_1) | instskip(NEXT) | instid1(VALU_DEP_1)
	v_fma_f64 v[80:81], v[78:79], v[80:81], s[50:51]
	v_fma_f64 v[80:81], v[78:79], v[80:81], s[52:53]
	s_delay_alu instid0(VALU_DEP_1) | instskip(NEXT) | instid1(VALU_DEP_1)
	v_fma_f64 v[80:81], v[78:79], v[80:81], s[54:55]
	v_fma_f64 v[80:81], v[78:79], v[80:81], s[56:57]
	s_delay_alu instid0(VALU_DEP_1) | instskip(NEXT) | instid1(VALU_DEP_1)
	v_fma_f64 v[80:81], v[78:79], v[80:81], s[58:59]
	v_fma_f64 v[80:81], v[78:79], v[80:81], s[60:61]
	s_delay_alu instid0(VALU_DEP_1) | instskip(NEXT) | instid1(VALU_DEP_1)
	v_fma_f64 v[80:81], v[78:79], v[80:81], 1.0
	v_fma_f64 v[78:79], v[78:79], v[80:81], 1.0
	s_delay_alu instid0(VALU_DEP_1) | instskip(NEXT) | instid1(VALU_DEP_1)
	v_ldexp_f64 v[76:77], v[78:79], v76
	v_cndmask_b32_e64 v77, 0x7ff00000, v77, s31
	s_and_b32 s31, s33, s31
	s_delay_alu instid0(VALU_DEP_2) | instid1(SALU_CYCLE_1)
	v_cndmask_b32_e64 v6, 0, v76, s31
	v_cmp_nlt_f64_e64 s31, 0x40900000, v[8:9]
	s_delay_alu instid0(VALU_DEP_3) | instskip(SKIP_2) | instid1(VALU_DEP_3)
	v_cndmask_b32_e64 v7, 0, v77, s33
	v_mul_f64 v[76:77], v[8:9], s[38:39]
	v_cmp_ngt_f64_e64 s33, 0xc090cc00, v[8:9]
	v_add_f64 v[68:69], v[68:69], v[6:7]
	s_delay_alu instid0(VALU_DEP_3) | instskip(NEXT) | instid1(VALU_DEP_1)
	v_rndne_f64_e32 v[76:77], v[76:77]
	v_fma_f64 v[78:79], v[76:77], s[34:35], v[8:9]
	s_delay_alu instid0(VALU_DEP_1) | instskip(SKIP_1) | instid1(VALU_DEP_2)
	v_fma_f64 v[78:79], v[76:77], s[40:41], v[78:79]
	v_cvt_i32_f64_e32 v76, v[76:77]
	v_fma_f64 v[80:81], v[78:79], s[44:45], s[42:43]
	s_delay_alu instid0(VALU_DEP_1) | instskip(NEXT) | instid1(VALU_DEP_1)
	v_fma_f64 v[80:81], v[78:79], v[80:81], s[46:47]
	v_fma_f64 v[80:81], v[78:79], v[80:81], s[48:49]
	s_delay_alu instid0(VALU_DEP_1) | instskip(NEXT) | instid1(VALU_DEP_1)
	v_fma_f64 v[80:81], v[78:79], v[80:81], s[50:51]
	v_fma_f64 v[80:81], v[78:79], v[80:81], s[52:53]
	s_delay_alu instid0(VALU_DEP_1) | instskip(NEXT) | instid1(VALU_DEP_1)
	v_fma_f64 v[80:81], v[78:79], v[80:81], s[54:55]
	v_fma_f64 v[80:81], v[78:79], v[80:81], s[56:57]
	s_delay_alu instid0(VALU_DEP_1) | instskip(NEXT) | instid1(VALU_DEP_1)
	v_fma_f64 v[80:81], v[78:79], v[80:81], s[58:59]
	v_fma_f64 v[80:81], v[78:79], v[80:81], s[60:61]
	s_delay_alu instid0(VALU_DEP_1) | instskip(NEXT) | instid1(VALU_DEP_1)
	v_fma_f64 v[80:81], v[78:79], v[80:81], 1.0
	v_fma_f64 v[78:79], v[78:79], v[80:81], 1.0
	s_delay_alu instid0(VALU_DEP_1) | instskip(NEXT) | instid1(VALU_DEP_1)
	v_ldexp_f64 v[76:77], v[78:79], v76
	;; [unrolled: 34-line block ×29, first 2 shown]
	v_cndmask_b32_e64 v77, 0x7ff00000, v77, s31
	s_and_b32 s31, s33, s31
	s_delay_alu instid0(VALU_DEP_2) | instid1(SALU_CYCLE_1)
	v_cndmask_b32_e64 v56, 0, v76, s31
	v_cmp_nlt_f64_e64 s31, 0x40900000, v[50:51]
	s_delay_alu instid0(VALU_DEP_3) | instskip(SKIP_2) | instid1(VALU_DEP_3)
	v_cndmask_b32_e64 v57, 0, v77, s33
	v_fma_f64 v[76:77], v[66:67], s[34:35], v[50:51]
	v_cmp_ngt_f64_e64 s33, 0xc090cc00, v[50:51]
	v_add_f64 v[68:69], v[68:69], v[56:57]
	s_delay_alu instid0(VALU_DEP_3) | instskip(SKIP_1) | instid1(VALU_DEP_2)
	v_fma_f64 v[76:77], v[66:67], s[40:41], v[76:77]
	v_cvt_i32_f64_e32 v66, v[66:67]
	v_fma_f64 v[78:79], v[76:77], s[44:45], s[42:43]
	s_delay_alu instid0(VALU_DEP_1) | instskip(NEXT) | instid1(VALU_DEP_1)
	v_fma_f64 v[78:79], v[76:77], v[78:79], s[46:47]
	v_fma_f64 v[78:79], v[76:77], v[78:79], s[48:49]
	s_delay_alu instid0(VALU_DEP_1) | instskip(NEXT) | instid1(VALU_DEP_1)
	v_fma_f64 v[78:79], v[76:77], v[78:79], s[50:51]
	;; [unrolled: 3-line block ×4, first 2 shown]
	v_fma_f64 v[78:79], v[76:77], v[78:79], s[60:61]
	s_delay_alu instid0(VALU_DEP_1) | instskip(NEXT) | instid1(VALU_DEP_1)
	v_fma_f64 v[78:79], v[76:77], v[78:79], 1.0
	v_fma_f64 v[76:77], v[76:77], v[78:79], 1.0
	s_delay_alu instid0(VALU_DEP_1) | instskip(NEXT) | instid1(VALU_DEP_1)
	v_ldexp_f64 v[66:67], v[76:77], v66
	v_cndmask_b32_e64 v67, 0x7ff00000, v67, s31
	s_and_b32 s31, s33, s31
	s_delay_alu instid0(VALU_DEP_2) | instid1(SALU_CYCLE_1)
	v_cndmask_b32_e64 v50, 0, v66, s31
	s_delay_alu instid0(VALU_DEP_2) | instskip(SKIP_1) | instid1(VALU_DEP_1)
	v_cndmask_b32_e64 v51, 0, v67, s33
	s_mov_b32 s33, exec_lo
	v_add_f64 v[66:67], v[68:69], v[50:51]
	ds_bpermute_b32 v68, v71, v66
	ds_bpermute_b32 v69, v71, v67
	s_waitcnt lgkmcnt(0)
	v_add_f64 v[66:67], v[66:67], v[68:69]
	ds_bpermute_b32 v68, v72, v66
	ds_bpermute_b32 v69, v72, v67
	s_waitcnt lgkmcnt(0)
	;; [unrolled: 4-line block ×4, first 2 shown]
	v_add_f64 v[66:67], v[66:67], v[68:69]
	ds_bpermute_b32 v68, v75, v66
	ds_bpermute_b32 v69, v75, v67
	v_cmpx_lt_i32_e32 0, v70
	s_cbranch_execz .LBB375_98
; %bb.65:
	s_and_b32 exec_lo, exec_lo, vcc_lo
	s_cbranch_execz .LBB375_98
; %bb.66:
	s_waitcnt lgkmcnt(0)
	v_add_f64 v[66:67], v[66:67], v[68:69]
	s_delay_alu instid0(VALU_DEP_1) | instskip(SKIP_2) | instid1(VALU_DEP_3)
	v_div_scale_f64 v[68:69], null, v[66:67], v[66:67], v[2:3]
	v_div_scale_f64 v[74:75], vcc_lo, v[2:3], v[66:67], v[2:3]
	v_cmp_eq_f64_e64 s31, 0, v[66:67]
	v_rcp_f64_e32 v[70:71], v[68:69]
	s_waitcnt_depctr 0xfff
	v_fma_f64 v[72:73], -v[68:69], v[70:71], 1.0
	s_delay_alu instid0(VALU_DEP_1) | instskip(NEXT) | instid1(VALU_DEP_1)
	v_fma_f64 v[70:71], v[70:71], v[72:73], v[70:71]
	v_fma_f64 v[72:73], -v[68:69], v[70:71], 1.0
	s_delay_alu instid0(VALU_DEP_1) | instskip(NEXT) | instid1(VALU_DEP_1)
	v_fma_f64 v[70:71], v[70:71], v[72:73], v[70:71]
	v_mul_f64 v[72:73], v[74:75], v[70:71]
	s_delay_alu instid0(VALU_DEP_1) | instskip(NEXT) | instid1(VALU_DEP_1)
	v_fma_f64 v[68:69], -v[68:69], v[72:73], v[74:75]
	v_div_fmas_f64 v[68:69], v[68:69], v[70:71], v[72:73]
	v_add_co_u32 v0, vcc_lo, s36, v0
	v_add_co_ci_u32_e32 v1, vcc_lo, s37, v1, vcc_lo
	s_delay_alu instid0(VALU_DEP_3) | instskip(NEXT) | instid1(VALU_DEP_1)
	v_div_fixup_f64 v[2:3], v[68:69], v[66:67], v[2:3]
	v_cndmask_b32_e64 v3, v3, 0x7ff80000, s31
	s_delay_alu instid0(VALU_DEP_2)
	v_cndmask_b32_e64 v2, v2, 0, s31
	global_store_b64 v[0:1], v[2:3], off
	s_and_b32 exec_lo, exec_lo, s30
	s_cbranch_execz .LBB375_98
; %bb.67:
	v_div_scale_f64 v[2:3], null, v[66:67], v[66:67], v[4:5]
	v_div_scale_f64 v[72:73], vcc_lo, v[4:5], v[66:67], v[4:5]
	s_delay_alu instid0(VALU_DEP_2) | instskip(SKIP_2) | instid1(VALU_DEP_1)
	v_rcp_f64_e32 v[68:69], v[2:3]
	s_waitcnt_depctr 0xfff
	v_fma_f64 v[70:71], -v[2:3], v[68:69], 1.0
	v_fma_f64 v[68:69], v[68:69], v[70:71], v[68:69]
	s_delay_alu instid0(VALU_DEP_1) | instskip(NEXT) | instid1(VALU_DEP_1)
	v_fma_f64 v[70:71], -v[2:3], v[68:69], 1.0
	v_fma_f64 v[68:69], v[68:69], v[70:71], v[68:69]
	s_delay_alu instid0(VALU_DEP_1) | instskip(NEXT) | instid1(VALU_DEP_1)
	v_mul_f64 v[70:71], v[72:73], v[68:69]
	v_fma_f64 v[2:3], -v[2:3], v[70:71], v[72:73]
	s_delay_alu instid0(VALU_DEP_1) | instskip(NEXT) | instid1(VALU_DEP_1)
	v_div_fmas_f64 v[2:3], v[2:3], v[68:69], v[70:71]
	v_div_fixup_f64 v[2:3], v[2:3], v[66:67], v[4:5]
	s_delay_alu instid0(VALU_DEP_1) | instskip(NEXT) | instid1(VALU_DEP_2)
	v_cndmask_b32_e64 v3, v3, 0x7ff80000, s31
	v_cndmask_b32_e64 v2, v2, 0, s31
	global_store_b64 v[0:1], v[2:3], off offset:256
	s_and_b32 exec_lo, exec_lo, s29
	s_cbranch_execz .LBB375_98
; %bb.68:
	v_div_scale_f64 v[2:3], null, v[66:67], v[66:67], v[6:7]
	v_div_scale_f64 v[70:71], vcc_lo, v[6:7], v[66:67], v[6:7]
	s_delay_alu instid0(VALU_DEP_2) | instskip(SKIP_2) | instid1(VALU_DEP_1)
	v_rcp_f64_e32 v[4:5], v[2:3]
	s_waitcnt_depctr 0xfff
	v_fma_f64 v[68:69], -v[2:3], v[4:5], 1.0
	v_fma_f64 v[4:5], v[4:5], v[68:69], v[4:5]
	s_delay_alu instid0(VALU_DEP_1) | instskip(NEXT) | instid1(VALU_DEP_1)
	v_fma_f64 v[68:69], -v[2:3], v[4:5], 1.0
	v_fma_f64 v[4:5], v[4:5], v[68:69], v[4:5]
	s_delay_alu instid0(VALU_DEP_1) | instskip(NEXT) | instid1(VALU_DEP_1)
	v_mul_f64 v[68:69], v[70:71], v[4:5]
	v_fma_f64 v[2:3], -v[2:3], v[68:69], v[70:71]
	s_delay_alu instid0(VALU_DEP_1) | instskip(NEXT) | instid1(VALU_DEP_1)
	v_div_fmas_f64 v[2:3], v[2:3], v[4:5], v[68:69]
	v_div_fixup_f64 v[2:3], v[2:3], v[66:67], v[6:7]
	s_delay_alu instid0(VALU_DEP_1) | instskip(NEXT) | instid1(VALU_DEP_2)
	v_cndmask_b32_e64 v3, v3, 0x7ff80000, s31
	v_cndmask_b32_e64 v2, v2, 0, s31
	global_store_b64 v[0:1], v[2:3], off offset:512
	;; [unrolled: 23-line block ×15, first 2 shown]
	s_and_b32 exec_lo, exec_lo, s15
	s_cbranch_execz .LBB375_98
; %bb.82:
	v_div_scale_f64 v[2:3], null, v[66:67], v[66:67], v[34:35]
	v_div_scale_f64 v[8:9], vcc_lo, v[34:35], v[66:67], v[34:35]
	s_delay_alu instid0(VALU_DEP_2) | instskip(SKIP_2) | instid1(VALU_DEP_1)
	v_rcp_f64_e32 v[4:5], v[2:3]
	s_waitcnt_depctr 0xfff
	v_fma_f64 v[6:7], -v[2:3], v[4:5], 1.0
	v_fma_f64 v[4:5], v[4:5], v[6:7], v[4:5]
	s_delay_alu instid0(VALU_DEP_1) | instskip(NEXT) | instid1(VALU_DEP_1)
	v_fma_f64 v[6:7], -v[2:3], v[4:5], 1.0
	v_fma_f64 v[4:5], v[4:5], v[6:7], v[4:5]
	s_delay_alu instid0(VALU_DEP_1) | instskip(NEXT) | instid1(VALU_DEP_1)
	v_mul_f64 v[6:7], v[8:9], v[4:5]
	v_fma_f64 v[2:3], -v[2:3], v[6:7], v[8:9]
	s_delay_alu instid0(VALU_DEP_1) | instskip(SKIP_2) | instid1(VALU_DEP_3)
	v_div_fmas_f64 v[2:3], v[2:3], v[4:5], v[6:7]
	v_add_co_u32 v0, vcc_lo, 0x1000, v0
	v_add_co_ci_u32_e32 v1, vcc_lo, 0, v1, vcc_lo
	v_div_fixup_f64 v[2:3], v[2:3], v[66:67], v[34:35]
	s_delay_alu instid0(VALU_DEP_1) | instskip(NEXT) | instid1(VALU_DEP_2)
	v_cndmask_b32_e64 v3, v3, 0x7ff80000, s31
	v_cndmask_b32_e64 v2, v2, 0, s31
	global_store_b64 v[0:1], v[2:3], off
	s_and_b32 exec_lo, exec_lo, s14
	s_cbranch_execz .LBB375_98
; %bb.83:
	v_div_scale_f64 v[2:3], null, v[66:67], v[66:67], v[36:37]
	v_div_scale_f64 v[8:9], vcc_lo, v[36:37], v[66:67], v[36:37]
	s_delay_alu instid0(VALU_DEP_2) | instskip(SKIP_2) | instid1(VALU_DEP_1)
	v_rcp_f64_e32 v[4:5], v[2:3]
	s_waitcnt_depctr 0xfff
	v_fma_f64 v[6:7], -v[2:3], v[4:5], 1.0
	v_fma_f64 v[4:5], v[4:5], v[6:7], v[4:5]
	s_delay_alu instid0(VALU_DEP_1) | instskip(NEXT) | instid1(VALU_DEP_1)
	v_fma_f64 v[6:7], -v[2:3], v[4:5], 1.0
	v_fma_f64 v[4:5], v[4:5], v[6:7], v[4:5]
	s_delay_alu instid0(VALU_DEP_1) | instskip(NEXT) | instid1(VALU_DEP_1)
	v_mul_f64 v[6:7], v[8:9], v[4:5]
	v_fma_f64 v[2:3], -v[2:3], v[6:7], v[8:9]
	s_delay_alu instid0(VALU_DEP_1) | instskip(NEXT) | instid1(VALU_DEP_1)
	v_div_fmas_f64 v[2:3], v[2:3], v[4:5], v[6:7]
	v_div_fixup_f64 v[2:3], v[2:3], v[66:67], v[36:37]
	s_delay_alu instid0(VALU_DEP_1) | instskip(NEXT) | instid1(VALU_DEP_2)
	v_cndmask_b32_e64 v3, v3, 0x7ff80000, s31
	v_cndmask_b32_e64 v2, v2, 0, s31
	global_store_b64 v[0:1], v[2:3], off offset:256
	s_and_b32 exec_lo, exec_lo, s13
	s_cbranch_execz .LBB375_98
; %bb.84:
	v_div_scale_f64 v[2:3], null, v[66:67], v[66:67], v[38:39]
	v_div_scale_f64 v[8:9], vcc_lo, v[38:39], v[66:67], v[38:39]
	s_delay_alu instid0(VALU_DEP_2) | instskip(SKIP_2) | instid1(VALU_DEP_1)
	v_rcp_f64_e32 v[4:5], v[2:3]
	s_waitcnt_depctr 0xfff
	v_fma_f64 v[6:7], -v[2:3], v[4:5], 1.0
	v_fma_f64 v[4:5], v[4:5], v[6:7], v[4:5]
	s_delay_alu instid0(VALU_DEP_1) | instskip(NEXT) | instid1(VALU_DEP_1)
	v_fma_f64 v[6:7], -v[2:3], v[4:5], 1.0
	v_fma_f64 v[4:5], v[4:5], v[6:7], v[4:5]
	s_delay_alu instid0(VALU_DEP_1) | instskip(NEXT) | instid1(VALU_DEP_1)
	v_mul_f64 v[6:7], v[8:9], v[4:5]
	v_fma_f64 v[2:3], -v[2:3], v[6:7], v[8:9]
	s_delay_alu instid0(VALU_DEP_1) | instskip(NEXT) | instid1(VALU_DEP_1)
	v_div_fmas_f64 v[2:3], v[2:3], v[4:5], v[6:7]
	v_div_fixup_f64 v[2:3], v[2:3], v[66:67], v[38:39]
	s_delay_alu instid0(VALU_DEP_1) | instskip(NEXT) | instid1(VALU_DEP_2)
	v_cndmask_b32_e64 v3, v3, 0x7ff80000, s31
	v_cndmask_b32_e64 v2, v2, 0, s31
	global_store_b64 v[0:1], v[2:3], off offset:512
	;; [unrolled: 23-line block ×15, first 2 shown]
.LBB375_98:
	s_nop 0
	s_sendmsg sendmsg(MSG_DEALLOC_VGPRS)
	s_endpgm
	.section	.rodata,"a",@progbits
	.p2align	6, 0x0
	.amdhsa_kernel _ZN12_GLOBAL__N_120softmax_warp_forwardIdddLi10ELb0ELb0ELi32EEEvPT0_PKT_iiiPKbib
		.amdhsa_group_segment_fixed_size 0
		.amdhsa_private_segment_fixed_size 0
		.amdhsa_kernarg_size 304
		.amdhsa_user_sgpr_count 15
		.amdhsa_user_sgpr_dispatch_ptr 0
		.amdhsa_user_sgpr_queue_ptr 0
		.amdhsa_user_sgpr_kernarg_segment_ptr 1
		.amdhsa_user_sgpr_dispatch_id 0
		.amdhsa_user_sgpr_private_segment_size 0
		.amdhsa_wavefront_size32 1
		.amdhsa_uses_dynamic_stack 0
		.amdhsa_enable_private_segment 0
		.amdhsa_system_sgpr_workgroup_id_x 1
		.amdhsa_system_sgpr_workgroup_id_y 0
		.amdhsa_system_sgpr_workgroup_id_z 0
		.amdhsa_system_sgpr_workgroup_info 0
		.amdhsa_system_vgpr_workitem_id 1
		.amdhsa_next_free_vgpr 82
		.amdhsa_next_free_sgpr 62
		.amdhsa_reserve_vcc 1
		.amdhsa_float_round_mode_32 0
		.amdhsa_float_round_mode_16_64 0
		.amdhsa_float_denorm_mode_32 3
		.amdhsa_float_denorm_mode_16_64 3
		.amdhsa_dx10_clamp 1
		.amdhsa_ieee_mode 1
		.amdhsa_fp16_overflow 0
		.amdhsa_workgroup_processor_mode 1
		.amdhsa_memory_ordered 1
		.amdhsa_forward_progress 0
		.amdhsa_shared_vgpr_count 0
		.amdhsa_exception_fp_ieee_invalid_op 0
		.amdhsa_exception_fp_denorm_src 0
		.amdhsa_exception_fp_ieee_div_zero 0
		.amdhsa_exception_fp_ieee_overflow 0
		.amdhsa_exception_fp_ieee_underflow 0
		.amdhsa_exception_fp_ieee_inexact 0
		.amdhsa_exception_int_div_zero 0
	.end_amdhsa_kernel
	.section	.text._ZN12_GLOBAL__N_120softmax_warp_forwardIdddLi10ELb0ELb0ELi32EEEvPT0_PKT_iiiPKbib,"axG",@progbits,_ZN12_GLOBAL__N_120softmax_warp_forwardIdddLi10ELb0ELb0ELi32EEEvPT0_PKT_iiiPKbib,comdat
.Lfunc_end375:
	.size	_ZN12_GLOBAL__N_120softmax_warp_forwardIdddLi10ELb0ELb0ELi32EEEvPT0_PKT_iiiPKbib, .Lfunc_end375-_ZN12_GLOBAL__N_120softmax_warp_forwardIdddLi10ELb0ELb0ELi32EEEvPT0_PKT_iiiPKbib
                                        ; -- End function
	.section	.AMDGPU.csdata,"",@progbits
; Kernel info:
; codeLenInByte = 16288
; NumSgprs: 64
; NumVgprs: 82
; ScratchSize: 0
; MemoryBound: 0
; FloatMode: 240
; IeeeMode: 1
; LDSByteSize: 0 bytes/workgroup (compile time only)
; SGPRBlocks: 7
; VGPRBlocks: 10
; NumSGPRsForWavesPerEU: 64
; NumVGPRsForWavesPerEU: 82
; Occupancy: 16
; WaveLimiterHint : 0
; COMPUTE_PGM_RSRC2:SCRATCH_EN: 0
; COMPUTE_PGM_RSRC2:USER_SGPR: 15
; COMPUTE_PGM_RSRC2:TRAP_HANDLER: 0
; COMPUTE_PGM_RSRC2:TGID_X_EN: 1
; COMPUTE_PGM_RSRC2:TGID_Y_EN: 0
; COMPUTE_PGM_RSRC2:TGID_Z_EN: 0
; COMPUTE_PGM_RSRC2:TIDIG_COMP_CNT: 1
	.section	.text._ZN12_GLOBAL__N_120softmax_warp_forwardIdddLi11ELb0ELb0ELi64EEEvPT0_PKT_iiiPKbib,"axG",@progbits,_ZN12_GLOBAL__N_120softmax_warp_forwardIdddLi11ELb0ELb0ELi64EEEvPT0_PKT_iiiPKbib,comdat
	.globl	_ZN12_GLOBAL__N_120softmax_warp_forwardIdddLi11ELb0ELb0ELi64EEEvPT0_PKT_iiiPKbib ; -- Begin function _ZN12_GLOBAL__N_120softmax_warp_forwardIdddLi11ELb0ELb0ELi64EEEvPT0_PKT_iiiPKbib
	.p2align	8
	.type	_ZN12_GLOBAL__N_120softmax_warp_forwardIdddLi11ELb0ELb0ELi64EEEvPT0_PKT_iiiPKbib,@function
_ZN12_GLOBAL__N_120softmax_warp_forwardIdddLi11ELb0ELb0ELi64EEEvPT0_PKT_iiiPKbib: ; @_ZN12_GLOBAL__N_120softmax_warp_forwardIdddLi11ELb0ELb0ELi64EEEvPT0_PKT_iiiPKbib
; %bb.0:
	s_clause 0x1
	s_load_b32 s2, s[0:1], 0x3c
	s_load_b256 s[36:43], s[0:1], 0x0
	v_bfe_u32 v1, v0, 10, 10
	v_mov_b32_e32 v4, 0
	v_mov_b32_e32 v5, 0xfff00000
	v_and_b32_e32 v66, 0x3ff, v0
	s_waitcnt lgkmcnt(0)
	s_lshr_b32 s0, s2, 16
	s_delay_alu instid0(SALU_CYCLE_1) | instskip(NEXT) | instid1(VALU_DEP_1)
	v_mad_u64_u32 v[2:3], null, s15, s0, v[1:2]
	v_mad_u64_u32 v[0:1], null, v2, s41, v[66:67]
	v_sub_nc_u32_e32 v70, s40, v2
	v_dual_mov_b32 v2, v4 :: v_dual_mov_b32 v3, v5
	v_cmp_gt_i32_e32 vcc_lo, s42, v66
	s_delay_alu instid0(VALU_DEP_3) | instskip(SKIP_1) | instid1(VALU_DEP_2)
	v_cmp_lt_i32_e64 s31, 0, v70
	v_ashrrev_i32_e32 v1, 31, v0
	s_and_b32 s1, s31, vcc_lo
	s_delay_alu instid0(VALU_DEP_1) | instskip(NEXT) | instid1(VALU_DEP_1)
	v_lshlrev_b64 v[0:1], 3, v[0:1]
	v_add_co_u32 v67, s0, s38, v0
	s_delay_alu instid0(VALU_DEP_1)
	v_add_co_ci_u32_e64 v68, s0, s39, v1, s0
	s_and_saveexec_b32 s0, s1
	s_cbranch_execz .LBB376_2
; %bb.1:
	global_load_b64 v[2:3], v[67:68], off
.LBB376_2:
	s_or_b32 exec_lo, exec_lo, s0
	v_add_nc_u32_e32 v6, 64, v66
	s_delay_alu instid0(VALU_DEP_1) | instskip(NEXT) | instid1(VALU_DEP_1)
	v_cmp_gt_i32_e64 s30, s42, v6
	s_and_b32 s1, s31, s30
	s_delay_alu instid0(SALU_CYCLE_1)
	s_and_saveexec_b32 s0, s1
	s_cbranch_execz .LBB376_4
; %bb.3:
	global_load_b64 v[4:5], v[67:68], off offset:512
.LBB376_4:
	s_or_b32 exec_lo, exec_lo, s0
	v_mov_b32_e32 v8, 0
	v_mov_b32_e32 v9, 0xfff00000
	v_add_nc_u32_e32 v6, 0x80, v66
	s_delay_alu instid0(VALU_DEP_1) | instskip(NEXT) | instid1(VALU_DEP_3)
	v_cmp_gt_i32_e64 s29, s42, v6
	v_dual_mov_b32 v6, v8 :: v_dual_mov_b32 v7, v9
	s_delay_alu instid0(VALU_DEP_2) | instskip(NEXT) | instid1(SALU_CYCLE_1)
	s_and_b32 s1, s31, s29
	s_and_saveexec_b32 s0, s1
	s_cbranch_execz .LBB376_6
; %bb.5:
	global_load_b64 v[6:7], v[67:68], off offset:1024
.LBB376_6:
	s_or_b32 exec_lo, exec_lo, s0
	v_add_nc_u32_e32 v10, 0xc0, v66
	s_delay_alu instid0(VALU_DEP_1) | instskip(NEXT) | instid1(VALU_DEP_1)
	v_cmp_gt_i32_e64 s28, s42, v10
	s_and_b32 s1, s31, s28
	s_delay_alu instid0(SALU_CYCLE_1)
	s_and_saveexec_b32 s0, s1
	s_cbranch_execz .LBB376_8
; %bb.7:
	global_load_b64 v[8:9], v[67:68], off offset:1536
.LBB376_8:
	s_or_b32 exec_lo, exec_lo, s0
	v_mov_b32_e32 v12, 0
	v_mov_b32_e32 v13, 0xfff00000
	v_add_nc_u32_e32 v10, 0x100, v66
	s_delay_alu instid0(VALU_DEP_1) | instskip(NEXT) | instid1(VALU_DEP_3)
	v_cmp_gt_i32_e64 s27, s42, v10
	v_dual_mov_b32 v10, v12 :: v_dual_mov_b32 v11, v13
	s_delay_alu instid0(VALU_DEP_2) | instskip(NEXT) | instid1(SALU_CYCLE_1)
	s_and_b32 s1, s31, s27
	s_and_saveexec_b32 s0, s1
	s_cbranch_execz .LBB376_10
; %bb.9:
	global_load_b64 v[10:11], v[67:68], off offset:2048
.LBB376_10:
	;; [unrolled: 25-line block ×3, first 2 shown]
	s_or_b32 exec_lo, exec_lo, s0
	v_add_nc_u32_e32 v18, 0x1c0, v66
	s_delay_alu instid0(VALU_DEP_1) | instskip(NEXT) | instid1(VALU_DEP_1)
	v_cmp_gt_i32_e64 s24, s42, v18
	s_and_b32 s1, s31, s24
	s_delay_alu instid0(SALU_CYCLE_1)
	s_and_saveexec_b32 s0, s1
	s_cbranch_execz .LBB376_16
; %bb.15:
	global_load_b64 v[16:17], v[67:68], off offset:3584
.LBB376_16:
	s_or_b32 exec_lo, exec_lo, s0
	v_mov_b32_e32 v20, 0
	v_mov_b32_e32 v21, 0xfff00000
	v_add_nc_u32_e32 v18, 0x200, v66
	s_delay_alu instid0(VALU_DEP_1) | instskip(NEXT) | instid1(VALU_DEP_3)
	v_cmp_gt_i32_e64 s23, s42, v18
	v_dual_mov_b32 v18, v20 :: v_dual_mov_b32 v19, v21
	s_delay_alu instid0(VALU_DEP_2) | instskip(NEXT) | instid1(SALU_CYCLE_1)
	s_and_b32 s0, s31, s23
	s_and_saveexec_b32 s1, s0
	s_cbranch_execz .LBB376_18
; %bb.17:
	v_add_co_u32 v18, s0, 0x1000, v67
	s_delay_alu instid0(VALU_DEP_1)
	v_add_co_ci_u32_e64 v19, s0, 0, v68, s0
	global_load_b64 v[18:19], v[18:19], off
.LBB376_18:
	s_or_b32 exec_lo, exec_lo, s1
	v_add_nc_u32_e32 v22, 0x240, v66
	s_delay_alu instid0(VALU_DEP_1) | instskip(NEXT) | instid1(VALU_DEP_1)
	v_cmp_gt_i32_e64 s22, s42, v22
	s_and_b32 s0, s31, s22
	s_delay_alu instid0(SALU_CYCLE_1)
	s_and_saveexec_b32 s1, s0
	s_cbranch_execz .LBB376_20
; %bb.19:
	v_add_co_u32 v20, s0, 0x1000, v67
	s_delay_alu instid0(VALU_DEP_1)
	v_add_co_ci_u32_e64 v21, s0, 0, v68, s0
	global_load_b64 v[20:21], v[20:21], off offset:512
.LBB376_20:
	s_or_b32 exec_lo, exec_lo, s1
	v_mov_b32_e32 v24, 0
	v_mov_b32_e32 v25, 0xfff00000
	v_add_nc_u32_e32 v22, 0x280, v66
	s_delay_alu instid0(VALU_DEP_1) | instskip(NEXT) | instid1(VALU_DEP_3)
	v_cmp_gt_i32_e64 s21, s42, v22
	v_dual_mov_b32 v22, v24 :: v_dual_mov_b32 v23, v25
	s_delay_alu instid0(VALU_DEP_2) | instskip(NEXT) | instid1(SALU_CYCLE_1)
	s_and_b32 s0, s31, s21
	s_and_saveexec_b32 s1, s0
	s_cbranch_execz .LBB376_22
; %bb.21:
	v_add_co_u32 v22, s0, 0x1000, v67
	s_delay_alu instid0(VALU_DEP_1)
	v_add_co_ci_u32_e64 v23, s0, 0, v68, s0
	global_load_b64 v[22:23], v[22:23], off offset:1024
.LBB376_22:
	s_or_b32 exec_lo, exec_lo, s1
	v_add_nc_u32_e32 v26, 0x2c0, v66
	s_delay_alu instid0(VALU_DEP_1) | instskip(NEXT) | instid1(VALU_DEP_1)
	v_cmp_gt_i32_e64 s20, s42, v26
	s_and_b32 s0, s31, s20
	s_delay_alu instid0(SALU_CYCLE_1)
	s_and_saveexec_b32 s1, s0
	s_cbranch_execz .LBB376_24
; %bb.23:
	v_add_co_u32 v24, s0, 0x1000, v67
	s_delay_alu instid0(VALU_DEP_1)
	v_add_co_ci_u32_e64 v25, s0, 0, v68, s0
	global_load_b64 v[24:25], v[24:25], off offset:1536
.LBB376_24:
	s_or_b32 exec_lo, exec_lo, s1
	v_mov_b32_e32 v28, 0
	v_mov_b32_e32 v29, 0xfff00000
	v_add_nc_u32_e32 v26, 0x300, v66
	s_delay_alu instid0(VALU_DEP_1) | instskip(NEXT) | instid1(VALU_DEP_3)
	v_cmp_gt_i32_e64 s19, s42, v26
	v_dual_mov_b32 v26, v28 :: v_dual_mov_b32 v27, v29
	s_delay_alu instid0(VALU_DEP_2) | instskip(NEXT) | instid1(SALU_CYCLE_1)
	s_and_b32 s0, s31, s19
	s_and_saveexec_b32 s1, s0
	s_cbranch_execz .LBB376_26
; %bb.25:
	v_add_co_u32 v26, s0, 0x1000, v67
	s_delay_alu instid0(VALU_DEP_1)
	v_add_co_ci_u32_e64 v27, s0, 0, v68, s0
	global_load_b64 v[26:27], v[26:27], off offset:2048
.LBB376_26:
	;; [unrolled: 31-line block ×3, first 2 shown]
	s_or_b32 exec_lo, exec_lo, s1
	v_add_nc_u32_e32 v34, 0x3c0, v66
	s_delay_alu instid0(VALU_DEP_1) | instskip(NEXT) | instid1(VALU_DEP_1)
	v_cmp_gt_i32_e64 s16, s42, v34
	s_and_b32 s0, s31, s16
	s_delay_alu instid0(SALU_CYCLE_1)
	s_and_saveexec_b32 s1, s0
	s_cbranch_execz .LBB376_32
; %bb.31:
	v_add_co_u32 v32, s0, 0x1000, v67
	s_delay_alu instid0(VALU_DEP_1)
	v_add_co_ci_u32_e64 v33, s0, 0, v68, s0
	global_load_b64 v[32:33], v[32:33], off offset:3584
.LBB376_32:
	s_or_b32 exec_lo, exec_lo, s1
	v_or_b32_e32 v34, 0x400, v66
	v_mov_b32_e32 v36, 0
	v_mov_b32_e32 v37, 0xfff00000
	s_delay_alu instid0(VALU_DEP_3) | instskip(NEXT) | instid1(VALU_DEP_2)
	v_cmp_gt_i32_e64 s15, s42, v34
	v_dual_mov_b32 v34, v36 :: v_dual_mov_b32 v35, v37
	s_delay_alu instid0(VALU_DEP_2) | instskip(NEXT) | instid1(SALU_CYCLE_1)
	s_and_b32 s0, s31, s15
	s_and_saveexec_b32 s1, s0
	s_cbranch_execz .LBB376_34
; %bb.33:
	v_add_co_u32 v34, s0, 0x2000, v67
	s_delay_alu instid0(VALU_DEP_1)
	v_add_co_ci_u32_e64 v35, s0, 0, v68, s0
	global_load_b64 v[34:35], v[34:35], off
.LBB376_34:
	s_or_b32 exec_lo, exec_lo, s1
	v_add_nc_u32_e32 v38, 0x440, v66
	s_delay_alu instid0(VALU_DEP_1) | instskip(NEXT) | instid1(VALU_DEP_1)
	v_cmp_gt_i32_e64 s14, s42, v38
	s_and_b32 s0, s31, s14
	s_delay_alu instid0(SALU_CYCLE_1)
	s_and_saveexec_b32 s1, s0
	s_cbranch_execz .LBB376_36
; %bb.35:
	v_add_co_u32 v36, s0, 0x2000, v67
	s_delay_alu instid0(VALU_DEP_1)
	v_add_co_ci_u32_e64 v37, s0, 0, v68, s0
	global_load_b64 v[36:37], v[36:37], off offset:512
.LBB376_36:
	s_or_b32 exec_lo, exec_lo, s1
	v_mov_b32_e32 v40, 0
	v_mov_b32_e32 v41, 0xfff00000
	v_add_nc_u32_e32 v38, 0x480, v66
	s_delay_alu instid0(VALU_DEP_1) | instskip(NEXT) | instid1(VALU_DEP_3)
	v_cmp_gt_i32_e64 s13, s42, v38
	v_dual_mov_b32 v38, v40 :: v_dual_mov_b32 v39, v41
	s_delay_alu instid0(VALU_DEP_2) | instskip(NEXT) | instid1(SALU_CYCLE_1)
	s_and_b32 s0, s31, s13
	s_and_saveexec_b32 s1, s0
	s_cbranch_execz .LBB376_38
; %bb.37:
	v_add_co_u32 v38, s0, 0x2000, v67
	s_delay_alu instid0(VALU_DEP_1)
	v_add_co_ci_u32_e64 v39, s0, 0, v68, s0
	global_load_b64 v[38:39], v[38:39], off offset:1024
.LBB376_38:
	s_or_b32 exec_lo, exec_lo, s1
	v_add_nc_u32_e32 v42, 0x4c0, v66
	s_delay_alu instid0(VALU_DEP_1) | instskip(NEXT) | instid1(VALU_DEP_1)
	v_cmp_gt_i32_e64 s12, s42, v42
	s_and_b32 s0, s31, s12
	s_delay_alu instid0(SALU_CYCLE_1)
	s_and_saveexec_b32 s1, s0
	s_cbranch_execz .LBB376_40
; %bb.39:
	v_add_co_u32 v40, s0, 0x2000, v67
	s_delay_alu instid0(VALU_DEP_1)
	v_add_co_ci_u32_e64 v41, s0, 0, v68, s0
	global_load_b64 v[40:41], v[40:41], off offset:1536
.LBB376_40:
	s_or_b32 exec_lo, exec_lo, s1
	v_mov_b32_e32 v44, 0
	v_mov_b32_e32 v45, 0xfff00000
	v_add_nc_u32_e32 v42, 0x500, v66
	s_delay_alu instid0(VALU_DEP_1) | instskip(NEXT) | instid1(VALU_DEP_3)
	v_cmp_gt_i32_e64 s11, s42, v42
	v_dual_mov_b32 v42, v44 :: v_dual_mov_b32 v43, v45
	s_delay_alu instid0(VALU_DEP_2) | instskip(NEXT) | instid1(SALU_CYCLE_1)
	s_and_b32 s0, s31, s11
	s_and_saveexec_b32 s1, s0
	s_cbranch_execz .LBB376_42
; %bb.41:
	v_add_co_u32 v42, s0, 0x2000, v67
	s_delay_alu instid0(VALU_DEP_1)
	v_add_co_ci_u32_e64 v43, s0, 0, v68, s0
	global_load_b64 v[42:43], v[42:43], off offset:2048
.LBB376_42:
	s_or_b32 exec_lo, exec_lo, s1
	v_add_nc_u32_e32 v46, 0x540, v66
	s_delay_alu instid0(VALU_DEP_1) | instskip(NEXT) | instid1(VALU_DEP_1)
	v_cmp_gt_i32_e64 s10, s42, v46
	s_and_b32 s0, s31, s10
	s_delay_alu instid0(SALU_CYCLE_1)
	s_and_saveexec_b32 s1, s0
	s_cbranch_execz .LBB376_44
; %bb.43:
	v_add_co_u32 v44, s0, 0x2000, v67
	s_delay_alu instid0(VALU_DEP_1)
	v_add_co_ci_u32_e64 v45, s0, 0, v68, s0
	global_load_b64 v[44:45], v[44:45], off offset:2560
.LBB376_44:
	s_or_b32 exec_lo, exec_lo, s1
	v_mov_b32_e32 v48, 0
	v_mov_b32_e32 v49, 0xfff00000
	v_add_nc_u32_e32 v46, 0x580, v66
	s_delay_alu instid0(VALU_DEP_1) | instskip(NEXT) | instid1(VALU_DEP_3)
	v_cmp_gt_i32_e64 s9, s42, v46
	v_dual_mov_b32 v46, v48 :: v_dual_mov_b32 v47, v49
	s_delay_alu instid0(VALU_DEP_2) | instskip(NEXT) | instid1(SALU_CYCLE_1)
	s_and_b32 s0, s31, s9
	s_and_saveexec_b32 s1, s0
	s_cbranch_execz .LBB376_46
; %bb.45:
	v_add_co_u32 v46, s0, 0x2000, v67
	s_delay_alu instid0(VALU_DEP_1)
	v_add_co_ci_u32_e64 v47, s0, 0, v68, s0
	global_load_b64 v[46:47], v[46:47], off offset:3072
.LBB376_46:
	s_or_b32 exec_lo, exec_lo, s1
	v_add_nc_u32_e32 v50, 0x5c0, v66
	s_delay_alu instid0(VALU_DEP_1) | instskip(NEXT) | instid1(VALU_DEP_1)
	v_cmp_gt_i32_e64 s8, s42, v50
	s_and_b32 s0, s31, s8
	s_delay_alu instid0(SALU_CYCLE_1)
	s_and_saveexec_b32 s1, s0
	s_cbranch_execz .LBB376_48
; %bb.47:
	v_add_co_u32 v48, s0, 0x2000, v67
	s_delay_alu instid0(VALU_DEP_1)
	v_add_co_ci_u32_e64 v49, s0, 0, v68, s0
	global_load_b64 v[48:49], v[48:49], off offset:3584
.LBB376_48:
	s_or_b32 exec_lo, exec_lo, s1
	v_mov_b32_e32 v56, 0
	v_mov_b32_e32 v57, 0xfff00000
	v_add_nc_u32_e32 v50, 0x600, v66
	s_delay_alu instid0(VALU_DEP_2) | instskip(NEXT) | instid1(VALU_DEP_2)
	v_dual_mov_b32 v52, v56 :: v_dual_mov_b32 v53, v57
	v_cmp_gt_i32_e64 s7, s42, v50
	s_delay_alu instid0(VALU_DEP_1) | instskip(NEXT) | instid1(SALU_CYCLE_1)
	s_and_b32 s0, s31, s7
	s_and_saveexec_b32 s1, s0
	s_cbranch_execz .LBB376_50
; %bb.49:
	v_add_co_u32 v50, s0, 0x3000, v67
	s_delay_alu instid0(VALU_DEP_1)
	v_add_co_ci_u32_e64 v51, s0, 0, v68, s0
	global_load_b64 v[52:53], v[50:51], off
.LBB376_50:
	s_or_b32 exec_lo, exec_lo, s1
	v_add_nc_u32_e32 v50, 0x640, v66
	s_delay_alu instid0(VALU_DEP_1) | instskip(NEXT) | instid1(VALU_DEP_1)
	v_cmp_gt_i32_e64 s6, s42, v50
	s_and_b32 s0, s31, s6
	s_delay_alu instid0(SALU_CYCLE_1)
	s_and_saveexec_b32 s1, s0
	s_cbranch_execz .LBB376_52
; %bb.51:
	v_add_co_u32 v50, s0, 0x3000, v67
	s_delay_alu instid0(VALU_DEP_1)
	v_add_co_ci_u32_e64 v51, s0, 0, v68, s0
	global_load_b64 v[56:57], v[50:51], off offset:512
.LBB376_52:
	s_or_b32 exec_lo, exec_lo, s1
	v_mov_b32_e32 v64, 0
	v_mov_b32_e32 v65, 0xfff00000
	v_add_nc_u32_e32 v50, 0x680, v66
	s_delay_alu instid0(VALU_DEP_2) | instskip(NEXT) | instid1(VALU_DEP_2)
	v_dual_mov_b32 v60, v64 :: v_dual_mov_b32 v61, v65
	v_cmp_gt_i32_e64 s5, s42, v50
	s_delay_alu instid0(VALU_DEP_1) | instskip(NEXT) | instid1(SALU_CYCLE_1)
	s_and_b32 s0, s31, s5
	s_and_saveexec_b32 s1, s0
	s_cbranch_execz .LBB376_54
; %bb.53:
	v_add_co_u32 v50, s0, 0x3000, v67
	s_delay_alu instid0(VALU_DEP_1)
	v_add_co_ci_u32_e64 v51, s0, 0, v68, s0
	global_load_b64 v[60:61], v[50:51], off offset:1024
.LBB376_54:
	s_or_b32 exec_lo, exec_lo, s1
	v_add_nc_u32_e32 v50, 0x6c0, v66
	s_delay_alu instid0(VALU_DEP_1) | instskip(NEXT) | instid1(VALU_DEP_1)
	v_cmp_gt_i32_e64 s4, s42, v50
	s_and_b32 s0, s31, s4
	s_delay_alu instid0(SALU_CYCLE_1)
	s_and_saveexec_b32 s1, s0
	s_cbranch_execz .LBB376_56
; %bb.55:
	v_add_co_u32 v50, s0, 0x3000, v67
	s_delay_alu instid0(VALU_DEP_1)
	v_add_co_ci_u32_e64 v51, s0, 0, v68, s0
	global_load_b64 v[64:65], v[50:51], off offset:1536
.LBB376_56:
	s_or_b32 exec_lo, exec_lo, s1
	v_mov_b32_e32 v58, 0
	v_mov_b32_e32 v59, 0xfff00000
	s_delay_alu instid0(VALU_DEP_1) | instskip(NEXT) | instid1(VALU_DEP_1)
	v_dual_mov_b32 v63, v59 :: v_dual_add_nc_u32 v50, 0x700, v66
	v_cmp_gt_i32_e64 s3, s42, v50
	s_delay_alu instid0(VALU_DEP_4) | instskip(NEXT) | instid1(VALU_DEP_2)
	v_mov_b32_e32 v62, v58
	s_and_b32 s0, s31, s3
	s_delay_alu instid0(SALU_CYCLE_1)
	s_and_saveexec_b32 s1, s0
	s_cbranch_execz .LBB376_58
; %bb.57:
	v_add_co_u32 v50, s0, 0x3000, v67
	s_delay_alu instid0(VALU_DEP_1)
	v_add_co_ci_u32_e64 v51, s0, 0, v68, s0
	global_load_b64 v[62:63], v[50:51], off offset:2048
.LBB376_58:
	s_or_b32 exec_lo, exec_lo, s1
	v_add_nc_u32_e32 v50, 0x740, v66
	s_delay_alu instid0(VALU_DEP_1) | instskip(NEXT) | instid1(VALU_DEP_1)
	v_cmp_gt_i32_e64 s2, s42, v50
	s_and_b32 s0, s31, s2
	s_delay_alu instid0(SALU_CYCLE_1)
	s_and_saveexec_b32 s1, s0
	s_cbranch_execz .LBB376_60
; %bb.59:
	v_add_co_u32 v50, s0, 0x3000, v67
	s_delay_alu instid0(VALU_DEP_1)
	v_add_co_ci_u32_e64 v51, s0, 0, v68, s0
	global_load_b64 v[58:59], v[50:51], off offset:2560
.LBB376_60:
	s_or_b32 exec_lo, exec_lo, s1
	v_add_nc_u32_e32 v54, 0x780, v66
	v_mov_b32_e32 v50, 0
	v_mov_b32_e32 v51, 0xfff00000
	s_delay_alu instid0(VALU_DEP_3) | instskip(NEXT) | instid1(VALU_DEP_2)
	v_cmp_gt_i32_e64 s1, s42, v54
	v_dual_mov_b32 v55, v51 :: v_dual_mov_b32 v54, v50
	s_delay_alu instid0(VALU_DEP_2) | instskip(NEXT) | instid1(SALU_CYCLE_1)
	s_and_b32 s0, s31, s1
	s_and_saveexec_b32 s33, s0
	s_cbranch_execz .LBB376_62
; %bb.61:
	v_add_co_u32 v54, s0, 0x3000, v67
	s_delay_alu instid0(VALU_DEP_1)
	v_add_co_ci_u32_e64 v55, s0, 0, v68, s0
	global_load_b64 v[54:55], v[54:55], off offset:3072
.LBB376_62:
	s_or_b32 exec_lo, exec_lo, s33
	v_add_nc_u32_e32 v66, 0x7c0, v66
	s_delay_alu instid0(VALU_DEP_1) | instskip(NEXT) | instid1(VALU_DEP_1)
	v_cmp_gt_i32_e64 s0, s42, v66
	s_and_b32 s31, s31, s0
	s_delay_alu instid0(SALU_CYCLE_1)
	s_and_saveexec_b32 s33, s31
	s_cbranch_execz .LBB376_64
; %bb.63:
	v_add_co_u32 v50, s31, 0x3000, v67
	s_delay_alu instid0(VALU_DEP_1)
	v_add_co_ci_u32_e64 v51, s31, 0, v68, s31
	global_load_b64 v[50:51], v[50:51], off offset:3584
.LBB376_64:
	s_or_b32 exec_lo, exec_lo, s33
	s_waitcnt vmcnt(0)
	v_cmp_gt_f64_e64 s31, v[2:3], v[4:5]
	v_mbcnt_lo_u32_b32 v76, -1, 0
	s_mov_b32 s38, 0x652b82fe
	s_mov_b32 s39, 0x3ff71547
	;; [unrolled: 1-line block ×4, first 2 shown]
	v_or_b32_e32 v68, 32, v76
	s_mov_b32 s40, 0x3b39803f
	s_mov_b32 s41, 0xbc7abc9e
	;; [unrolled: 1-line block ×22, first 2 shown]
	s_delay_alu instid0(VALU_DEP_3) | instskip(SKIP_1) | instid1(VALU_DEP_1)
	v_cndmask_b32_e64 v67, v5, v3, s31
	v_cndmask_b32_e64 v66, v4, v2, s31
	v_cmp_gt_f64_e64 s31, v[66:67], v[6:7]
	s_delay_alu instid0(VALU_DEP_1) | instskip(SKIP_1) | instid1(VALU_DEP_1)
	v_cndmask_b32_e64 v67, v7, v67, s31
	v_cndmask_b32_e64 v66, v6, v66, s31
	v_cmp_gt_f64_e64 s31, v[66:67], v[8:9]
	s_delay_alu instid0(VALU_DEP_1) | instskip(SKIP_1) | instid1(VALU_DEP_1)
	;; [unrolled: 4-line block ×29, first 2 shown]
	v_cndmask_b32_e64 v67, v55, v67, s31
	v_cndmask_b32_e64 v66, v54, v66, s31
	v_cmp_gt_f64_e64 s31, v[66:67], v[50:51]
	s_delay_alu instid0(VALU_DEP_1) | instskip(SKIP_2) | instid1(VALU_DEP_1)
	v_cndmask_b32_e64 v67, v51, v67, s31
	v_cndmask_b32_e64 v66, v50, v66, s31
	v_cmp_gt_i32_e64 s31, 64, v68
	v_cndmask_b32_e64 v68, v76, v68, s31
	s_delay_alu instid0(VALU_DEP_1) | instskip(SKIP_4) | instid1(VALU_DEP_1)
	v_lshlrev_b32_e32 v71, 2, v68
	ds_bpermute_b32 v68, v71, v66
	ds_bpermute_b32 v69, v71, v67
	s_waitcnt lgkmcnt(0)
	v_cmp_lt_f64_e64 s31, v[66:67], v[68:69]
	v_cndmask_b32_e64 v66, v66, v68, s31
	v_xor_b32_e32 v68, 16, v76
	v_cndmask_b32_e64 v67, v67, v69, s31
	s_delay_alu instid0(VALU_DEP_2) | instskip(NEXT) | instid1(VALU_DEP_1)
	v_cmp_gt_i32_e64 s31, 64, v68
	v_cndmask_b32_e64 v68, v76, v68, s31
	s_delay_alu instid0(VALU_DEP_1) | instskip(SKIP_4) | instid1(VALU_DEP_1)
	v_lshlrev_b32_e32 v72, 2, v68
	ds_bpermute_b32 v68, v72, v66
	ds_bpermute_b32 v69, v72, v67
	s_waitcnt lgkmcnt(0)
	v_cmp_lt_f64_e64 s31, v[66:67], v[68:69]
	v_cndmask_b32_e64 v66, v66, v68, s31
	v_xor_b32_e32 v68, 8, v76
	v_cndmask_b32_e64 v67, v67, v69, s31
	s_delay_alu instid0(VALU_DEP_2) | instskip(NEXT) | instid1(VALU_DEP_1)
	;; [unrolled: 12-line block ×5, first 2 shown]
	v_cmp_gt_i32_e64 s31, 64, v68
	v_cndmask_b32_e64 v68, v76, v68, s31
	s_delay_alu instid0(VALU_DEP_1) | instskip(SKIP_4) | instid1(VALU_DEP_1)
	v_lshlrev_b32_e32 v76, 2, v68
	ds_bpermute_b32 v68, v76, v66
	ds_bpermute_b32 v69, v76, v67
	s_waitcnt lgkmcnt(0)
	v_cmp_lt_f64_e64 s31, v[66:67], v[68:69]
	v_cndmask_b32_e64 v67, v67, v69, s31
	v_cndmask_b32_e64 v66, v66, v68, s31
	s_delay_alu instid0(VALU_DEP_1)
	v_add_f64 v[2:3], v[2:3], -v[66:67]
	v_add_f64 v[4:5], v[4:5], -v[66:67]
	;; [unrolled: 1-line block ×32, first 2 shown]
	v_mul_f64 v[68:69], v[2:3], s[38:39]
	v_cmp_nlt_f64_e64 s31, 0x40900000, v[2:3]
	v_cmp_ngt_f64_e64 s33, 0xc090cc00, v[2:3]
	s_delay_alu instid0(VALU_DEP_4) | instskip(NEXT) | instid1(VALU_DEP_4)
	v_mul_f64 v[66:67], v[50:51], s[38:39]
	v_rndne_f64_e32 v[68:69], v[68:69]
	s_delay_alu instid0(VALU_DEP_2) | instskip(NEXT) | instid1(VALU_DEP_2)
	v_rndne_f64_e32 v[66:67], v[66:67]
	v_fma_f64 v[77:78], v[68:69], s[34:35], v[2:3]
	s_delay_alu instid0(VALU_DEP_1) | instskip(SKIP_1) | instid1(VALU_DEP_2)
	v_fma_f64 v[77:78], v[68:69], s[40:41], v[77:78]
	v_cvt_i32_f64_e32 v68, v[68:69]
	v_fma_f64 v[79:80], v[77:78], s[44:45], s[42:43]
	s_delay_alu instid0(VALU_DEP_1) | instskip(NEXT) | instid1(VALU_DEP_1)
	v_fma_f64 v[79:80], v[77:78], v[79:80], s[46:47]
	v_fma_f64 v[79:80], v[77:78], v[79:80], s[48:49]
	s_delay_alu instid0(VALU_DEP_1) | instskip(NEXT) | instid1(VALU_DEP_1)
	v_fma_f64 v[79:80], v[77:78], v[79:80], s[50:51]
	;; [unrolled: 3-line block ×4, first 2 shown]
	v_fma_f64 v[79:80], v[77:78], v[79:80], s[60:61]
	s_delay_alu instid0(VALU_DEP_1) | instskip(NEXT) | instid1(VALU_DEP_1)
	v_fma_f64 v[79:80], v[77:78], v[79:80], 1.0
	v_fma_f64 v[77:78], v[77:78], v[79:80], 1.0
	s_delay_alu instid0(VALU_DEP_1) | instskip(SKIP_1) | instid1(VALU_DEP_2)
	v_ldexp_f64 v[68:69], v[77:78], v68
	v_mul_f64 v[77:78], v[4:5], s[38:39]
	v_cndmask_b32_e64 v69, 0x7ff00000, v69, s31
	s_delay_alu instid0(VALU_DEP_2)
	v_rndne_f64_e32 v[77:78], v[77:78]
	s_and_b32 s31, s33, s31
	s_delay_alu instid0(VALU_DEP_4) | instid1(SALU_CYCLE_1)
	v_cndmask_b32_e64 v2, 0, v68, s31
	v_cmp_nlt_f64_e64 s31, 0x40900000, v[4:5]
	v_cndmask_b32_e64 v3, 0, v69, s33
	v_cmp_ngt_f64_e64 s33, 0xc090cc00, v[4:5]
	s_delay_alu instid0(VALU_DEP_2) | instskip(SKIP_1) | instid1(VALU_DEP_1)
	v_add_f64 v[68:69], v[2:3], 0
	v_fma_f64 v[79:80], v[77:78], s[34:35], v[4:5]
	v_fma_f64 v[79:80], v[77:78], s[40:41], v[79:80]
	v_cvt_i32_f64_e32 v77, v[77:78]
	s_delay_alu instid0(VALU_DEP_2) | instskip(NEXT) | instid1(VALU_DEP_1)
	v_fma_f64 v[81:82], v[79:80], s[44:45], s[42:43]
	v_fma_f64 v[81:82], v[79:80], v[81:82], s[46:47]
	s_delay_alu instid0(VALU_DEP_1) | instskip(NEXT) | instid1(VALU_DEP_1)
	v_fma_f64 v[81:82], v[79:80], v[81:82], s[48:49]
	v_fma_f64 v[81:82], v[79:80], v[81:82], s[50:51]
	s_delay_alu instid0(VALU_DEP_1) | instskip(NEXT) | instid1(VALU_DEP_1)
	;; [unrolled: 3-line block ×4, first 2 shown]
	v_fma_f64 v[81:82], v[79:80], v[81:82], s[60:61]
	v_fma_f64 v[81:82], v[79:80], v[81:82], 1.0
	s_delay_alu instid0(VALU_DEP_1) | instskip(NEXT) | instid1(VALU_DEP_1)
	v_fma_f64 v[79:80], v[79:80], v[81:82], 1.0
	v_ldexp_f64 v[77:78], v[79:80], v77
	s_delay_alu instid0(VALU_DEP_1)
	v_cndmask_b32_e64 v78, 0x7ff00000, v78, s31
	s_and_b32 s31, s33, s31
	s_delay_alu instid0(VALU_DEP_2) | instid1(SALU_CYCLE_1)
	v_cndmask_b32_e64 v4, 0, v77, s31
	v_cmp_nlt_f64_e64 s31, 0x40900000, v[6:7]
	s_delay_alu instid0(VALU_DEP_3) | instskip(SKIP_2) | instid1(VALU_DEP_3)
	v_cndmask_b32_e64 v5, 0, v78, s33
	v_mul_f64 v[77:78], v[6:7], s[38:39]
	v_cmp_ngt_f64_e64 s33, 0xc090cc00, v[6:7]
	v_add_f64 v[68:69], v[68:69], v[4:5]
	s_delay_alu instid0(VALU_DEP_3) | instskip(NEXT) | instid1(VALU_DEP_1)
	v_rndne_f64_e32 v[77:78], v[77:78]
	v_fma_f64 v[79:80], v[77:78], s[34:35], v[6:7]
	s_delay_alu instid0(VALU_DEP_1) | instskip(SKIP_1) | instid1(VALU_DEP_2)
	v_fma_f64 v[79:80], v[77:78], s[40:41], v[79:80]
	v_cvt_i32_f64_e32 v77, v[77:78]
	v_fma_f64 v[81:82], v[79:80], s[44:45], s[42:43]
	s_delay_alu instid0(VALU_DEP_1) | instskip(NEXT) | instid1(VALU_DEP_1)
	v_fma_f64 v[81:82], v[79:80], v[81:82], s[46:47]
	v_fma_f64 v[81:82], v[79:80], v[81:82], s[48:49]
	s_delay_alu instid0(VALU_DEP_1) | instskip(NEXT) | instid1(VALU_DEP_1)
	v_fma_f64 v[81:82], v[79:80], v[81:82], s[50:51]
	v_fma_f64 v[81:82], v[79:80], v[81:82], s[52:53]
	s_delay_alu instid0(VALU_DEP_1) | instskip(NEXT) | instid1(VALU_DEP_1)
	v_fma_f64 v[81:82], v[79:80], v[81:82], s[54:55]
	v_fma_f64 v[81:82], v[79:80], v[81:82], s[56:57]
	s_delay_alu instid0(VALU_DEP_1) | instskip(NEXT) | instid1(VALU_DEP_1)
	v_fma_f64 v[81:82], v[79:80], v[81:82], s[58:59]
	v_fma_f64 v[81:82], v[79:80], v[81:82], s[60:61]
	s_delay_alu instid0(VALU_DEP_1) | instskip(NEXT) | instid1(VALU_DEP_1)
	v_fma_f64 v[81:82], v[79:80], v[81:82], 1.0
	v_fma_f64 v[79:80], v[79:80], v[81:82], 1.0
	s_delay_alu instid0(VALU_DEP_1) | instskip(NEXT) | instid1(VALU_DEP_1)
	v_ldexp_f64 v[77:78], v[79:80], v77
	v_cndmask_b32_e64 v78, 0x7ff00000, v78, s31
	s_and_b32 s31, s33, s31
	s_delay_alu instid0(VALU_DEP_2) | instid1(SALU_CYCLE_1)
	v_cndmask_b32_e64 v6, 0, v77, s31
	v_cmp_nlt_f64_e64 s31, 0x40900000, v[8:9]
	s_delay_alu instid0(VALU_DEP_3) | instskip(SKIP_2) | instid1(VALU_DEP_3)
	v_cndmask_b32_e64 v7, 0, v78, s33
	v_mul_f64 v[77:78], v[8:9], s[38:39]
	v_cmp_ngt_f64_e64 s33, 0xc090cc00, v[8:9]
	v_add_f64 v[68:69], v[68:69], v[6:7]
	s_delay_alu instid0(VALU_DEP_3) | instskip(NEXT) | instid1(VALU_DEP_1)
	v_rndne_f64_e32 v[77:78], v[77:78]
	v_fma_f64 v[79:80], v[77:78], s[34:35], v[8:9]
	s_delay_alu instid0(VALU_DEP_1) | instskip(SKIP_1) | instid1(VALU_DEP_2)
	v_fma_f64 v[79:80], v[77:78], s[40:41], v[79:80]
	v_cvt_i32_f64_e32 v77, v[77:78]
	v_fma_f64 v[81:82], v[79:80], s[44:45], s[42:43]
	s_delay_alu instid0(VALU_DEP_1) | instskip(NEXT) | instid1(VALU_DEP_1)
	v_fma_f64 v[81:82], v[79:80], v[81:82], s[46:47]
	v_fma_f64 v[81:82], v[79:80], v[81:82], s[48:49]
	s_delay_alu instid0(VALU_DEP_1) | instskip(NEXT) | instid1(VALU_DEP_1)
	v_fma_f64 v[81:82], v[79:80], v[81:82], s[50:51]
	v_fma_f64 v[81:82], v[79:80], v[81:82], s[52:53]
	s_delay_alu instid0(VALU_DEP_1) | instskip(NEXT) | instid1(VALU_DEP_1)
	v_fma_f64 v[81:82], v[79:80], v[81:82], s[54:55]
	v_fma_f64 v[81:82], v[79:80], v[81:82], s[56:57]
	s_delay_alu instid0(VALU_DEP_1) | instskip(NEXT) | instid1(VALU_DEP_1)
	v_fma_f64 v[81:82], v[79:80], v[81:82], s[58:59]
	v_fma_f64 v[81:82], v[79:80], v[81:82], s[60:61]
	s_delay_alu instid0(VALU_DEP_1) | instskip(NEXT) | instid1(VALU_DEP_1)
	v_fma_f64 v[81:82], v[79:80], v[81:82], 1.0
	v_fma_f64 v[79:80], v[79:80], v[81:82], 1.0
	s_delay_alu instid0(VALU_DEP_1) | instskip(NEXT) | instid1(VALU_DEP_1)
	v_ldexp_f64 v[77:78], v[79:80], v77
	;; [unrolled: 34-line block ×29, first 2 shown]
	v_cndmask_b32_e64 v78, 0x7ff00000, v78, s31
	s_and_b32 s31, s33, s31
	s_delay_alu instid0(VALU_DEP_2) | instid1(SALU_CYCLE_1)
	v_cndmask_b32_e64 v54, 0, v77, s31
	v_cmp_nlt_f64_e64 s31, 0x40900000, v[50:51]
	s_delay_alu instid0(VALU_DEP_3) | instskip(SKIP_2) | instid1(VALU_DEP_3)
	v_cndmask_b32_e64 v55, 0, v78, s33
	v_fma_f64 v[77:78], v[66:67], s[34:35], v[50:51]
	v_cmp_ngt_f64_e64 s33, 0xc090cc00, v[50:51]
	v_add_f64 v[68:69], v[68:69], v[54:55]
	s_delay_alu instid0(VALU_DEP_3) | instskip(SKIP_1) | instid1(VALU_DEP_2)
	v_fma_f64 v[77:78], v[66:67], s[40:41], v[77:78]
	v_cvt_i32_f64_e32 v66, v[66:67]
	v_fma_f64 v[79:80], v[77:78], s[44:45], s[42:43]
	s_delay_alu instid0(VALU_DEP_1) | instskip(NEXT) | instid1(VALU_DEP_1)
	v_fma_f64 v[79:80], v[77:78], v[79:80], s[46:47]
	v_fma_f64 v[79:80], v[77:78], v[79:80], s[48:49]
	s_delay_alu instid0(VALU_DEP_1) | instskip(NEXT) | instid1(VALU_DEP_1)
	v_fma_f64 v[79:80], v[77:78], v[79:80], s[50:51]
	;; [unrolled: 3-line block ×4, first 2 shown]
	v_fma_f64 v[79:80], v[77:78], v[79:80], s[60:61]
	s_delay_alu instid0(VALU_DEP_1) | instskip(NEXT) | instid1(VALU_DEP_1)
	v_fma_f64 v[79:80], v[77:78], v[79:80], 1.0
	v_fma_f64 v[77:78], v[77:78], v[79:80], 1.0
	s_delay_alu instid0(VALU_DEP_1) | instskip(NEXT) | instid1(VALU_DEP_1)
	v_ldexp_f64 v[66:67], v[77:78], v66
	v_cndmask_b32_e64 v67, 0x7ff00000, v67, s31
	s_and_b32 s31, s33, s31
	s_delay_alu instid0(VALU_DEP_2) | instid1(SALU_CYCLE_1)
	v_cndmask_b32_e64 v50, 0, v66, s31
	s_delay_alu instid0(VALU_DEP_2) | instskip(SKIP_1) | instid1(VALU_DEP_1)
	v_cndmask_b32_e64 v51, 0, v67, s33
	s_mov_b32 s33, exec_lo
	v_add_f64 v[66:67], v[68:69], v[50:51]
	ds_bpermute_b32 v68, v71, v66
	ds_bpermute_b32 v69, v71, v67
	s_waitcnt lgkmcnt(0)
	v_add_f64 v[66:67], v[66:67], v[68:69]
	ds_bpermute_b32 v68, v72, v66
	ds_bpermute_b32 v69, v72, v67
	s_waitcnt lgkmcnt(0)
	v_add_f64 v[66:67], v[66:67], v[68:69]
	ds_bpermute_b32 v68, v73, v66
	ds_bpermute_b32 v69, v73, v67
	s_waitcnt lgkmcnt(0)
	v_add_f64 v[66:67], v[66:67], v[68:69]
	ds_bpermute_b32 v68, v74, v66
	ds_bpermute_b32 v69, v74, v67
	s_waitcnt lgkmcnt(0)
	v_add_f64 v[66:67], v[66:67], v[68:69]
	ds_bpermute_b32 v68, v75, v66
	ds_bpermute_b32 v69, v75, v67
	s_waitcnt lgkmcnt(0)
	v_add_f64 v[66:67], v[66:67], v[68:69]
	ds_bpermute_b32 v68, v76, v66
	ds_bpermute_b32 v69, v76, v67
	v_cmpx_lt_i32_e32 0, v70
	s_cbranch_execz .LBB376_98
; %bb.65:
	s_and_b32 exec_lo, exec_lo, vcc_lo
	s_cbranch_execz .LBB376_98
; %bb.66:
	s_waitcnt lgkmcnt(0)
	v_add_f64 v[66:67], v[66:67], v[68:69]
	s_delay_alu instid0(VALU_DEP_1) | instskip(SKIP_2) | instid1(VALU_DEP_3)
	v_div_scale_f64 v[68:69], null, v[66:67], v[66:67], v[2:3]
	v_div_scale_f64 v[74:75], vcc_lo, v[2:3], v[66:67], v[2:3]
	v_cmp_eq_f64_e64 s31, 0, v[66:67]
	v_rcp_f64_e32 v[70:71], v[68:69]
	s_waitcnt_depctr 0xfff
	v_fma_f64 v[72:73], -v[68:69], v[70:71], 1.0
	s_delay_alu instid0(VALU_DEP_1) | instskip(NEXT) | instid1(VALU_DEP_1)
	v_fma_f64 v[70:71], v[70:71], v[72:73], v[70:71]
	v_fma_f64 v[72:73], -v[68:69], v[70:71], 1.0
	s_delay_alu instid0(VALU_DEP_1) | instskip(NEXT) | instid1(VALU_DEP_1)
	v_fma_f64 v[70:71], v[70:71], v[72:73], v[70:71]
	v_mul_f64 v[72:73], v[74:75], v[70:71]
	s_delay_alu instid0(VALU_DEP_1) | instskip(NEXT) | instid1(VALU_DEP_1)
	v_fma_f64 v[68:69], -v[68:69], v[72:73], v[74:75]
	v_div_fmas_f64 v[68:69], v[68:69], v[70:71], v[72:73]
	v_add_co_u32 v0, vcc_lo, s36, v0
	v_add_co_ci_u32_e32 v1, vcc_lo, s37, v1, vcc_lo
	s_delay_alu instid0(VALU_DEP_3) | instskip(NEXT) | instid1(VALU_DEP_1)
	v_div_fixup_f64 v[2:3], v[68:69], v[66:67], v[2:3]
	v_cndmask_b32_e64 v3, v3, 0x7ff80000, s31
	s_delay_alu instid0(VALU_DEP_2)
	v_cndmask_b32_e64 v2, v2, 0, s31
	global_store_b64 v[0:1], v[2:3], off
	s_and_b32 exec_lo, exec_lo, s30
	s_cbranch_execz .LBB376_98
; %bb.67:
	v_div_scale_f64 v[2:3], null, v[66:67], v[66:67], v[4:5]
	v_div_scale_f64 v[72:73], vcc_lo, v[4:5], v[66:67], v[4:5]
	s_delay_alu instid0(VALU_DEP_2) | instskip(SKIP_2) | instid1(VALU_DEP_1)
	v_rcp_f64_e32 v[68:69], v[2:3]
	s_waitcnt_depctr 0xfff
	v_fma_f64 v[70:71], -v[2:3], v[68:69], 1.0
	v_fma_f64 v[68:69], v[68:69], v[70:71], v[68:69]
	s_delay_alu instid0(VALU_DEP_1) | instskip(NEXT) | instid1(VALU_DEP_1)
	v_fma_f64 v[70:71], -v[2:3], v[68:69], 1.0
	v_fma_f64 v[68:69], v[68:69], v[70:71], v[68:69]
	s_delay_alu instid0(VALU_DEP_1) | instskip(NEXT) | instid1(VALU_DEP_1)
	v_mul_f64 v[70:71], v[72:73], v[68:69]
	v_fma_f64 v[2:3], -v[2:3], v[70:71], v[72:73]
	s_delay_alu instid0(VALU_DEP_1) | instskip(NEXT) | instid1(VALU_DEP_1)
	v_div_fmas_f64 v[2:3], v[2:3], v[68:69], v[70:71]
	v_div_fixup_f64 v[2:3], v[2:3], v[66:67], v[4:5]
	s_delay_alu instid0(VALU_DEP_1) | instskip(NEXT) | instid1(VALU_DEP_2)
	v_cndmask_b32_e64 v3, v3, 0x7ff80000, s31
	v_cndmask_b32_e64 v2, v2, 0, s31
	global_store_b64 v[0:1], v[2:3], off offset:512
	s_and_b32 exec_lo, exec_lo, s29
	s_cbranch_execz .LBB376_98
; %bb.68:
	v_div_scale_f64 v[2:3], null, v[66:67], v[66:67], v[6:7]
	v_div_scale_f64 v[70:71], vcc_lo, v[6:7], v[66:67], v[6:7]
	s_delay_alu instid0(VALU_DEP_2) | instskip(SKIP_2) | instid1(VALU_DEP_1)
	v_rcp_f64_e32 v[4:5], v[2:3]
	s_waitcnt_depctr 0xfff
	v_fma_f64 v[68:69], -v[2:3], v[4:5], 1.0
	v_fma_f64 v[4:5], v[4:5], v[68:69], v[4:5]
	s_delay_alu instid0(VALU_DEP_1) | instskip(NEXT) | instid1(VALU_DEP_1)
	v_fma_f64 v[68:69], -v[2:3], v[4:5], 1.0
	v_fma_f64 v[4:5], v[4:5], v[68:69], v[4:5]
	s_delay_alu instid0(VALU_DEP_1) | instskip(NEXT) | instid1(VALU_DEP_1)
	v_mul_f64 v[68:69], v[70:71], v[4:5]
	v_fma_f64 v[2:3], -v[2:3], v[68:69], v[70:71]
	s_delay_alu instid0(VALU_DEP_1) | instskip(NEXT) | instid1(VALU_DEP_1)
	v_div_fmas_f64 v[2:3], v[2:3], v[4:5], v[68:69]
	v_div_fixup_f64 v[2:3], v[2:3], v[66:67], v[6:7]
	s_delay_alu instid0(VALU_DEP_1) | instskip(NEXT) | instid1(VALU_DEP_2)
	v_cndmask_b32_e64 v3, v3, 0x7ff80000, s31
	v_cndmask_b32_e64 v2, v2, 0, s31
	global_store_b64 v[0:1], v[2:3], off offset:1024
	;; [unrolled: 23-line block ×7, first 2 shown]
	s_and_b32 exec_lo, exec_lo, s23
	s_cbranch_execz .LBB376_98
; %bb.74:
	v_div_scale_f64 v[2:3], null, v[66:67], v[66:67], v[18:19]
	v_div_scale_f64 v[8:9], vcc_lo, v[18:19], v[66:67], v[18:19]
	s_delay_alu instid0(VALU_DEP_2) | instskip(SKIP_2) | instid1(VALU_DEP_1)
	v_rcp_f64_e32 v[4:5], v[2:3]
	s_waitcnt_depctr 0xfff
	v_fma_f64 v[6:7], -v[2:3], v[4:5], 1.0
	v_fma_f64 v[4:5], v[4:5], v[6:7], v[4:5]
	s_delay_alu instid0(VALU_DEP_1) | instskip(NEXT) | instid1(VALU_DEP_1)
	v_fma_f64 v[6:7], -v[2:3], v[4:5], 1.0
	v_fma_f64 v[4:5], v[4:5], v[6:7], v[4:5]
	s_delay_alu instid0(VALU_DEP_1) | instskip(NEXT) | instid1(VALU_DEP_1)
	v_mul_f64 v[6:7], v[8:9], v[4:5]
	v_fma_f64 v[2:3], -v[2:3], v[6:7], v[8:9]
	s_delay_alu instid0(VALU_DEP_1) | instskip(NEXT) | instid1(VALU_DEP_1)
	v_div_fmas_f64 v[2:3], v[2:3], v[4:5], v[6:7]
	v_div_fixup_f64 v[2:3], v[2:3], v[66:67], v[18:19]
	s_delay_alu instid0(VALU_DEP_1) | instskip(SKIP_1) | instid1(VALU_DEP_3)
	v_cndmask_b32_e64 v4, v2, 0, s31
	v_add_co_u32 v2, vcc_lo, 0x1000, v0
	v_cndmask_b32_e64 v5, v3, 0x7ff80000, s31
	v_add_co_ci_u32_e32 v3, vcc_lo, 0, v1, vcc_lo
	global_store_b64 v[2:3], v[4:5], off
	s_and_b32 exec_lo, exec_lo, s22
	s_cbranch_execz .LBB376_98
; %bb.75:
	v_div_scale_f64 v[4:5], null, v[66:67], v[66:67], v[20:21]
	v_div_scale_f64 v[10:11], vcc_lo, v[20:21], v[66:67], v[20:21]
	s_delay_alu instid0(VALU_DEP_2) | instskip(SKIP_2) | instid1(VALU_DEP_1)
	v_rcp_f64_e32 v[6:7], v[4:5]
	s_waitcnt_depctr 0xfff
	v_fma_f64 v[8:9], -v[4:5], v[6:7], 1.0
	v_fma_f64 v[6:7], v[6:7], v[8:9], v[6:7]
	s_delay_alu instid0(VALU_DEP_1) | instskip(NEXT) | instid1(VALU_DEP_1)
	v_fma_f64 v[8:9], -v[4:5], v[6:7], 1.0
	v_fma_f64 v[6:7], v[6:7], v[8:9], v[6:7]
	s_delay_alu instid0(VALU_DEP_1) | instskip(NEXT) | instid1(VALU_DEP_1)
	v_mul_f64 v[8:9], v[10:11], v[6:7]
	v_fma_f64 v[4:5], -v[4:5], v[8:9], v[10:11]
	s_delay_alu instid0(VALU_DEP_1) | instskip(NEXT) | instid1(VALU_DEP_1)
	v_div_fmas_f64 v[4:5], v[4:5], v[6:7], v[8:9]
	v_div_fixup_f64 v[4:5], v[4:5], v[66:67], v[20:21]
	s_delay_alu instid0(VALU_DEP_1) | instskip(NEXT) | instid1(VALU_DEP_2)
	v_cndmask_b32_e64 v5, v5, 0x7ff80000, s31
	v_cndmask_b32_e64 v4, v4, 0, s31
	global_store_b64 v[2:3], v[4:5], off offset:512
	s_and_b32 exec_lo, exec_lo, s21
	s_cbranch_execz .LBB376_98
; %bb.76:
	v_div_scale_f64 v[4:5], null, v[66:67], v[66:67], v[22:23]
	v_div_scale_f64 v[10:11], vcc_lo, v[22:23], v[66:67], v[22:23]
	s_delay_alu instid0(VALU_DEP_2) | instskip(SKIP_2) | instid1(VALU_DEP_1)
	v_rcp_f64_e32 v[6:7], v[4:5]
	s_waitcnt_depctr 0xfff
	v_fma_f64 v[8:9], -v[4:5], v[6:7], 1.0
	v_fma_f64 v[6:7], v[6:7], v[8:9], v[6:7]
	s_delay_alu instid0(VALU_DEP_1) | instskip(NEXT) | instid1(VALU_DEP_1)
	v_fma_f64 v[8:9], -v[4:5], v[6:7], 1.0
	v_fma_f64 v[6:7], v[6:7], v[8:9], v[6:7]
	s_delay_alu instid0(VALU_DEP_1) | instskip(NEXT) | instid1(VALU_DEP_1)
	v_mul_f64 v[8:9], v[10:11], v[6:7]
	v_fma_f64 v[4:5], -v[4:5], v[8:9], v[10:11]
	s_delay_alu instid0(VALU_DEP_1) | instskip(NEXT) | instid1(VALU_DEP_1)
	v_div_fmas_f64 v[4:5], v[4:5], v[6:7], v[8:9]
	v_div_fixup_f64 v[4:5], v[4:5], v[66:67], v[22:23]
	s_delay_alu instid0(VALU_DEP_1) | instskip(NEXT) | instid1(VALU_DEP_2)
	v_cndmask_b32_e64 v5, v5, 0x7ff80000, s31
	v_cndmask_b32_e64 v4, v4, 0, s31
	global_store_b64 v[2:3], v[4:5], off offset:1024
	;; [unrolled: 23-line block ×7, first 2 shown]
	s_and_b32 exec_lo, exec_lo, s15
	s_cbranch_execz .LBB376_98
; %bb.82:
	v_div_scale_f64 v[2:3], null, v[66:67], v[66:67], v[34:35]
	v_div_scale_f64 v[8:9], vcc_lo, v[34:35], v[66:67], v[34:35]
	s_delay_alu instid0(VALU_DEP_2) | instskip(SKIP_2) | instid1(VALU_DEP_1)
	v_rcp_f64_e32 v[4:5], v[2:3]
	s_waitcnt_depctr 0xfff
	v_fma_f64 v[6:7], -v[2:3], v[4:5], 1.0
	v_fma_f64 v[4:5], v[4:5], v[6:7], v[4:5]
	s_delay_alu instid0(VALU_DEP_1) | instskip(NEXT) | instid1(VALU_DEP_1)
	v_fma_f64 v[6:7], -v[2:3], v[4:5], 1.0
	v_fma_f64 v[4:5], v[4:5], v[6:7], v[4:5]
	s_delay_alu instid0(VALU_DEP_1) | instskip(NEXT) | instid1(VALU_DEP_1)
	v_mul_f64 v[6:7], v[8:9], v[4:5]
	v_fma_f64 v[2:3], -v[2:3], v[6:7], v[8:9]
	s_delay_alu instid0(VALU_DEP_1) | instskip(NEXT) | instid1(VALU_DEP_1)
	v_div_fmas_f64 v[2:3], v[2:3], v[4:5], v[6:7]
	v_div_fixup_f64 v[2:3], v[2:3], v[66:67], v[34:35]
	s_delay_alu instid0(VALU_DEP_1) | instskip(SKIP_1) | instid1(VALU_DEP_3)
	v_cndmask_b32_e64 v4, v2, 0, s31
	v_add_co_u32 v2, vcc_lo, 0x2000, v0
	v_cndmask_b32_e64 v5, v3, 0x7ff80000, s31
	v_add_co_ci_u32_e32 v3, vcc_lo, 0, v1, vcc_lo
	global_store_b64 v[2:3], v[4:5], off
	s_and_b32 exec_lo, exec_lo, s14
	s_cbranch_execz .LBB376_98
; %bb.83:
	v_div_scale_f64 v[4:5], null, v[66:67], v[66:67], v[36:37]
	v_div_scale_f64 v[10:11], vcc_lo, v[36:37], v[66:67], v[36:37]
	s_delay_alu instid0(VALU_DEP_2) | instskip(SKIP_2) | instid1(VALU_DEP_1)
	v_rcp_f64_e32 v[6:7], v[4:5]
	s_waitcnt_depctr 0xfff
	v_fma_f64 v[8:9], -v[4:5], v[6:7], 1.0
	v_fma_f64 v[6:7], v[6:7], v[8:9], v[6:7]
	s_delay_alu instid0(VALU_DEP_1) | instskip(NEXT) | instid1(VALU_DEP_1)
	v_fma_f64 v[8:9], -v[4:5], v[6:7], 1.0
	v_fma_f64 v[6:7], v[6:7], v[8:9], v[6:7]
	s_delay_alu instid0(VALU_DEP_1) | instskip(NEXT) | instid1(VALU_DEP_1)
	v_mul_f64 v[8:9], v[10:11], v[6:7]
	v_fma_f64 v[4:5], -v[4:5], v[8:9], v[10:11]
	s_delay_alu instid0(VALU_DEP_1) | instskip(NEXT) | instid1(VALU_DEP_1)
	v_div_fmas_f64 v[4:5], v[4:5], v[6:7], v[8:9]
	v_div_fixup_f64 v[4:5], v[4:5], v[66:67], v[36:37]
	s_delay_alu instid0(VALU_DEP_1) | instskip(NEXT) | instid1(VALU_DEP_2)
	v_cndmask_b32_e64 v5, v5, 0x7ff80000, s31
	v_cndmask_b32_e64 v4, v4, 0, s31
	global_store_b64 v[2:3], v[4:5], off offset:512
	s_and_b32 exec_lo, exec_lo, s13
	s_cbranch_execz .LBB376_98
; %bb.84:
	v_div_scale_f64 v[4:5], null, v[66:67], v[66:67], v[38:39]
	v_div_scale_f64 v[10:11], vcc_lo, v[38:39], v[66:67], v[38:39]
	s_delay_alu instid0(VALU_DEP_2) | instskip(SKIP_2) | instid1(VALU_DEP_1)
	v_rcp_f64_e32 v[6:7], v[4:5]
	s_waitcnt_depctr 0xfff
	v_fma_f64 v[8:9], -v[4:5], v[6:7], 1.0
	v_fma_f64 v[6:7], v[6:7], v[8:9], v[6:7]
	s_delay_alu instid0(VALU_DEP_1) | instskip(NEXT) | instid1(VALU_DEP_1)
	v_fma_f64 v[8:9], -v[4:5], v[6:7], 1.0
	v_fma_f64 v[6:7], v[6:7], v[8:9], v[6:7]
	s_delay_alu instid0(VALU_DEP_1) | instskip(NEXT) | instid1(VALU_DEP_1)
	v_mul_f64 v[8:9], v[10:11], v[6:7]
	v_fma_f64 v[4:5], -v[4:5], v[8:9], v[10:11]
	s_delay_alu instid0(VALU_DEP_1) | instskip(NEXT) | instid1(VALU_DEP_1)
	v_div_fmas_f64 v[4:5], v[4:5], v[6:7], v[8:9]
	v_div_fixup_f64 v[4:5], v[4:5], v[66:67], v[38:39]
	s_delay_alu instid0(VALU_DEP_1) | instskip(NEXT) | instid1(VALU_DEP_2)
	v_cndmask_b32_e64 v5, v5, 0x7ff80000, s31
	v_cndmask_b32_e64 v4, v4, 0, s31
	global_store_b64 v[2:3], v[4:5], off offset:1024
	;; [unrolled: 23-line block ×7, first 2 shown]
	s_and_b32 exec_lo, exec_lo, s7
	s_cbranch_execz .LBB376_98
; %bb.90:
	v_div_scale_f64 v[2:3], null, v[66:67], v[66:67], v[52:53]
	v_div_scale_f64 v[8:9], vcc_lo, v[52:53], v[66:67], v[52:53]
	s_delay_alu instid0(VALU_DEP_2) | instskip(SKIP_2) | instid1(VALU_DEP_1)
	v_rcp_f64_e32 v[4:5], v[2:3]
	s_waitcnt_depctr 0xfff
	v_fma_f64 v[6:7], -v[2:3], v[4:5], 1.0
	v_fma_f64 v[4:5], v[4:5], v[6:7], v[4:5]
	s_delay_alu instid0(VALU_DEP_1) | instskip(NEXT) | instid1(VALU_DEP_1)
	v_fma_f64 v[6:7], -v[2:3], v[4:5], 1.0
	v_fma_f64 v[4:5], v[4:5], v[6:7], v[4:5]
	s_delay_alu instid0(VALU_DEP_1) | instskip(NEXT) | instid1(VALU_DEP_1)
	v_mul_f64 v[6:7], v[8:9], v[4:5]
	v_fma_f64 v[2:3], -v[2:3], v[6:7], v[8:9]
	s_delay_alu instid0(VALU_DEP_1) | instskip(SKIP_2) | instid1(VALU_DEP_3)
	v_div_fmas_f64 v[2:3], v[2:3], v[4:5], v[6:7]
	v_add_co_u32 v0, vcc_lo, 0x3000, v0
	v_add_co_ci_u32_e32 v1, vcc_lo, 0, v1, vcc_lo
	v_div_fixup_f64 v[2:3], v[2:3], v[66:67], v[52:53]
	s_delay_alu instid0(VALU_DEP_1) | instskip(NEXT) | instid1(VALU_DEP_2)
	v_cndmask_b32_e64 v3, v3, 0x7ff80000, s31
	v_cndmask_b32_e64 v2, v2, 0, s31
	global_store_b64 v[0:1], v[2:3], off
	s_and_b32 exec_lo, exec_lo, s6
	s_cbranch_execz .LBB376_98
; %bb.91:
	v_div_scale_f64 v[2:3], null, v[66:67], v[66:67], v[56:57]
	v_div_scale_f64 v[8:9], vcc_lo, v[56:57], v[66:67], v[56:57]
	s_delay_alu instid0(VALU_DEP_2) | instskip(SKIP_2) | instid1(VALU_DEP_1)
	v_rcp_f64_e32 v[4:5], v[2:3]
	s_waitcnt_depctr 0xfff
	v_fma_f64 v[6:7], -v[2:3], v[4:5], 1.0
	v_fma_f64 v[4:5], v[4:5], v[6:7], v[4:5]
	s_delay_alu instid0(VALU_DEP_1) | instskip(NEXT) | instid1(VALU_DEP_1)
	v_fma_f64 v[6:7], -v[2:3], v[4:5], 1.0
	v_fma_f64 v[4:5], v[4:5], v[6:7], v[4:5]
	s_delay_alu instid0(VALU_DEP_1) | instskip(NEXT) | instid1(VALU_DEP_1)
	v_mul_f64 v[6:7], v[8:9], v[4:5]
	v_fma_f64 v[2:3], -v[2:3], v[6:7], v[8:9]
	s_delay_alu instid0(VALU_DEP_1) | instskip(NEXT) | instid1(VALU_DEP_1)
	v_div_fmas_f64 v[2:3], v[2:3], v[4:5], v[6:7]
	v_div_fixup_f64 v[2:3], v[2:3], v[66:67], v[56:57]
	s_delay_alu instid0(VALU_DEP_1) | instskip(NEXT) | instid1(VALU_DEP_2)
	v_cndmask_b32_e64 v3, v3, 0x7ff80000, s31
	v_cndmask_b32_e64 v2, v2, 0, s31
	global_store_b64 v[0:1], v[2:3], off offset:512
	s_and_b32 exec_lo, exec_lo, s5
	s_cbranch_execz .LBB376_98
; %bb.92:
	v_div_scale_f64 v[2:3], null, v[66:67], v[66:67], v[60:61]
	v_div_scale_f64 v[8:9], vcc_lo, v[60:61], v[66:67], v[60:61]
	s_delay_alu instid0(VALU_DEP_2) | instskip(SKIP_2) | instid1(VALU_DEP_1)
	v_rcp_f64_e32 v[4:5], v[2:3]
	s_waitcnt_depctr 0xfff
	v_fma_f64 v[6:7], -v[2:3], v[4:5], 1.0
	v_fma_f64 v[4:5], v[4:5], v[6:7], v[4:5]
	s_delay_alu instid0(VALU_DEP_1) | instskip(NEXT) | instid1(VALU_DEP_1)
	v_fma_f64 v[6:7], -v[2:3], v[4:5], 1.0
	v_fma_f64 v[4:5], v[4:5], v[6:7], v[4:5]
	s_delay_alu instid0(VALU_DEP_1) | instskip(NEXT) | instid1(VALU_DEP_1)
	v_mul_f64 v[6:7], v[8:9], v[4:5]
	v_fma_f64 v[2:3], -v[2:3], v[6:7], v[8:9]
	s_delay_alu instid0(VALU_DEP_1) | instskip(NEXT) | instid1(VALU_DEP_1)
	v_div_fmas_f64 v[2:3], v[2:3], v[4:5], v[6:7]
	v_div_fixup_f64 v[2:3], v[2:3], v[66:67], v[60:61]
	s_delay_alu instid0(VALU_DEP_1) | instskip(NEXT) | instid1(VALU_DEP_2)
	v_cndmask_b32_e64 v3, v3, 0x7ff80000, s31
	v_cndmask_b32_e64 v2, v2, 0, s31
	global_store_b64 v[0:1], v[2:3], off offset:1024
	;; [unrolled: 23-line block ×7, first 2 shown]
.LBB376_98:
	s_nop 0
	s_sendmsg sendmsg(MSG_DEALLOC_VGPRS)
	s_endpgm
	.section	.rodata,"a",@progbits
	.p2align	6, 0x0
	.amdhsa_kernel _ZN12_GLOBAL__N_120softmax_warp_forwardIdddLi11ELb0ELb0ELi64EEEvPT0_PKT_iiiPKbib
		.amdhsa_group_segment_fixed_size 0
		.amdhsa_private_segment_fixed_size 0
		.amdhsa_kernarg_size 304
		.amdhsa_user_sgpr_count 15
		.amdhsa_user_sgpr_dispatch_ptr 0
		.amdhsa_user_sgpr_queue_ptr 0
		.amdhsa_user_sgpr_kernarg_segment_ptr 1
		.amdhsa_user_sgpr_dispatch_id 0
		.amdhsa_user_sgpr_private_segment_size 0
		.amdhsa_wavefront_size32 1
		.amdhsa_uses_dynamic_stack 0
		.amdhsa_enable_private_segment 0
		.amdhsa_system_sgpr_workgroup_id_x 1
		.amdhsa_system_sgpr_workgroup_id_y 0
		.amdhsa_system_sgpr_workgroup_id_z 0
		.amdhsa_system_sgpr_workgroup_info 0
		.amdhsa_system_vgpr_workitem_id 1
		.amdhsa_next_free_vgpr 83
		.amdhsa_next_free_sgpr 62
		.amdhsa_reserve_vcc 1
		.amdhsa_float_round_mode_32 0
		.amdhsa_float_round_mode_16_64 0
		.amdhsa_float_denorm_mode_32 3
		.amdhsa_float_denorm_mode_16_64 3
		.amdhsa_dx10_clamp 1
		.amdhsa_ieee_mode 1
		.amdhsa_fp16_overflow 0
		.amdhsa_workgroup_processor_mode 1
		.amdhsa_memory_ordered 1
		.amdhsa_forward_progress 0
		.amdhsa_shared_vgpr_count 0
		.amdhsa_exception_fp_ieee_invalid_op 0
		.amdhsa_exception_fp_denorm_src 0
		.amdhsa_exception_fp_ieee_div_zero 0
		.amdhsa_exception_fp_ieee_overflow 0
		.amdhsa_exception_fp_ieee_underflow 0
		.amdhsa_exception_fp_ieee_inexact 0
		.amdhsa_exception_int_div_zero 0
	.end_amdhsa_kernel
	.section	.text._ZN12_GLOBAL__N_120softmax_warp_forwardIdddLi11ELb0ELb0ELi64EEEvPT0_PKT_iiiPKbib,"axG",@progbits,_ZN12_GLOBAL__N_120softmax_warp_forwardIdddLi11ELb0ELb0ELi64EEEvPT0_PKT_iiiPKbib,comdat
.Lfunc_end376:
	.size	_ZN12_GLOBAL__N_120softmax_warp_forwardIdddLi11ELb0ELb0ELi64EEEvPT0_PKT_iiiPKbib, .Lfunc_end376-_ZN12_GLOBAL__N_120softmax_warp_forwardIdddLi11ELb0ELb0ELi64EEEvPT0_PKT_iiiPKbib
                                        ; -- End function
	.section	.AMDGPU.csdata,"",@progbits
; Kernel info:
; codeLenInByte = 16620
; NumSgprs: 64
; NumVgprs: 83
; ScratchSize: 0
; MemoryBound: 0
; FloatMode: 240
; IeeeMode: 1
; LDSByteSize: 0 bytes/workgroup (compile time only)
; SGPRBlocks: 7
; VGPRBlocks: 10
; NumSGPRsForWavesPerEU: 64
; NumVGPRsForWavesPerEU: 83
; Occupancy: 16
; WaveLimiterHint : 0
; COMPUTE_PGM_RSRC2:SCRATCH_EN: 0
; COMPUTE_PGM_RSRC2:USER_SGPR: 15
; COMPUTE_PGM_RSRC2:TRAP_HANDLER: 0
; COMPUTE_PGM_RSRC2:TGID_X_EN: 1
; COMPUTE_PGM_RSRC2:TGID_Y_EN: 0
; COMPUTE_PGM_RSRC2:TGID_Z_EN: 0
; COMPUTE_PGM_RSRC2:TIDIG_COMP_CNT: 1
	.section	.text._ZN12_GLOBAL__N_120softmax_warp_forwardIdddLi11ELb0ELb0ELi32EEEvPT0_PKT_iiiPKbib,"axG",@progbits,_ZN12_GLOBAL__N_120softmax_warp_forwardIdddLi11ELb0ELb0ELi32EEEvPT0_PKT_iiiPKbib,comdat
	.globl	_ZN12_GLOBAL__N_120softmax_warp_forwardIdddLi11ELb0ELb0ELi32EEEvPT0_PKT_iiiPKbib ; -- Begin function _ZN12_GLOBAL__N_120softmax_warp_forwardIdddLi11ELb0ELb0ELi32EEEvPT0_PKT_iiiPKbib
	.p2align	8
	.type	_ZN12_GLOBAL__N_120softmax_warp_forwardIdddLi11ELb0ELb0ELi32EEEvPT0_PKT_iiiPKbib,@function
_ZN12_GLOBAL__N_120softmax_warp_forwardIdddLi11ELb0ELb0ELi32EEEvPT0_PKT_iiiPKbib: ; @_ZN12_GLOBAL__N_120softmax_warp_forwardIdddLi11ELb0ELb0ELi32EEEvPT0_PKT_iiiPKbib
; %bb.0:
	s_clause 0x1
	s_load_b32 s2, s[0:1], 0x3c
	s_load_b256 s[68:75], s[0:1], 0x0
	v_bfe_u32 v1, v0, 10, 10
	v_mov_b32_e32 v4, 0
	v_mov_b32_e32 v5, 0xfff00000
	v_and_b32_e32 v130, 0x3ff, v0
	s_waitcnt lgkmcnt(0)
	s_lshr_b32 s0, s2, 16
	s_delay_alu instid0(SALU_CYCLE_1) | instskip(NEXT) | instid1(VALU_DEP_1)
	v_mad_u64_u32 v[2:3], null, s15, s0, v[1:2]
	v_mad_u64_u32 v[0:1], null, v2, s73, v[130:131]
	v_sub_nc_u32_e32 v136, s72, v2
	v_dual_mov_b32 v2, v4 :: v_dual_mov_b32 v3, v5
	v_cmp_gt_i32_e32 vcc_lo, s74, v130
	s_delay_alu instid0(VALU_DEP_3) | instskip(SKIP_1) | instid1(VALU_DEP_2)
	v_cmp_lt_i32_e64 s64, 0, v136
	v_ashrrev_i32_e32 v1, 31, v0
	s_and_b32 s1, s64, vcc_lo
	s_delay_alu instid0(VALU_DEP_1) | instskip(NEXT) | instid1(VALU_DEP_1)
	v_lshlrev_b64 v[0:1], 3, v[0:1]
	v_add_co_u32 v131, s0, s70, v0
	s_delay_alu instid0(VALU_DEP_1)
	v_add_co_ci_u32_e64 v132, s0, s71, v1, s0
	s_and_saveexec_b32 s0, s1
	s_cbranch_execz .LBB377_2
; %bb.1:
	global_load_b64 v[2:3], v[131:132], off
.LBB377_2:
	s_or_b32 exec_lo, exec_lo, s0
	v_add_nc_u32_e32 v6, 32, v130
	s_delay_alu instid0(VALU_DEP_1) | instskip(NEXT) | instid1(VALU_DEP_1)
	v_cmp_gt_i32_e64 s63, s74, v6
	s_and_b32 s1, s64, s63
	s_delay_alu instid0(SALU_CYCLE_1)
	s_and_saveexec_b32 s0, s1
	s_cbranch_execz .LBB377_4
; %bb.3:
	global_load_b64 v[4:5], v[131:132], off offset:256
.LBB377_4:
	s_or_b32 exec_lo, exec_lo, s0
	v_add_nc_u32_e32 v6, 64, v130
	v_mov_b32_e32 v8, 0
	v_mov_b32_e32 v9, 0xfff00000
	s_delay_alu instid0(VALU_DEP_3) | instskip(NEXT) | instid1(VALU_DEP_2)
	v_cmp_gt_i32_e64 s62, s74, v6
	v_dual_mov_b32 v6, v8 :: v_dual_mov_b32 v7, v9
	s_delay_alu instid0(VALU_DEP_2) | instskip(NEXT) | instid1(SALU_CYCLE_1)
	s_and_b32 s1, s64, s62
	s_and_saveexec_b32 s0, s1
	s_cbranch_execz .LBB377_6
; %bb.5:
	global_load_b64 v[6:7], v[131:132], off offset:512
.LBB377_6:
	s_or_b32 exec_lo, exec_lo, s0
	v_add_nc_u32_e32 v10, 0x60, v130
	s_delay_alu instid0(VALU_DEP_1) | instskip(NEXT) | instid1(VALU_DEP_1)
	v_cmp_gt_i32_e64 s61, s74, v10
	s_and_b32 s1, s64, s61
	s_delay_alu instid0(SALU_CYCLE_1)
	s_and_saveexec_b32 s0, s1
	s_cbranch_execz .LBB377_8
; %bb.7:
	global_load_b64 v[8:9], v[131:132], off offset:768
.LBB377_8:
	s_or_b32 exec_lo, exec_lo, s0
	v_mov_b32_e32 v12, 0
	v_mov_b32_e32 v13, 0xfff00000
	v_add_nc_u32_e32 v10, 0x80, v130
	s_delay_alu instid0(VALU_DEP_1) | instskip(NEXT) | instid1(VALU_DEP_3)
	v_cmp_gt_i32_e64 s60, s74, v10
	v_dual_mov_b32 v10, v12 :: v_dual_mov_b32 v11, v13
	s_delay_alu instid0(VALU_DEP_2) | instskip(NEXT) | instid1(SALU_CYCLE_1)
	s_and_b32 s1, s64, s60
	s_and_saveexec_b32 s0, s1
	s_cbranch_execz .LBB377_10
; %bb.9:
	global_load_b64 v[10:11], v[131:132], off offset:1024
.LBB377_10:
	s_or_b32 exec_lo, exec_lo, s0
	v_add_nc_u32_e32 v14, 0xa0, v130
	s_delay_alu instid0(VALU_DEP_1) | instskip(NEXT) | instid1(VALU_DEP_1)
	v_cmp_gt_i32_e64 s59, s74, v14
	s_and_b32 s1, s64, s59
	s_delay_alu instid0(SALU_CYCLE_1)
	s_and_saveexec_b32 s0, s1
	s_cbranch_execz .LBB377_12
; %bb.11:
	global_load_b64 v[12:13], v[131:132], off offset:1280
.LBB377_12:
	s_or_b32 exec_lo, exec_lo, s0
	v_mov_b32_e32 v16, 0
	v_mov_b32_e32 v17, 0xfff00000
	v_add_nc_u32_e32 v14, 0xc0, v130
	s_delay_alu instid0(VALU_DEP_1) | instskip(NEXT) | instid1(VALU_DEP_3)
	;; [unrolled: 25-line block ×7, first 2 shown]
	v_cmp_gt_i32_e64 s48, s74, v34
	v_dual_mov_b32 v34, v36 :: v_dual_mov_b32 v35, v37
	s_delay_alu instid0(VALU_DEP_2) | instskip(NEXT) | instid1(SALU_CYCLE_1)
	s_and_b32 s0, s64, s48
	s_and_saveexec_b32 s1, s0
	s_cbranch_execz .LBB377_34
; %bb.33:
	v_add_co_u32 v34, s0, 0x1000, v131
	s_delay_alu instid0(VALU_DEP_1)
	v_add_co_ci_u32_e64 v35, s0, 0, v132, s0
	global_load_b64 v[34:35], v[34:35], off
.LBB377_34:
	s_or_b32 exec_lo, exec_lo, s1
	v_add_nc_u32_e32 v38, 0x220, v130
	s_delay_alu instid0(VALU_DEP_1) | instskip(NEXT) | instid1(VALU_DEP_1)
	v_cmp_gt_i32_e64 s47, s74, v38
	s_and_b32 s0, s64, s47
	s_delay_alu instid0(SALU_CYCLE_1)
	s_and_saveexec_b32 s1, s0
	s_cbranch_execz .LBB377_36
; %bb.35:
	v_add_co_u32 v36, s0, 0x1000, v131
	s_delay_alu instid0(VALU_DEP_1)
	v_add_co_ci_u32_e64 v37, s0, 0, v132, s0
	global_load_b64 v[36:37], v[36:37], off offset:256
.LBB377_36:
	s_or_b32 exec_lo, exec_lo, s1
	v_mov_b32_e32 v40, 0
	v_mov_b32_e32 v41, 0xfff00000
	v_add_nc_u32_e32 v38, 0x240, v130
	s_delay_alu instid0(VALU_DEP_1) | instskip(NEXT) | instid1(VALU_DEP_3)
	v_cmp_gt_i32_e64 s46, s74, v38
	v_dual_mov_b32 v38, v40 :: v_dual_mov_b32 v39, v41
	s_delay_alu instid0(VALU_DEP_2) | instskip(NEXT) | instid1(SALU_CYCLE_1)
	s_and_b32 s0, s64, s46
	s_and_saveexec_b32 s1, s0
	s_cbranch_execz .LBB377_38
; %bb.37:
	v_add_co_u32 v38, s0, 0x1000, v131
	s_delay_alu instid0(VALU_DEP_1)
	v_add_co_ci_u32_e64 v39, s0, 0, v132, s0
	global_load_b64 v[38:39], v[38:39], off offset:512
.LBB377_38:
	s_or_b32 exec_lo, exec_lo, s1
	v_add_nc_u32_e32 v42, 0x260, v130
	s_delay_alu instid0(VALU_DEP_1) | instskip(NEXT) | instid1(VALU_DEP_1)
	v_cmp_gt_i32_e64 s45, s74, v42
	s_and_b32 s0, s64, s45
	s_delay_alu instid0(SALU_CYCLE_1)
	s_and_saveexec_b32 s1, s0
	s_cbranch_execz .LBB377_40
; %bb.39:
	v_add_co_u32 v40, s0, 0x1000, v131
	s_delay_alu instid0(VALU_DEP_1)
	v_add_co_ci_u32_e64 v41, s0, 0, v132, s0
	global_load_b64 v[40:41], v[40:41], off offset:768
.LBB377_40:
	s_or_b32 exec_lo, exec_lo, s1
	v_mov_b32_e32 v44, 0
	v_mov_b32_e32 v45, 0xfff00000
	v_add_nc_u32_e32 v42, 0x280, v130
	s_delay_alu instid0(VALU_DEP_1) | instskip(NEXT) | instid1(VALU_DEP_3)
	v_cmp_gt_i32_e64 s44, s74, v42
	v_dual_mov_b32 v42, v44 :: v_dual_mov_b32 v43, v45
	s_delay_alu instid0(VALU_DEP_2) | instskip(NEXT) | instid1(SALU_CYCLE_1)
	s_and_b32 s0, s64, s44
	s_and_saveexec_b32 s1, s0
	s_cbranch_execz .LBB377_42
; %bb.41:
	v_add_co_u32 v42, s0, 0x1000, v131
	s_delay_alu instid0(VALU_DEP_1)
	v_add_co_ci_u32_e64 v43, s0, 0, v132, s0
	global_load_b64 v[42:43], v[42:43], off offset:1024
.LBB377_42:
	;; [unrolled: 31-line block ×7, first 2 shown]
	s_or_b32 exec_lo, exec_lo, s1
	v_add_nc_u32_e32 v66, 0x3e0, v130
	s_delay_alu instid0(VALU_DEP_1) | instskip(NEXT) | instid1(VALU_DEP_1)
	v_cmp_gt_i32_e64 s33, s74, v66
	s_and_b32 s0, s64, s33
	s_delay_alu instid0(SALU_CYCLE_1)
	s_and_saveexec_b32 s1, s0
	s_cbranch_execz .LBB377_64
; %bb.63:
	v_add_co_u32 v64, s0, 0x1000, v131
	s_delay_alu instid0(VALU_DEP_1)
	v_add_co_ci_u32_e64 v65, s0, 0, v132, s0
	global_load_b64 v[64:65], v[64:65], off offset:3840
.LBB377_64:
	s_or_b32 exec_lo, exec_lo, s1
	v_or_b32_e32 v66, 0x400, v130
	v_mov_b32_e32 v68, 0
	v_mov_b32_e32 v69, 0xfff00000
	s_delay_alu instid0(VALU_DEP_3) | instskip(NEXT) | instid1(VALU_DEP_2)
	v_cmp_gt_i32_e64 s31, s74, v66
	v_dual_mov_b32 v66, v68 :: v_dual_mov_b32 v67, v69
	s_delay_alu instid0(VALU_DEP_2) | instskip(NEXT) | instid1(SALU_CYCLE_1)
	s_and_b32 s0, s64, s31
	s_and_saveexec_b32 s1, s0
	s_cbranch_execz .LBB377_66
; %bb.65:
	v_add_co_u32 v66, s0, 0x2000, v131
	s_delay_alu instid0(VALU_DEP_1)
	v_add_co_ci_u32_e64 v67, s0, 0, v132, s0
	global_load_b64 v[66:67], v[66:67], off
.LBB377_66:
	s_or_b32 exec_lo, exec_lo, s1
	v_add_nc_u32_e32 v70, 0x420, v130
	s_delay_alu instid0(VALU_DEP_1) | instskip(NEXT) | instid1(VALU_DEP_1)
	v_cmp_gt_i32_e64 s30, s74, v70
	s_and_b32 s0, s64, s30
	s_delay_alu instid0(SALU_CYCLE_1)
	s_and_saveexec_b32 s1, s0
	s_cbranch_execz .LBB377_68
; %bb.67:
	v_add_co_u32 v68, s0, 0x2000, v131
	s_delay_alu instid0(VALU_DEP_1)
	v_add_co_ci_u32_e64 v69, s0, 0, v132, s0
	global_load_b64 v[68:69], v[68:69], off offset:256
.LBB377_68:
	s_or_b32 exec_lo, exec_lo, s1
	v_mov_b32_e32 v72, 0
	v_mov_b32_e32 v73, 0xfff00000
	v_add_nc_u32_e32 v70, 0x440, v130
	s_delay_alu instid0(VALU_DEP_1) | instskip(NEXT) | instid1(VALU_DEP_3)
	v_cmp_gt_i32_e64 s29, s74, v70
	v_dual_mov_b32 v70, v72 :: v_dual_mov_b32 v71, v73
	s_delay_alu instid0(VALU_DEP_2) | instskip(NEXT) | instid1(SALU_CYCLE_1)
	s_and_b32 s0, s64, s29
	s_and_saveexec_b32 s1, s0
	s_cbranch_execz .LBB377_70
; %bb.69:
	v_add_co_u32 v70, s0, 0x2000, v131
	s_delay_alu instid0(VALU_DEP_1)
	v_add_co_ci_u32_e64 v71, s0, 0, v132, s0
	global_load_b64 v[70:71], v[70:71], off offset:512
.LBB377_70:
	s_or_b32 exec_lo, exec_lo, s1
	v_add_nc_u32_e32 v74, 0x460, v130
	s_delay_alu instid0(VALU_DEP_1) | instskip(NEXT) | instid1(VALU_DEP_1)
	v_cmp_gt_i32_e64 s28, s74, v74
	s_and_b32 s0, s64, s28
	s_delay_alu instid0(SALU_CYCLE_1)
	s_and_saveexec_b32 s1, s0
	s_cbranch_execz .LBB377_72
; %bb.71:
	v_add_co_u32 v72, s0, 0x2000, v131
	s_delay_alu instid0(VALU_DEP_1)
	v_add_co_ci_u32_e64 v73, s0, 0, v132, s0
	global_load_b64 v[72:73], v[72:73], off offset:768
.LBB377_72:
	s_or_b32 exec_lo, exec_lo, s1
	v_mov_b32_e32 v76, 0
	v_mov_b32_e32 v77, 0xfff00000
	v_add_nc_u32_e32 v74, 0x480, v130
	s_delay_alu instid0(VALU_DEP_1) | instskip(NEXT) | instid1(VALU_DEP_3)
	v_cmp_gt_i32_e64 s27, s74, v74
	v_dual_mov_b32 v74, v76 :: v_dual_mov_b32 v75, v77
	s_delay_alu instid0(VALU_DEP_2) | instskip(NEXT) | instid1(SALU_CYCLE_1)
	s_and_b32 s0, s64, s27
	s_and_saveexec_b32 s1, s0
	s_cbranch_execz .LBB377_74
; %bb.73:
	v_add_co_u32 v74, s0, 0x2000, v131
	s_delay_alu instid0(VALU_DEP_1)
	v_add_co_ci_u32_e64 v75, s0, 0, v132, s0
	global_load_b64 v[74:75], v[74:75], off offset:1024
.LBB377_74:
	;; [unrolled: 31-line block ×7, first 2 shown]
	s_or_b32 exec_lo, exec_lo, s1
	v_add_nc_u32_e32 v98, 0x5e0, v130
	s_delay_alu instid0(VALU_DEP_1) | instskip(NEXT) | instid1(VALU_DEP_1)
	v_cmp_gt_i32_e64 s16, s74, v98
	s_and_b32 s0, s64, s16
	s_delay_alu instid0(SALU_CYCLE_1)
	s_and_saveexec_b32 s1, s0
	s_cbranch_execz .LBB377_96
; %bb.95:
	v_add_co_u32 v96, s0, 0x2000, v131
	s_delay_alu instid0(VALU_DEP_1)
	v_add_co_ci_u32_e64 v97, s0, 0, v132, s0
	global_load_b64 v[96:97], v[96:97], off offset:3840
.LBB377_96:
	s_or_b32 exec_lo, exec_lo, s1
	v_mov_b32_e32 v100, 0
	v_mov_b32_e32 v101, 0xfff00000
	v_add_nc_u32_e32 v98, 0x600, v130
	s_delay_alu instid0(VALU_DEP_1) | instskip(NEXT) | instid1(VALU_DEP_3)
	v_cmp_gt_i32_e64 s15, s74, v98
	v_dual_mov_b32 v98, v100 :: v_dual_mov_b32 v99, v101
	s_delay_alu instid0(VALU_DEP_2) | instskip(NEXT) | instid1(SALU_CYCLE_1)
	s_and_b32 s0, s64, s15
	s_and_saveexec_b32 s1, s0
	s_cbranch_execz .LBB377_98
; %bb.97:
	v_add_co_u32 v98, s0, 0x3000, v131
	s_delay_alu instid0(VALU_DEP_1)
	v_add_co_ci_u32_e64 v99, s0, 0, v132, s0
	global_load_b64 v[98:99], v[98:99], off
.LBB377_98:
	s_or_b32 exec_lo, exec_lo, s1
	v_add_nc_u32_e32 v102, 0x620, v130
	s_delay_alu instid0(VALU_DEP_1) | instskip(NEXT) | instid1(VALU_DEP_1)
	v_cmp_gt_i32_e64 s14, s74, v102
	s_and_b32 s0, s64, s14
	s_delay_alu instid0(SALU_CYCLE_1)
	s_and_saveexec_b32 s1, s0
	s_cbranch_execz .LBB377_100
; %bb.99:
	v_add_co_u32 v100, s0, 0x3000, v131
	s_delay_alu instid0(VALU_DEP_1)
	v_add_co_ci_u32_e64 v101, s0, 0, v132, s0
	global_load_b64 v[100:101], v[100:101], off offset:256
.LBB377_100:
	s_or_b32 exec_lo, exec_lo, s1
	v_mov_b32_e32 v104, 0
	v_mov_b32_e32 v105, 0xfff00000
	v_add_nc_u32_e32 v102, 0x640, v130
	s_delay_alu instid0(VALU_DEP_1) | instskip(NEXT) | instid1(VALU_DEP_3)
	v_cmp_gt_i32_e64 s13, s74, v102
	v_dual_mov_b32 v102, v104 :: v_dual_mov_b32 v103, v105
	s_delay_alu instid0(VALU_DEP_2) | instskip(NEXT) | instid1(SALU_CYCLE_1)
	s_and_b32 s0, s64, s13
	s_and_saveexec_b32 s1, s0
	s_cbranch_execz .LBB377_102
; %bb.101:
	v_add_co_u32 v102, s0, 0x3000, v131
	s_delay_alu instid0(VALU_DEP_1)
	v_add_co_ci_u32_e64 v103, s0, 0, v132, s0
	global_load_b64 v[102:103], v[102:103], off offset:512
.LBB377_102:
	s_or_b32 exec_lo, exec_lo, s1
	v_add_nc_u32_e32 v106, 0x660, v130
	s_delay_alu instid0(VALU_DEP_1) | instskip(NEXT) | instid1(VALU_DEP_1)
	v_cmp_gt_i32_e64 s12, s74, v106
	s_and_b32 s0, s64, s12
	s_delay_alu instid0(SALU_CYCLE_1)
	s_and_saveexec_b32 s1, s0
	s_cbranch_execz .LBB377_104
; %bb.103:
	v_add_co_u32 v104, s0, 0x3000, v131
	s_delay_alu instid0(VALU_DEP_1)
	v_add_co_ci_u32_e64 v105, s0, 0, v132, s0
	global_load_b64 v[104:105], v[104:105], off offset:768
.LBB377_104:
	s_or_b32 exec_lo, exec_lo, s1
	v_mov_b32_e32 v108, 0
	v_mov_b32_e32 v109, 0xfff00000
	v_add_nc_u32_e32 v106, 0x680, v130
	s_delay_alu instid0(VALU_DEP_1) | instskip(NEXT) | instid1(VALU_DEP_3)
	v_cmp_gt_i32_e64 s11, s74, v106
	v_dual_mov_b32 v106, v108 :: v_dual_mov_b32 v107, v109
	s_delay_alu instid0(VALU_DEP_2) | instskip(NEXT) | instid1(SALU_CYCLE_1)
	s_and_b32 s0, s64, s11
	s_and_saveexec_b32 s1, s0
	s_cbranch_execz .LBB377_106
; %bb.105:
	v_add_co_u32 v106, s0, 0x3000, v131
	s_delay_alu instid0(VALU_DEP_1)
	v_add_co_ci_u32_e64 v107, s0, 0, v132, s0
	global_load_b64 v[106:107], v[106:107], off offset:1024
.LBB377_106:
	;; [unrolled: 31-line block ×3, first 2 shown]
	s_or_b32 exec_lo, exec_lo, s1
	v_add_nc_u32_e32 v114, 0x6e0, v130
	s_delay_alu instid0(VALU_DEP_1) | instskip(NEXT) | instid1(VALU_DEP_1)
	v_cmp_gt_i32_e64 s8, s74, v114
	s_and_b32 s0, s64, s8
	s_delay_alu instid0(SALU_CYCLE_1)
	s_and_saveexec_b32 s1, s0
	s_cbranch_execz .LBB377_112
; %bb.111:
	v_add_co_u32 v112, s0, 0x3000, v131
	s_delay_alu instid0(VALU_DEP_1)
	v_add_co_ci_u32_e64 v113, s0, 0, v132, s0
	global_load_b64 v[112:113], v[112:113], off offset:1792
.LBB377_112:
	s_or_b32 exec_lo, exec_lo, s1
	v_mov_b32_e32 v120, 0
	v_mov_b32_e32 v121, 0xfff00000
	v_add_nc_u32_e32 v114, 0x700, v130
	s_delay_alu instid0(VALU_DEP_2) | instskip(NEXT) | instid1(VALU_DEP_2)
	v_dual_mov_b32 v116, v120 :: v_dual_mov_b32 v117, v121
	v_cmp_gt_i32_e64 s7, s74, v114
	s_delay_alu instid0(VALU_DEP_1) | instskip(NEXT) | instid1(SALU_CYCLE_1)
	s_and_b32 s0, s64, s7
	s_and_saveexec_b32 s1, s0
	s_cbranch_execz .LBB377_114
; %bb.113:
	v_add_co_u32 v114, s0, 0x3000, v131
	s_delay_alu instid0(VALU_DEP_1)
	v_add_co_ci_u32_e64 v115, s0, 0, v132, s0
	global_load_b64 v[116:117], v[114:115], off offset:2048
.LBB377_114:
	s_or_b32 exec_lo, exec_lo, s1
	v_add_nc_u32_e32 v114, 0x720, v130
	s_delay_alu instid0(VALU_DEP_1) | instskip(NEXT) | instid1(VALU_DEP_1)
	v_cmp_gt_i32_e64 s6, s74, v114
	s_and_b32 s0, s64, s6
	s_delay_alu instid0(SALU_CYCLE_1)
	s_and_saveexec_b32 s1, s0
	s_cbranch_execz .LBB377_116
; %bb.115:
	v_add_co_u32 v114, s0, 0x3000, v131
	s_delay_alu instid0(VALU_DEP_1)
	v_add_co_ci_u32_e64 v115, s0, 0, v132, s0
	global_load_b64 v[120:121], v[114:115], off offset:2304
.LBB377_116:
	s_or_b32 exec_lo, exec_lo, s1
	v_mov_b32_e32 v128, 0
	v_mov_b32_e32 v129, 0xfff00000
	v_add_nc_u32_e32 v114, 0x740, v130
	s_delay_alu instid0(VALU_DEP_2) | instskip(NEXT) | instid1(VALU_DEP_2)
	v_dual_mov_b32 v124, v128 :: v_dual_mov_b32 v125, v129
	v_cmp_gt_i32_e64 s5, s74, v114
	s_delay_alu instid0(VALU_DEP_1) | instskip(NEXT) | instid1(SALU_CYCLE_1)
	s_and_b32 s0, s64, s5
	s_and_saveexec_b32 s1, s0
	s_cbranch_execz .LBB377_118
; %bb.117:
	v_add_co_u32 v114, s0, 0x3000, v131
	s_delay_alu instid0(VALU_DEP_1)
	v_add_co_ci_u32_e64 v115, s0, 0, v132, s0
	global_load_b64 v[124:125], v[114:115], off offset:2560
.LBB377_118:
	s_or_b32 exec_lo, exec_lo, s1
	v_add_nc_u32_e32 v114, 0x760, v130
	s_delay_alu instid0(VALU_DEP_1) | instskip(NEXT) | instid1(VALU_DEP_1)
	v_cmp_gt_i32_e64 s4, s74, v114
	s_and_b32 s0, s64, s4
	s_delay_alu instid0(SALU_CYCLE_1)
	s_and_saveexec_b32 s1, s0
	s_cbranch_execz .LBB377_120
; %bb.119:
	v_add_co_u32 v114, s0, 0x3000, v131
	s_delay_alu instid0(VALU_DEP_1)
	v_add_co_ci_u32_e64 v115, s0, 0, v132, s0
	global_load_b64 v[128:129], v[114:115], off offset:2816
.LBB377_120:
	s_or_b32 exec_lo, exec_lo, s1
	v_mov_b32_e32 v122, 0
	v_mov_b32_e32 v123, 0xfff00000
	s_delay_alu instid0(VALU_DEP_1) | instskip(NEXT) | instid1(VALU_DEP_1)
	v_dual_mov_b32 v127, v123 :: v_dual_add_nc_u32 v114, 0x780, v130
	v_cmp_gt_i32_e64 s3, s74, v114
	s_delay_alu instid0(VALU_DEP_4) | instskip(NEXT) | instid1(VALU_DEP_2)
	v_mov_b32_e32 v126, v122
	s_and_b32 s0, s64, s3
	s_delay_alu instid0(SALU_CYCLE_1)
	s_and_saveexec_b32 s1, s0
	s_cbranch_execz .LBB377_122
; %bb.121:
	v_add_co_u32 v114, s0, 0x3000, v131
	s_delay_alu instid0(VALU_DEP_1)
	v_add_co_ci_u32_e64 v115, s0, 0, v132, s0
	global_load_b64 v[126:127], v[114:115], off offset:3072
.LBB377_122:
	s_or_b32 exec_lo, exec_lo, s1
	v_add_nc_u32_e32 v114, 0x7a0, v130
	s_delay_alu instid0(VALU_DEP_1) | instskip(NEXT) | instid1(VALU_DEP_1)
	v_cmp_gt_i32_e64 s2, s74, v114
	s_and_b32 s0, s64, s2
	s_delay_alu instid0(SALU_CYCLE_1)
	s_and_saveexec_b32 s1, s0
	s_cbranch_execz .LBB377_124
; %bb.123:
	v_add_co_u32 v114, s0, 0x3000, v131
	s_delay_alu instid0(VALU_DEP_1)
	v_add_co_ci_u32_e64 v115, s0, 0, v132, s0
	global_load_b64 v[122:123], v[114:115], off offset:3328
.LBB377_124:
	s_or_b32 exec_lo, exec_lo, s1
	v_add_nc_u32_e32 v118, 0x7c0, v130
	v_mov_b32_e32 v114, 0
	v_mov_b32_e32 v115, 0xfff00000
	s_delay_alu instid0(VALU_DEP_3) | instskip(NEXT) | instid1(VALU_DEP_2)
	v_cmp_gt_i32_e64 s1, s74, v118
	v_dual_mov_b32 v119, v115 :: v_dual_mov_b32 v118, v114
	s_delay_alu instid0(VALU_DEP_2) | instskip(NEXT) | instid1(SALU_CYCLE_1)
	s_and_b32 s0, s64, s1
	s_and_saveexec_b32 s65, s0
	s_cbranch_execz .LBB377_126
; %bb.125:
	v_add_co_u32 v118, s0, 0x3000, v131
	s_delay_alu instid0(VALU_DEP_1)
	v_add_co_ci_u32_e64 v119, s0, 0, v132, s0
	global_load_b64 v[118:119], v[118:119], off offset:3584
.LBB377_126:
	s_or_b32 exec_lo, exec_lo, s65
	v_add_nc_u32_e32 v130, 0x7e0, v130
	s_delay_alu instid0(VALU_DEP_1) | instskip(NEXT) | instid1(VALU_DEP_1)
	v_cmp_gt_i32_e64 s0, s74, v130
	s_and_b32 s64, s64, s0
	s_delay_alu instid0(SALU_CYCLE_1)
	s_and_saveexec_b32 s65, s64
	s_cbranch_execz .LBB377_128
; %bb.127:
	v_add_co_u32 v114, s64, 0x3000, v131
	s_delay_alu instid0(VALU_DEP_1)
	v_add_co_ci_u32_e64 v115, s64, 0, v132, s64
	global_load_b64 v[114:115], v[114:115], off offset:3840
.LBB377_128:
	s_or_b32 exec_lo, exec_lo, s65
	s_waitcnt vmcnt(0)
	v_cmp_gt_f64_e64 s64, v[2:3], v[4:5]
	v_mbcnt_lo_u32_b32 v134, -1, 0
	s_mov_b32 s66, 0x652b82fe
	s_mov_b32 s67, 0x3ff71547
	s_mov_b32 s70, 0xfefa39ef
	s_mov_b32 s71, 0xbfe62e42
	v_xor_b32_e32 v132, 16, v134
	s_mov_b32 s72, 0x3b39803f
	s_mov_b32 s73, 0xbc7abc9e
	;; [unrolled: 1-line block ×22, first 2 shown]
	s_delay_alu instid0(VALU_DEP_3) | instskip(SKIP_1) | instid1(VALU_DEP_1)
	v_cndmask_b32_e64 v131, v5, v3, s64
	v_cndmask_b32_e64 v130, v4, v2, s64
	v_cmp_gt_f64_e64 s64, v[130:131], v[6:7]
	s_delay_alu instid0(VALU_DEP_1) | instskip(SKIP_1) | instid1(VALU_DEP_1)
	v_cndmask_b32_e64 v131, v7, v131, s64
	v_cndmask_b32_e64 v130, v6, v130, s64
	v_cmp_gt_f64_e64 s64, v[130:131], v[8:9]
	s_delay_alu instid0(VALU_DEP_1) | instskip(SKIP_1) | instid1(VALU_DEP_1)
	;; [unrolled: 4-line block ×61, first 2 shown]
	v_cndmask_b32_e64 v131, v119, v131, s64
	v_cndmask_b32_e64 v130, v118, v130, s64
	v_cmp_gt_f64_e64 s64, v[130:131], v[114:115]
	s_delay_alu instid0(VALU_DEP_1) | instskip(SKIP_2) | instid1(VALU_DEP_1)
	v_cndmask_b32_e64 v131, v115, v131, s64
	v_cndmask_b32_e64 v130, v114, v130, s64
	v_cmp_gt_i32_e64 s64, 32, v132
	v_cndmask_b32_e64 v132, v134, v132, s64
	s_delay_alu instid0(VALU_DEP_1) | instskip(SKIP_4) | instid1(VALU_DEP_1)
	v_lshlrev_b32_e32 v137, 2, v132
	ds_bpermute_b32 v132, v137, v130
	ds_bpermute_b32 v133, v137, v131
	s_waitcnt lgkmcnt(0)
	v_cmp_lt_f64_e64 s64, v[130:131], v[132:133]
	v_cndmask_b32_e64 v130, v130, v132, s64
	v_xor_b32_e32 v132, 8, v134
	v_cndmask_b32_e64 v131, v131, v133, s64
	s_delay_alu instid0(VALU_DEP_2) | instskip(NEXT) | instid1(VALU_DEP_1)
	v_cmp_gt_i32_e64 s64, 32, v132
	v_cndmask_b32_e64 v132, v134, v132, s64
	s_delay_alu instid0(VALU_DEP_1) | instskip(SKIP_4) | instid1(VALU_DEP_1)
	v_lshlrev_b32_e32 v138, 2, v132
	ds_bpermute_b32 v132, v138, v130
	ds_bpermute_b32 v133, v138, v131
	s_waitcnt lgkmcnt(0)
	v_cmp_lt_f64_e64 s64, v[130:131], v[132:133]
	v_cndmask_b32_e64 v130, v130, v132, s64
	v_xor_b32_e32 v132, 4, v134
	v_cndmask_b32_e64 v131, v131, v133, s64
	s_delay_alu instid0(VALU_DEP_2) | instskip(NEXT) | instid1(VALU_DEP_1)
	;; [unrolled: 12-line block ×4, first 2 shown]
	v_cmp_gt_i32_e64 s64, 32, v132
	v_cndmask_b32_e64 v132, v134, v132, s64
	s_delay_alu instid0(VALU_DEP_1) | instskip(SKIP_4) | instid1(VALU_DEP_1)
	v_lshlrev_b32_e32 v141, 2, v132
	ds_bpermute_b32 v132, v141, v130
	ds_bpermute_b32 v133, v141, v131
	s_waitcnt lgkmcnt(0)
	v_cmp_lt_f64_e64 s64, v[130:131], v[132:133]
	v_cndmask_b32_e64 v131, v131, v133, s64
	v_cndmask_b32_e64 v130, v130, v132, s64
	s_delay_alu instid0(VALU_DEP_1)
	v_add_f64 v[2:3], v[2:3], -v[130:131]
	v_add_f64 v[4:5], v[4:5], -v[130:131]
	;; [unrolled: 1-line block ×38, first 2 shown]
	v_mul_f64 v[132:133], v[2:3], s[66:67]
	v_cmp_nlt_f64_e64 s64, 0x40900000, v[2:3]
	v_cmp_ngt_f64_e64 s65, 0xc090cc00, v[2:3]
	v_add_f64 v[78:79], v[78:79], -v[130:131]
	v_add_f64 v[80:81], v[80:81], -v[130:131]
	;; [unrolled: 1-line block ×26, first 2 shown]
	v_rndne_f64_e32 v[132:133], v[132:133]
	s_delay_alu instid0(VALU_DEP_2) | instskip(NEXT) | instid1(VALU_DEP_2)
	v_mul_f64 v[130:131], v[114:115], s[66:67]
	v_fma_f64 v[134:135], v[132:133], s[70:71], v[2:3]
	s_delay_alu instid0(VALU_DEP_1) | instskip(SKIP_1) | instid1(VALU_DEP_2)
	v_fma_f64 v[134:135], v[132:133], s[72:73], v[134:135]
	v_cvt_i32_f64_e32 v132, v[132:133]
	v_fma_f64 v[142:143], v[134:135], s[76:77], s[74:75]
	s_delay_alu instid0(VALU_DEP_1) | instskip(NEXT) | instid1(VALU_DEP_1)
	v_fma_f64 v[142:143], v[134:135], v[142:143], s[78:79]
	v_fma_f64 v[142:143], v[134:135], v[142:143], s[80:81]
	s_delay_alu instid0(VALU_DEP_1) | instskip(NEXT) | instid1(VALU_DEP_1)
	v_fma_f64 v[142:143], v[134:135], v[142:143], s[82:83]
	;; [unrolled: 3-line block ×4, first 2 shown]
	v_fma_f64 v[142:143], v[134:135], v[142:143], s[92:93]
	s_delay_alu instid0(VALU_DEP_1) | instskip(NEXT) | instid1(VALU_DEP_1)
	v_fma_f64 v[142:143], v[134:135], v[142:143], 1.0
	v_fma_f64 v[134:135], v[134:135], v[142:143], 1.0
	s_delay_alu instid0(VALU_DEP_1) | instskip(SKIP_1) | instid1(VALU_DEP_2)
	v_ldexp_f64 v[132:133], v[134:135], v132
	v_mul_f64 v[134:135], v[4:5], s[66:67]
	v_cndmask_b32_e64 v133, 0x7ff00000, v133, s64
	s_delay_alu instid0(VALU_DEP_2)
	v_rndne_f64_e32 v[134:135], v[134:135]
	s_and_b32 s64, s65, s64
	s_delay_alu instid0(VALU_DEP_4) | instid1(SALU_CYCLE_1)
	v_cndmask_b32_e64 v2, 0, v132, s64
	v_cmp_nlt_f64_e64 s64, 0x40900000, v[4:5]
	v_cndmask_b32_e64 v3, 0, v133, s65
	v_cmp_ngt_f64_e64 s65, 0xc090cc00, v[4:5]
	s_delay_alu instid0(VALU_DEP_2) | instskip(SKIP_1) | instid1(VALU_DEP_1)
	v_add_f64 v[132:133], v[2:3], 0
	v_fma_f64 v[142:143], v[134:135], s[70:71], v[4:5]
	v_fma_f64 v[142:143], v[134:135], s[72:73], v[142:143]
	v_cvt_i32_f64_e32 v134, v[134:135]
	s_delay_alu instid0(VALU_DEP_2) | instskip(NEXT) | instid1(VALU_DEP_1)
	v_fma_f64 v[144:145], v[142:143], s[76:77], s[74:75]
	v_fma_f64 v[144:145], v[142:143], v[144:145], s[78:79]
	s_delay_alu instid0(VALU_DEP_1) | instskip(NEXT) | instid1(VALU_DEP_1)
	v_fma_f64 v[144:145], v[142:143], v[144:145], s[80:81]
	v_fma_f64 v[144:145], v[142:143], v[144:145], s[82:83]
	s_delay_alu instid0(VALU_DEP_1) | instskip(NEXT) | instid1(VALU_DEP_1)
	;; [unrolled: 3-line block ×4, first 2 shown]
	v_fma_f64 v[144:145], v[142:143], v[144:145], s[92:93]
	v_fma_f64 v[144:145], v[142:143], v[144:145], 1.0
	s_delay_alu instid0(VALU_DEP_1) | instskip(NEXT) | instid1(VALU_DEP_1)
	v_fma_f64 v[142:143], v[142:143], v[144:145], 1.0
	v_ldexp_f64 v[134:135], v[142:143], v134
	s_delay_alu instid0(VALU_DEP_1)
	v_cndmask_b32_e64 v135, 0x7ff00000, v135, s64
	s_and_b32 s64, s65, s64
	s_delay_alu instid0(VALU_DEP_2) | instid1(SALU_CYCLE_1)
	v_cndmask_b32_e64 v4, 0, v134, s64
	v_cmp_nlt_f64_e64 s64, 0x40900000, v[6:7]
	s_delay_alu instid0(VALU_DEP_3) | instskip(SKIP_2) | instid1(VALU_DEP_3)
	v_cndmask_b32_e64 v5, 0, v135, s65
	v_mul_f64 v[134:135], v[6:7], s[66:67]
	v_cmp_ngt_f64_e64 s65, 0xc090cc00, v[6:7]
	v_add_f64 v[132:133], v[132:133], v[4:5]
	s_delay_alu instid0(VALU_DEP_3) | instskip(NEXT) | instid1(VALU_DEP_1)
	v_rndne_f64_e32 v[134:135], v[134:135]
	v_fma_f64 v[142:143], v[134:135], s[70:71], v[6:7]
	s_delay_alu instid0(VALU_DEP_1) | instskip(SKIP_1) | instid1(VALU_DEP_2)
	v_fma_f64 v[142:143], v[134:135], s[72:73], v[142:143]
	v_cvt_i32_f64_e32 v134, v[134:135]
	v_fma_f64 v[144:145], v[142:143], s[76:77], s[74:75]
	s_delay_alu instid0(VALU_DEP_1) | instskip(NEXT) | instid1(VALU_DEP_1)
	v_fma_f64 v[144:145], v[142:143], v[144:145], s[78:79]
	v_fma_f64 v[144:145], v[142:143], v[144:145], s[80:81]
	s_delay_alu instid0(VALU_DEP_1) | instskip(NEXT) | instid1(VALU_DEP_1)
	v_fma_f64 v[144:145], v[142:143], v[144:145], s[82:83]
	v_fma_f64 v[144:145], v[142:143], v[144:145], s[84:85]
	s_delay_alu instid0(VALU_DEP_1) | instskip(NEXT) | instid1(VALU_DEP_1)
	v_fma_f64 v[144:145], v[142:143], v[144:145], s[86:87]
	v_fma_f64 v[144:145], v[142:143], v[144:145], s[88:89]
	s_delay_alu instid0(VALU_DEP_1) | instskip(NEXT) | instid1(VALU_DEP_1)
	v_fma_f64 v[144:145], v[142:143], v[144:145], s[90:91]
	v_fma_f64 v[144:145], v[142:143], v[144:145], s[92:93]
	s_delay_alu instid0(VALU_DEP_1) | instskip(NEXT) | instid1(VALU_DEP_1)
	v_fma_f64 v[144:145], v[142:143], v[144:145], 1.0
	v_fma_f64 v[142:143], v[142:143], v[144:145], 1.0
	s_delay_alu instid0(VALU_DEP_1) | instskip(NEXT) | instid1(VALU_DEP_1)
	v_ldexp_f64 v[134:135], v[142:143], v134
	v_cndmask_b32_e64 v135, 0x7ff00000, v135, s64
	s_and_b32 s64, s65, s64
	s_delay_alu instid0(VALU_DEP_2) | instid1(SALU_CYCLE_1)
	v_cndmask_b32_e64 v6, 0, v134, s64
	v_cmp_nlt_f64_e64 s64, 0x40900000, v[8:9]
	s_delay_alu instid0(VALU_DEP_3) | instskip(SKIP_2) | instid1(VALU_DEP_3)
	v_cndmask_b32_e64 v7, 0, v135, s65
	v_mul_f64 v[134:135], v[8:9], s[66:67]
	v_cmp_ngt_f64_e64 s65, 0xc090cc00, v[8:9]
	v_add_f64 v[132:133], v[132:133], v[6:7]
	s_delay_alu instid0(VALU_DEP_3) | instskip(NEXT) | instid1(VALU_DEP_1)
	v_rndne_f64_e32 v[134:135], v[134:135]
	v_fma_f64 v[142:143], v[134:135], s[70:71], v[8:9]
	s_delay_alu instid0(VALU_DEP_1) | instskip(SKIP_1) | instid1(VALU_DEP_2)
	v_fma_f64 v[142:143], v[134:135], s[72:73], v[142:143]
	v_cvt_i32_f64_e32 v134, v[134:135]
	v_fma_f64 v[144:145], v[142:143], s[76:77], s[74:75]
	s_delay_alu instid0(VALU_DEP_1) | instskip(NEXT) | instid1(VALU_DEP_1)
	v_fma_f64 v[144:145], v[142:143], v[144:145], s[78:79]
	v_fma_f64 v[144:145], v[142:143], v[144:145], s[80:81]
	s_delay_alu instid0(VALU_DEP_1) | instskip(NEXT) | instid1(VALU_DEP_1)
	v_fma_f64 v[144:145], v[142:143], v[144:145], s[82:83]
	v_fma_f64 v[144:145], v[142:143], v[144:145], s[84:85]
	s_delay_alu instid0(VALU_DEP_1) | instskip(NEXT) | instid1(VALU_DEP_1)
	v_fma_f64 v[144:145], v[142:143], v[144:145], s[86:87]
	v_fma_f64 v[144:145], v[142:143], v[144:145], s[88:89]
	s_delay_alu instid0(VALU_DEP_1) | instskip(NEXT) | instid1(VALU_DEP_1)
	v_fma_f64 v[144:145], v[142:143], v[144:145], s[90:91]
	v_fma_f64 v[144:145], v[142:143], v[144:145], s[92:93]
	s_delay_alu instid0(VALU_DEP_1) | instskip(NEXT) | instid1(VALU_DEP_1)
	v_fma_f64 v[144:145], v[142:143], v[144:145], 1.0
	v_fma_f64 v[142:143], v[142:143], v[144:145], 1.0
	s_delay_alu instid0(VALU_DEP_1) | instskip(NEXT) | instid1(VALU_DEP_1)
	v_ldexp_f64 v[134:135], v[142:143], v134
	;; [unrolled: 34-line block ×61, first 2 shown]
	v_cndmask_b32_e64 v135, 0x7ff00000, v135, s64
	s_and_b32 s64, s65, s64
	s_delay_alu instid0(VALU_DEP_2) | instid1(SALU_CYCLE_1)
	v_cndmask_b32_e64 v118, 0, v134, s64
	v_cmp_ngt_f64_e64 s64, 0xc090cc00, v[114:115]
	s_delay_alu instid0(VALU_DEP_3) | instskip(SKIP_2) | instid1(VALU_DEP_3)
	v_cndmask_b32_e64 v119, 0, v135, s65
	v_rndne_f64_e32 v[134:135], v[130:131]
	v_cmp_nlt_f64_e64 s65, 0x40900000, v[114:115]
	v_add_f64 v[132:133], v[132:133], v[118:119]
	s_delay_alu instid0(VALU_DEP_3) | instskip(NEXT) | instid1(VALU_DEP_1)
	v_fma_f64 v[130:131], v[134:135], s[70:71], v[114:115]
	v_fma_f64 v[130:131], v[134:135], s[72:73], v[130:131]
	v_cvt_i32_f64_e32 v134, v[134:135]
	s_delay_alu instid0(VALU_DEP_2) | instskip(NEXT) | instid1(VALU_DEP_1)
	v_fma_f64 v[142:143], v[130:131], s[76:77], s[74:75]
	v_fma_f64 v[142:143], v[130:131], v[142:143], s[78:79]
	s_delay_alu instid0(VALU_DEP_1) | instskip(NEXT) | instid1(VALU_DEP_1)
	v_fma_f64 v[142:143], v[130:131], v[142:143], s[80:81]
	v_fma_f64 v[142:143], v[130:131], v[142:143], s[82:83]
	s_delay_alu instid0(VALU_DEP_1) | instskip(NEXT) | instid1(VALU_DEP_1)
	;; [unrolled: 3-line block ×4, first 2 shown]
	v_fma_f64 v[142:143], v[130:131], v[142:143], s[92:93]
	v_fma_f64 v[142:143], v[130:131], v[142:143], 1.0
	s_delay_alu instid0(VALU_DEP_1) | instskip(NEXT) | instid1(VALU_DEP_1)
	v_fma_f64 v[130:131], v[130:131], v[142:143], 1.0
	v_ldexp_f64 v[134:135], v[130:131], v134
	s_delay_alu instid0(VALU_DEP_1)
	v_cndmask_b32_e64 v130, 0x7ff00000, v135, s65
	s_and_b32 s65, s64, s65
	s_delay_alu instid0(VALU_DEP_2) | instid1(SALU_CYCLE_1)
	v_cndmask_b32_e64 v114, 0, v134, s65
	s_mov_b32 s65, exec_lo
	s_delay_alu instid0(VALU_DEP_2) | instskip(NEXT) | instid1(VALU_DEP_1)
	v_cndmask_b32_e64 v115, 0, v130, s64
	v_add_f64 v[130:131], v[132:133], v[114:115]
	ds_bpermute_b32 v132, v137, v130
	ds_bpermute_b32 v133, v137, v131
	s_waitcnt lgkmcnt(0)
	v_add_f64 v[130:131], v[130:131], v[132:133]
	ds_bpermute_b32 v132, v138, v130
	ds_bpermute_b32 v133, v138, v131
	s_waitcnt lgkmcnt(0)
	;; [unrolled: 4-line block ×4, first 2 shown]
	v_add_f64 v[130:131], v[130:131], v[132:133]
	ds_bpermute_b32 v132, v141, v130
	ds_bpermute_b32 v133, v141, v131
	v_cmpx_lt_i32_e32 0, v136
	s_cbranch_execz .LBB377_194
; %bb.129:
	s_and_b32 exec_lo, exec_lo, vcc_lo
	s_cbranch_execz .LBB377_194
; %bb.130:
	s_waitcnt lgkmcnt(0)
	v_add_f64 v[130:131], v[130:131], v[132:133]
	s_delay_alu instid0(VALU_DEP_1) | instskip(SKIP_2) | instid1(VALU_DEP_3)
	v_div_scale_f64 v[132:133], null, v[130:131], v[130:131], v[2:3]
	v_div_scale_f64 v[138:139], vcc_lo, v[2:3], v[130:131], v[2:3]
	v_cmp_eq_f64_e64 s64, 0, v[130:131]
	v_rcp_f64_e32 v[134:135], v[132:133]
	s_waitcnt_depctr 0xfff
	v_fma_f64 v[136:137], -v[132:133], v[134:135], 1.0
	s_delay_alu instid0(VALU_DEP_1) | instskip(NEXT) | instid1(VALU_DEP_1)
	v_fma_f64 v[134:135], v[134:135], v[136:137], v[134:135]
	v_fma_f64 v[136:137], -v[132:133], v[134:135], 1.0
	s_delay_alu instid0(VALU_DEP_1) | instskip(NEXT) | instid1(VALU_DEP_1)
	v_fma_f64 v[134:135], v[134:135], v[136:137], v[134:135]
	v_mul_f64 v[136:137], v[138:139], v[134:135]
	s_delay_alu instid0(VALU_DEP_1) | instskip(NEXT) | instid1(VALU_DEP_1)
	v_fma_f64 v[132:133], -v[132:133], v[136:137], v[138:139]
	v_div_fmas_f64 v[132:133], v[132:133], v[134:135], v[136:137]
	v_add_co_u32 v0, vcc_lo, s68, v0
	v_add_co_ci_u32_e32 v1, vcc_lo, s69, v1, vcc_lo
	s_delay_alu instid0(VALU_DEP_3) | instskip(NEXT) | instid1(VALU_DEP_1)
	v_div_fixup_f64 v[2:3], v[132:133], v[130:131], v[2:3]
	v_cndmask_b32_e64 v3, v3, 0x7ff80000, s64
	s_delay_alu instid0(VALU_DEP_2)
	v_cndmask_b32_e64 v2, v2, 0, s64
	global_store_b64 v[0:1], v[2:3], off
	s_and_b32 exec_lo, exec_lo, s63
	s_cbranch_execz .LBB377_194
; %bb.131:
	v_div_scale_f64 v[2:3], null, v[130:131], v[130:131], v[4:5]
	v_div_scale_f64 v[136:137], vcc_lo, v[4:5], v[130:131], v[4:5]
	s_delay_alu instid0(VALU_DEP_2) | instskip(SKIP_2) | instid1(VALU_DEP_1)
	v_rcp_f64_e32 v[132:133], v[2:3]
	s_waitcnt_depctr 0xfff
	v_fma_f64 v[134:135], -v[2:3], v[132:133], 1.0
	v_fma_f64 v[132:133], v[132:133], v[134:135], v[132:133]
	s_delay_alu instid0(VALU_DEP_1) | instskip(NEXT) | instid1(VALU_DEP_1)
	v_fma_f64 v[134:135], -v[2:3], v[132:133], 1.0
	v_fma_f64 v[132:133], v[132:133], v[134:135], v[132:133]
	s_delay_alu instid0(VALU_DEP_1) | instskip(NEXT) | instid1(VALU_DEP_1)
	v_mul_f64 v[134:135], v[136:137], v[132:133]
	v_fma_f64 v[2:3], -v[2:3], v[134:135], v[136:137]
	s_delay_alu instid0(VALU_DEP_1) | instskip(NEXT) | instid1(VALU_DEP_1)
	v_div_fmas_f64 v[2:3], v[2:3], v[132:133], v[134:135]
	v_div_fixup_f64 v[2:3], v[2:3], v[130:131], v[4:5]
	s_delay_alu instid0(VALU_DEP_1) | instskip(NEXT) | instid1(VALU_DEP_2)
	v_cndmask_b32_e64 v3, v3, 0x7ff80000, s64
	v_cndmask_b32_e64 v2, v2, 0, s64
	global_store_b64 v[0:1], v[2:3], off offset:256
	s_and_b32 exec_lo, exec_lo, s62
	s_cbranch_execz .LBB377_194
; %bb.132:
	v_div_scale_f64 v[2:3], null, v[130:131], v[130:131], v[6:7]
	v_div_scale_f64 v[134:135], vcc_lo, v[6:7], v[130:131], v[6:7]
	s_delay_alu instid0(VALU_DEP_2) | instskip(SKIP_2) | instid1(VALU_DEP_1)
	v_rcp_f64_e32 v[4:5], v[2:3]
	s_waitcnt_depctr 0xfff
	v_fma_f64 v[132:133], -v[2:3], v[4:5], 1.0
	v_fma_f64 v[4:5], v[4:5], v[132:133], v[4:5]
	s_delay_alu instid0(VALU_DEP_1) | instskip(NEXT) | instid1(VALU_DEP_1)
	v_fma_f64 v[132:133], -v[2:3], v[4:5], 1.0
	v_fma_f64 v[4:5], v[4:5], v[132:133], v[4:5]
	s_delay_alu instid0(VALU_DEP_1) | instskip(NEXT) | instid1(VALU_DEP_1)
	v_mul_f64 v[132:133], v[134:135], v[4:5]
	v_fma_f64 v[2:3], -v[2:3], v[132:133], v[134:135]
	s_delay_alu instid0(VALU_DEP_1) | instskip(NEXT) | instid1(VALU_DEP_1)
	v_div_fmas_f64 v[2:3], v[2:3], v[4:5], v[132:133]
	v_div_fixup_f64 v[2:3], v[2:3], v[130:131], v[6:7]
	s_delay_alu instid0(VALU_DEP_1) | instskip(NEXT) | instid1(VALU_DEP_2)
	v_cndmask_b32_e64 v3, v3, 0x7ff80000, s64
	v_cndmask_b32_e64 v2, v2, 0, s64
	global_store_b64 v[0:1], v[2:3], off offset:512
	;; [unrolled: 23-line block ×15, first 2 shown]
	s_and_b32 exec_lo, exec_lo, s48
	s_cbranch_execz .LBB377_194
; %bb.146:
	v_div_scale_f64 v[2:3], null, v[130:131], v[130:131], v[34:35]
	v_div_scale_f64 v[8:9], vcc_lo, v[34:35], v[130:131], v[34:35]
	s_delay_alu instid0(VALU_DEP_2) | instskip(SKIP_2) | instid1(VALU_DEP_1)
	v_rcp_f64_e32 v[4:5], v[2:3]
	s_waitcnt_depctr 0xfff
	v_fma_f64 v[6:7], -v[2:3], v[4:5], 1.0
	v_fma_f64 v[4:5], v[4:5], v[6:7], v[4:5]
	s_delay_alu instid0(VALU_DEP_1) | instskip(NEXT) | instid1(VALU_DEP_1)
	v_fma_f64 v[6:7], -v[2:3], v[4:5], 1.0
	v_fma_f64 v[4:5], v[4:5], v[6:7], v[4:5]
	s_delay_alu instid0(VALU_DEP_1) | instskip(NEXT) | instid1(VALU_DEP_1)
	v_mul_f64 v[6:7], v[8:9], v[4:5]
	v_fma_f64 v[2:3], -v[2:3], v[6:7], v[8:9]
	s_delay_alu instid0(VALU_DEP_1) | instskip(NEXT) | instid1(VALU_DEP_1)
	v_div_fmas_f64 v[2:3], v[2:3], v[4:5], v[6:7]
	v_div_fixup_f64 v[2:3], v[2:3], v[130:131], v[34:35]
	s_delay_alu instid0(VALU_DEP_1) | instskip(SKIP_1) | instid1(VALU_DEP_3)
	v_cndmask_b32_e64 v4, v2, 0, s64
	v_add_co_u32 v2, vcc_lo, 0x1000, v0
	v_cndmask_b32_e64 v5, v3, 0x7ff80000, s64
	v_add_co_ci_u32_e32 v3, vcc_lo, 0, v1, vcc_lo
	global_store_b64 v[2:3], v[4:5], off
	s_and_b32 exec_lo, exec_lo, s47
	s_cbranch_execz .LBB377_194
; %bb.147:
	v_div_scale_f64 v[4:5], null, v[130:131], v[130:131], v[36:37]
	v_div_scale_f64 v[10:11], vcc_lo, v[36:37], v[130:131], v[36:37]
	s_delay_alu instid0(VALU_DEP_2) | instskip(SKIP_2) | instid1(VALU_DEP_1)
	v_rcp_f64_e32 v[6:7], v[4:5]
	s_waitcnt_depctr 0xfff
	v_fma_f64 v[8:9], -v[4:5], v[6:7], 1.0
	v_fma_f64 v[6:7], v[6:7], v[8:9], v[6:7]
	s_delay_alu instid0(VALU_DEP_1) | instskip(NEXT) | instid1(VALU_DEP_1)
	v_fma_f64 v[8:9], -v[4:5], v[6:7], 1.0
	v_fma_f64 v[6:7], v[6:7], v[8:9], v[6:7]
	s_delay_alu instid0(VALU_DEP_1) | instskip(NEXT) | instid1(VALU_DEP_1)
	v_mul_f64 v[8:9], v[10:11], v[6:7]
	v_fma_f64 v[4:5], -v[4:5], v[8:9], v[10:11]
	s_delay_alu instid0(VALU_DEP_1) | instskip(NEXT) | instid1(VALU_DEP_1)
	v_div_fmas_f64 v[4:5], v[4:5], v[6:7], v[8:9]
	v_div_fixup_f64 v[4:5], v[4:5], v[130:131], v[36:37]
	s_delay_alu instid0(VALU_DEP_1) | instskip(NEXT) | instid1(VALU_DEP_2)
	v_cndmask_b32_e64 v5, v5, 0x7ff80000, s64
	v_cndmask_b32_e64 v4, v4, 0, s64
	global_store_b64 v[2:3], v[4:5], off offset:256
	s_and_b32 exec_lo, exec_lo, s46
	s_cbranch_execz .LBB377_194
; %bb.148:
	v_div_scale_f64 v[4:5], null, v[130:131], v[130:131], v[38:39]
	v_div_scale_f64 v[10:11], vcc_lo, v[38:39], v[130:131], v[38:39]
	s_delay_alu instid0(VALU_DEP_2) | instskip(SKIP_2) | instid1(VALU_DEP_1)
	v_rcp_f64_e32 v[6:7], v[4:5]
	s_waitcnt_depctr 0xfff
	v_fma_f64 v[8:9], -v[4:5], v[6:7], 1.0
	v_fma_f64 v[6:7], v[6:7], v[8:9], v[6:7]
	s_delay_alu instid0(VALU_DEP_1) | instskip(NEXT) | instid1(VALU_DEP_1)
	v_fma_f64 v[8:9], -v[4:5], v[6:7], 1.0
	v_fma_f64 v[6:7], v[6:7], v[8:9], v[6:7]
	s_delay_alu instid0(VALU_DEP_1) | instskip(NEXT) | instid1(VALU_DEP_1)
	v_mul_f64 v[8:9], v[10:11], v[6:7]
	v_fma_f64 v[4:5], -v[4:5], v[8:9], v[10:11]
	s_delay_alu instid0(VALU_DEP_1) | instskip(NEXT) | instid1(VALU_DEP_1)
	v_div_fmas_f64 v[4:5], v[4:5], v[6:7], v[8:9]
	v_div_fixup_f64 v[4:5], v[4:5], v[130:131], v[38:39]
	s_delay_alu instid0(VALU_DEP_1) | instskip(NEXT) | instid1(VALU_DEP_2)
	v_cndmask_b32_e64 v5, v5, 0x7ff80000, s64
	v_cndmask_b32_e64 v4, v4, 0, s64
	global_store_b64 v[2:3], v[4:5], off offset:512
	;; [unrolled: 23-line block ×15, first 2 shown]
	s_and_b32 exec_lo, exec_lo, s31
	s_cbranch_execz .LBB377_194
; %bb.162:
	v_div_scale_f64 v[2:3], null, v[130:131], v[130:131], v[66:67]
	v_div_scale_f64 v[8:9], vcc_lo, v[66:67], v[130:131], v[66:67]
	s_delay_alu instid0(VALU_DEP_2) | instskip(SKIP_2) | instid1(VALU_DEP_1)
	v_rcp_f64_e32 v[4:5], v[2:3]
	s_waitcnt_depctr 0xfff
	v_fma_f64 v[6:7], -v[2:3], v[4:5], 1.0
	v_fma_f64 v[4:5], v[4:5], v[6:7], v[4:5]
	s_delay_alu instid0(VALU_DEP_1) | instskip(NEXT) | instid1(VALU_DEP_1)
	v_fma_f64 v[6:7], -v[2:3], v[4:5], 1.0
	v_fma_f64 v[4:5], v[4:5], v[6:7], v[4:5]
	s_delay_alu instid0(VALU_DEP_1) | instskip(NEXT) | instid1(VALU_DEP_1)
	v_mul_f64 v[6:7], v[8:9], v[4:5]
	v_fma_f64 v[2:3], -v[2:3], v[6:7], v[8:9]
	s_delay_alu instid0(VALU_DEP_1) | instskip(NEXT) | instid1(VALU_DEP_1)
	v_div_fmas_f64 v[2:3], v[2:3], v[4:5], v[6:7]
	v_div_fixup_f64 v[2:3], v[2:3], v[130:131], v[66:67]
	s_delay_alu instid0(VALU_DEP_1) | instskip(SKIP_1) | instid1(VALU_DEP_3)
	v_cndmask_b32_e64 v4, v2, 0, s64
	v_add_co_u32 v2, vcc_lo, 0x2000, v0
	v_cndmask_b32_e64 v5, v3, 0x7ff80000, s64
	v_add_co_ci_u32_e32 v3, vcc_lo, 0, v1, vcc_lo
	global_store_b64 v[2:3], v[4:5], off
	s_and_b32 exec_lo, exec_lo, s30
	s_cbranch_execz .LBB377_194
; %bb.163:
	v_div_scale_f64 v[4:5], null, v[130:131], v[130:131], v[68:69]
	v_div_scale_f64 v[10:11], vcc_lo, v[68:69], v[130:131], v[68:69]
	s_delay_alu instid0(VALU_DEP_2) | instskip(SKIP_2) | instid1(VALU_DEP_1)
	v_rcp_f64_e32 v[6:7], v[4:5]
	s_waitcnt_depctr 0xfff
	v_fma_f64 v[8:9], -v[4:5], v[6:7], 1.0
	v_fma_f64 v[6:7], v[6:7], v[8:9], v[6:7]
	s_delay_alu instid0(VALU_DEP_1) | instskip(NEXT) | instid1(VALU_DEP_1)
	v_fma_f64 v[8:9], -v[4:5], v[6:7], 1.0
	v_fma_f64 v[6:7], v[6:7], v[8:9], v[6:7]
	s_delay_alu instid0(VALU_DEP_1) | instskip(NEXT) | instid1(VALU_DEP_1)
	v_mul_f64 v[8:9], v[10:11], v[6:7]
	v_fma_f64 v[4:5], -v[4:5], v[8:9], v[10:11]
	s_delay_alu instid0(VALU_DEP_1) | instskip(NEXT) | instid1(VALU_DEP_1)
	v_div_fmas_f64 v[4:5], v[4:5], v[6:7], v[8:9]
	v_div_fixup_f64 v[4:5], v[4:5], v[130:131], v[68:69]
	s_delay_alu instid0(VALU_DEP_1) | instskip(NEXT) | instid1(VALU_DEP_2)
	v_cndmask_b32_e64 v5, v5, 0x7ff80000, s64
	v_cndmask_b32_e64 v4, v4, 0, s64
	global_store_b64 v[2:3], v[4:5], off offset:256
	s_and_b32 exec_lo, exec_lo, s29
	s_cbranch_execz .LBB377_194
; %bb.164:
	v_div_scale_f64 v[4:5], null, v[130:131], v[130:131], v[70:71]
	v_div_scale_f64 v[10:11], vcc_lo, v[70:71], v[130:131], v[70:71]
	s_delay_alu instid0(VALU_DEP_2) | instskip(SKIP_2) | instid1(VALU_DEP_1)
	v_rcp_f64_e32 v[6:7], v[4:5]
	s_waitcnt_depctr 0xfff
	v_fma_f64 v[8:9], -v[4:5], v[6:7], 1.0
	v_fma_f64 v[6:7], v[6:7], v[8:9], v[6:7]
	s_delay_alu instid0(VALU_DEP_1) | instskip(NEXT) | instid1(VALU_DEP_1)
	v_fma_f64 v[8:9], -v[4:5], v[6:7], 1.0
	v_fma_f64 v[6:7], v[6:7], v[8:9], v[6:7]
	s_delay_alu instid0(VALU_DEP_1) | instskip(NEXT) | instid1(VALU_DEP_1)
	v_mul_f64 v[8:9], v[10:11], v[6:7]
	v_fma_f64 v[4:5], -v[4:5], v[8:9], v[10:11]
	s_delay_alu instid0(VALU_DEP_1) | instskip(NEXT) | instid1(VALU_DEP_1)
	v_div_fmas_f64 v[4:5], v[4:5], v[6:7], v[8:9]
	v_div_fixup_f64 v[4:5], v[4:5], v[130:131], v[70:71]
	s_delay_alu instid0(VALU_DEP_1) | instskip(NEXT) | instid1(VALU_DEP_2)
	v_cndmask_b32_e64 v5, v5, 0x7ff80000, s64
	v_cndmask_b32_e64 v4, v4, 0, s64
	global_store_b64 v[2:3], v[4:5], off offset:512
	;; [unrolled: 23-line block ×15, first 2 shown]
	s_and_b32 exec_lo, exec_lo, s15
	s_cbranch_execz .LBB377_194
; %bb.178:
	v_div_scale_f64 v[2:3], null, v[130:131], v[130:131], v[98:99]
	v_div_scale_f64 v[8:9], vcc_lo, v[98:99], v[130:131], v[98:99]
	s_delay_alu instid0(VALU_DEP_2) | instskip(SKIP_2) | instid1(VALU_DEP_1)
	v_rcp_f64_e32 v[4:5], v[2:3]
	s_waitcnt_depctr 0xfff
	v_fma_f64 v[6:7], -v[2:3], v[4:5], 1.0
	v_fma_f64 v[4:5], v[4:5], v[6:7], v[4:5]
	s_delay_alu instid0(VALU_DEP_1) | instskip(NEXT) | instid1(VALU_DEP_1)
	v_fma_f64 v[6:7], -v[2:3], v[4:5], 1.0
	v_fma_f64 v[4:5], v[4:5], v[6:7], v[4:5]
	s_delay_alu instid0(VALU_DEP_1) | instskip(NEXT) | instid1(VALU_DEP_1)
	v_mul_f64 v[6:7], v[8:9], v[4:5]
	v_fma_f64 v[2:3], -v[2:3], v[6:7], v[8:9]
	s_delay_alu instid0(VALU_DEP_1) | instskip(SKIP_2) | instid1(VALU_DEP_3)
	v_div_fmas_f64 v[2:3], v[2:3], v[4:5], v[6:7]
	v_add_co_u32 v0, vcc_lo, 0x3000, v0
	v_add_co_ci_u32_e32 v1, vcc_lo, 0, v1, vcc_lo
	v_div_fixup_f64 v[2:3], v[2:3], v[130:131], v[98:99]
	s_delay_alu instid0(VALU_DEP_1) | instskip(NEXT) | instid1(VALU_DEP_2)
	v_cndmask_b32_e64 v3, v3, 0x7ff80000, s64
	v_cndmask_b32_e64 v2, v2, 0, s64
	global_store_b64 v[0:1], v[2:3], off
	s_and_b32 exec_lo, exec_lo, s14
	s_cbranch_execz .LBB377_194
; %bb.179:
	v_div_scale_f64 v[2:3], null, v[130:131], v[130:131], v[100:101]
	v_div_scale_f64 v[8:9], vcc_lo, v[100:101], v[130:131], v[100:101]
	s_delay_alu instid0(VALU_DEP_2) | instskip(SKIP_2) | instid1(VALU_DEP_1)
	v_rcp_f64_e32 v[4:5], v[2:3]
	s_waitcnt_depctr 0xfff
	v_fma_f64 v[6:7], -v[2:3], v[4:5], 1.0
	v_fma_f64 v[4:5], v[4:5], v[6:7], v[4:5]
	s_delay_alu instid0(VALU_DEP_1) | instskip(NEXT) | instid1(VALU_DEP_1)
	v_fma_f64 v[6:7], -v[2:3], v[4:5], 1.0
	v_fma_f64 v[4:5], v[4:5], v[6:7], v[4:5]
	s_delay_alu instid0(VALU_DEP_1) | instskip(NEXT) | instid1(VALU_DEP_1)
	v_mul_f64 v[6:7], v[8:9], v[4:5]
	v_fma_f64 v[2:3], -v[2:3], v[6:7], v[8:9]
	s_delay_alu instid0(VALU_DEP_1) | instskip(NEXT) | instid1(VALU_DEP_1)
	v_div_fmas_f64 v[2:3], v[2:3], v[4:5], v[6:7]
	v_div_fixup_f64 v[2:3], v[2:3], v[130:131], v[100:101]
	s_delay_alu instid0(VALU_DEP_1) | instskip(NEXT) | instid1(VALU_DEP_2)
	v_cndmask_b32_e64 v3, v3, 0x7ff80000, s64
	v_cndmask_b32_e64 v2, v2, 0, s64
	global_store_b64 v[0:1], v[2:3], off offset:256
	s_and_b32 exec_lo, exec_lo, s13
	s_cbranch_execz .LBB377_194
; %bb.180:
	v_div_scale_f64 v[2:3], null, v[130:131], v[130:131], v[102:103]
	v_div_scale_f64 v[8:9], vcc_lo, v[102:103], v[130:131], v[102:103]
	s_delay_alu instid0(VALU_DEP_2) | instskip(SKIP_2) | instid1(VALU_DEP_1)
	v_rcp_f64_e32 v[4:5], v[2:3]
	s_waitcnt_depctr 0xfff
	v_fma_f64 v[6:7], -v[2:3], v[4:5], 1.0
	v_fma_f64 v[4:5], v[4:5], v[6:7], v[4:5]
	s_delay_alu instid0(VALU_DEP_1) | instskip(NEXT) | instid1(VALU_DEP_1)
	v_fma_f64 v[6:7], -v[2:3], v[4:5], 1.0
	v_fma_f64 v[4:5], v[4:5], v[6:7], v[4:5]
	s_delay_alu instid0(VALU_DEP_1) | instskip(NEXT) | instid1(VALU_DEP_1)
	v_mul_f64 v[6:7], v[8:9], v[4:5]
	v_fma_f64 v[2:3], -v[2:3], v[6:7], v[8:9]
	s_delay_alu instid0(VALU_DEP_1) | instskip(NEXT) | instid1(VALU_DEP_1)
	v_div_fmas_f64 v[2:3], v[2:3], v[4:5], v[6:7]
	v_div_fixup_f64 v[2:3], v[2:3], v[130:131], v[102:103]
	s_delay_alu instid0(VALU_DEP_1) | instskip(NEXT) | instid1(VALU_DEP_2)
	v_cndmask_b32_e64 v3, v3, 0x7ff80000, s64
	v_cndmask_b32_e64 v2, v2, 0, s64
	global_store_b64 v[0:1], v[2:3], off offset:512
	;; [unrolled: 23-line block ×15, first 2 shown]
.LBB377_194:
	s_nop 0
	s_sendmsg sendmsg(MSG_DEALLOC_VGPRS)
	s_endpgm
	.section	.rodata,"a",@progbits
	.p2align	6, 0x0
	.amdhsa_kernel _ZN12_GLOBAL__N_120softmax_warp_forwardIdddLi11ELb0ELb0ELi32EEEvPT0_PKT_iiiPKbib
		.amdhsa_group_segment_fixed_size 0
		.amdhsa_private_segment_fixed_size 0
		.amdhsa_kernarg_size 304
		.amdhsa_user_sgpr_count 15
		.amdhsa_user_sgpr_dispatch_ptr 0
		.amdhsa_user_sgpr_queue_ptr 0
		.amdhsa_user_sgpr_kernarg_segment_ptr 1
		.amdhsa_user_sgpr_dispatch_id 0
		.amdhsa_user_sgpr_private_segment_size 0
		.amdhsa_wavefront_size32 1
		.amdhsa_uses_dynamic_stack 0
		.amdhsa_enable_private_segment 0
		.amdhsa_system_sgpr_workgroup_id_x 1
		.amdhsa_system_sgpr_workgroup_id_y 0
		.amdhsa_system_sgpr_workgroup_id_z 0
		.amdhsa_system_sgpr_workgroup_info 0
		.amdhsa_system_vgpr_workitem_id 1
		.amdhsa_next_free_vgpr 146
		.amdhsa_next_free_sgpr 94
		.amdhsa_reserve_vcc 1
		.amdhsa_float_round_mode_32 0
		.amdhsa_float_round_mode_16_64 0
		.amdhsa_float_denorm_mode_32 3
		.amdhsa_float_denorm_mode_16_64 3
		.amdhsa_dx10_clamp 1
		.amdhsa_ieee_mode 1
		.amdhsa_fp16_overflow 0
		.amdhsa_workgroup_processor_mode 1
		.amdhsa_memory_ordered 1
		.amdhsa_forward_progress 0
		.amdhsa_shared_vgpr_count 0
		.amdhsa_exception_fp_ieee_invalid_op 0
		.amdhsa_exception_fp_denorm_src 0
		.amdhsa_exception_fp_ieee_div_zero 0
		.amdhsa_exception_fp_ieee_overflow 0
		.amdhsa_exception_fp_ieee_underflow 0
		.amdhsa_exception_fp_ieee_inexact 0
		.amdhsa_exception_int_div_zero 0
	.end_amdhsa_kernel
	.section	.text._ZN12_GLOBAL__N_120softmax_warp_forwardIdddLi11ELb0ELb0ELi32EEEvPT0_PKT_iiiPKbib,"axG",@progbits,_ZN12_GLOBAL__N_120softmax_warp_forwardIdddLi11ELb0ELb0ELi32EEEvPT0_PKT_iiiPKbib,comdat
.Lfunc_end377:
	.size	_ZN12_GLOBAL__N_120softmax_warp_forwardIdddLi11ELb0ELb0ELi32EEEvPT0_PKT_iiiPKbib, .Lfunc_end377-_ZN12_GLOBAL__N_120softmax_warp_forwardIdddLi11ELb0ELb0ELi32EEEvPT0_PKT_iiiPKbib
                                        ; -- End function
	.section	.AMDGPU.csdata,"",@progbits
; Kernel info:
; codeLenInByte = 32128
; NumSgprs: 96
; NumVgprs: 146
; ScratchSize: 0
; MemoryBound: 0
; FloatMode: 240
; IeeeMode: 1
; LDSByteSize: 0 bytes/workgroup (compile time only)
; SGPRBlocks: 11
; VGPRBlocks: 18
; NumSGPRsForWavesPerEU: 96
; NumVGPRsForWavesPerEU: 146
; Occupancy: 9
; WaveLimiterHint : 0
; COMPUTE_PGM_RSRC2:SCRATCH_EN: 0
; COMPUTE_PGM_RSRC2:USER_SGPR: 15
; COMPUTE_PGM_RSRC2:TRAP_HANDLER: 0
; COMPUTE_PGM_RSRC2:TGID_X_EN: 1
; COMPUTE_PGM_RSRC2:TGID_Y_EN: 0
; COMPUTE_PGM_RSRC2:TGID_Z_EN: 0
; COMPUTE_PGM_RSRC2:TIDIG_COMP_CNT: 1
	.section	.text._ZN2at6native12_GLOBAL__N_123cunn_SoftMaxForwardGmemILi2EdddNS1_29SoftMaxForwardWithMulEpilogueElEEvPT2_PKT0_T4_,"axG",@progbits,_ZN2at6native12_GLOBAL__N_123cunn_SoftMaxForwardGmemILi2EdddNS1_29SoftMaxForwardWithMulEpilogueElEEvPT2_PKT0_T4_,comdat
	.globl	_ZN2at6native12_GLOBAL__N_123cunn_SoftMaxForwardGmemILi2EdddNS1_29SoftMaxForwardWithMulEpilogueElEEvPT2_PKT0_T4_ ; -- Begin function _ZN2at6native12_GLOBAL__N_123cunn_SoftMaxForwardGmemILi2EdddNS1_29SoftMaxForwardWithMulEpilogueElEEvPT2_PKT0_T4_
	.p2align	8
	.type	_ZN2at6native12_GLOBAL__N_123cunn_SoftMaxForwardGmemILi2EdddNS1_29SoftMaxForwardWithMulEpilogueElEEvPT2_PKT0_T4_,@function
_ZN2at6native12_GLOBAL__N_123cunn_SoftMaxForwardGmemILi2EdddNS1_29SoftMaxForwardWithMulEpilogueElEEvPT2_PKT0_T4_: ; @_ZN2at6native12_GLOBAL__N_123cunn_SoftMaxForwardGmemILi2EdddNS1_29SoftMaxForwardWithMulEpilogueElEEvPT2_PKT0_T4_
; %bb.0:
	s_clause 0x1
	s_load_b64 s[6:7], s[0:1], 0x10
	s_load_b128 s[8:11], s[0:1], 0x0
	v_dual_mov_b32 v1, 0 :: v_dual_lshlrev_b32 v2, 1, v0
	s_mov_b32 s4, -1
	s_mov_b32 s5, 0xffefffff
	s_delay_alu instid0(VALU_DEP_1) | instskip(SKIP_2) | instid1(VALU_DEP_1)
	v_dual_mov_b32 v3, v1 :: v_dual_lshlrev_b32 v10, 4, v0
	s_mov_b32 s17, 0
	s_waitcnt lgkmcnt(0)
	v_cmp_gt_i64_e64 s2, s[6:7], v[2:3]
	v_dual_mov_b32 v2, s4 :: v_dual_mov_b32 v3, s5
	s_mul_i32 s14, s7, s15
	s_mul_hi_u32 s16, s6, s15
	s_mul_i32 s12, s6, s15
	s_delay_alu instid0(VALU_DEP_2)
	s_and_saveexec_b32 s15, s2
	s_cbranch_execz .LBB378_4
; %bb.1:
	s_load_b32 s3, s[0:1], 0x24
	s_add_i32 s13, s16, s14
	v_dual_mov_b32 v2, s4 :: v_dual_mov_b32 v3, s5
	s_lshl_b64 s[18:19], s[12:13], 3
	v_dual_mov_b32 v7, v1 :: v_dual_mov_b32 v6, v0
	s_waitcnt lgkmcnt(0)
	s_and_b32 s13, s3, 0xffff
	s_add_u32 s3, s10, s18
	s_addc_u32 s18, s11, s19
	v_add_co_u32 v4, s3, s3, v10
	s_delay_alu instid0(VALU_DEP_1) | instskip(SKIP_1) | instid1(VALU_DEP_2)
	v_add_co_ci_u32_e64 v5, null, s18, 0, s3
	s_lshl_b32 s4, s13, 4
	v_add_co_u32 v4, vcc_lo, v4, 8
	s_delay_alu instid0(VALU_DEP_2)
	v_add_co_ci_u32_e32 v5, vcc_lo, 0, v5, vcc_lo
	.p2align	6
.LBB378_2:                              ; =>This Inner Loop Header: Depth=1
	global_load_b128 v[11:14], v[4:5], off offset:-8
	v_max_f64 v[2:3], v[2:3], v[2:3]
	v_add_co_u32 v6, vcc_lo, v6, s13
	v_add_co_ci_u32_e32 v7, vcc_lo, 0, v7, vcc_lo
	v_add_co_u32 v4, s3, v4, s4
	s_delay_alu instid0(VALU_DEP_1) | instskip(SKIP_3) | instid1(VALU_DEP_2)
	v_add_co_ci_u32_e64 v5, s3, 0, v5, s3
	s_waitcnt vmcnt(0)
	v_max_f64 v[8:9], v[11:12], v[11:12]
	v_max_f64 v[11:12], v[13:14], v[13:14]
	;; [unrolled: 1-line block ×3, first 2 shown]
	v_lshlrev_b64 v[8:9], 1, v[6:7]
	s_delay_alu instid0(VALU_DEP_1) | instskip(SKIP_1) | instid1(VALU_DEP_3)
	v_cmp_le_i64_e32 vcc_lo, s[6:7], v[8:9]
	s_or_b32 s17, vcc_lo, s17
	v_max_f64 v[2:3], v[2:3], v[11:12]
	s_and_not1_b32 exec_lo, exec_lo, s17
	s_cbranch_execnz .LBB378_2
; %bb.3:
	s_or_b32 exec_lo, exec_lo, s17
.LBB378_4:
	s_delay_alu instid0(SALU_CYCLE_1) | instskip(SKIP_4) | instid1(VALU_DEP_2)
	s_or_b32 exec_lo, exec_lo, s15
	v_mbcnt_lo_u32_b32 v6, -1, 0
	v_lshrrev_b32_e32 v16, 2, v0
	s_mov_b32 s4, -1
	s_barrier
	v_cmp_gt_u32_e32 vcc_lo, 16, v6
	v_cmp_gt_u32_e64 s3, 24, v6
	buffer_gl0_inv
	v_cndmask_b32_e64 v4, 0, 1, vcc_lo
	v_cndmask_b32_e64 v7, 0, 1, s3
	v_cmp_gt_u32_e64 s3, 28, v6
	s_delay_alu instid0(VALU_DEP_3) | instskip(NEXT) | instid1(VALU_DEP_1)
	v_lshlrev_b32_e32 v4, 4, v4
	v_add_lshl_u32 v11, v4, v6, 2
	ds_bpermute_b32 v4, v11, v2
	ds_bpermute_b32 v5, v11, v3
	s_waitcnt lgkmcnt(0)
	v_cmp_lt_f64_e32 vcc_lo, v[2:3], v[4:5]
	v_dual_cndmask_b32 v2, v2, v4 :: v_dual_lshlrev_b32 v7, 3, v7
	s_delay_alu instid0(VALU_DEP_1)
	v_add_lshl_u32 v12, v7, v6, 2
	v_cndmask_b32_e32 v3, v3, v5, vcc_lo
	v_cndmask_b32_e64 v7, 0, 1, s3
	v_cmp_gt_u32_e64 s3, 30, v6
	ds_bpermute_b32 v4, v12, v2
	ds_bpermute_b32 v5, v12, v3
	s_waitcnt lgkmcnt(0)
	v_cmp_lt_f64_e32 vcc_lo, v[2:3], v[4:5]
	v_dual_cndmask_b32 v2, v2, v4 :: v_dual_lshlrev_b32 v7, 2, v7
	s_delay_alu instid0(VALU_DEP_1)
	v_add_lshl_u32 v13, v7, v6, 2
	v_cndmask_b32_e64 v7, 0, 1, s3
	v_cmp_ne_u32_e64 s3, 31, v6
	ds_bpermute_b32 v4, v13, v2
	v_cndmask_b32_e32 v3, v3, v5, vcc_lo
	ds_bpermute_b32 v5, v13, v3
	s_waitcnt lgkmcnt(0)
	v_cmp_lt_f64_e32 vcc_lo, v[2:3], v[4:5]
	v_dual_cndmask_b32 v2, v2, v4 :: v_dual_lshlrev_b32 v7, 1, v7
	v_cndmask_b32_e32 v3, v3, v5, vcc_lo
	s_delay_alu instid0(VALU_DEP_2)
	v_add_lshl_u32 v14, v7, v6, 2
	v_add_co_ci_u32_e64 v6, s3, 0, v6, s3
	ds_bpermute_b32 v4, v14, v2
	v_lshlrev_b32_e32 v15, 2, v6
	v_and_b32_e32 v6, 31, v0
	ds_bpermute_b32 v5, v14, v3
	s_waitcnt lgkmcnt(0)
	v_cmp_lt_f64_e32 vcc_lo, v[2:3], v[4:5]
	v_dual_cndmask_b32 v3, v3, v5 :: v_dual_cndmask_b32 v2, v2, v4
	v_cmp_eq_u32_e32 vcc_lo, 0, v6
	ds_bpermute_b32 v5, v15, v3
	ds_bpermute_b32 v4, v15, v2
	s_and_saveexec_b32 s5, vcc_lo
	s_cbranch_execz .LBB378_6
; %bb.5:
	s_waitcnt lgkmcnt(0)
	v_cmp_lt_f64_e64 s3, v[2:3], v[4:5]
	v_add_nc_u32_e32 v7, 0, v16
	s_delay_alu instid0(VALU_DEP_2)
	v_cndmask_b32_e64 v3, v3, v5, s3
	v_cndmask_b32_e64 v2, v2, v4, s3
	ds_store_b64 v7, v[2:3]
.LBB378_6:
	s_or_b32 exec_lo, exec_lo, s5
	s_waitcnt lgkmcnt(0)
	s_barrier
	buffer_gl0_inv
	s_load_b32 s15, s[0:1], 0x24
	s_mov_b32 s5, 0xffefffff
	s_delay_alu instid0(SALU_CYCLE_1) | instskip(SKIP_3) | instid1(SALU_CYCLE_1)
	v_dual_mov_b32 v2, s4 :: v_dual_mov_b32 v3, s5
	v_lshl_add_u32 v17, v6, 3, 0
	s_waitcnt lgkmcnt(0)
	s_bfe_u32 s0, s15, 0xb0005
	v_cmp_gt_u32_e64 s0, s0, v0
	s_delay_alu instid0(VALU_DEP_1)
	s_and_saveexec_b32 s1, s0
	s_cbranch_execnz .LBB378_24
; %bb.7:
	s_or_b32 exec_lo, exec_lo, s1
	v_cmp_gt_u32_e64 s1, 32, v0
	s_delay_alu instid0(VALU_DEP_1)
	s_and_saveexec_b32 s4, s1
	s_cbranch_execnz .LBB378_25
.LBB378_8:
	s_or_b32 exec_lo, exec_lo, s4
	v_cmp_eq_u32_e64 s3, 0, v0
	s_delay_alu instid0(VALU_DEP_1)
	s_and_saveexec_b32 s4, s3
	s_cbranch_execz .LBB378_10
.LBB378_9:
	v_mov_b32_e32 v4, 0
	s_waitcnt lgkmcnt(0)
	ds_store_b64 v4, v[2:3]
.LBB378_10:
	s_or_b32 exec_lo, exec_lo, s4
	s_waitcnt lgkmcnt(0)
	v_mov_b32_e32 v2, 0
	v_mov_b32_e32 v4, 0
	v_mov_b32_e32 v5, 0
	s_barrier
	buffer_gl0_inv
	ds_load_b64 v[2:3], v2
	s_mov_b32 s18, 0
	s_and_saveexec_b32 s17, s2
	s_cbranch_execz .LBB378_14
; %bb.11:
	s_add_i32 s13, s16, s14
	v_mov_b32_e32 v9, v1
	s_lshl_b64 s[4:5], s[12:13], 3
	s_and_b32 s13, s15, 0xffff
	s_add_u32 s4, s10, s4
	s_addc_u32 s5, s11, s5
	v_add_co_u32 v4, s4, s4, v10
	s_delay_alu instid0(VALU_DEP_1) | instskip(SKIP_1) | instid1(VALU_DEP_2)
	v_add_co_ci_u32_e64 v5, null, s5, 0, s4
	s_lshl_b32 s19, s13, 4
	v_add_co_u32 v6, s4, v4, 8
	s_delay_alu instid0(VALU_DEP_1)
	v_add_co_ci_u32_e64 v7, s4, 0, v5, s4
	v_mov_b32_e32 v4, 0
	v_dual_mov_b32 v5, 0 :: v_dual_mov_b32 v8, v0
	s_set_inst_prefetch_distance 0x1
	.p2align	6
.LBB378_12:                             ; =>This Inner Loop Header: Depth=1
	global_load_b128 v[18:21], v[6:7], off offset:-8
	v_add_co_u32 v8, s4, v8, s13
	s_delay_alu instid0(VALU_DEP_1) | instskip(SKIP_1) | instid1(VALU_DEP_1)
	v_add_co_ci_u32_e64 v9, s4, 0, v9, s4
	v_add_co_u32 v6, s5, v6, s19
	v_add_co_ci_u32_e64 v7, s5, 0, v7, s5
	s_waitcnt vmcnt(0) lgkmcnt(0)
	v_add_f64 v[18:19], v[18:19], -v[2:3]
	v_add_f64 v[20:21], v[20:21], -v[2:3]
	s_delay_alu instid0(VALU_DEP_2) | instskip(NEXT) | instid1(VALU_DEP_2)
	v_cvt_f32_f64_e32 v18, v[18:19]
	v_cvt_f32_f64_e32 v20, v[20:21]
	s_delay_alu instid0(VALU_DEP_2) | instskip(NEXT) | instid1(VALU_DEP_2)
	v_mul_f32_e32 v18, 0x3fb8aa3b, v18
	v_mul_f32_e32 v20, 0x3fb8aa3b, v20
	s_delay_alu instid0(VALU_DEP_2) | instskip(NEXT) | instid1(VALU_DEP_1)
	v_exp_f32_e32 v18, v18
	v_exp_f32_e32 v20, v20
	s_waitcnt_depctr 0xfff
	v_cvt_f64_f32_e32 v[18:19], v18
	v_cvt_f64_f32_e32 v[20:21], v20
	s_delay_alu instid0(VALU_DEP_2) | instskip(SKIP_1) | instid1(VALU_DEP_1)
	v_add_f64 v[4:5], v[4:5], v[18:19]
	v_lshlrev_b64 v[18:19], 1, v[8:9]
	v_cmp_le_i64_e64 s4, s[6:7], v[18:19]
	s_delay_alu instid0(VALU_DEP_1) | instskip(NEXT) | instid1(VALU_DEP_3)
	s_or_b32 s18, s4, s18
	v_add_f64 v[4:5], v[4:5], v[20:21]
	s_and_not1_b32 exec_lo, exec_lo, s18
	s_cbranch_execnz .LBB378_12
; %bb.13:
	s_set_inst_prefetch_distance 0x2
	s_or_b32 exec_lo, exec_lo, s18
.LBB378_14:
	s_delay_alu instid0(SALU_CYCLE_1)
	s_or_b32 exec_lo, exec_lo, s17
	ds_bpermute_b32 v6, v11, v4
	ds_bpermute_b32 v7, v11, v5
	s_waitcnt lgkmcnt(0)
	s_barrier
	buffer_gl0_inv
	v_add_f64 v[4:5], v[4:5], v[6:7]
	ds_bpermute_b32 v6, v12, v4
	ds_bpermute_b32 v7, v12, v5
	s_waitcnt lgkmcnt(0)
	v_add_f64 v[4:5], v[4:5], v[6:7]
	ds_bpermute_b32 v6, v13, v4
	ds_bpermute_b32 v7, v13, v5
	s_waitcnt lgkmcnt(0)
	;; [unrolled: 4-line block ×3, first 2 shown]
	v_add_f64 v[4:5], v[4:5], v[6:7]
	ds_bpermute_b32 v6, v15, v4
	ds_bpermute_b32 v7, v15, v5
	s_and_saveexec_b32 s4, vcc_lo
	s_cbranch_execz .LBB378_16
; %bb.15:
	s_waitcnt lgkmcnt(0)
	v_add_f64 v[4:5], v[4:5], v[6:7]
	v_add_nc_u32_e32 v6, 0, v16
	ds_store_b64 v6, v[4:5]
.LBB378_16:
	s_or_b32 exec_lo, exec_lo, s4
	v_mov_b32_e32 v4, 0
	v_mov_b32_e32 v5, 0
	s_waitcnt lgkmcnt(0)
	s_barrier
	buffer_gl0_inv
	s_and_saveexec_b32 s4, s0
	s_cbranch_execnz .LBB378_26
; %bb.17:
	s_or_b32 exec_lo, exec_lo, s4
	s_and_saveexec_b32 s0, s1
	s_cbranch_execnz .LBB378_27
.LBB378_18:
	s_or_b32 exec_lo, exec_lo, s0
	s_and_saveexec_b32 s0, s3
	s_cbranch_execz .LBB378_20
.LBB378_19:
	s_waitcnt lgkmcnt(0)
	s_delay_alu instid0(VALU_DEP_1) | instskip(NEXT) | instid1(VALU_DEP_1)
	v_div_scale_f64 v[6:7], null, v[4:5], v[4:5], 1.0
	v_rcp_f64_e32 v[8:9], v[6:7]
	s_waitcnt_depctr 0xfff
	v_fma_f64 v[11:12], -v[6:7], v[8:9], 1.0
	s_delay_alu instid0(VALU_DEP_1) | instskip(NEXT) | instid1(VALU_DEP_1)
	v_fma_f64 v[8:9], v[8:9], v[11:12], v[8:9]
	v_fma_f64 v[11:12], -v[6:7], v[8:9], 1.0
	s_delay_alu instid0(VALU_DEP_1) | instskip(SKIP_1) | instid1(VALU_DEP_1)
	v_fma_f64 v[8:9], v[8:9], v[11:12], v[8:9]
	v_div_scale_f64 v[11:12], vcc_lo, 1.0, v[4:5], 1.0
	v_mul_f64 v[13:14], v[11:12], v[8:9]
	s_delay_alu instid0(VALU_DEP_1) | instskip(NEXT) | instid1(VALU_DEP_1)
	v_fma_f64 v[6:7], -v[6:7], v[13:14], v[11:12]
	v_div_fmas_f64 v[6:7], v[6:7], v[8:9], v[13:14]
	s_delay_alu instid0(VALU_DEP_1)
	v_div_fixup_f64 v[4:5], v[6:7], v[4:5], 1.0
	v_mov_b32_e32 v6, 0
	ds_store_b64 v6, v[4:5]
.LBB378_20:
	s_or_b32 exec_lo, exec_lo, s0
	s_waitcnt lgkmcnt(0)
	s_barrier
	buffer_gl0_inv
	s_and_saveexec_b32 s0, s2
	s_cbranch_execz .LBB378_23
; %bb.21:
	v_mov_b32_e32 v4, 0
	s_and_b32 s1, s15, 0xffff
	s_add_u32 s2, s10, 8
	s_addc_u32 s3, s11, 0
	s_add_i32 s13, s16, s14
	ds_load_b64 v[4:5], v4
	s_lshl_b64 s[4:5], s[12:13], 3
	s_delay_alu instid0(SALU_CYCLE_1) | instskip(NEXT) | instid1(VALU_DEP_1)
	v_add_co_u32 v6, s0, s4, v10
	v_add_co_ci_u32_e64 v7, null, s5, 0, s0
	s_mov_b32 s4, 0
	s_lshl_b32 s5, s1, 4
	s_set_inst_prefetch_distance 0x1
	.p2align	6
.LBB378_22:                             ; =>This Inner Loop Header: Depth=1
	v_add_co_u32 v8, vcc_lo, s2, v6
	v_add_co_ci_u32_e32 v9, vcc_lo, s3, v7, vcc_lo
	v_add_co_u32 v0, vcc_lo, v0, s1
	v_add_co_ci_u32_e32 v1, vcc_lo, 0, v1, vcc_lo
	global_load_b128 v[8:11], v[8:9], off offset:-8
	v_add_co_u32 v14, vcc_lo, s8, v6
	v_lshlrev_b64 v[12:13], 1, v[0:1]
	v_add_co_ci_u32_e32 v15, vcc_lo, s9, v7, vcc_lo
	v_add_co_u32 v6, s0, v6, s5
	s_delay_alu instid0(VALU_DEP_1) | instskip(NEXT) | instid1(VALU_DEP_4)
	v_add_co_ci_u32_e64 v7, s0, 0, v7, s0
	v_cmp_le_i64_e32 vcc_lo, s[6:7], v[12:13]
	s_or_b32 s4, vcc_lo, s4
	s_waitcnt vmcnt(0)
	v_add_f64 v[8:9], v[8:9], -v[2:3]
	v_add_f64 v[10:11], v[10:11], -v[2:3]
	s_delay_alu instid0(VALU_DEP_2) | instskip(NEXT) | instid1(VALU_DEP_2)
	v_cvt_f32_f64_e32 v8, v[8:9]
	v_cvt_f32_f64_e32 v9, v[10:11]
	s_delay_alu instid0(VALU_DEP_1) | instskip(NEXT) | instid1(VALU_DEP_1)
	v_dual_mul_f32 v8, 0x3fb8aa3b, v8 :: v_dual_mul_f32 v9, 0x3fb8aa3b, v9
	v_exp_f32_e32 v8, v8
	s_delay_alu instid0(VALU_DEP_1) | instskip(SKIP_4) | instid1(VALU_DEP_2)
	v_exp_f32_e32 v10, v9
	s_waitcnt_depctr 0xfff
	v_cvt_f64_f32_e32 v[8:9], v8
	v_cvt_f64_f32_e32 v[10:11], v10
	s_waitcnt lgkmcnt(0)
	v_mul_f64 v[8:9], v[4:5], v[8:9]
	s_delay_alu instid0(VALU_DEP_2)
	v_mul_f64 v[10:11], v[4:5], v[10:11]
	global_store_b128 v[14:15], v[8:11], off
	s_and_not1_b32 exec_lo, exec_lo, s4
	s_cbranch_execnz .LBB378_22
.LBB378_23:
	s_set_inst_prefetch_distance 0x2
	s_nop 0
	s_sendmsg sendmsg(MSG_DEALLOC_VGPRS)
	s_endpgm
.LBB378_24:
	ds_load_b64 v[2:3], v17
	s_or_b32 exec_lo, exec_lo, s1
	v_cmp_gt_u32_e64 s1, 32, v0
	s_delay_alu instid0(VALU_DEP_1)
	s_and_saveexec_b32 s4, s1
	s_cbranch_execz .LBB378_8
.LBB378_25:
	s_waitcnt lgkmcnt(0)
	ds_bpermute_b32 v4, v11, v2
	ds_bpermute_b32 v5, v11, v3
	s_waitcnt lgkmcnt(0)
	v_cmp_lt_f64_e64 s3, v[2:3], v[4:5]
	s_delay_alu instid0(VALU_DEP_1)
	v_cndmask_b32_e64 v3, v3, v5, s3
	v_cndmask_b32_e64 v2, v2, v4, s3
	ds_bpermute_b32 v5, v12, v3
	ds_bpermute_b32 v4, v12, v2
	s_waitcnt lgkmcnt(0)
	v_cmp_lt_f64_e64 s3, v[2:3], v[4:5]
	s_delay_alu instid0(VALU_DEP_1)
	v_cndmask_b32_e64 v3, v3, v5, s3
	v_cndmask_b32_e64 v2, v2, v4, s3
	ds_bpermute_b32 v5, v13, v3
	ds_bpermute_b32 v4, v13, v2
	s_waitcnt lgkmcnt(0)
	v_cmp_lt_f64_e64 s3, v[2:3], v[4:5]
	s_delay_alu instid0(VALU_DEP_1)
	v_cndmask_b32_e64 v3, v3, v5, s3
	v_cndmask_b32_e64 v2, v2, v4, s3
	ds_bpermute_b32 v5, v14, v3
	ds_bpermute_b32 v4, v14, v2
	s_waitcnt lgkmcnt(0)
	v_cmp_lt_f64_e64 s3, v[2:3], v[4:5]
	s_delay_alu instid0(VALU_DEP_1)
	v_cndmask_b32_e64 v3, v3, v5, s3
	v_cndmask_b32_e64 v2, v2, v4, s3
	ds_bpermute_b32 v5, v15, v3
	ds_bpermute_b32 v4, v15, v2
	s_waitcnt lgkmcnt(0)
	v_cmp_lt_f64_e64 s3, v[2:3], v[4:5]
	s_delay_alu instid0(VALU_DEP_1) | instskip(SKIP_3) | instid1(VALU_DEP_1)
	v_cndmask_b32_e64 v3, v3, v5, s3
	v_cndmask_b32_e64 v2, v2, v4, s3
	s_or_b32 exec_lo, exec_lo, s4
	v_cmp_eq_u32_e64 s3, 0, v0
	s_and_saveexec_b32 s4, s3
	s_cbranch_execnz .LBB378_9
	s_branch .LBB378_10
.LBB378_26:
	ds_load_b64 v[4:5], v17
	s_or_b32 exec_lo, exec_lo, s4
	s_and_saveexec_b32 s0, s1
	s_cbranch_execz .LBB378_18
.LBB378_27:
	s_waitcnt lgkmcnt(0)
	ds_bpermute_b32 v6, v11, v4
	ds_bpermute_b32 v7, v11, v5
	s_waitcnt lgkmcnt(0)
	v_add_f64 v[4:5], v[4:5], v[6:7]
	ds_bpermute_b32 v6, v12, v4
	ds_bpermute_b32 v7, v12, v5
	s_waitcnt lgkmcnt(0)
	v_add_f64 v[4:5], v[4:5], v[6:7]
	;; [unrolled: 4-line block ×5, first 2 shown]
	s_or_b32 exec_lo, exec_lo, s0
	s_and_saveexec_b32 s0, s3
	s_cbranch_execnz .LBB378_19
	s_branch .LBB378_20
	.section	.rodata,"a",@progbits
	.p2align	6, 0x0
	.amdhsa_kernel _ZN2at6native12_GLOBAL__N_123cunn_SoftMaxForwardGmemILi2EdddNS1_29SoftMaxForwardWithMulEpilogueElEEvPT2_PKT0_T4_
		.amdhsa_group_segment_fixed_size 0
		.amdhsa_private_segment_fixed_size 0
		.amdhsa_kernarg_size 280
		.amdhsa_user_sgpr_count 15
		.amdhsa_user_sgpr_dispatch_ptr 0
		.amdhsa_user_sgpr_queue_ptr 0
		.amdhsa_user_sgpr_kernarg_segment_ptr 1
		.amdhsa_user_sgpr_dispatch_id 0
		.amdhsa_user_sgpr_private_segment_size 0
		.amdhsa_wavefront_size32 1
		.amdhsa_uses_dynamic_stack 0
		.amdhsa_enable_private_segment 0
		.amdhsa_system_sgpr_workgroup_id_x 1
		.amdhsa_system_sgpr_workgroup_id_y 0
		.amdhsa_system_sgpr_workgroup_id_z 0
		.amdhsa_system_sgpr_workgroup_info 0
		.amdhsa_system_vgpr_workitem_id 0
		.amdhsa_next_free_vgpr 22
		.amdhsa_next_free_sgpr 20
		.amdhsa_reserve_vcc 1
		.amdhsa_float_round_mode_32 0
		.amdhsa_float_round_mode_16_64 0
		.amdhsa_float_denorm_mode_32 3
		.amdhsa_float_denorm_mode_16_64 3
		.amdhsa_dx10_clamp 1
		.amdhsa_ieee_mode 1
		.amdhsa_fp16_overflow 0
		.amdhsa_workgroup_processor_mode 1
		.amdhsa_memory_ordered 1
		.amdhsa_forward_progress 0
		.amdhsa_shared_vgpr_count 0
		.amdhsa_exception_fp_ieee_invalid_op 0
		.amdhsa_exception_fp_denorm_src 0
		.amdhsa_exception_fp_ieee_div_zero 0
		.amdhsa_exception_fp_ieee_overflow 0
		.amdhsa_exception_fp_ieee_underflow 0
		.amdhsa_exception_fp_ieee_inexact 0
		.amdhsa_exception_int_div_zero 0
	.end_amdhsa_kernel
	.section	.text._ZN2at6native12_GLOBAL__N_123cunn_SoftMaxForwardGmemILi2EdddNS1_29SoftMaxForwardWithMulEpilogueElEEvPT2_PKT0_T4_,"axG",@progbits,_ZN2at6native12_GLOBAL__N_123cunn_SoftMaxForwardGmemILi2EdddNS1_29SoftMaxForwardWithMulEpilogueElEEvPT2_PKT0_T4_,comdat
.Lfunc_end378:
	.size	_ZN2at6native12_GLOBAL__N_123cunn_SoftMaxForwardGmemILi2EdddNS1_29SoftMaxForwardWithMulEpilogueElEEvPT2_PKT0_T4_, .Lfunc_end378-_ZN2at6native12_GLOBAL__N_123cunn_SoftMaxForwardGmemILi2EdddNS1_29SoftMaxForwardWithMulEpilogueElEEvPT2_PKT0_T4_
                                        ; -- End function
	.section	.AMDGPU.csdata,"",@progbits
; Kernel info:
; codeLenInByte = 2312
; NumSgprs: 22
; NumVgprs: 22
; ScratchSize: 0
; MemoryBound: 0
; FloatMode: 240
; IeeeMode: 1
; LDSByteSize: 0 bytes/workgroup (compile time only)
; SGPRBlocks: 2
; VGPRBlocks: 2
; NumSGPRsForWavesPerEU: 22
; NumVGPRsForWavesPerEU: 22
; Occupancy: 16
; WaveLimiterHint : 0
; COMPUTE_PGM_RSRC2:SCRATCH_EN: 0
; COMPUTE_PGM_RSRC2:USER_SGPR: 15
; COMPUTE_PGM_RSRC2:TRAP_HANDLER: 0
; COMPUTE_PGM_RSRC2:TGID_X_EN: 1
; COMPUTE_PGM_RSRC2:TGID_Y_EN: 0
; COMPUTE_PGM_RSRC2:TGID_Z_EN: 0
; COMPUTE_PGM_RSRC2:TIDIG_COMP_CNT: 0
	.section	.text._ZN2at6native12_GLOBAL__N_123cunn_SoftMaxForwardFastILi2EdddNS1_29SoftMaxForwardWithMulEpilogueEEEvPT2_PKT0_i,"axG",@progbits,_ZN2at6native12_GLOBAL__N_123cunn_SoftMaxForwardFastILi2EdddNS1_29SoftMaxForwardWithMulEpilogueEEEvPT2_PKT0_i,comdat
	.globl	_ZN2at6native12_GLOBAL__N_123cunn_SoftMaxForwardFastILi2EdddNS1_29SoftMaxForwardWithMulEpilogueEEEvPT2_PKT0_i ; -- Begin function _ZN2at6native12_GLOBAL__N_123cunn_SoftMaxForwardFastILi2EdddNS1_29SoftMaxForwardWithMulEpilogueEEEvPT2_PKT0_i
	.p2align	8
	.type	_ZN2at6native12_GLOBAL__N_123cunn_SoftMaxForwardFastILi2EdddNS1_29SoftMaxForwardWithMulEpilogueEEEvPT2_PKT0_i,@function
_ZN2at6native12_GLOBAL__N_123cunn_SoftMaxForwardFastILi2EdddNS1_29SoftMaxForwardWithMulEpilogueEEEvPT2_PKT0_i: ; @_ZN2at6native12_GLOBAL__N_123cunn_SoftMaxForwardFastILi2EdddNS1_29SoftMaxForwardWithMulEpilogueEEEvPT2_PKT0_i
; %bb.0:
	s_clause 0x1
	s_load_b32 s14, s[0:1], 0x10
	s_load_b128 s[4:7], s[0:1], 0x0
	s_waitcnt lgkmcnt(0)
	s_ashr_i32 s2, s14, 31
	s_mul_hi_u32 s3, s14, s15
	s_mul_i32 s8, s2, s15
	s_mul_i32 s2, s14, s15
	s_add_i32 s3, s3, s8
	s_delay_alu instid0(SALU_CYCLE_1)
	s_lshl_b64 s[8:9], s[2:3], 3
	v_cmp_ge_i32_e64 s2, s14, v0
	s_add_u32 s6, s6, s8
	s_addc_u32 s7, s7, s9
	s_bitcmp1_b32 s6, 3
	s_cselect_b32 s16, -1, 0
	s_delay_alu instid0(SALU_CYCLE_1)
	s_and_b32 vcc_lo, exec_lo, s16
	s_cbranch_vccz .LBB379_4
; %bb.1:
	s_mov_b32 s10, -1
	v_cmp_ne_u32_e32 vcc_lo, 0, v0
	s_mov_b32 s11, 0xffefffff
	s_delay_alu instid0(SALU_CYCLE_1) | instskip(SKIP_2) | instid1(SALU_CYCLE_1)
	v_dual_mov_b32 v1, s10 :: v_dual_mov_b32 v2, s11
	s_mov_b32 s13, 0
	s_and_b32 s3, vcc_lo, s2
	s_and_saveexec_b32 s2, s3
	s_cbranch_execz .LBB379_3
; %bb.2:
	v_lshlrev_b32_e32 v1, 3, v0
	global_load_b64 v[1:2], v1, s[6:7] offset:-8
	s_waitcnt vmcnt(0)
	v_max_f64 v[1:2], v[1:2], v[1:2]
	s_delay_alu instid0(VALU_DEP_1)
	v_max_f64 v[1:2], v[1:2], s[10:11]
.LBB379_3:
	s_or_b32 exec_lo, exec_lo, s2
	s_load_b32 s2, s[0:1], 0x24
	s_add_i32 s3, s14, 1
	s_add_u32 s10, s0, 24
	s_addc_u32 s11, s1, 0
	s_waitcnt lgkmcnt(0)
	s_and_b32 s2, s2, 0xffff
	s_delay_alu instid0(SALU_CYCLE_1) | instskip(SKIP_1) | instid1(SALU_CYCLE_1)
	v_sub_nc_u32_e64 v3, s3, s2 clamp
	s_lshl_b32 s2, s2, 3
	s_add_u32 s2, s6, s2
	s_addc_u32 s3, s7, 0
	s_add_u32 s2, s2, -8
	v_readfirstlane_b32 s12, v3
	s_addc_u32 s3, s3, -1
	s_and_b32 vcc_lo, exec_lo, s13
	s_cbranch_vccnz .LBB379_5
	s_branch .LBB379_6
.LBB379_4:
                                        ; implicit-def: $sgpr2_sgpr3
                                        ; implicit-def: $sgpr12
                                        ; implicit-def: $vgpr1_vgpr2
                                        ; implicit-def: $sgpr10_sgpr11
	s_cbranch_execz .LBB379_6
.LBB379_5:
	s_mov_b32 s2, -1
	s_mov_b32 s3, 0xffefffff
	s_delay_alu instid0(SALU_CYCLE_1)
	v_dual_mov_b32 v1, s2 :: v_dual_mov_b32 v2, s3
	s_add_u32 s10, s0, 24
	s_addc_u32 s11, s1, 0
	s_mov_b32 s12, s14
	s_mov_b64 s[2:3], s[6:7]
.LBB379_6:
	s_load_b32 s13, s[10:11], 0x0
	v_dual_mov_b32 v3, 0 :: v_dual_lshlrev_b32 v6, 1, v0
	s_waitcnt lgkmcnt(0)
	s_cmp_lt_u32 s15, s13
	s_cselect_b32 s13, 12, 18
	s_delay_alu instid0(SALU_CYCLE_1) | instskip(SKIP_4) | instid1(VALU_DEP_1)
	s_add_u32 s10, s10, s13
	s_addc_u32 s11, s11, 0
	global_load_u16 v5, v3, s[10:11]
	s_waitcnt vmcnt(0)
	v_readfirstlane_b32 s10, v5
	s_lshl_b32 s10, s10, 1
	s_delay_alu instid0(SALU_CYCLE_1) | instskip(SKIP_1) | instid1(VALU_DEP_1)
	v_cvt_f32_u32_e32 v3, s10
	s_sub_i32 s13, 0, s10
	v_rcp_iflag_f32_e32 v3, v3
	s_waitcnt_depctr 0xfff
	v_mul_f32_e32 v3, 0x4f7ffffe, v3
	s_delay_alu instid0(VALU_DEP_1) | instskip(NEXT) | instid1(VALU_DEP_1)
	v_cvt_u32_f32_e32 v3, v3
	v_readfirstlane_b32 s11, v3
	s_delay_alu instid0(VALU_DEP_1) | instskip(NEXT) | instid1(SALU_CYCLE_1)
	s_mul_i32 s13, s13, s11
	s_mul_hi_u32 s13, s11, s13
	s_delay_alu instid0(SALU_CYCLE_1) | instskip(NEXT) | instid1(SALU_CYCLE_1)
	s_add_i32 s11, s11, s13
	s_mul_hi_u32 s11, s12, s11
	s_delay_alu instid0(SALU_CYCLE_1) | instskip(NEXT) | instid1(SALU_CYCLE_1)
	s_mul_i32 s11, s11, s10
	s_sub_i32 s11, s12, s11
	s_delay_alu instid0(SALU_CYCLE_1) | instskip(SKIP_2) | instid1(SALU_CYCLE_1)
	s_sub_i32 s13, s11, s10
	s_cmp_ge_u32 s11, s10
	s_cselect_b32 s11, s13, s11
	s_sub_i32 s13, s11, s10
	s_cmp_ge_u32 s11, s10
	s_cselect_b32 s10, s13, s11
	s_mov_b32 s13, 0
	s_sub_i32 s10, s12, s10
	s_mov_b32 s11, exec_lo
	v_cmpx_gt_i32_e64 s10, v6
	s_cbranch_execz .LBB379_10
; %bb.7:
	v_mov_b32_e32 v3, v0
	.p2align	6
.LBB379_8:                              ; =>This Inner Loop Header: Depth=1
	s_delay_alu instid0(VALU_DEP_1) | instskip(NEXT) | instid1(VALU_DEP_2)
	v_ashrrev_i32_e32 v4, 31, v3
	v_max_f64 v[1:2], v[1:2], v[1:2]
	s_delay_alu instid0(VALU_DEP_2) | instskip(SKIP_1) | instid1(VALU_DEP_1)
	v_lshlrev_b64 v[7:8], 4, v[3:4]
	v_add_nc_u32_e32 v3, v3, v5
	v_lshlrev_b32_e32 v4, 1, v3
	s_delay_alu instid0(VALU_DEP_3) | instskip(NEXT) | instid1(VALU_DEP_4)
	v_add_co_u32 v7, vcc_lo, s2, v7
	v_add_co_ci_u32_e32 v8, vcc_lo, s3, v8, vcc_lo
	s_delay_alu instid0(VALU_DEP_3)
	v_cmp_le_i32_e32 vcc_lo, s10, v4
	global_load_b128 v[7:10], v[7:8], off
	s_or_b32 s13, vcc_lo, s13
	s_waitcnt vmcnt(0)
	v_max_f64 v[7:8], v[7:8], v[7:8]
	v_max_f64 v[9:10], v[9:10], v[9:10]
	s_delay_alu instid0(VALU_DEP_2) | instskip(NEXT) | instid1(VALU_DEP_1)
	v_max_f64 v[1:2], v[1:2], v[7:8]
	v_max_f64 v[1:2], v[1:2], v[9:10]
	s_and_not1_b32 exec_lo, exec_lo, s13
	s_cbranch_execnz .LBB379_8
; %bb.9:
	s_or_b32 exec_lo, exec_lo, s13
.LBB379_10:
	s_delay_alu instid0(SALU_CYCLE_1) | instskip(SKIP_2) | instid1(VALU_DEP_1)
	s_or_b32 exec_lo, exec_lo, s11
	v_add_nc_u32_e32 v3, s10, v0
	s_mov_b32 s10, exec_lo
	v_cmpx_gt_i32_e64 s12, v3
	s_cbranch_execz .LBB379_14
; %bb.11:
	s_mov_b32 s11, 0
	.p2align	6
.LBB379_12:                             ; =>This Inner Loop Header: Depth=1
	v_ashrrev_i32_e32 v4, 31, v3
	s_delay_alu instid0(VALU_DEP_2) | instskip(NEXT) | instid1(VALU_DEP_2)
	v_max_f64 v[1:2], v[1:2], v[1:2]
	v_lshlrev_b64 v[7:8], 3, v[3:4]
	v_add_nc_u32_e32 v3, v3, v5
	s_delay_alu instid0(VALU_DEP_2) | instskip(NEXT) | instid1(VALU_DEP_3)
	v_add_co_u32 v7, vcc_lo, s2, v7
	v_add_co_ci_u32_e32 v8, vcc_lo, s3, v8, vcc_lo
	s_delay_alu instid0(VALU_DEP_3) | instskip(SKIP_4) | instid1(VALU_DEP_1)
	v_cmp_le_i32_e32 vcc_lo, s12, v3
	global_load_b64 v[7:8], v[7:8], off
	s_or_b32 s11, vcc_lo, s11
	s_waitcnt vmcnt(0)
	v_max_f64 v[7:8], v[7:8], v[7:8]
	v_max_f64 v[1:2], v[1:2], v[7:8]
	s_and_not1_b32 exec_lo, exec_lo, s11
	s_cbranch_execnz .LBB379_12
; %bb.13:
	s_or_b32 exec_lo, exec_lo, s11
.LBB379_14:
	s_delay_alu instid0(SALU_CYCLE_1) | instskip(SKIP_4) | instid1(VALU_DEP_2)
	s_or_b32 exec_lo, exec_lo, s10
	v_mbcnt_lo_u32_b32 v5, -1, 0
	v_lshrrev_b32_e32 v13, 2, v0
	s_mov_b32 s12, -1
	s_barrier
	v_cmp_gt_u32_e32 vcc_lo, 16, v5
	v_cmp_gt_u32_e64 s2, 24, v5
	buffer_gl0_inv
	v_cndmask_b32_e64 v3, 0, 1, vcc_lo
	v_cndmask_b32_e64 v7, 0, 1, s2
	v_cmp_gt_u32_e64 s2, 28, v5
	s_delay_alu instid0(VALU_DEP_3) | instskip(NEXT) | instid1(VALU_DEP_1)
	v_lshlrev_b32_e32 v3, 4, v3
	v_add_lshl_u32 v8, v3, v5, 2
	ds_bpermute_b32 v3, v8, v1
	ds_bpermute_b32 v4, v8, v2
	s_waitcnt lgkmcnt(0)
	v_cmp_lt_f64_e32 vcc_lo, v[1:2], v[3:4]
	v_dual_cndmask_b32 v2, v2, v4 :: v_dual_lshlrev_b32 v7, 3, v7
	v_cndmask_b32_e32 v1, v1, v3, vcc_lo
	s_delay_alu instid0(VALU_DEP_2)
	v_add_lshl_u32 v9, v7, v5, 2
	v_cndmask_b32_e64 v7, 0, 1, s2
	v_cmp_gt_u32_e64 s2, 30, v5
	ds_bpermute_b32 v4, v9, v2
	ds_bpermute_b32 v3, v9, v1
	v_lshlrev_b32_e32 v7, 2, v7
	s_delay_alu instid0(VALU_DEP_1) | instskip(SKIP_2) | instid1(VALU_DEP_2)
	v_add_lshl_u32 v10, v7, v5, 2
	v_cndmask_b32_e64 v7, 0, 1, s2
	v_cmp_ne_u32_e64 s2, 31, v5
	v_lshlrev_b32_e32 v7, 1, v7
	s_delay_alu instid0(VALU_DEP_1) | instskip(NEXT) | instid1(VALU_DEP_3)
	v_add_lshl_u32 v11, v7, v5, 2
	v_add_co_ci_u32_e64 v5, s2, 0, v5, s2
	s_waitcnt lgkmcnt(0)
	v_cmp_lt_f64_e32 vcc_lo, v[1:2], v[3:4]
	s_delay_alu instid0(VALU_DEP_2) | instskip(SKIP_1) | instid1(VALU_DEP_1)
	v_lshlrev_b32_e32 v12, 2, v5
	v_and_b32_e32 v5, 31, v0
	v_cmp_eq_u32_e64 s2, 0, v5
	v_dual_cndmask_b32 v2, v2, v4 :: v_dual_cndmask_b32 v1, v1, v3
	ds_bpermute_b32 v4, v10, v2
	ds_bpermute_b32 v3, v10, v1
	s_waitcnt lgkmcnt(0)
	v_cmp_lt_f64_e32 vcc_lo, v[1:2], v[3:4]
	v_dual_cndmask_b32 v2, v2, v4 :: v_dual_cndmask_b32 v1, v1, v3
	ds_bpermute_b32 v4, v11, v2
	ds_bpermute_b32 v3, v11, v1
	s_waitcnt lgkmcnt(0)
	v_cmp_lt_f64_e32 vcc_lo, v[1:2], v[3:4]
	v_dual_cndmask_b32 v2, v2, v4 :: v_dual_cndmask_b32 v1, v1, v3
	ds_bpermute_b32 v4, v12, v2
	ds_bpermute_b32 v3, v12, v1
	s_and_saveexec_b32 s3, s2
	s_cbranch_execz .LBB379_16
; %bb.15:
	s_waitcnt lgkmcnt(0)
	v_cmp_lt_f64_e32 vcc_lo, v[1:2], v[3:4]
	v_dual_cndmask_b32 v2, v2, v4 :: v_dual_add_nc_u32 v7, 0, v13
	v_cndmask_b32_e32 v1, v1, v3, vcc_lo
	ds_store_b64 v7, v[1:2]
.LBB379_16:
	s_or_b32 exec_lo, exec_lo, s3
	s_waitcnt lgkmcnt(0)
	s_barrier
	buffer_gl0_inv
	s_load_b32 s17, s[0:1], 0x24
	s_add_u32 s10, s0, 24
	s_mov_b32 s13, 0xffefffff
	s_addc_u32 s11, s1, 0
	v_dual_mov_b32 v1, s12 :: v_dual_mov_b32 v2, s13
	v_lshl_add_u32 v14, v5, 3, 0
	s_waitcnt lgkmcnt(0)
	s_bfe_u32 s0, s17, 0xb0005
	s_delay_alu instid0(SALU_CYCLE_1) | instskip(NEXT) | instid1(VALU_DEP_1)
	v_cmp_gt_u32_e64 s0, s0, v0
	s_and_saveexec_b32 s1, s0
	s_cbranch_execnz .LBB379_24
; %bb.17:
	s_or_b32 exec_lo, exec_lo, s1
	v_cmp_gt_u32_e64 s1, 32, v0
	s_delay_alu instid0(VALU_DEP_1)
	s_and_saveexec_b32 s3, s1
	s_cbranch_execnz .LBB379_25
.LBB379_18:
	s_or_b32 exec_lo, exec_lo, s3
	v_cmp_eq_u32_e64 s3, 0, v0
	s_delay_alu instid0(VALU_DEP_1)
	s_and_saveexec_b32 s12, s3
	s_cbranch_execz .LBB379_20
.LBB379_19:
	v_mov_b32_e32 v3, 0
	s_waitcnt lgkmcnt(0)
	ds_store_b64 v3, v[1:2]
.LBB379_20:
	s_or_b32 exec_lo, exec_lo, s12
	s_waitcnt lgkmcnt(0)
	v_dual_mov_b32 v1, 0 :: v_dual_mov_b32 v4, 0
	s_barrier
	buffer_gl0_inv
	ds_load_b64 v[2:3], v1
	v_mov_b32_e32 v5, 0
	s_and_not1_b32 vcc_lo, exec_lo, s16
	s_and_b32 s16, s17, 0xffff
	s_cbranch_vccnz .LBB379_26
; %bb.21:
	v_cmp_ge_i32_e32 vcc_lo, s14, v0
	v_mov_b32_e32 v4, 0
	v_mov_b32_e32 v5, 0
	s_xor_b32 s12, s3, -1
	s_delay_alu instid0(SALU_CYCLE_1) | instskip(NEXT) | instid1(SALU_CYCLE_1)
	s_and_b32 s13, s12, vcc_lo
	s_and_saveexec_b32 s12, s13
	s_cbranch_execz .LBB379_23
; %bb.22:
	v_lshlrev_b32_e32 v1, 3, v0
	global_load_b64 v[4:5], v1, s[6:7] offset:-8
	s_waitcnt vmcnt(0) lgkmcnt(0)
	v_add_f64 v[4:5], v[4:5], -v[2:3]
	s_delay_alu instid0(VALU_DEP_1) | instskip(NEXT) | instid1(VALU_DEP_1)
	v_cvt_f32_f64_e32 v1, v[4:5]
	v_mul_f32_e32 v1, 0x3fb8aa3b, v1
	s_delay_alu instid0(VALU_DEP_1) | instskip(SKIP_2) | instid1(VALU_DEP_1)
	v_exp_f32_e32 v1, v1
	s_waitcnt_depctr 0xfff
	v_cvt_f64_f32_e32 v[4:5], v1
	v_add_f64 v[4:5], v[4:5], 0
.LBB379_23:
	s_or_b32 exec_lo, exec_lo, s12
	s_add_i32 s12, s14, 1
	s_delay_alu instid0(SALU_CYCLE_1) | instskip(SKIP_1) | instid1(SALU_CYCLE_1)
	v_sub_nc_u32_e64 v1, s12, s16 clamp
	s_lshl_b32 s12, s16, 3
	s_add_u32 s12, s6, s12
	s_addc_u32 s13, s7, 0
	s_delay_alu instid0(VALU_DEP_1)
	v_readfirstlane_b32 s17, v1
	s_add_u32 s12, s12, -8
	s_addc_u32 s13, s13, -1
	s_branch .LBB379_27
.LBB379_24:
	ds_load_b64 v[1:2], v14
	s_or_b32 exec_lo, exec_lo, s1
	v_cmp_gt_u32_e64 s1, 32, v0
	s_delay_alu instid0(VALU_DEP_1)
	s_and_saveexec_b32 s3, s1
	s_cbranch_execz .LBB379_18
.LBB379_25:
	s_waitcnt lgkmcnt(0)
	ds_bpermute_b32 v3, v8, v1
	ds_bpermute_b32 v4, v8, v2
	s_waitcnt lgkmcnt(0)
	v_cmp_lt_f64_e32 vcc_lo, v[1:2], v[3:4]
	v_dual_cndmask_b32 v2, v2, v4 :: v_dual_cndmask_b32 v1, v1, v3
	ds_bpermute_b32 v4, v9, v2
	ds_bpermute_b32 v3, v9, v1
	s_waitcnt lgkmcnt(0)
	v_cmp_lt_f64_e32 vcc_lo, v[1:2], v[3:4]
	v_dual_cndmask_b32 v2, v2, v4 :: v_dual_cndmask_b32 v1, v1, v3
	;; [unrolled: 5-line block ×5, first 2 shown]
	s_or_b32 exec_lo, exec_lo, s3
	v_cmp_eq_u32_e64 s3, 0, v0
	s_delay_alu instid0(VALU_DEP_1)
	s_and_saveexec_b32 s12, s3
	s_cbranch_execnz .LBB379_19
	s_branch .LBB379_20
.LBB379_26:
	s_mov_b64 s[12:13], s[6:7]
	s_mov_b32 s17, s14
.LBB379_27:
	s_load_b32 s18, s[10:11], 0x0
	v_mov_b32_e32 v1, 0
	s_waitcnt lgkmcnt(0)
	s_cmp_lt_u32 s15, s18
	s_cselect_b32 s15, 12, 18
	s_delay_alu instid0(SALU_CYCLE_1) | instskip(SKIP_4) | instid1(VALU_DEP_1)
	s_add_u32 s10, s10, s15
	s_addc_u32 s11, s11, 0
	global_load_u16 v1, v1, s[10:11]
	s_waitcnt vmcnt(0)
	v_readfirstlane_b32 s10, v1
	s_lshl_b32 s10, s10, 1
	s_delay_alu instid0(SALU_CYCLE_1) | instskip(SKIP_1) | instid1(VALU_DEP_1)
	v_cvt_f32_u32_e32 v7, s10
	s_sub_i32 s15, 0, s10
	v_rcp_iflag_f32_e32 v7, v7
	s_waitcnt_depctr 0xfff
	v_mul_f32_e32 v7, 0x4f7ffffe, v7
	s_delay_alu instid0(VALU_DEP_1) | instskip(NEXT) | instid1(VALU_DEP_1)
	v_cvt_u32_f32_e32 v7, v7
	v_readfirstlane_b32 s11, v7
	s_delay_alu instid0(VALU_DEP_1) | instskip(NEXT) | instid1(SALU_CYCLE_1)
	s_mul_i32 s15, s15, s11
	s_mul_hi_u32 s15, s11, s15
	s_delay_alu instid0(SALU_CYCLE_1) | instskip(NEXT) | instid1(SALU_CYCLE_1)
	s_add_i32 s11, s11, s15
	s_mul_hi_u32 s11, s17, s11
	s_delay_alu instid0(SALU_CYCLE_1) | instskip(NEXT) | instid1(SALU_CYCLE_1)
	s_mul_i32 s11, s11, s10
	s_sub_i32 s11, s17, s11
	s_delay_alu instid0(SALU_CYCLE_1) | instskip(SKIP_2) | instid1(SALU_CYCLE_1)
	s_sub_i32 s15, s11, s10
	s_cmp_ge_u32 s11, s10
	s_cselect_b32 s11, s15, s11
	s_sub_i32 s15, s11, s10
	s_cmp_ge_u32 s11, s10
	s_cselect_b32 s10, s15, s11
	s_mov_b32 s15, 0
	s_sub_i32 s10, s17, s10
	s_mov_b32 s11, exec_lo
	v_cmpx_gt_i32_e64 s10, v6
	s_cbranch_execz .LBB379_31
; %bb.28:
	v_mov_b32_e32 v6, v0
	.p2align	6
.LBB379_29:                             ; =>This Inner Loop Header: Depth=1
	s_delay_alu instid0(VALU_DEP_1) | instskip(NEXT) | instid1(VALU_DEP_1)
	v_ashrrev_i32_e32 v7, 31, v6
	v_lshlrev_b64 v[15:16], 4, v[6:7]
	v_add_nc_u32_e32 v6, v6, v1
	s_delay_alu instid0(VALU_DEP_2) | instskip(NEXT) | instid1(VALU_DEP_3)
	v_add_co_u32 v15, vcc_lo, s12, v15
	v_add_co_ci_u32_e32 v16, vcc_lo, s13, v16, vcc_lo
	global_load_b128 v[15:18], v[15:16], off
	s_waitcnt vmcnt(0)
	v_add_f64 v[15:16], v[15:16], -v[2:3]
	v_add_f64 v[17:18], v[17:18], -v[2:3]
	s_delay_alu instid0(VALU_DEP_2) | instskip(NEXT) | instid1(VALU_DEP_2)
	v_cvt_f32_f64_e32 v7, v[15:16]
	v_cvt_f32_f64_e32 v17, v[17:18]
	s_delay_alu instid0(VALU_DEP_2) | instskip(NEXT) | instid1(VALU_DEP_1)
	v_mul_f32_e32 v7, 0x3fb8aa3b, v7
	v_exp_f32_e32 v7, v7
	s_waitcnt_depctr 0xfff
	v_cvt_f64_f32_e32 v[15:16], v7
	v_mul_f32_e32 v7, 0x3fb8aa3b, v17
	s_delay_alu instid0(VALU_DEP_1) | instskip(SKIP_3) | instid1(VALU_DEP_1)
	v_exp_f32_e32 v7, v7
	s_waitcnt_depctr 0xfff
	v_cvt_f64_f32_e32 v[17:18], v7
	v_lshlrev_b32_e32 v7, 1, v6
	v_cmp_le_i32_e32 vcc_lo, s10, v7
	s_or_b32 s15, vcc_lo, s15
	v_add_f64 v[4:5], v[4:5], v[15:16]
	s_delay_alu instid0(VALU_DEP_1)
	v_add_f64 v[4:5], v[4:5], v[17:18]
	s_and_not1_b32 exec_lo, exec_lo, s15
	s_cbranch_execnz .LBB379_29
; %bb.30:
	s_or_b32 exec_lo, exec_lo, s15
.LBB379_31:
	s_delay_alu instid0(SALU_CYCLE_1) | instskip(SKIP_2) | instid1(VALU_DEP_1)
	s_or_b32 exec_lo, exec_lo, s11
	v_add_nc_u32_e32 v6, s10, v0
	s_mov_b32 s10, exec_lo
	v_cmpx_gt_i32_e64 s17, v6
	s_cbranch_execz .LBB379_35
; %bb.32:
	s_mov_b32 s11, 0
	.p2align	6
.LBB379_33:                             ; =>This Inner Loop Header: Depth=1
	v_ashrrev_i32_e32 v7, 31, v6
	s_waitcnt_depctr 0xfff
	v_lshlrev_b64 v[15:16], 3, v[6:7]
	v_add_nc_u32_e32 v6, v6, v1
	s_delay_alu instid0(VALU_DEP_2) | instskip(NEXT) | instid1(VALU_DEP_3)
	v_add_co_u32 v15, vcc_lo, s12, v15
	v_add_co_ci_u32_e32 v16, vcc_lo, s13, v16, vcc_lo
	s_delay_alu instid0(VALU_DEP_3) | instskip(SKIP_4) | instid1(VALU_DEP_1)
	v_cmp_le_i32_e32 vcc_lo, s17, v6
	global_load_b64 v[15:16], v[15:16], off
	s_or_b32 s11, vcc_lo, s11
	s_waitcnt vmcnt(0)
	v_add_f64 v[15:16], v[15:16], -v[2:3]
	v_cvt_f32_f64_e32 v7, v[15:16]
	s_delay_alu instid0(VALU_DEP_1) | instskip(NEXT) | instid1(VALU_DEP_1)
	v_mul_f32_e32 v7, 0x3fb8aa3b, v7
	v_exp_f32_e32 v7, v7
	s_waitcnt_depctr 0xfff
	v_cvt_f64_f32_e32 v[15:16], v7
	s_delay_alu instid0(VALU_DEP_1)
	v_add_f64 v[4:5], v[4:5], v[15:16]
	s_and_not1_b32 exec_lo, exec_lo, s11
	s_cbranch_execnz .LBB379_33
; %bb.34:
	s_or_b32 exec_lo, exec_lo, s11
.LBB379_35:
	s_delay_alu instid0(SALU_CYCLE_1)
	s_or_b32 exec_lo, exec_lo, s10
	ds_bpermute_b32 v6, v8, v4
	ds_bpermute_b32 v7, v8, v5
	s_waitcnt lgkmcnt(0)
	s_barrier
	buffer_gl0_inv
	v_add_f64 v[4:5], v[4:5], v[6:7]
	ds_bpermute_b32 v6, v9, v4
	ds_bpermute_b32 v7, v9, v5
	s_waitcnt lgkmcnt(0)
	v_add_f64 v[4:5], v[4:5], v[6:7]
	ds_bpermute_b32 v6, v10, v4
	ds_bpermute_b32 v7, v10, v5
	s_waitcnt lgkmcnt(0)
	;; [unrolled: 4-line block ×3, first 2 shown]
	v_add_f64 v[4:5], v[4:5], v[6:7]
	ds_bpermute_b32 v6, v12, v4
	ds_bpermute_b32 v7, v12, v5
	s_and_saveexec_b32 s10, s2
	s_cbranch_execz .LBB379_37
; %bb.36:
	s_waitcnt lgkmcnt(0)
	v_add_f64 v[4:5], v[4:5], v[6:7]
	v_add_nc_u32_e32 v1, 0, v13
	ds_store_b64 v1, v[4:5]
.LBB379_37:
	s_or_b32 exec_lo, exec_lo, s10
	v_mov_b32_e32 v4, 0
	v_mov_b32_e32 v5, 0
	s_waitcnt lgkmcnt(0)
	s_barrier
	buffer_gl0_inv
	s_and_saveexec_b32 s2, s0
	s_cbranch_execnz .LBB379_45
; %bb.38:
	s_or_b32 exec_lo, exec_lo, s2
	s_and_saveexec_b32 s0, s1
	s_cbranch_execnz .LBB379_46
.LBB379_39:
	s_or_b32 exec_lo, exec_lo, s0
	s_and_saveexec_b32 s0, s3
	s_cbranch_execz .LBB379_41
.LBB379_40:
	s_waitcnt lgkmcnt(0)
	s_delay_alu instid0(VALU_DEP_1) | instskip(SKIP_1) | instid1(VALU_DEP_2)
	v_div_scale_f64 v[6:7], null, v[4:5], v[4:5], 1.0
	v_mov_b32_e32 v1, 0
	v_rcp_f64_e32 v[8:9], v[6:7]
	s_waitcnt_depctr 0xfff
	v_fma_f64 v[10:11], -v[6:7], v[8:9], 1.0
	s_delay_alu instid0(VALU_DEP_1) | instskip(NEXT) | instid1(VALU_DEP_1)
	v_fma_f64 v[8:9], v[8:9], v[10:11], v[8:9]
	v_fma_f64 v[10:11], -v[6:7], v[8:9], 1.0
	s_delay_alu instid0(VALU_DEP_1) | instskip(SKIP_1) | instid1(VALU_DEP_1)
	v_fma_f64 v[8:9], v[8:9], v[10:11], v[8:9]
	v_div_scale_f64 v[10:11], vcc_lo, 1.0, v[4:5], 1.0
	v_mul_f64 v[12:13], v[10:11], v[8:9]
	s_delay_alu instid0(VALU_DEP_1) | instskip(NEXT) | instid1(VALU_DEP_1)
	v_fma_f64 v[6:7], -v[6:7], v[12:13], v[10:11]
	v_div_fmas_f64 v[6:7], v[6:7], v[8:9], v[12:13]
	s_delay_alu instid0(VALU_DEP_1)
	v_div_fixup_f64 v[4:5], v[6:7], v[4:5], 1.0
	ds_store_b64 v1, v[4:5]
.LBB379_41:
	s_or_b32 exec_lo, exec_lo, s0
	s_waitcnt lgkmcnt(0)
	s_barrier
	buffer_gl0_inv
	s_mov_b32 s0, exec_lo
	v_cmpx_gt_i32_e64 s14, v0
	s_cbranch_execz .LBB379_44
; %bb.42:
	v_mov_b32_e32 v1, 0
	s_add_u32 s2, s4, s8
	s_mov_b32 s1, 0
	s_addc_u32 s3, s5, s9
	ds_load_b64 v[4:5], v1
	.p2align	6
.LBB379_43:                             ; =>This Inner Loop Header: Depth=1
	v_ashrrev_i32_e32 v1, 31, v0
	s_delay_alu instid0(VALU_DEP_1) | instskip(SKIP_1) | instid1(VALU_DEP_2)
	v_lshlrev_b64 v[6:7], 3, v[0:1]
	v_add_nc_u32_e32 v0, s16, v0
	v_add_co_u32 v8, vcc_lo, s6, v6
	s_delay_alu instid0(VALU_DEP_3) | instskip(SKIP_1) | instid1(VALU_DEP_1)
	v_add_co_ci_u32_e32 v9, vcc_lo, s7, v7, vcc_lo
	v_add_co_u32 v6, s0, s2, v6
	v_add_co_ci_u32_e64 v7, s0, s3, v7, s0
	global_load_b64 v[8:9], v[8:9], off
	v_cmp_le_i32_e32 vcc_lo, s14, v0
	s_or_b32 s1, vcc_lo, s1
	s_waitcnt vmcnt(0)
	v_add_f64 v[8:9], v[8:9], -v[2:3]
	s_delay_alu instid0(VALU_DEP_1) | instskip(NEXT) | instid1(VALU_DEP_1)
	v_cvt_f32_f64_e32 v1, v[8:9]
	v_mul_f32_e32 v1, 0x3fb8aa3b, v1
	s_delay_alu instid0(VALU_DEP_1) | instskip(SKIP_3) | instid1(VALU_DEP_1)
	v_exp_f32_e32 v1, v1
	s_waitcnt_depctr 0xfff
	v_cvt_f64_f32_e32 v[8:9], v1
	s_waitcnt lgkmcnt(0)
	v_mul_f64 v[8:9], v[4:5], v[8:9]
	global_store_b64 v[6:7], v[8:9], off
	s_and_not1_b32 exec_lo, exec_lo, s1
	s_cbranch_execnz .LBB379_43
.LBB379_44:
	s_nop 0
	s_sendmsg sendmsg(MSG_DEALLOC_VGPRS)
	s_endpgm
.LBB379_45:
	ds_load_b64 v[4:5], v14
	s_or_b32 exec_lo, exec_lo, s2
	s_and_saveexec_b32 s0, s1
	s_cbranch_execz .LBB379_39
.LBB379_46:
	s_waitcnt lgkmcnt(0)
	ds_bpermute_b32 v6, v8, v4
	ds_bpermute_b32 v7, v8, v5
	s_waitcnt lgkmcnt(0)
	v_add_f64 v[4:5], v[4:5], v[6:7]
	ds_bpermute_b32 v6, v9, v4
	ds_bpermute_b32 v7, v9, v5
	s_waitcnt lgkmcnt(0)
	v_add_f64 v[4:5], v[4:5], v[6:7]
	ds_bpermute_b32 v6, v10, v4
	ds_bpermute_b32 v7, v10, v5
	s_waitcnt lgkmcnt(0)
	v_add_f64 v[4:5], v[4:5], v[6:7]
	ds_bpermute_b32 v6, v11, v4
	ds_bpermute_b32 v7, v11, v5
	s_waitcnt lgkmcnt(0)
	v_add_f64 v[4:5], v[4:5], v[6:7]
	ds_bpermute_b32 v6, v12, v4
	ds_bpermute_b32 v7, v12, v5
	s_waitcnt lgkmcnt(0)
	v_add_f64 v[4:5], v[4:5], v[6:7]
	s_or_b32 exec_lo, exec_lo, s0
	s_and_saveexec_b32 s0, s3
	s_cbranch_execnz .LBB379_40
	s_branch .LBB379_41
	.section	.rodata,"a",@progbits
	.p2align	6, 0x0
	.amdhsa_kernel _ZN2at6native12_GLOBAL__N_123cunn_SoftMaxForwardFastILi2EdddNS1_29SoftMaxForwardWithMulEpilogueEEEvPT2_PKT0_i
		.amdhsa_group_segment_fixed_size 0
		.amdhsa_private_segment_fixed_size 0
		.amdhsa_kernarg_size 280
		.amdhsa_user_sgpr_count 15
		.amdhsa_user_sgpr_dispatch_ptr 0
		.amdhsa_user_sgpr_queue_ptr 0
		.amdhsa_user_sgpr_kernarg_segment_ptr 1
		.amdhsa_user_sgpr_dispatch_id 0
		.amdhsa_user_sgpr_private_segment_size 0
		.amdhsa_wavefront_size32 1
		.amdhsa_uses_dynamic_stack 0
		.amdhsa_enable_private_segment 0
		.amdhsa_system_sgpr_workgroup_id_x 1
		.amdhsa_system_sgpr_workgroup_id_y 0
		.amdhsa_system_sgpr_workgroup_id_z 0
		.amdhsa_system_sgpr_workgroup_info 0
		.amdhsa_system_vgpr_workitem_id 0
		.amdhsa_next_free_vgpr 19
		.amdhsa_next_free_sgpr 19
		.amdhsa_reserve_vcc 1
		.amdhsa_float_round_mode_32 0
		.amdhsa_float_round_mode_16_64 0
		.amdhsa_float_denorm_mode_32 3
		.amdhsa_float_denorm_mode_16_64 3
		.amdhsa_dx10_clamp 1
		.amdhsa_ieee_mode 1
		.amdhsa_fp16_overflow 0
		.amdhsa_workgroup_processor_mode 1
		.amdhsa_memory_ordered 1
		.amdhsa_forward_progress 0
		.amdhsa_shared_vgpr_count 0
		.amdhsa_exception_fp_ieee_invalid_op 0
		.amdhsa_exception_fp_denorm_src 0
		.amdhsa_exception_fp_ieee_div_zero 0
		.amdhsa_exception_fp_ieee_overflow 0
		.amdhsa_exception_fp_ieee_underflow 0
		.amdhsa_exception_fp_ieee_inexact 0
		.amdhsa_exception_int_div_zero 0
	.end_amdhsa_kernel
	.section	.text._ZN2at6native12_GLOBAL__N_123cunn_SoftMaxForwardFastILi2EdddNS1_29SoftMaxForwardWithMulEpilogueEEEvPT2_PKT0_i,"axG",@progbits,_ZN2at6native12_GLOBAL__N_123cunn_SoftMaxForwardFastILi2EdddNS1_29SoftMaxForwardWithMulEpilogueEEEvPT2_PKT0_i,comdat
.Lfunc_end379:
	.size	_ZN2at6native12_GLOBAL__N_123cunn_SoftMaxForwardFastILi2EdddNS1_29SoftMaxForwardWithMulEpilogueEEEvPT2_PKT0_i, .Lfunc_end379-_ZN2at6native12_GLOBAL__N_123cunn_SoftMaxForwardFastILi2EdddNS1_29SoftMaxForwardWithMulEpilogueEEEvPT2_PKT0_i
                                        ; -- End function
	.section	.AMDGPU.csdata,"",@progbits
; Kernel info:
; codeLenInByte = 2972
; NumSgprs: 21
; NumVgprs: 19
; ScratchSize: 0
; MemoryBound: 0
; FloatMode: 240
; IeeeMode: 1
; LDSByteSize: 0 bytes/workgroup (compile time only)
; SGPRBlocks: 2
; VGPRBlocks: 2
; NumSGPRsForWavesPerEU: 21
; NumVGPRsForWavesPerEU: 19
; Occupancy: 16
; WaveLimiterHint : 0
; COMPUTE_PGM_RSRC2:SCRATCH_EN: 0
; COMPUTE_PGM_RSRC2:USER_SGPR: 15
; COMPUTE_PGM_RSRC2:TRAP_HANDLER: 0
; COMPUTE_PGM_RSRC2:TGID_X_EN: 1
; COMPUTE_PGM_RSRC2:TGID_Y_EN: 0
; COMPUTE_PGM_RSRC2:TGID_Z_EN: 0
; COMPUTE_PGM_RSRC2:TIDIG_COMP_CNT: 0
	.section	.text._ZN12_GLOBAL__N_120softmax_warp_forwardIfffLi0ELb0ELb0ELi64EEEvPT0_PKT_iiiPKbib,"axG",@progbits,_ZN12_GLOBAL__N_120softmax_warp_forwardIfffLi0ELb0ELb0ELi64EEEvPT0_PKT_iiiPKbib,comdat
	.globl	_ZN12_GLOBAL__N_120softmax_warp_forwardIfffLi0ELb0ELb0ELi64EEEvPT0_PKT_iiiPKbib ; -- Begin function _ZN12_GLOBAL__N_120softmax_warp_forwardIfffLi0ELb0ELb0ELi64EEEvPT0_PKT_iiiPKbib
	.p2align	8
	.type	_ZN12_GLOBAL__N_120softmax_warp_forwardIfffLi0ELb0ELb0ELi64EEEvPT0_PKT_iiiPKbib,@function
_ZN12_GLOBAL__N_120softmax_warp_forwardIfffLi0ELb0ELb0ELi64EEEvPT0_PKT_iiiPKbib: ; @_ZN12_GLOBAL__N_120softmax_warp_forwardIfffLi0ELb0ELb0ELi64EEEvPT0_PKT_iiiPKbib
; %bb.0:
	s_clause 0x1
	s_load_b32 s2, s[0:1], 0x3c
	s_load_b256 s[4:11], s[0:1], 0x0
	v_bfe_u32 v1, v0, 10, 10
	v_and_b32_e32 v2, 0x3ff, v0
	v_dual_mov_b32 v5, 0xff800000 :: v_dual_mov_b32 v6, 0xff800000
	s_waitcnt lgkmcnt(0)
	s_lshr_b32 s0, s2, 16
	s_delay_alu instid0(SALU_CYCLE_1) | instskip(SKIP_2) | instid1(VALU_DEP_1)
	s_mul_i32 s15, s15, s0
	v_cmp_gt_i32_e64 s0, s10, v2
	v_add_lshl_u32 v3, s15, v1, 1
	v_mad_u64_u32 v[0:1], null, v3, s9, v[2:3]
	v_sub_nc_u32_e32 v4, s8, v3
	s_delay_alu instid0(VALU_DEP_1) | instskip(NEXT) | instid1(VALU_DEP_3)
	v_cmp_lt_i32_e32 vcc_lo, 0, v4
	v_ashrrev_i32_e32 v1, 31, v0
	s_and_b32 s2, s0, vcc_lo
	s_delay_alu instid0(VALU_DEP_1) | instskip(NEXT) | instid1(VALU_DEP_1)
	v_lshlrev_b64 v[0:1], 2, v[0:1]
	v_add_co_u32 v2, s1, s6, v0
	s_delay_alu instid0(VALU_DEP_1)
	v_add_co_ci_u32_e64 v3, s1, s7, v1, s1
	s_and_saveexec_b32 s1, s2
	s_cbranch_execz .LBB380_2
; %bb.1:
	global_load_b32 v6, v[2:3], off
.LBB380_2:
	s_or_b32 exec_lo, exec_lo, s1
	v_cmp_lt_i32_e64 s1, 1, v4
	s_delay_alu instid0(VALU_DEP_1) | instskip(NEXT) | instid1(SALU_CYCLE_1)
	s_and_b32 s1, s0, s1
	s_and_saveexec_b32 s2, s1
	s_cbranch_execz .LBB380_4
; %bb.3:
	s_mov_b32 s11, 0
	s_delay_alu instid0(SALU_CYCLE_1) | instskip(NEXT) | instid1(SALU_CYCLE_1)
	s_lshl_b64 s[6:7], s[10:11], 2
	v_add_co_u32 v2, s1, v2, s6
	s_delay_alu instid0(VALU_DEP_1)
	v_add_co_ci_u32_e64 v3, s1, s7, v3, s1
	global_load_b32 v5, v[2:3], off
.LBB380_4:
	s_or_b32 exec_lo, exec_lo, s2
	s_and_saveexec_b32 s1, vcc_lo
	s_cbranch_execz .LBB380_10
; %bb.5:
	v_add_co_u32 v0, vcc_lo, s4, v0
	v_add_co_ci_u32_e32 v1, vcc_lo, s5, v1, vcc_lo
	s_and_saveexec_b32 s1, s0
	s_cbranch_execz .LBB380_7
; %bb.6:
	s_waitcnt vmcnt(0)
	v_sub_f32_e32 v2, v6, v6
	s_delay_alu instid0(VALU_DEP_1) | instskip(NEXT) | instid1(VALU_DEP_1)
	v_mul_f32_e32 v3, 0x3fb8aa3b, v2
	v_rndne_f32_e32 v6, v3
	v_fma_f32 v7, 0x3fb8aa3b, v2, -v3
	s_delay_alu instid0(VALU_DEP_2) | instskip(NEXT) | instid1(VALU_DEP_2)
	v_sub_f32_e32 v3, v3, v6
	v_fmamk_f32 v7, v2, 0x32a5705f, v7
	v_cvt_i32_f32_e32 v6, v6
	s_delay_alu instid0(VALU_DEP_2) | instskip(SKIP_1) | instid1(VALU_DEP_2)
	v_add_f32_e32 v3, v3, v7
	v_cmp_ngt_f32_e32 vcc_lo, 0xc2ce8ed0, v2
	v_exp_f32_e32 v3, v3
	s_waitcnt_depctr 0xfff
	v_ldexp_f32 v3, v3, v6
	s_delay_alu instid0(VALU_DEP_1) | instskip(SKIP_1) | instid1(VALU_DEP_2)
	v_cndmask_b32_e32 v3, 0, v3, vcc_lo
	v_cmp_nlt_f32_e32 vcc_lo, 0x42b17218, v2
	v_cndmask_b32_e32 v2, 0x7f800000, v3, vcc_lo
	s_delay_alu instid0(VALU_DEP_1) | instskip(NEXT) | instid1(VALU_DEP_1)
	v_div_scale_f32 v3, vcc_lo, v2, v2, v2
	v_rcp_f32_e32 v6, v3
	s_waitcnt_depctr 0xfff
	v_fma_f32 v7, -v3, v6, 1.0
	s_delay_alu instid0(VALU_DEP_1) | instskip(NEXT) | instid1(VALU_DEP_1)
	v_fmac_f32_e32 v6, v7, v6
	v_mul_f32_e32 v7, v3, v6
	s_delay_alu instid0(VALU_DEP_1) | instskip(NEXT) | instid1(VALU_DEP_1)
	v_fma_f32 v8, -v3, v7, v3
	v_fmac_f32_e32 v7, v8, v6
	s_delay_alu instid0(VALU_DEP_1) | instskip(NEXT) | instid1(VALU_DEP_1)
	v_fma_f32 v3, -v3, v7, v3
	v_div_fmas_f32 v3, v3, v6, v7
	v_cmp_neq_f32_e32 vcc_lo, 0, v2
	s_delay_alu instid0(VALU_DEP_2) | instskip(NEXT) | instid1(VALU_DEP_1)
	v_div_fixup_f32 v3, v3, v2, v2
	v_cndmask_b32_e32 v2, 0x7fc00000, v3, vcc_lo
	global_store_b32 v[0:1], v2, off
.LBB380_7:
	s_or_b32 exec_lo, exec_lo, s1
	v_cmp_ne_u32_e32 vcc_lo, 1, v4
	s_and_b32 exec_lo, exec_lo, vcc_lo
	s_cbranch_execz .LBB380_10
; %bb.8:
	s_and_b32 exec_lo, exec_lo, s0
	s_cbranch_execz .LBB380_10
; %bb.9:
	s_waitcnt vmcnt(0)
	v_sub_f32_e32 v2, v5, v5
	s_mov_b32 s11, 0
	s_delay_alu instid0(SALU_CYCLE_1) | instskip(NEXT) | instid1(VALU_DEP_1)
	s_lshl_b64 s[0:1], s[10:11], 2
	v_mul_f32_e32 v3, 0x3fb8aa3b, v2
	s_delay_alu instid0(VALU_DEP_1) | instskip(SKIP_1) | instid1(VALU_DEP_2)
	v_rndne_f32_e32 v4, v3
	v_fma_f32 v5, 0x3fb8aa3b, v2, -v3
	v_sub_f32_e32 v3, v3, v4
	s_delay_alu instid0(VALU_DEP_2) | instskip(SKIP_2) | instid1(VALU_DEP_3)
	v_fmamk_f32 v5, v2, 0x32a5705f, v5
	v_cvt_i32_f32_e32 v4, v4
	v_cmp_ngt_f32_e32 vcc_lo, 0xc2ce8ed0, v2
	v_add_f32_e32 v3, v3, v5
	s_delay_alu instid0(VALU_DEP_1) | instskip(SKIP_2) | instid1(VALU_DEP_1)
	v_exp_f32_e32 v3, v3
	s_waitcnt_depctr 0xfff
	v_ldexp_f32 v3, v3, v4
	v_cndmask_b32_e32 v3, 0, v3, vcc_lo
	v_cmp_nlt_f32_e32 vcc_lo, 0x42b17218, v2
	s_delay_alu instid0(VALU_DEP_2) | instskip(NEXT) | instid1(VALU_DEP_1)
	v_cndmask_b32_e32 v2, 0x7f800000, v3, vcc_lo
	v_div_scale_f32 v3, vcc_lo, v2, v2, v2
	s_delay_alu instid0(VALU_DEP_1) | instskip(SKIP_2) | instid1(VALU_DEP_1)
	v_rcp_f32_e32 v4, v3
	s_waitcnt_depctr 0xfff
	v_fma_f32 v5, -v3, v4, 1.0
	v_fmac_f32_e32 v4, v5, v4
	s_delay_alu instid0(VALU_DEP_1) | instskip(NEXT) | instid1(VALU_DEP_1)
	v_mul_f32_e32 v5, v3, v4
	v_fma_f32 v6, -v3, v5, v3
	s_delay_alu instid0(VALU_DEP_1) | instskip(NEXT) | instid1(VALU_DEP_1)
	v_fmac_f32_e32 v5, v6, v4
	v_fma_f32 v3, -v3, v5, v3
	s_delay_alu instid0(VALU_DEP_1) | instskip(SKIP_2) | instid1(VALU_DEP_3)
	v_div_fmas_f32 v3, v3, v4, v5
	v_add_co_u32 v0, vcc_lo, v0, s0
	v_add_co_ci_u32_e32 v1, vcc_lo, s1, v1, vcc_lo
	v_div_fixup_f32 v3, v3, v2, v2
	v_cmp_neq_f32_e32 vcc_lo, 0, v2
	s_delay_alu instid0(VALU_DEP_2)
	v_cndmask_b32_e32 v2, 0x7fc00000, v3, vcc_lo
	global_store_b32 v[0:1], v2, off
.LBB380_10:
	s_nop 0
	s_sendmsg sendmsg(MSG_DEALLOC_VGPRS)
	s_endpgm
	.section	.rodata,"a",@progbits
	.p2align	6, 0x0
	.amdhsa_kernel _ZN12_GLOBAL__N_120softmax_warp_forwardIfffLi0ELb0ELb0ELi64EEEvPT0_PKT_iiiPKbib
		.amdhsa_group_segment_fixed_size 0
		.amdhsa_private_segment_fixed_size 0
		.amdhsa_kernarg_size 304
		.amdhsa_user_sgpr_count 15
		.amdhsa_user_sgpr_dispatch_ptr 0
		.amdhsa_user_sgpr_queue_ptr 0
		.amdhsa_user_sgpr_kernarg_segment_ptr 1
		.amdhsa_user_sgpr_dispatch_id 0
		.amdhsa_user_sgpr_private_segment_size 0
		.amdhsa_wavefront_size32 1
		.amdhsa_uses_dynamic_stack 0
		.amdhsa_enable_private_segment 0
		.amdhsa_system_sgpr_workgroup_id_x 1
		.amdhsa_system_sgpr_workgroup_id_y 0
		.amdhsa_system_sgpr_workgroup_id_z 0
		.amdhsa_system_sgpr_workgroup_info 0
		.amdhsa_system_vgpr_workitem_id 1
		.amdhsa_next_free_vgpr 9
		.amdhsa_next_free_sgpr 16
		.amdhsa_reserve_vcc 1
		.amdhsa_float_round_mode_32 0
		.amdhsa_float_round_mode_16_64 0
		.amdhsa_float_denorm_mode_32 3
		.amdhsa_float_denorm_mode_16_64 3
		.amdhsa_dx10_clamp 1
		.amdhsa_ieee_mode 1
		.amdhsa_fp16_overflow 0
		.amdhsa_workgroup_processor_mode 1
		.amdhsa_memory_ordered 1
		.amdhsa_forward_progress 0
		.amdhsa_shared_vgpr_count 0
		.amdhsa_exception_fp_ieee_invalid_op 0
		.amdhsa_exception_fp_denorm_src 0
		.amdhsa_exception_fp_ieee_div_zero 0
		.amdhsa_exception_fp_ieee_overflow 0
		.amdhsa_exception_fp_ieee_underflow 0
		.amdhsa_exception_fp_ieee_inexact 0
		.amdhsa_exception_int_div_zero 0
	.end_amdhsa_kernel
	.section	.text._ZN12_GLOBAL__N_120softmax_warp_forwardIfffLi0ELb0ELb0ELi64EEEvPT0_PKT_iiiPKbib,"axG",@progbits,_ZN12_GLOBAL__N_120softmax_warp_forwardIfffLi0ELb0ELb0ELi64EEEvPT0_PKT_iiiPKbib,comdat
.Lfunc_end380:
	.size	_ZN12_GLOBAL__N_120softmax_warp_forwardIfffLi0ELb0ELb0ELi64EEEvPT0_PKT_iiiPKbib, .Lfunc_end380-_ZN12_GLOBAL__N_120softmax_warp_forwardIfffLi0ELb0ELb0ELi64EEEvPT0_PKT_iiiPKbib
                                        ; -- End function
	.section	.AMDGPU.csdata,"",@progbits
; Kernel info:
; codeLenInByte = 756
; NumSgprs: 18
; NumVgprs: 9
; ScratchSize: 0
; MemoryBound: 0
; FloatMode: 240
; IeeeMode: 1
; LDSByteSize: 0 bytes/workgroup (compile time only)
; SGPRBlocks: 2
; VGPRBlocks: 1
; NumSGPRsForWavesPerEU: 18
; NumVGPRsForWavesPerEU: 9
; Occupancy: 16
; WaveLimiterHint : 0
; COMPUTE_PGM_RSRC2:SCRATCH_EN: 0
; COMPUTE_PGM_RSRC2:USER_SGPR: 15
; COMPUTE_PGM_RSRC2:TRAP_HANDLER: 0
; COMPUTE_PGM_RSRC2:TGID_X_EN: 1
; COMPUTE_PGM_RSRC2:TGID_Y_EN: 0
; COMPUTE_PGM_RSRC2:TGID_Z_EN: 0
; COMPUTE_PGM_RSRC2:TIDIG_COMP_CNT: 1
	.section	.text._ZN12_GLOBAL__N_120softmax_warp_forwardIfffLi0ELb0ELb0ELi32EEEvPT0_PKT_iiiPKbib,"axG",@progbits,_ZN12_GLOBAL__N_120softmax_warp_forwardIfffLi0ELb0ELb0ELi32EEEvPT0_PKT_iiiPKbib,comdat
	.globl	_ZN12_GLOBAL__N_120softmax_warp_forwardIfffLi0ELb0ELb0ELi32EEEvPT0_PKT_iiiPKbib ; -- Begin function _ZN12_GLOBAL__N_120softmax_warp_forwardIfffLi0ELb0ELb0ELi32EEEvPT0_PKT_iiiPKbib
	.p2align	8
	.type	_ZN12_GLOBAL__N_120softmax_warp_forwardIfffLi0ELb0ELb0ELi32EEEvPT0_PKT_iiiPKbib,@function
_ZN12_GLOBAL__N_120softmax_warp_forwardIfffLi0ELb0ELb0ELi32EEEvPT0_PKT_iiiPKbib: ; @_ZN12_GLOBAL__N_120softmax_warp_forwardIfffLi0ELb0ELb0ELi32EEEvPT0_PKT_iiiPKbib
; %bb.0:
	s_clause 0x1
	s_load_b32 s2, s[0:1], 0x3c
	s_load_b256 s[4:11], s[0:1], 0x0
	v_bfe_u32 v1, v0, 10, 10
	v_and_b32_e32 v2, 0x3ff, v0
	v_dual_mov_b32 v5, 0xff800000 :: v_dual_mov_b32 v6, 0xff800000
	s_waitcnt lgkmcnt(0)
	s_lshr_b32 s0, s2, 16
	s_delay_alu instid0(SALU_CYCLE_1) | instskip(SKIP_2) | instid1(VALU_DEP_1)
	s_mul_i32 s15, s15, s0
	v_cmp_gt_i32_e64 s0, s10, v2
	v_add_lshl_u32 v3, s15, v1, 1
	v_mad_u64_u32 v[0:1], null, v3, s9, v[2:3]
	v_sub_nc_u32_e32 v4, s8, v3
	s_delay_alu instid0(VALU_DEP_1) | instskip(NEXT) | instid1(VALU_DEP_3)
	v_cmp_lt_i32_e32 vcc_lo, 0, v4
	v_ashrrev_i32_e32 v1, 31, v0
	s_and_b32 s2, s0, vcc_lo
	s_delay_alu instid0(VALU_DEP_1) | instskip(NEXT) | instid1(VALU_DEP_1)
	v_lshlrev_b64 v[0:1], 2, v[0:1]
	v_add_co_u32 v2, s1, s6, v0
	s_delay_alu instid0(VALU_DEP_1)
	v_add_co_ci_u32_e64 v3, s1, s7, v1, s1
	s_and_saveexec_b32 s1, s2
	s_cbranch_execz .LBB381_2
; %bb.1:
	global_load_b32 v6, v[2:3], off
.LBB381_2:
	s_or_b32 exec_lo, exec_lo, s1
	v_cmp_lt_i32_e64 s1, 1, v4
	s_delay_alu instid0(VALU_DEP_1) | instskip(NEXT) | instid1(SALU_CYCLE_1)
	s_and_b32 s1, s0, s1
	s_and_saveexec_b32 s2, s1
	s_cbranch_execz .LBB381_4
; %bb.3:
	s_mov_b32 s11, 0
	s_delay_alu instid0(SALU_CYCLE_1) | instskip(NEXT) | instid1(SALU_CYCLE_1)
	s_lshl_b64 s[6:7], s[10:11], 2
	v_add_co_u32 v2, s1, v2, s6
	s_delay_alu instid0(VALU_DEP_1)
	v_add_co_ci_u32_e64 v3, s1, s7, v3, s1
	global_load_b32 v5, v[2:3], off
.LBB381_4:
	s_or_b32 exec_lo, exec_lo, s2
	s_and_saveexec_b32 s1, vcc_lo
	s_cbranch_execz .LBB381_10
; %bb.5:
	v_add_co_u32 v0, vcc_lo, s4, v0
	v_add_co_ci_u32_e32 v1, vcc_lo, s5, v1, vcc_lo
	s_and_saveexec_b32 s1, s0
	s_cbranch_execz .LBB381_7
; %bb.6:
	s_waitcnt vmcnt(0)
	v_sub_f32_e32 v2, v6, v6
	s_delay_alu instid0(VALU_DEP_1) | instskip(NEXT) | instid1(VALU_DEP_1)
	v_mul_f32_e32 v3, 0x3fb8aa3b, v2
	v_rndne_f32_e32 v6, v3
	v_fma_f32 v7, 0x3fb8aa3b, v2, -v3
	s_delay_alu instid0(VALU_DEP_2) | instskip(NEXT) | instid1(VALU_DEP_2)
	v_sub_f32_e32 v3, v3, v6
	v_fmamk_f32 v7, v2, 0x32a5705f, v7
	v_cvt_i32_f32_e32 v6, v6
	s_delay_alu instid0(VALU_DEP_2) | instskip(SKIP_1) | instid1(VALU_DEP_2)
	v_add_f32_e32 v3, v3, v7
	v_cmp_ngt_f32_e32 vcc_lo, 0xc2ce8ed0, v2
	v_exp_f32_e32 v3, v3
	s_waitcnt_depctr 0xfff
	v_ldexp_f32 v3, v3, v6
	s_delay_alu instid0(VALU_DEP_1) | instskip(SKIP_1) | instid1(VALU_DEP_2)
	v_cndmask_b32_e32 v3, 0, v3, vcc_lo
	v_cmp_nlt_f32_e32 vcc_lo, 0x42b17218, v2
	v_cndmask_b32_e32 v2, 0x7f800000, v3, vcc_lo
	s_delay_alu instid0(VALU_DEP_1) | instskip(NEXT) | instid1(VALU_DEP_1)
	v_div_scale_f32 v3, vcc_lo, v2, v2, v2
	v_rcp_f32_e32 v6, v3
	s_waitcnt_depctr 0xfff
	v_fma_f32 v7, -v3, v6, 1.0
	s_delay_alu instid0(VALU_DEP_1) | instskip(NEXT) | instid1(VALU_DEP_1)
	v_fmac_f32_e32 v6, v7, v6
	v_mul_f32_e32 v7, v3, v6
	s_delay_alu instid0(VALU_DEP_1) | instskip(NEXT) | instid1(VALU_DEP_1)
	v_fma_f32 v8, -v3, v7, v3
	v_fmac_f32_e32 v7, v8, v6
	s_delay_alu instid0(VALU_DEP_1) | instskip(NEXT) | instid1(VALU_DEP_1)
	v_fma_f32 v3, -v3, v7, v3
	v_div_fmas_f32 v3, v3, v6, v7
	v_cmp_neq_f32_e32 vcc_lo, 0, v2
	s_delay_alu instid0(VALU_DEP_2) | instskip(NEXT) | instid1(VALU_DEP_1)
	v_div_fixup_f32 v3, v3, v2, v2
	v_cndmask_b32_e32 v2, 0x7fc00000, v3, vcc_lo
	global_store_b32 v[0:1], v2, off
.LBB381_7:
	s_or_b32 exec_lo, exec_lo, s1
	v_cmp_ne_u32_e32 vcc_lo, 1, v4
	s_and_b32 exec_lo, exec_lo, vcc_lo
	s_cbranch_execz .LBB381_10
; %bb.8:
	s_and_b32 exec_lo, exec_lo, s0
	s_cbranch_execz .LBB381_10
; %bb.9:
	s_waitcnt vmcnt(0)
	v_sub_f32_e32 v2, v5, v5
	s_mov_b32 s11, 0
	s_delay_alu instid0(SALU_CYCLE_1) | instskip(NEXT) | instid1(VALU_DEP_1)
	s_lshl_b64 s[0:1], s[10:11], 2
	v_mul_f32_e32 v3, 0x3fb8aa3b, v2
	s_delay_alu instid0(VALU_DEP_1) | instskip(SKIP_1) | instid1(VALU_DEP_2)
	v_rndne_f32_e32 v4, v3
	v_fma_f32 v5, 0x3fb8aa3b, v2, -v3
	v_sub_f32_e32 v3, v3, v4
	s_delay_alu instid0(VALU_DEP_2) | instskip(SKIP_2) | instid1(VALU_DEP_3)
	v_fmamk_f32 v5, v2, 0x32a5705f, v5
	v_cvt_i32_f32_e32 v4, v4
	v_cmp_ngt_f32_e32 vcc_lo, 0xc2ce8ed0, v2
	v_add_f32_e32 v3, v3, v5
	s_delay_alu instid0(VALU_DEP_1) | instskip(SKIP_2) | instid1(VALU_DEP_1)
	v_exp_f32_e32 v3, v3
	s_waitcnt_depctr 0xfff
	v_ldexp_f32 v3, v3, v4
	v_cndmask_b32_e32 v3, 0, v3, vcc_lo
	v_cmp_nlt_f32_e32 vcc_lo, 0x42b17218, v2
	s_delay_alu instid0(VALU_DEP_2) | instskip(NEXT) | instid1(VALU_DEP_1)
	v_cndmask_b32_e32 v2, 0x7f800000, v3, vcc_lo
	v_div_scale_f32 v3, vcc_lo, v2, v2, v2
	s_delay_alu instid0(VALU_DEP_1) | instskip(SKIP_2) | instid1(VALU_DEP_1)
	v_rcp_f32_e32 v4, v3
	s_waitcnt_depctr 0xfff
	v_fma_f32 v5, -v3, v4, 1.0
	v_fmac_f32_e32 v4, v5, v4
	s_delay_alu instid0(VALU_DEP_1) | instskip(NEXT) | instid1(VALU_DEP_1)
	v_mul_f32_e32 v5, v3, v4
	v_fma_f32 v6, -v3, v5, v3
	s_delay_alu instid0(VALU_DEP_1) | instskip(NEXT) | instid1(VALU_DEP_1)
	v_fmac_f32_e32 v5, v6, v4
	v_fma_f32 v3, -v3, v5, v3
	s_delay_alu instid0(VALU_DEP_1) | instskip(SKIP_2) | instid1(VALU_DEP_3)
	v_div_fmas_f32 v3, v3, v4, v5
	v_add_co_u32 v0, vcc_lo, v0, s0
	v_add_co_ci_u32_e32 v1, vcc_lo, s1, v1, vcc_lo
	v_div_fixup_f32 v3, v3, v2, v2
	v_cmp_neq_f32_e32 vcc_lo, 0, v2
	s_delay_alu instid0(VALU_DEP_2)
	v_cndmask_b32_e32 v2, 0x7fc00000, v3, vcc_lo
	global_store_b32 v[0:1], v2, off
.LBB381_10:
	s_nop 0
	s_sendmsg sendmsg(MSG_DEALLOC_VGPRS)
	s_endpgm
	.section	.rodata,"a",@progbits
	.p2align	6, 0x0
	.amdhsa_kernel _ZN12_GLOBAL__N_120softmax_warp_forwardIfffLi0ELb0ELb0ELi32EEEvPT0_PKT_iiiPKbib
		.amdhsa_group_segment_fixed_size 0
		.amdhsa_private_segment_fixed_size 0
		.amdhsa_kernarg_size 304
		.amdhsa_user_sgpr_count 15
		.amdhsa_user_sgpr_dispatch_ptr 0
		.amdhsa_user_sgpr_queue_ptr 0
		.amdhsa_user_sgpr_kernarg_segment_ptr 1
		.amdhsa_user_sgpr_dispatch_id 0
		.amdhsa_user_sgpr_private_segment_size 0
		.amdhsa_wavefront_size32 1
		.amdhsa_uses_dynamic_stack 0
		.amdhsa_enable_private_segment 0
		.amdhsa_system_sgpr_workgroup_id_x 1
		.amdhsa_system_sgpr_workgroup_id_y 0
		.amdhsa_system_sgpr_workgroup_id_z 0
		.amdhsa_system_sgpr_workgroup_info 0
		.amdhsa_system_vgpr_workitem_id 1
		.amdhsa_next_free_vgpr 9
		.amdhsa_next_free_sgpr 16
		.amdhsa_reserve_vcc 1
		.amdhsa_float_round_mode_32 0
		.amdhsa_float_round_mode_16_64 0
		.amdhsa_float_denorm_mode_32 3
		.amdhsa_float_denorm_mode_16_64 3
		.amdhsa_dx10_clamp 1
		.amdhsa_ieee_mode 1
		.amdhsa_fp16_overflow 0
		.amdhsa_workgroup_processor_mode 1
		.amdhsa_memory_ordered 1
		.amdhsa_forward_progress 0
		.amdhsa_shared_vgpr_count 0
		.amdhsa_exception_fp_ieee_invalid_op 0
		.amdhsa_exception_fp_denorm_src 0
		.amdhsa_exception_fp_ieee_div_zero 0
		.amdhsa_exception_fp_ieee_overflow 0
		.amdhsa_exception_fp_ieee_underflow 0
		.amdhsa_exception_fp_ieee_inexact 0
		.amdhsa_exception_int_div_zero 0
	.end_amdhsa_kernel
	.section	.text._ZN12_GLOBAL__N_120softmax_warp_forwardIfffLi0ELb0ELb0ELi32EEEvPT0_PKT_iiiPKbib,"axG",@progbits,_ZN12_GLOBAL__N_120softmax_warp_forwardIfffLi0ELb0ELb0ELi32EEEvPT0_PKT_iiiPKbib,comdat
.Lfunc_end381:
	.size	_ZN12_GLOBAL__N_120softmax_warp_forwardIfffLi0ELb0ELb0ELi32EEEvPT0_PKT_iiiPKbib, .Lfunc_end381-_ZN12_GLOBAL__N_120softmax_warp_forwardIfffLi0ELb0ELb0ELi32EEEvPT0_PKT_iiiPKbib
                                        ; -- End function
	.section	.AMDGPU.csdata,"",@progbits
; Kernel info:
; codeLenInByte = 756
; NumSgprs: 18
; NumVgprs: 9
; ScratchSize: 0
; MemoryBound: 0
; FloatMode: 240
; IeeeMode: 1
; LDSByteSize: 0 bytes/workgroup (compile time only)
; SGPRBlocks: 2
; VGPRBlocks: 1
; NumSGPRsForWavesPerEU: 18
; NumVGPRsForWavesPerEU: 9
; Occupancy: 16
; WaveLimiterHint : 0
; COMPUTE_PGM_RSRC2:SCRATCH_EN: 0
; COMPUTE_PGM_RSRC2:USER_SGPR: 15
; COMPUTE_PGM_RSRC2:TRAP_HANDLER: 0
; COMPUTE_PGM_RSRC2:TGID_X_EN: 1
; COMPUTE_PGM_RSRC2:TGID_Y_EN: 0
; COMPUTE_PGM_RSRC2:TGID_Z_EN: 0
; COMPUTE_PGM_RSRC2:TIDIG_COMP_CNT: 1
	.section	.text._ZN12_GLOBAL__N_120softmax_warp_forwardIfffLi1ELb0ELb0ELi64EEEvPT0_PKT_iiiPKbib,"axG",@progbits,_ZN12_GLOBAL__N_120softmax_warp_forwardIfffLi1ELb0ELb0ELi64EEEvPT0_PKT_iiiPKbib,comdat
	.globl	_ZN12_GLOBAL__N_120softmax_warp_forwardIfffLi1ELb0ELb0ELi64EEEvPT0_PKT_iiiPKbib ; -- Begin function _ZN12_GLOBAL__N_120softmax_warp_forwardIfffLi1ELb0ELb0ELi64EEEvPT0_PKT_iiiPKbib
	.p2align	8
	.type	_ZN12_GLOBAL__N_120softmax_warp_forwardIfffLi1ELb0ELb0ELi64EEEvPT0_PKT_iiiPKbib,@function
_ZN12_GLOBAL__N_120softmax_warp_forwardIfffLi1ELb0ELb0ELi64EEEvPT0_PKT_iiiPKbib: ; @_ZN12_GLOBAL__N_120softmax_warp_forwardIfffLi1ELb0ELb0ELi64EEEvPT0_PKT_iiiPKbib
; %bb.0:
	s_clause 0x1
	s_load_b32 s2, s[0:1], 0x3c
	s_load_b256 s[4:11], s[0:1], 0x0
	v_bfe_u32 v1, v0, 10, 10
	v_and_b32_e32 v2, 0x3ff, v0
	v_dual_mov_b32 v5, 0xff800000 :: v_dual_mov_b32 v6, 0xff800000
	s_waitcnt lgkmcnt(0)
	s_lshr_b32 s0, s2, 16
	s_delay_alu instid0(SALU_CYCLE_1) | instskip(SKIP_2) | instid1(VALU_DEP_1)
	s_mul_i32 s15, s15, s0
	v_cmp_gt_i32_e64 s0, s10, v2
	v_add_lshl_u32 v3, s15, v1, 1
	v_mad_u64_u32 v[0:1], null, v3, s9, v[2:3]
	v_sub_nc_u32_e32 v4, s8, v3
	s_delay_alu instid0(VALU_DEP_1) | instskip(NEXT) | instid1(VALU_DEP_3)
	v_cmp_lt_i32_e32 vcc_lo, 0, v4
	v_ashrrev_i32_e32 v1, 31, v0
	s_and_b32 s2, s0, vcc_lo
	s_delay_alu instid0(VALU_DEP_1) | instskip(NEXT) | instid1(VALU_DEP_1)
	v_lshlrev_b64 v[0:1], 2, v[0:1]
	v_add_co_u32 v2, s1, s6, v0
	s_delay_alu instid0(VALU_DEP_1)
	v_add_co_ci_u32_e64 v3, s1, s7, v1, s1
	s_and_saveexec_b32 s1, s2
	s_cbranch_execz .LBB382_2
; %bb.1:
	global_load_b32 v6, v[2:3], off
.LBB382_2:
	s_or_b32 exec_lo, exec_lo, s1
	v_cmp_lt_i32_e64 s1, 1, v4
	s_delay_alu instid0(VALU_DEP_1) | instskip(NEXT) | instid1(SALU_CYCLE_1)
	s_and_b32 s1, s0, s1
	s_and_saveexec_b32 s2, s1
	s_cbranch_execz .LBB382_4
; %bb.3:
	s_mov_b32 s11, 0
	s_delay_alu instid0(SALU_CYCLE_1) | instskip(NEXT) | instid1(SALU_CYCLE_1)
	s_lshl_b64 s[6:7], s[10:11], 2
	v_add_co_u32 v2, s1, v2, s6
	s_delay_alu instid0(VALU_DEP_1)
	v_add_co_ci_u32_e64 v3, s1, s7, v3, s1
	global_load_b32 v5, v[2:3], off
.LBB382_4:
	s_or_b32 exec_lo, exec_lo, s2
	v_mbcnt_lo_u32_b32 v2, -1, 0
	s_delay_alu instid0(VALU_DEP_1) | instskip(SKIP_1) | instid1(VALU_DEP_2)
	v_and_b32_e32 v3, 30, v2
	v_xor_b32_e32 v7, 1, v2
	v_add_nc_u32_e32 v3, 2, v3
	s_delay_alu instid0(VALU_DEP_1) | instskip(NEXT) | instid1(VALU_DEP_1)
	v_cmp_lt_i32_e64 s1, v7, v3
	v_cndmask_b32_e64 v2, v2, v7, s1
	s_delay_alu instid0(VALU_DEP_1)
	v_lshlrev_b32_e32 v3, 2, v2
	s_waitcnt vmcnt(0)
	ds_bpermute_b32 v2, v3, v6
	ds_bpermute_b32 v7, v3, v5
	s_waitcnt lgkmcnt(1)
	v_cmp_lt_f32_e64 s1, v6, v2
	s_delay_alu instid0(VALU_DEP_1) | instskip(SKIP_2) | instid1(VALU_DEP_2)
	v_cndmask_b32_e64 v2, v6, v2, s1
	s_waitcnt lgkmcnt(0)
	v_cmp_lt_f32_e64 s1, v5, v7
	v_sub_f32_e32 v2, v6, v2
	s_delay_alu instid0(VALU_DEP_2) | instskip(NEXT) | instid1(VALU_DEP_2)
	v_cndmask_b32_e64 v7, v5, v7, s1
	v_cmp_ngt_f32_e64 s1, 0xc2ce8ed0, v2
	s_delay_alu instid0(VALU_DEP_2) | instskip(NEXT) | instid1(VALU_DEP_1)
	v_dual_sub_f32 v6, v5, v7 :: v_dual_mul_f32 v5, 0x3fb8aa3b, v2
	v_mul_f32_e32 v7, 0x3fb8aa3b, v6
	s_delay_alu instid0(VALU_DEP_2) | instskip(SKIP_1) | instid1(VALU_DEP_3)
	v_fma_f32 v8, 0x3fb8aa3b, v2, -v5
	v_rndne_f32_e32 v9, v5
	v_fma_f32 v10, 0x3fb8aa3b, v6, -v7
	v_rndne_f32_e32 v11, v7
	s_delay_alu instid0(VALU_DEP_3) | instskip(NEXT) | instid1(VALU_DEP_2)
	v_dual_fmac_f32 v8, 0x32a5705f, v2 :: v_dual_sub_f32 v5, v5, v9
	v_dual_fmac_f32 v10, 0x32a5705f, v6 :: v_dual_sub_f32 v7, v7, v11
	s_delay_alu instid0(VALU_DEP_2) | instskip(SKIP_2) | instid1(VALU_DEP_4)
	v_add_f32_e32 v5, v5, v8
	v_cvt_i32_f32_e32 v8, v9
	v_cvt_i32_f32_e32 v9, v11
	v_add_f32_e32 v7, v7, v10
	s_delay_alu instid0(VALU_DEP_4) | instskip(NEXT) | instid1(VALU_DEP_1)
	v_exp_f32_e32 v5, v5
	v_exp_f32_e32 v7, v7
	s_waitcnt_depctr 0xfff
	v_ldexp_f32 v5, v5, v8
	v_ldexp_f32 v7, v7, v9
	s_delay_alu instid0(VALU_DEP_2) | instskip(SKIP_1) | instid1(VALU_DEP_1)
	v_cndmask_b32_e64 v5, 0, v5, s1
	v_cmp_ngt_f32_e64 s1, 0xc2ce8ed0, v6
	v_cndmask_b32_e64 v7, 0, v7, s1
	v_cmp_nlt_f32_e64 s1, 0x42b17218, v2
	s_delay_alu instid0(VALU_DEP_1)
	v_cndmask_b32_e64 v5, 0x7f800000, v5, s1
	v_cmp_nlt_f32_e64 s1, 0x42b17218, v6
	ds_bpermute_b32 v6, v3, v5
	v_cndmask_b32_e64 v2, 0x7f800000, v7, s1
	ds_bpermute_b32 v3, v3, v2
	s_and_saveexec_b32 s1, vcc_lo
	s_cbranch_execz .LBB382_10
; %bb.5:
	v_add_co_u32 v0, vcc_lo, s4, v0
	v_add_co_ci_u32_e32 v1, vcc_lo, s5, v1, vcc_lo
	s_and_saveexec_b32 s1, s0
	s_cbranch_execz .LBB382_7
; %bb.6:
	s_waitcnt lgkmcnt(1)
	v_add_f32_e32 v6, v5, v6
	s_delay_alu instid0(VALU_DEP_1) | instskip(NEXT) | instid1(VALU_DEP_1)
	v_div_scale_f32 v7, null, v6, v6, v5
	v_rcp_f32_e32 v8, v7
	s_waitcnt_depctr 0xfff
	v_fma_f32 v9, -v7, v8, 1.0
	s_delay_alu instid0(VALU_DEP_1) | instskip(SKIP_1) | instid1(VALU_DEP_1)
	v_fmac_f32_e32 v8, v9, v8
	v_div_scale_f32 v9, vcc_lo, v5, v6, v5
	v_mul_f32_e32 v10, v9, v8
	s_delay_alu instid0(VALU_DEP_1) | instskip(NEXT) | instid1(VALU_DEP_1)
	v_fma_f32 v11, -v7, v10, v9
	v_fmac_f32_e32 v10, v11, v8
	s_delay_alu instid0(VALU_DEP_1) | instskip(NEXT) | instid1(VALU_DEP_1)
	v_fma_f32 v7, -v7, v10, v9
	v_div_fmas_f32 v7, v7, v8, v10
	v_cmp_neq_f32_e32 vcc_lo, 0, v6
	s_delay_alu instid0(VALU_DEP_2) | instskip(NEXT) | instid1(VALU_DEP_1)
	v_div_fixup_f32 v5, v7, v6, v5
	v_cndmask_b32_e32 v5, 0x7fc00000, v5, vcc_lo
	global_store_b32 v[0:1], v5, off
.LBB382_7:
	s_or_b32 exec_lo, exec_lo, s1
	v_cmp_ne_u32_e32 vcc_lo, 1, v4
	s_and_b32 exec_lo, exec_lo, vcc_lo
	s_cbranch_execz .LBB382_10
; %bb.8:
	s_and_b32 exec_lo, exec_lo, s0
	s_cbranch_execz .LBB382_10
; %bb.9:
	s_waitcnt lgkmcnt(0)
	v_add_f32_e32 v3, v2, v3
	s_mov_b32 s11, 0
	s_delay_alu instid0(SALU_CYCLE_1) | instskip(NEXT) | instid1(VALU_DEP_1)
	s_lshl_b64 s[0:1], s[10:11], 2
	v_div_scale_f32 v4, null, v3, v3, v2
	v_div_scale_f32 v7, vcc_lo, v2, v3, v2
	s_delay_alu instid0(VALU_DEP_2) | instskip(SKIP_2) | instid1(VALU_DEP_1)
	v_rcp_f32_e32 v5, v4
	s_waitcnt_depctr 0xfff
	v_fma_f32 v6, -v4, v5, 1.0
	v_fmac_f32_e32 v5, v6, v5
	s_delay_alu instid0(VALU_DEP_1) | instskip(NEXT) | instid1(VALU_DEP_1)
	v_mul_f32_e32 v6, v7, v5
	v_fma_f32 v8, -v4, v6, v7
	s_delay_alu instid0(VALU_DEP_1) | instskip(NEXT) | instid1(VALU_DEP_1)
	v_fmac_f32_e32 v6, v8, v5
	v_fma_f32 v4, -v4, v6, v7
	s_delay_alu instid0(VALU_DEP_1) | instskip(SKIP_2) | instid1(VALU_DEP_3)
	v_div_fmas_f32 v4, v4, v5, v6
	v_add_co_u32 v0, vcc_lo, v0, s0
	v_add_co_ci_u32_e32 v1, vcc_lo, s1, v1, vcc_lo
	v_div_fixup_f32 v2, v4, v3, v2
	v_cmp_neq_f32_e32 vcc_lo, 0, v3
	s_delay_alu instid0(VALU_DEP_2)
	v_cndmask_b32_e32 v2, 0x7fc00000, v2, vcc_lo
	global_store_b32 v[0:1], v2, off
.LBB382_10:
	s_nop 0
	s_sendmsg sendmsg(MSG_DEALLOC_VGPRS)
	s_endpgm
	.section	.rodata,"a",@progbits
	.p2align	6, 0x0
	.amdhsa_kernel _ZN12_GLOBAL__N_120softmax_warp_forwardIfffLi1ELb0ELb0ELi64EEEvPT0_PKT_iiiPKbib
		.amdhsa_group_segment_fixed_size 0
		.amdhsa_private_segment_fixed_size 0
		.amdhsa_kernarg_size 304
		.amdhsa_user_sgpr_count 15
		.amdhsa_user_sgpr_dispatch_ptr 0
		.amdhsa_user_sgpr_queue_ptr 0
		.amdhsa_user_sgpr_kernarg_segment_ptr 1
		.amdhsa_user_sgpr_dispatch_id 0
		.amdhsa_user_sgpr_private_segment_size 0
		.amdhsa_wavefront_size32 1
		.amdhsa_uses_dynamic_stack 0
		.amdhsa_enable_private_segment 0
		.amdhsa_system_sgpr_workgroup_id_x 1
		.amdhsa_system_sgpr_workgroup_id_y 0
		.amdhsa_system_sgpr_workgroup_id_z 0
		.amdhsa_system_sgpr_workgroup_info 0
		.amdhsa_system_vgpr_workitem_id 1
		.amdhsa_next_free_vgpr 12
		.amdhsa_next_free_sgpr 16
		.amdhsa_reserve_vcc 1
		.amdhsa_float_round_mode_32 0
		.amdhsa_float_round_mode_16_64 0
		.amdhsa_float_denorm_mode_32 3
		.amdhsa_float_denorm_mode_16_64 3
		.amdhsa_dx10_clamp 1
		.amdhsa_ieee_mode 1
		.amdhsa_fp16_overflow 0
		.amdhsa_workgroup_processor_mode 1
		.amdhsa_memory_ordered 1
		.amdhsa_forward_progress 0
		.amdhsa_shared_vgpr_count 0
		.amdhsa_exception_fp_ieee_invalid_op 0
		.amdhsa_exception_fp_denorm_src 0
		.amdhsa_exception_fp_ieee_div_zero 0
		.amdhsa_exception_fp_ieee_overflow 0
		.amdhsa_exception_fp_ieee_underflow 0
		.amdhsa_exception_fp_ieee_inexact 0
		.amdhsa_exception_int_div_zero 0
	.end_amdhsa_kernel
	.section	.text._ZN12_GLOBAL__N_120softmax_warp_forwardIfffLi1ELb0ELb0ELi64EEEvPT0_PKT_iiiPKbib,"axG",@progbits,_ZN12_GLOBAL__N_120softmax_warp_forwardIfffLi1ELb0ELb0ELi64EEEvPT0_PKT_iiiPKbib,comdat
.Lfunc_end382:
	.size	_ZN12_GLOBAL__N_120softmax_warp_forwardIfffLi1ELb0ELb0ELi64EEEvPT0_PKT_iiiPKbib, .Lfunc_end382-_ZN12_GLOBAL__N_120softmax_warp_forwardIfffLi1ELb0ELb0ELi64EEEvPT0_PKT_iiiPKbib
                                        ; -- End function
	.section	.AMDGPU.csdata,"",@progbits
; Kernel info:
; codeLenInByte = 940
; NumSgprs: 18
; NumVgprs: 12
; ScratchSize: 0
; MemoryBound: 0
; FloatMode: 240
; IeeeMode: 1
; LDSByteSize: 0 bytes/workgroup (compile time only)
; SGPRBlocks: 2
; VGPRBlocks: 1
; NumSGPRsForWavesPerEU: 18
; NumVGPRsForWavesPerEU: 12
; Occupancy: 16
; WaveLimiterHint : 0
; COMPUTE_PGM_RSRC2:SCRATCH_EN: 0
; COMPUTE_PGM_RSRC2:USER_SGPR: 15
; COMPUTE_PGM_RSRC2:TRAP_HANDLER: 0
; COMPUTE_PGM_RSRC2:TGID_X_EN: 1
; COMPUTE_PGM_RSRC2:TGID_Y_EN: 0
; COMPUTE_PGM_RSRC2:TGID_Z_EN: 0
; COMPUTE_PGM_RSRC2:TIDIG_COMP_CNT: 1
	.section	.text._ZN12_GLOBAL__N_120softmax_warp_forwardIfffLi1ELb0ELb0ELi32EEEvPT0_PKT_iiiPKbib,"axG",@progbits,_ZN12_GLOBAL__N_120softmax_warp_forwardIfffLi1ELb0ELb0ELi32EEEvPT0_PKT_iiiPKbib,comdat
	.globl	_ZN12_GLOBAL__N_120softmax_warp_forwardIfffLi1ELb0ELb0ELi32EEEvPT0_PKT_iiiPKbib ; -- Begin function _ZN12_GLOBAL__N_120softmax_warp_forwardIfffLi1ELb0ELb0ELi32EEEvPT0_PKT_iiiPKbib
	.p2align	8
	.type	_ZN12_GLOBAL__N_120softmax_warp_forwardIfffLi1ELb0ELb0ELi32EEEvPT0_PKT_iiiPKbib,@function
_ZN12_GLOBAL__N_120softmax_warp_forwardIfffLi1ELb0ELb0ELi32EEEvPT0_PKT_iiiPKbib: ; @_ZN12_GLOBAL__N_120softmax_warp_forwardIfffLi1ELb0ELb0ELi32EEEvPT0_PKT_iiiPKbib
; %bb.0:
	s_clause 0x1
	s_load_b32 s2, s[0:1], 0x3c
	s_load_b256 s[4:11], s[0:1], 0x0
	v_bfe_u32 v1, v0, 10, 10
	v_and_b32_e32 v2, 0x3ff, v0
	v_dual_mov_b32 v5, 0xff800000 :: v_dual_mov_b32 v6, 0xff800000
	s_waitcnt lgkmcnt(0)
	s_lshr_b32 s0, s2, 16
	s_delay_alu instid0(SALU_CYCLE_1) | instskip(SKIP_2) | instid1(VALU_DEP_1)
	s_mul_i32 s15, s15, s0
	v_cmp_gt_i32_e64 s0, s10, v2
	v_add_lshl_u32 v3, s15, v1, 1
	v_mad_u64_u32 v[0:1], null, v3, s9, v[2:3]
	v_sub_nc_u32_e32 v4, s8, v3
	s_delay_alu instid0(VALU_DEP_1) | instskip(NEXT) | instid1(VALU_DEP_3)
	v_cmp_lt_i32_e32 vcc_lo, 0, v4
	v_ashrrev_i32_e32 v1, 31, v0
	s_and_b32 s2, s0, vcc_lo
	s_delay_alu instid0(VALU_DEP_1) | instskip(NEXT) | instid1(VALU_DEP_1)
	v_lshlrev_b64 v[0:1], 2, v[0:1]
	v_add_co_u32 v2, s1, s6, v0
	s_delay_alu instid0(VALU_DEP_1)
	v_add_co_ci_u32_e64 v3, s1, s7, v1, s1
	s_and_saveexec_b32 s1, s2
	s_cbranch_execz .LBB383_2
; %bb.1:
	global_load_b32 v6, v[2:3], off
.LBB383_2:
	s_or_b32 exec_lo, exec_lo, s1
	v_cmp_lt_i32_e64 s1, 1, v4
	s_delay_alu instid0(VALU_DEP_1) | instskip(NEXT) | instid1(SALU_CYCLE_1)
	s_and_b32 s1, s0, s1
	s_and_saveexec_b32 s2, s1
	s_cbranch_execz .LBB383_4
; %bb.3:
	s_mov_b32 s11, 0
	s_delay_alu instid0(SALU_CYCLE_1) | instskip(NEXT) | instid1(SALU_CYCLE_1)
	s_lshl_b64 s[6:7], s[10:11], 2
	v_add_co_u32 v2, s1, v2, s6
	s_delay_alu instid0(VALU_DEP_1)
	v_add_co_ci_u32_e64 v3, s1, s7, v3, s1
	global_load_b32 v5, v[2:3], off
.LBB383_4:
	s_or_b32 exec_lo, exec_lo, s2
	v_mbcnt_lo_u32_b32 v2, -1, 0
	s_delay_alu instid0(VALU_DEP_1) | instskip(SKIP_1) | instid1(VALU_DEP_2)
	v_and_b32_e32 v3, 30, v2
	v_xor_b32_e32 v7, 1, v2
	v_add_nc_u32_e32 v3, 2, v3
	s_delay_alu instid0(VALU_DEP_1) | instskip(NEXT) | instid1(VALU_DEP_1)
	v_cmp_lt_i32_e64 s1, v7, v3
	v_cndmask_b32_e64 v2, v2, v7, s1
	s_delay_alu instid0(VALU_DEP_1)
	v_lshlrev_b32_e32 v3, 2, v2
	s_waitcnt vmcnt(0)
	ds_bpermute_b32 v2, v3, v6
	ds_bpermute_b32 v7, v3, v5
	s_waitcnt lgkmcnt(1)
	v_cmp_lt_f32_e64 s1, v6, v2
	s_delay_alu instid0(VALU_DEP_1) | instskip(SKIP_2) | instid1(VALU_DEP_2)
	v_cndmask_b32_e64 v2, v6, v2, s1
	s_waitcnt lgkmcnt(0)
	v_cmp_lt_f32_e64 s1, v5, v7
	v_sub_f32_e32 v2, v6, v2
	s_delay_alu instid0(VALU_DEP_2) | instskip(NEXT) | instid1(VALU_DEP_2)
	v_cndmask_b32_e64 v7, v5, v7, s1
	v_cmp_ngt_f32_e64 s1, 0xc2ce8ed0, v2
	s_delay_alu instid0(VALU_DEP_2) | instskip(NEXT) | instid1(VALU_DEP_1)
	v_dual_sub_f32 v6, v5, v7 :: v_dual_mul_f32 v5, 0x3fb8aa3b, v2
	v_mul_f32_e32 v7, 0x3fb8aa3b, v6
	s_delay_alu instid0(VALU_DEP_2) | instskip(SKIP_1) | instid1(VALU_DEP_3)
	v_fma_f32 v8, 0x3fb8aa3b, v2, -v5
	v_rndne_f32_e32 v9, v5
	v_fma_f32 v10, 0x3fb8aa3b, v6, -v7
	v_rndne_f32_e32 v11, v7
	s_delay_alu instid0(VALU_DEP_3) | instskip(NEXT) | instid1(VALU_DEP_2)
	v_dual_fmac_f32 v8, 0x32a5705f, v2 :: v_dual_sub_f32 v5, v5, v9
	v_dual_fmac_f32 v10, 0x32a5705f, v6 :: v_dual_sub_f32 v7, v7, v11
	s_delay_alu instid0(VALU_DEP_2) | instskip(SKIP_2) | instid1(VALU_DEP_4)
	v_add_f32_e32 v5, v5, v8
	v_cvt_i32_f32_e32 v8, v9
	v_cvt_i32_f32_e32 v9, v11
	v_add_f32_e32 v7, v7, v10
	s_delay_alu instid0(VALU_DEP_4) | instskip(NEXT) | instid1(VALU_DEP_1)
	v_exp_f32_e32 v5, v5
	v_exp_f32_e32 v7, v7
	s_waitcnt_depctr 0xfff
	v_ldexp_f32 v5, v5, v8
	v_ldexp_f32 v7, v7, v9
	s_delay_alu instid0(VALU_DEP_2) | instskip(SKIP_1) | instid1(VALU_DEP_1)
	v_cndmask_b32_e64 v5, 0, v5, s1
	v_cmp_ngt_f32_e64 s1, 0xc2ce8ed0, v6
	v_cndmask_b32_e64 v7, 0, v7, s1
	v_cmp_nlt_f32_e64 s1, 0x42b17218, v2
	s_delay_alu instid0(VALU_DEP_1)
	v_cndmask_b32_e64 v5, 0x7f800000, v5, s1
	v_cmp_nlt_f32_e64 s1, 0x42b17218, v6
	ds_bpermute_b32 v6, v3, v5
	v_cndmask_b32_e64 v2, 0x7f800000, v7, s1
	ds_bpermute_b32 v3, v3, v2
	s_and_saveexec_b32 s1, vcc_lo
	s_cbranch_execz .LBB383_10
; %bb.5:
	v_add_co_u32 v0, vcc_lo, s4, v0
	v_add_co_ci_u32_e32 v1, vcc_lo, s5, v1, vcc_lo
	s_and_saveexec_b32 s1, s0
	s_cbranch_execz .LBB383_7
; %bb.6:
	s_waitcnt lgkmcnt(1)
	v_add_f32_e32 v6, v5, v6
	s_delay_alu instid0(VALU_DEP_1) | instskip(NEXT) | instid1(VALU_DEP_1)
	v_div_scale_f32 v7, null, v6, v6, v5
	v_rcp_f32_e32 v8, v7
	s_waitcnt_depctr 0xfff
	v_fma_f32 v9, -v7, v8, 1.0
	s_delay_alu instid0(VALU_DEP_1) | instskip(SKIP_1) | instid1(VALU_DEP_1)
	v_fmac_f32_e32 v8, v9, v8
	v_div_scale_f32 v9, vcc_lo, v5, v6, v5
	v_mul_f32_e32 v10, v9, v8
	s_delay_alu instid0(VALU_DEP_1) | instskip(NEXT) | instid1(VALU_DEP_1)
	v_fma_f32 v11, -v7, v10, v9
	v_fmac_f32_e32 v10, v11, v8
	s_delay_alu instid0(VALU_DEP_1) | instskip(NEXT) | instid1(VALU_DEP_1)
	v_fma_f32 v7, -v7, v10, v9
	v_div_fmas_f32 v7, v7, v8, v10
	v_cmp_neq_f32_e32 vcc_lo, 0, v6
	s_delay_alu instid0(VALU_DEP_2) | instskip(NEXT) | instid1(VALU_DEP_1)
	v_div_fixup_f32 v5, v7, v6, v5
	v_cndmask_b32_e32 v5, 0x7fc00000, v5, vcc_lo
	global_store_b32 v[0:1], v5, off
.LBB383_7:
	s_or_b32 exec_lo, exec_lo, s1
	v_cmp_ne_u32_e32 vcc_lo, 1, v4
	s_and_b32 exec_lo, exec_lo, vcc_lo
	s_cbranch_execz .LBB383_10
; %bb.8:
	s_and_b32 exec_lo, exec_lo, s0
	s_cbranch_execz .LBB383_10
; %bb.9:
	s_waitcnt lgkmcnt(0)
	v_add_f32_e32 v3, v2, v3
	s_mov_b32 s11, 0
	s_delay_alu instid0(SALU_CYCLE_1) | instskip(NEXT) | instid1(VALU_DEP_1)
	s_lshl_b64 s[0:1], s[10:11], 2
	v_div_scale_f32 v4, null, v3, v3, v2
	v_div_scale_f32 v7, vcc_lo, v2, v3, v2
	s_delay_alu instid0(VALU_DEP_2) | instskip(SKIP_2) | instid1(VALU_DEP_1)
	v_rcp_f32_e32 v5, v4
	s_waitcnt_depctr 0xfff
	v_fma_f32 v6, -v4, v5, 1.0
	v_fmac_f32_e32 v5, v6, v5
	s_delay_alu instid0(VALU_DEP_1) | instskip(NEXT) | instid1(VALU_DEP_1)
	v_mul_f32_e32 v6, v7, v5
	v_fma_f32 v8, -v4, v6, v7
	s_delay_alu instid0(VALU_DEP_1) | instskip(NEXT) | instid1(VALU_DEP_1)
	v_fmac_f32_e32 v6, v8, v5
	v_fma_f32 v4, -v4, v6, v7
	s_delay_alu instid0(VALU_DEP_1) | instskip(SKIP_2) | instid1(VALU_DEP_3)
	v_div_fmas_f32 v4, v4, v5, v6
	v_add_co_u32 v0, vcc_lo, v0, s0
	v_add_co_ci_u32_e32 v1, vcc_lo, s1, v1, vcc_lo
	v_div_fixup_f32 v2, v4, v3, v2
	v_cmp_neq_f32_e32 vcc_lo, 0, v3
	s_delay_alu instid0(VALU_DEP_2)
	v_cndmask_b32_e32 v2, 0x7fc00000, v2, vcc_lo
	global_store_b32 v[0:1], v2, off
.LBB383_10:
	s_nop 0
	s_sendmsg sendmsg(MSG_DEALLOC_VGPRS)
	s_endpgm
	.section	.rodata,"a",@progbits
	.p2align	6, 0x0
	.amdhsa_kernel _ZN12_GLOBAL__N_120softmax_warp_forwardIfffLi1ELb0ELb0ELi32EEEvPT0_PKT_iiiPKbib
		.amdhsa_group_segment_fixed_size 0
		.amdhsa_private_segment_fixed_size 0
		.amdhsa_kernarg_size 304
		.amdhsa_user_sgpr_count 15
		.amdhsa_user_sgpr_dispatch_ptr 0
		.amdhsa_user_sgpr_queue_ptr 0
		.amdhsa_user_sgpr_kernarg_segment_ptr 1
		.amdhsa_user_sgpr_dispatch_id 0
		.amdhsa_user_sgpr_private_segment_size 0
		.amdhsa_wavefront_size32 1
		.amdhsa_uses_dynamic_stack 0
		.amdhsa_enable_private_segment 0
		.amdhsa_system_sgpr_workgroup_id_x 1
		.amdhsa_system_sgpr_workgroup_id_y 0
		.amdhsa_system_sgpr_workgroup_id_z 0
		.amdhsa_system_sgpr_workgroup_info 0
		.amdhsa_system_vgpr_workitem_id 1
		.amdhsa_next_free_vgpr 12
		.amdhsa_next_free_sgpr 16
		.amdhsa_reserve_vcc 1
		.amdhsa_float_round_mode_32 0
		.amdhsa_float_round_mode_16_64 0
		.amdhsa_float_denorm_mode_32 3
		.amdhsa_float_denorm_mode_16_64 3
		.amdhsa_dx10_clamp 1
		.amdhsa_ieee_mode 1
		.amdhsa_fp16_overflow 0
		.amdhsa_workgroup_processor_mode 1
		.amdhsa_memory_ordered 1
		.amdhsa_forward_progress 0
		.amdhsa_shared_vgpr_count 0
		.amdhsa_exception_fp_ieee_invalid_op 0
		.amdhsa_exception_fp_denorm_src 0
		.amdhsa_exception_fp_ieee_div_zero 0
		.amdhsa_exception_fp_ieee_overflow 0
		.amdhsa_exception_fp_ieee_underflow 0
		.amdhsa_exception_fp_ieee_inexact 0
		.amdhsa_exception_int_div_zero 0
	.end_amdhsa_kernel
	.section	.text._ZN12_GLOBAL__N_120softmax_warp_forwardIfffLi1ELb0ELb0ELi32EEEvPT0_PKT_iiiPKbib,"axG",@progbits,_ZN12_GLOBAL__N_120softmax_warp_forwardIfffLi1ELb0ELb0ELi32EEEvPT0_PKT_iiiPKbib,comdat
.Lfunc_end383:
	.size	_ZN12_GLOBAL__N_120softmax_warp_forwardIfffLi1ELb0ELb0ELi32EEEvPT0_PKT_iiiPKbib, .Lfunc_end383-_ZN12_GLOBAL__N_120softmax_warp_forwardIfffLi1ELb0ELb0ELi32EEEvPT0_PKT_iiiPKbib
                                        ; -- End function
	.section	.AMDGPU.csdata,"",@progbits
; Kernel info:
; codeLenInByte = 940
; NumSgprs: 18
; NumVgprs: 12
; ScratchSize: 0
; MemoryBound: 0
; FloatMode: 240
; IeeeMode: 1
; LDSByteSize: 0 bytes/workgroup (compile time only)
; SGPRBlocks: 2
; VGPRBlocks: 1
; NumSGPRsForWavesPerEU: 18
; NumVGPRsForWavesPerEU: 12
; Occupancy: 16
; WaveLimiterHint : 0
; COMPUTE_PGM_RSRC2:SCRATCH_EN: 0
; COMPUTE_PGM_RSRC2:USER_SGPR: 15
; COMPUTE_PGM_RSRC2:TRAP_HANDLER: 0
; COMPUTE_PGM_RSRC2:TGID_X_EN: 1
; COMPUTE_PGM_RSRC2:TGID_Y_EN: 0
; COMPUTE_PGM_RSRC2:TGID_Z_EN: 0
; COMPUTE_PGM_RSRC2:TIDIG_COMP_CNT: 1
	.section	.text._ZN12_GLOBAL__N_120softmax_warp_forwardIfffLi2ELb0ELb0ELi64EEEvPT0_PKT_iiiPKbib,"axG",@progbits,_ZN12_GLOBAL__N_120softmax_warp_forwardIfffLi2ELb0ELb0ELi64EEEvPT0_PKT_iiiPKbib,comdat
	.globl	_ZN12_GLOBAL__N_120softmax_warp_forwardIfffLi2ELb0ELb0ELi64EEEvPT0_PKT_iiiPKbib ; -- Begin function _ZN12_GLOBAL__N_120softmax_warp_forwardIfffLi2ELb0ELb0ELi64EEEvPT0_PKT_iiiPKbib
	.p2align	8
	.type	_ZN12_GLOBAL__N_120softmax_warp_forwardIfffLi2ELb0ELb0ELi64EEEvPT0_PKT_iiiPKbib,@function
_ZN12_GLOBAL__N_120softmax_warp_forwardIfffLi2ELb0ELb0ELi64EEEvPT0_PKT_iiiPKbib: ; @_ZN12_GLOBAL__N_120softmax_warp_forwardIfffLi2ELb0ELb0ELi64EEEvPT0_PKT_iiiPKbib
; %bb.0:
	s_clause 0x1
	s_load_b32 s2, s[0:1], 0x3c
	s_load_b256 s[4:11], s[0:1], 0x0
	v_bfe_u32 v1, v0, 10, 10
	v_and_b32_e32 v2, 0x3ff, v0
	v_dual_mov_b32 v5, 0xff800000 :: v_dual_mov_b32 v6, 0xff800000
	s_waitcnt lgkmcnt(0)
	s_lshr_b32 s0, s2, 16
	s_delay_alu instid0(SALU_CYCLE_1) | instskip(SKIP_2) | instid1(VALU_DEP_1)
	s_mul_i32 s15, s15, s0
	v_cmp_gt_i32_e64 s0, s10, v2
	v_add_lshl_u32 v3, s15, v1, 1
	v_mad_u64_u32 v[0:1], null, v3, s9, v[2:3]
	v_sub_nc_u32_e32 v4, s8, v3
	s_delay_alu instid0(VALU_DEP_1) | instskip(NEXT) | instid1(VALU_DEP_3)
	v_cmp_lt_i32_e32 vcc_lo, 0, v4
	v_ashrrev_i32_e32 v1, 31, v0
	s_and_b32 s2, s0, vcc_lo
	s_delay_alu instid0(VALU_DEP_1) | instskip(NEXT) | instid1(VALU_DEP_1)
	v_lshlrev_b64 v[0:1], 2, v[0:1]
	v_add_co_u32 v2, s1, s6, v0
	s_delay_alu instid0(VALU_DEP_1)
	v_add_co_ci_u32_e64 v3, s1, s7, v1, s1
	s_and_saveexec_b32 s1, s2
	s_cbranch_execz .LBB384_2
; %bb.1:
	global_load_b32 v6, v[2:3], off
.LBB384_2:
	s_or_b32 exec_lo, exec_lo, s1
	v_cmp_lt_i32_e64 s1, 1, v4
	s_delay_alu instid0(VALU_DEP_1) | instskip(NEXT) | instid1(SALU_CYCLE_1)
	s_and_b32 s1, s0, s1
	s_and_saveexec_b32 s2, s1
	s_cbranch_execz .LBB384_4
; %bb.3:
	s_mov_b32 s11, 0
	s_delay_alu instid0(SALU_CYCLE_1) | instskip(NEXT) | instid1(SALU_CYCLE_1)
	s_lshl_b64 s[6:7], s[10:11], 2
	v_add_co_u32 v2, s1, v2, s6
	s_delay_alu instid0(VALU_DEP_1)
	v_add_co_ci_u32_e64 v3, s1, s7, v3, s1
	global_load_b32 v5, v[2:3], off
.LBB384_4:
	s_or_b32 exec_lo, exec_lo, s2
	v_mbcnt_lo_u32_b32 v2, -1, 0
	s_delay_alu instid0(VALU_DEP_1) | instskip(SKIP_2) | instid1(VALU_DEP_3)
	v_and_b32_e32 v3, 28, v2
	v_xor_b32_e32 v7, 2, v2
	v_xor_b32_e32 v10, 1, v2
	v_add_nc_u32_e32 v3, 4, v3
	s_delay_alu instid0(VALU_DEP_1) | instskip(NEXT) | instid1(VALU_DEP_1)
	v_cmp_lt_i32_e64 s1, v7, v3
	v_cndmask_b32_e64 v7, v2, v7, s1
	s_delay_alu instid0(VALU_DEP_4) | instskip(NEXT) | instid1(VALU_DEP_2)
	v_cmp_lt_i32_e64 s1, v10, v3
	v_lshlrev_b32_e32 v7, 2, v7
	s_delay_alu instid0(VALU_DEP_2)
	v_cndmask_b32_e64 v2, v2, v10, s1
	s_waitcnt vmcnt(0)
	ds_bpermute_b32 v8, v7, v6
	ds_bpermute_b32 v9, v7, v5
	v_lshlrev_b32_e32 v10, 2, v2
	s_waitcnt lgkmcnt(1)
	v_cmp_lt_f32_e64 s1, v6, v8
	s_delay_alu instid0(VALU_DEP_1)
	v_cndmask_b32_e64 v2, v6, v8, s1
	s_waitcnt lgkmcnt(0)
	v_cmp_lt_f32_e64 s1, v5, v9
	ds_bpermute_b32 v8, v10, v2
	v_cndmask_b32_e64 v3, v5, v9, s1
	ds_bpermute_b32 v9, v10, v3
	s_waitcnt lgkmcnt(1)
	v_cmp_lt_f32_e64 s1, v2, v8
	s_delay_alu instid0(VALU_DEP_1) | instskip(SKIP_2) | instid1(VALU_DEP_2)
	v_cndmask_b32_e64 v2, v2, v8, s1
	s_waitcnt lgkmcnt(0)
	v_cmp_lt_f32_e64 s1, v3, v9
	v_sub_f32_e32 v2, v6, v2
	s_delay_alu instid0(VALU_DEP_2) | instskip(NEXT) | instid1(VALU_DEP_2)
	v_cndmask_b32_e64 v3, v3, v9, s1
	v_cmp_ngt_f32_e64 s1, 0xc2ce8ed0, v2
	s_delay_alu instid0(VALU_DEP_2) | instskip(NEXT) | instid1(VALU_DEP_1)
	v_sub_f32_e32 v3, v5, v3
	v_dual_mul_f32 v5, 0x3fb8aa3b, v2 :: v_dual_mul_f32 v6, 0x3fb8aa3b, v3
	s_delay_alu instid0(VALU_DEP_1) | instskip(SKIP_1) | instid1(VALU_DEP_3)
	v_fma_f32 v8, 0x3fb8aa3b, v2, -v5
	v_rndne_f32_e32 v9, v5
	v_fma_f32 v11, 0x3fb8aa3b, v3, -v6
	v_rndne_f32_e32 v12, v6
	s_delay_alu instid0(VALU_DEP_2) | instskip(NEXT) | instid1(VALU_DEP_2)
	v_dual_fmac_f32 v8, 0x32a5705f, v2 :: v_dual_fmac_f32 v11, 0x32a5705f, v3
	v_dual_sub_f32 v6, v6, v12 :: v_dual_sub_f32 v5, v5, v9
	s_delay_alu instid0(VALU_DEP_1) | instskip(SKIP_2) | instid1(VALU_DEP_3)
	v_dual_add_f32 v6, v6, v11 :: v_dual_add_f32 v5, v5, v8
	v_cvt_i32_f32_e32 v8, v9
	v_cvt_i32_f32_e32 v9, v12
	v_exp_f32_e32 v6, v6
	s_delay_alu instid0(VALU_DEP_3) | instskip(SKIP_3) | instid1(VALU_DEP_1)
	v_exp_f32_e32 v5, v5
	s_waitcnt_depctr 0xfff
	v_ldexp_f32 v6, v6, v9
	v_ldexp_f32 v5, v5, v8
	v_cndmask_b32_e64 v5, 0, v5, s1
	v_cmp_ngt_f32_e64 s1, 0xc2ce8ed0, v3
	s_delay_alu instid0(VALU_DEP_1) | instskip(SKIP_1) | instid1(VALU_DEP_1)
	v_cndmask_b32_e64 v8, 0, v6, s1
	v_cmp_nlt_f32_e64 s1, 0x42b17218, v2
	v_cndmask_b32_e64 v6, 0x7f800000, v5, s1
	v_cmp_nlt_f32_e64 s1, 0x42b17218, v3
	ds_bpermute_b32 v3, v7, v6
	v_cndmask_b32_e64 v2, 0x7f800000, v8, s1
	ds_bpermute_b32 v5, v7, v2
	s_waitcnt lgkmcnt(1)
	v_add_f32_e32 v7, v6, v3
	ds_bpermute_b32 v8, v10, v7
	s_waitcnt lgkmcnt(1)
	v_add_f32_e32 v3, v2, v5
	ds_bpermute_b32 v5, v10, v3
	s_and_saveexec_b32 s1, vcc_lo
	s_cbranch_execz .LBB384_10
; %bb.5:
	v_add_co_u32 v0, vcc_lo, s4, v0
	v_add_co_ci_u32_e32 v1, vcc_lo, s5, v1, vcc_lo
	s_and_saveexec_b32 s1, s0
	s_cbranch_execz .LBB384_7
; %bb.6:
	s_waitcnt lgkmcnt(1)
	v_add_f32_e32 v7, v7, v8
	s_delay_alu instid0(VALU_DEP_1) | instskip(NEXT) | instid1(VALU_DEP_1)
	v_div_scale_f32 v8, null, v7, v7, v6
	v_rcp_f32_e32 v9, v8
	s_waitcnt_depctr 0xfff
	v_fma_f32 v10, -v8, v9, 1.0
	s_delay_alu instid0(VALU_DEP_1) | instskip(SKIP_1) | instid1(VALU_DEP_1)
	v_fmac_f32_e32 v9, v10, v9
	v_div_scale_f32 v10, vcc_lo, v6, v7, v6
	v_mul_f32_e32 v11, v10, v9
	s_delay_alu instid0(VALU_DEP_1) | instskip(NEXT) | instid1(VALU_DEP_1)
	v_fma_f32 v12, -v8, v11, v10
	v_fmac_f32_e32 v11, v12, v9
	s_delay_alu instid0(VALU_DEP_1) | instskip(NEXT) | instid1(VALU_DEP_1)
	v_fma_f32 v8, -v8, v11, v10
	v_div_fmas_f32 v8, v8, v9, v11
	v_cmp_neq_f32_e32 vcc_lo, 0, v7
	s_delay_alu instid0(VALU_DEP_2) | instskip(NEXT) | instid1(VALU_DEP_1)
	v_div_fixup_f32 v6, v8, v7, v6
	v_cndmask_b32_e32 v6, 0x7fc00000, v6, vcc_lo
	global_store_b32 v[0:1], v6, off
.LBB384_7:
	s_or_b32 exec_lo, exec_lo, s1
	v_cmp_ne_u32_e32 vcc_lo, 1, v4
	s_and_b32 exec_lo, exec_lo, vcc_lo
	s_cbranch_execz .LBB384_10
; %bb.8:
	s_and_b32 exec_lo, exec_lo, s0
	s_cbranch_execz .LBB384_10
; %bb.9:
	s_waitcnt lgkmcnt(0)
	v_add_f32_e32 v3, v3, v5
	s_mov_b32 s11, 0
	s_delay_alu instid0(SALU_CYCLE_1) | instskip(NEXT) | instid1(VALU_DEP_1)
	s_lshl_b64 s[0:1], s[10:11], 2
	v_div_scale_f32 v4, null, v3, v3, v2
	v_div_scale_f32 v7, vcc_lo, v2, v3, v2
	s_delay_alu instid0(VALU_DEP_2) | instskip(SKIP_2) | instid1(VALU_DEP_1)
	v_rcp_f32_e32 v5, v4
	s_waitcnt_depctr 0xfff
	v_fma_f32 v6, -v4, v5, 1.0
	v_fmac_f32_e32 v5, v6, v5
	s_delay_alu instid0(VALU_DEP_1) | instskip(NEXT) | instid1(VALU_DEP_1)
	v_mul_f32_e32 v6, v7, v5
	v_fma_f32 v8, -v4, v6, v7
	s_delay_alu instid0(VALU_DEP_1) | instskip(NEXT) | instid1(VALU_DEP_1)
	v_fmac_f32_e32 v6, v8, v5
	v_fma_f32 v4, -v4, v6, v7
	s_delay_alu instid0(VALU_DEP_1) | instskip(SKIP_2) | instid1(VALU_DEP_3)
	v_div_fmas_f32 v4, v4, v5, v6
	v_add_co_u32 v0, vcc_lo, v0, s0
	v_add_co_ci_u32_e32 v1, vcc_lo, s1, v1, vcc_lo
	v_div_fixup_f32 v2, v4, v3, v2
	v_cmp_neq_f32_e32 vcc_lo, 0, v3
	s_delay_alu instid0(VALU_DEP_2)
	v_cndmask_b32_e32 v2, 0x7fc00000, v2, vcc_lo
	global_store_b32 v[0:1], v2, off
.LBB384_10:
	s_nop 0
	s_sendmsg sendmsg(MSG_DEALLOC_VGPRS)
	s_endpgm
	.section	.rodata,"a",@progbits
	.p2align	6, 0x0
	.amdhsa_kernel _ZN12_GLOBAL__N_120softmax_warp_forwardIfffLi2ELb0ELb0ELi64EEEvPT0_PKT_iiiPKbib
		.amdhsa_group_segment_fixed_size 0
		.amdhsa_private_segment_fixed_size 0
		.amdhsa_kernarg_size 304
		.amdhsa_user_sgpr_count 15
		.amdhsa_user_sgpr_dispatch_ptr 0
		.amdhsa_user_sgpr_queue_ptr 0
		.amdhsa_user_sgpr_kernarg_segment_ptr 1
		.amdhsa_user_sgpr_dispatch_id 0
		.amdhsa_user_sgpr_private_segment_size 0
		.amdhsa_wavefront_size32 1
		.amdhsa_uses_dynamic_stack 0
		.amdhsa_enable_private_segment 0
		.amdhsa_system_sgpr_workgroup_id_x 1
		.amdhsa_system_sgpr_workgroup_id_y 0
		.amdhsa_system_sgpr_workgroup_id_z 0
		.amdhsa_system_sgpr_workgroup_info 0
		.amdhsa_system_vgpr_workitem_id 1
		.amdhsa_next_free_vgpr 13
		.amdhsa_next_free_sgpr 16
		.amdhsa_reserve_vcc 1
		.amdhsa_float_round_mode_32 0
		.amdhsa_float_round_mode_16_64 0
		.amdhsa_float_denorm_mode_32 3
		.amdhsa_float_denorm_mode_16_64 3
		.amdhsa_dx10_clamp 1
		.amdhsa_ieee_mode 1
		.amdhsa_fp16_overflow 0
		.amdhsa_workgroup_processor_mode 1
		.amdhsa_memory_ordered 1
		.amdhsa_forward_progress 0
		.amdhsa_shared_vgpr_count 0
		.amdhsa_exception_fp_ieee_invalid_op 0
		.amdhsa_exception_fp_denorm_src 0
		.amdhsa_exception_fp_ieee_div_zero 0
		.amdhsa_exception_fp_ieee_overflow 0
		.amdhsa_exception_fp_ieee_underflow 0
		.amdhsa_exception_fp_ieee_inexact 0
		.amdhsa_exception_int_div_zero 0
	.end_amdhsa_kernel
	.section	.text._ZN12_GLOBAL__N_120softmax_warp_forwardIfffLi2ELb0ELb0ELi64EEEvPT0_PKT_iiiPKbib,"axG",@progbits,_ZN12_GLOBAL__N_120softmax_warp_forwardIfffLi2ELb0ELb0ELi64EEEvPT0_PKT_iiiPKbib,comdat
.Lfunc_end384:
	.size	_ZN12_GLOBAL__N_120softmax_warp_forwardIfffLi2ELb0ELb0ELi64EEEvPT0_PKT_iiiPKbib, .Lfunc_end384-_ZN12_GLOBAL__N_120softmax_warp_forwardIfffLi2ELb0ELb0ELi64EEEvPT0_PKT_iiiPKbib
                                        ; -- End function
	.section	.AMDGPU.csdata,"",@progbits
; Kernel info:
; codeLenInByte = 1048
; NumSgprs: 18
; NumVgprs: 13
; ScratchSize: 0
; MemoryBound: 0
; FloatMode: 240
; IeeeMode: 1
; LDSByteSize: 0 bytes/workgroup (compile time only)
; SGPRBlocks: 2
; VGPRBlocks: 1
; NumSGPRsForWavesPerEU: 18
; NumVGPRsForWavesPerEU: 13
; Occupancy: 16
; WaveLimiterHint : 0
; COMPUTE_PGM_RSRC2:SCRATCH_EN: 0
; COMPUTE_PGM_RSRC2:USER_SGPR: 15
; COMPUTE_PGM_RSRC2:TRAP_HANDLER: 0
; COMPUTE_PGM_RSRC2:TGID_X_EN: 1
; COMPUTE_PGM_RSRC2:TGID_Y_EN: 0
; COMPUTE_PGM_RSRC2:TGID_Z_EN: 0
; COMPUTE_PGM_RSRC2:TIDIG_COMP_CNT: 1
	.section	.text._ZN12_GLOBAL__N_120softmax_warp_forwardIfffLi2ELb0ELb0ELi32EEEvPT0_PKT_iiiPKbib,"axG",@progbits,_ZN12_GLOBAL__N_120softmax_warp_forwardIfffLi2ELb0ELb0ELi32EEEvPT0_PKT_iiiPKbib,comdat
	.globl	_ZN12_GLOBAL__N_120softmax_warp_forwardIfffLi2ELb0ELb0ELi32EEEvPT0_PKT_iiiPKbib ; -- Begin function _ZN12_GLOBAL__N_120softmax_warp_forwardIfffLi2ELb0ELb0ELi32EEEvPT0_PKT_iiiPKbib
	.p2align	8
	.type	_ZN12_GLOBAL__N_120softmax_warp_forwardIfffLi2ELb0ELb0ELi32EEEvPT0_PKT_iiiPKbib,@function
_ZN12_GLOBAL__N_120softmax_warp_forwardIfffLi2ELb0ELb0ELi32EEEvPT0_PKT_iiiPKbib: ; @_ZN12_GLOBAL__N_120softmax_warp_forwardIfffLi2ELb0ELb0ELi32EEEvPT0_PKT_iiiPKbib
; %bb.0:
	s_clause 0x1
	s_load_b32 s2, s[0:1], 0x3c
	s_load_b256 s[4:11], s[0:1], 0x0
	v_bfe_u32 v1, v0, 10, 10
	v_and_b32_e32 v2, 0x3ff, v0
	v_dual_mov_b32 v5, 0xff800000 :: v_dual_mov_b32 v6, 0xff800000
	s_waitcnt lgkmcnt(0)
	s_lshr_b32 s0, s2, 16
	s_delay_alu instid0(SALU_CYCLE_1) | instskip(SKIP_2) | instid1(VALU_DEP_1)
	s_mul_i32 s15, s15, s0
	v_cmp_gt_i32_e64 s0, s10, v2
	v_add_lshl_u32 v3, s15, v1, 1
	v_mad_u64_u32 v[0:1], null, v3, s9, v[2:3]
	v_sub_nc_u32_e32 v4, s8, v3
	s_delay_alu instid0(VALU_DEP_1) | instskip(NEXT) | instid1(VALU_DEP_3)
	v_cmp_lt_i32_e32 vcc_lo, 0, v4
	v_ashrrev_i32_e32 v1, 31, v0
	s_and_b32 s2, s0, vcc_lo
	s_delay_alu instid0(VALU_DEP_1) | instskip(NEXT) | instid1(VALU_DEP_1)
	v_lshlrev_b64 v[0:1], 2, v[0:1]
	v_add_co_u32 v2, s1, s6, v0
	s_delay_alu instid0(VALU_DEP_1)
	v_add_co_ci_u32_e64 v3, s1, s7, v1, s1
	s_and_saveexec_b32 s1, s2
	s_cbranch_execz .LBB385_2
; %bb.1:
	global_load_b32 v6, v[2:3], off
.LBB385_2:
	s_or_b32 exec_lo, exec_lo, s1
	v_cmp_lt_i32_e64 s1, 1, v4
	s_delay_alu instid0(VALU_DEP_1) | instskip(NEXT) | instid1(SALU_CYCLE_1)
	s_and_b32 s1, s0, s1
	s_and_saveexec_b32 s2, s1
	s_cbranch_execz .LBB385_4
; %bb.3:
	s_mov_b32 s11, 0
	s_delay_alu instid0(SALU_CYCLE_1) | instskip(NEXT) | instid1(SALU_CYCLE_1)
	s_lshl_b64 s[6:7], s[10:11], 2
	v_add_co_u32 v2, s1, v2, s6
	s_delay_alu instid0(VALU_DEP_1)
	v_add_co_ci_u32_e64 v3, s1, s7, v3, s1
	global_load_b32 v5, v[2:3], off
.LBB385_4:
	s_or_b32 exec_lo, exec_lo, s2
	v_mbcnt_lo_u32_b32 v2, -1, 0
	s_delay_alu instid0(VALU_DEP_1) | instskip(SKIP_2) | instid1(VALU_DEP_3)
	v_and_b32_e32 v3, 28, v2
	v_xor_b32_e32 v7, 2, v2
	v_xor_b32_e32 v10, 1, v2
	v_add_nc_u32_e32 v3, 4, v3
	s_delay_alu instid0(VALU_DEP_1) | instskip(NEXT) | instid1(VALU_DEP_1)
	v_cmp_lt_i32_e64 s1, v7, v3
	v_cndmask_b32_e64 v7, v2, v7, s1
	s_delay_alu instid0(VALU_DEP_4) | instskip(NEXT) | instid1(VALU_DEP_2)
	v_cmp_lt_i32_e64 s1, v10, v3
	v_lshlrev_b32_e32 v7, 2, v7
	s_delay_alu instid0(VALU_DEP_2)
	v_cndmask_b32_e64 v2, v2, v10, s1
	s_waitcnt vmcnt(0)
	ds_bpermute_b32 v8, v7, v6
	ds_bpermute_b32 v9, v7, v5
	v_lshlrev_b32_e32 v10, 2, v2
	s_waitcnt lgkmcnt(1)
	v_cmp_lt_f32_e64 s1, v6, v8
	s_delay_alu instid0(VALU_DEP_1)
	v_cndmask_b32_e64 v2, v6, v8, s1
	s_waitcnt lgkmcnt(0)
	v_cmp_lt_f32_e64 s1, v5, v9
	ds_bpermute_b32 v8, v10, v2
	v_cndmask_b32_e64 v3, v5, v9, s1
	ds_bpermute_b32 v9, v10, v3
	s_waitcnt lgkmcnt(1)
	v_cmp_lt_f32_e64 s1, v2, v8
	s_delay_alu instid0(VALU_DEP_1) | instskip(SKIP_2) | instid1(VALU_DEP_2)
	v_cndmask_b32_e64 v2, v2, v8, s1
	s_waitcnt lgkmcnt(0)
	v_cmp_lt_f32_e64 s1, v3, v9
	v_sub_f32_e32 v2, v6, v2
	s_delay_alu instid0(VALU_DEP_2) | instskip(NEXT) | instid1(VALU_DEP_2)
	v_cndmask_b32_e64 v3, v3, v9, s1
	v_cmp_ngt_f32_e64 s1, 0xc2ce8ed0, v2
	s_delay_alu instid0(VALU_DEP_2) | instskip(NEXT) | instid1(VALU_DEP_1)
	v_sub_f32_e32 v3, v5, v3
	v_dual_mul_f32 v5, 0x3fb8aa3b, v2 :: v_dual_mul_f32 v6, 0x3fb8aa3b, v3
	s_delay_alu instid0(VALU_DEP_1) | instskip(SKIP_1) | instid1(VALU_DEP_3)
	v_fma_f32 v8, 0x3fb8aa3b, v2, -v5
	v_rndne_f32_e32 v9, v5
	v_fma_f32 v11, 0x3fb8aa3b, v3, -v6
	v_rndne_f32_e32 v12, v6
	s_delay_alu instid0(VALU_DEP_2) | instskip(NEXT) | instid1(VALU_DEP_2)
	v_dual_fmac_f32 v8, 0x32a5705f, v2 :: v_dual_fmac_f32 v11, 0x32a5705f, v3
	v_dual_sub_f32 v6, v6, v12 :: v_dual_sub_f32 v5, v5, v9
	s_delay_alu instid0(VALU_DEP_1) | instskip(SKIP_2) | instid1(VALU_DEP_3)
	v_dual_add_f32 v6, v6, v11 :: v_dual_add_f32 v5, v5, v8
	v_cvt_i32_f32_e32 v8, v9
	v_cvt_i32_f32_e32 v9, v12
	v_exp_f32_e32 v6, v6
	s_delay_alu instid0(VALU_DEP_3) | instskip(SKIP_3) | instid1(VALU_DEP_1)
	v_exp_f32_e32 v5, v5
	s_waitcnt_depctr 0xfff
	v_ldexp_f32 v6, v6, v9
	v_ldexp_f32 v5, v5, v8
	v_cndmask_b32_e64 v5, 0, v5, s1
	v_cmp_ngt_f32_e64 s1, 0xc2ce8ed0, v3
	s_delay_alu instid0(VALU_DEP_1) | instskip(SKIP_1) | instid1(VALU_DEP_1)
	v_cndmask_b32_e64 v8, 0, v6, s1
	v_cmp_nlt_f32_e64 s1, 0x42b17218, v2
	v_cndmask_b32_e64 v6, 0x7f800000, v5, s1
	v_cmp_nlt_f32_e64 s1, 0x42b17218, v3
	ds_bpermute_b32 v3, v7, v6
	v_cndmask_b32_e64 v2, 0x7f800000, v8, s1
	ds_bpermute_b32 v5, v7, v2
	s_waitcnt lgkmcnt(1)
	v_add_f32_e32 v7, v6, v3
	ds_bpermute_b32 v8, v10, v7
	s_waitcnt lgkmcnt(1)
	v_add_f32_e32 v3, v2, v5
	ds_bpermute_b32 v5, v10, v3
	s_and_saveexec_b32 s1, vcc_lo
	s_cbranch_execz .LBB385_10
; %bb.5:
	v_add_co_u32 v0, vcc_lo, s4, v0
	v_add_co_ci_u32_e32 v1, vcc_lo, s5, v1, vcc_lo
	s_and_saveexec_b32 s1, s0
	s_cbranch_execz .LBB385_7
; %bb.6:
	s_waitcnt lgkmcnt(1)
	v_add_f32_e32 v7, v7, v8
	s_delay_alu instid0(VALU_DEP_1) | instskip(NEXT) | instid1(VALU_DEP_1)
	v_div_scale_f32 v8, null, v7, v7, v6
	v_rcp_f32_e32 v9, v8
	s_waitcnt_depctr 0xfff
	v_fma_f32 v10, -v8, v9, 1.0
	s_delay_alu instid0(VALU_DEP_1) | instskip(SKIP_1) | instid1(VALU_DEP_1)
	v_fmac_f32_e32 v9, v10, v9
	v_div_scale_f32 v10, vcc_lo, v6, v7, v6
	v_mul_f32_e32 v11, v10, v9
	s_delay_alu instid0(VALU_DEP_1) | instskip(NEXT) | instid1(VALU_DEP_1)
	v_fma_f32 v12, -v8, v11, v10
	v_fmac_f32_e32 v11, v12, v9
	s_delay_alu instid0(VALU_DEP_1) | instskip(NEXT) | instid1(VALU_DEP_1)
	v_fma_f32 v8, -v8, v11, v10
	v_div_fmas_f32 v8, v8, v9, v11
	v_cmp_neq_f32_e32 vcc_lo, 0, v7
	s_delay_alu instid0(VALU_DEP_2) | instskip(NEXT) | instid1(VALU_DEP_1)
	v_div_fixup_f32 v6, v8, v7, v6
	v_cndmask_b32_e32 v6, 0x7fc00000, v6, vcc_lo
	global_store_b32 v[0:1], v6, off
.LBB385_7:
	s_or_b32 exec_lo, exec_lo, s1
	v_cmp_ne_u32_e32 vcc_lo, 1, v4
	s_and_b32 exec_lo, exec_lo, vcc_lo
	s_cbranch_execz .LBB385_10
; %bb.8:
	s_and_b32 exec_lo, exec_lo, s0
	s_cbranch_execz .LBB385_10
; %bb.9:
	s_waitcnt lgkmcnt(0)
	v_add_f32_e32 v3, v3, v5
	s_mov_b32 s11, 0
	s_delay_alu instid0(SALU_CYCLE_1) | instskip(NEXT) | instid1(VALU_DEP_1)
	s_lshl_b64 s[0:1], s[10:11], 2
	v_div_scale_f32 v4, null, v3, v3, v2
	v_div_scale_f32 v7, vcc_lo, v2, v3, v2
	s_delay_alu instid0(VALU_DEP_2) | instskip(SKIP_2) | instid1(VALU_DEP_1)
	v_rcp_f32_e32 v5, v4
	s_waitcnt_depctr 0xfff
	v_fma_f32 v6, -v4, v5, 1.0
	v_fmac_f32_e32 v5, v6, v5
	s_delay_alu instid0(VALU_DEP_1) | instskip(NEXT) | instid1(VALU_DEP_1)
	v_mul_f32_e32 v6, v7, v5
	v_fma_f32 v8, -v4, v6, v7
	s_delay_alu instid0(VALU_DEP_1) | instskip(NEXT) | instid1(VALU_DEP_1)
	v_fmac_f32_e32 v6, v8, v5
	v_fma_f32 v4, -v4, v6, v7
	s_delay_alu instid0(VALU_DEP_1) | instskip(SKIP_2) | instid1(VALU_DEP_3)
	v_div_fmas_f32 v4, v4, v5, v6
	v_add_co_u32 v0, vcc_lo, v0, s0
	v_add_co_ci_u32_e32 v1, vcc_lo, s1, v1, vcc_lo
	v_div_fixup_f32 v2, v4, v3, v2
	v_cmp_neq_f32_e32 vcc_lo, 0, v3
	s_delay_alu instid0(VALU_DEP_2)
	v_cndmask_b32_e32 v2, 0x7fc00000, v2, vcc_lo
	global_store_b32 v[0:1], v2, off
.LBB385_10:
	s_nop 0
	s_sendmsg sendmsg(MSG_DEALLOC_VGPRS)
	s_endpgm
	.section	.rodata,"a",@progbits
	.p2align	6, 0x0
	.amdhsa_kernel _ZN12_GLOBAL__N_120softmax_warp_forwardIfffLi2ELb0ELb0ELi32EEEvPT0_PKT_iiiPKbib
		.amdhsa_group_segment_fixed_size 0
		.amdhsa_private_segment_fixed_size 0
		.amdhsa_kernarg_size 304
		.amdhsa_user_sgpr_count 15
		.amdhsa_user_sgpr_dispatch_ptr 0
		.amdhsa_user_sgpr_queue_ptr 0
		.amdhsa_user_sgpr_kernarg_segment_ptr 1
		.amdhsa_user_sgpr_dispatch_id 0
		.amdhsa_user_sgpr_private_segment_size 0
		.amdhsa_wavefront_size32 1
		.amdhsa_uses_dynamic_stack 0
		.amdhsa_enable_private_segment 0
		.amdhsa_system_sgpr_workgroup_id_x 1
		.amdhsa_system_sgpr_workgroup_id_y 0
		.amdhsa_system_sgpr_workgroup_id_z 0
		.amdhsa_system_sgpr_workgroup_info 0
		.amdhsa_system_vgpr_workitem_id 1
		.amdhsa_next_free_vgpr 13
		.amdhsa_next_free_sgpr 16
		.amdhsa_reserve_vcc 1
		.amdhsa_float_round_mode_32 0
		.amdhsa_float_round_mode_16_64 0
		.amdhsa_float_denorm_mode_32 3
		.amdhsa_float_denorm_mode_16_64 3
		.amdhsa_dx10_clamp 1
		.amdhsa_ieee_mode 1
		.amdhsa_fp16_overflow 0
		.amdhsa_workgroup_processor_mode 1
		.amdhsa_memory_ordered 1
		.amdhsa_forward_progress 0
		.amdhsa_shared_vgpr_count 0
		.amdhsa_exception_fp_ieee_invalid_op 0
		.amdhsa_exception_fp_denorm_src 0
		.amdhsa_exception_fp_ieee_div_zero 0
		.amdhsa_exception_fp_ieee_overflow 0
		.amdhsa_exception_fp_ieee_underflow 0
		.amdhsa_exception_fp_ieee_inexact 0
		.amdhsa_exception_int_div_zero 0
	.end_amdhsa_kernel
	.section	.text._ZN12_GLOBAL__N_120softmax_warp_forwardIfffLi2ELb0ELb0ELi32EEEvPT0_PKT_iiiPKbib,"axG",@progbits,_ZN12_GLOBAL__N_120softmax_warp_forwardIfffLi2ELb0ELb0ELi32EEEvPT0_PKT_iiiPKbib,comdat
.Lfunc_end385:
	.size	_ZN12_GLOBAL__N_120softmax_warp_forwardIfffLi2ELb0ELb0ELi32EEEvPT0_PKT_iiiPKbib, .Lfunc_end385-_ZN12_GLOBAL__N_120softmax_warp_forwardIfffLi2ELb0ELb0ELi32EEEvPT0_PKT_iiiPKbib
                                        ; -- End function
	.section	.AMDGPU.csdata,"",@progbits
; Kernel info:
; codeLenInByte = 1048
; NumSgprs: 18
; NumVgprs: 13
; ScratchSize: 0
; MemoryBound: 0
; FloatMode: 240
; IeeeMode: 1
; LDSByteSize: 0 bytes/workgroup (compile time only)
; SGPRBlocks: 2
; VGPRBlocks: 1
; NumSGPRsForWavesPerEU: 18
; NumVGPRsForWavesPerEU: 13
; Occupancy: 16
; WaveLimiterHint : 0
; COMPUTE_PGM_RSRC2:SCRATCH_EN: 0
; COMPUTE_PGM_RSRC2:USER_SGPR: 15
; COMPUTE_PGM_RSRC2:TRAP_HANDLER: 0
; COMPUTE_PGM_RSRC2:TGID_X_EN: 1
; COMPUTE_PGM_RSRC2:TGID_Y_EN: 0
; COMPUTE_PGM_RSRC2:TGID_Z_EN: 0
; COMPUTE_PGM_RSRC2:TIDIG_COMP_CNT: 1
	.section	.text._ZN12_GLOBAL__N_120softmax_warp_forwardIfffLi3ELb0ELb0ELi64EEEvPT0_PKT_iiiPKbib,"axG",@progbits,_ZN12_GLOBAL__N_120softmax_warp_forwardIfffLi3ELb0ELb0ELi64EEEvPT0_PKT_iiiPKbib,comdat
	.globl	_ZN12_GLOBAL__N_120softmax_warp_forwardIfffLi3ELb0ELb0ELi64EEEvPT0_PKT_iiiPKbib ; -- Begin function _ZN12_GLOBAL__N_120softmax_warp_forwardIfffLi3ELb0ELb0ELi64EEEvPT0_PKT_iiiPKbib
	.p2align	8
	.type	_ZN12_GLOBAL__N_120softmax_warp_forwardIfffLi3ELb0ELb0ELi64EEEvPT0_PKT_iiiPKbib,@function
_ZN12_GLOBAL__N_120softmax_warp_forwardIfffLi3ELb0ELb0ELi64EEEvPT0_PKT_iiiPKbib: ; @_ZN12_GLOBAL__N_120softmax_warp_forwardIfffLi3ELb0ELb0ELi64EEEvPT0_PKT_iiiPKbib
; %bb.0:
	s_clause 0x1
	s_load_b32 s2, s[0:1], 0x3c
	s_load_b256 s[4:11], s[0:1], 0x0
	v_bfe_u32 v1, v0, 10, 10
	v_and_b32_e32 v2, 0x3ff, v0
	v_dual_mov_b32 v5, 0xff800000 :: v_dual_mov_b32 v6, 0xff800000
	s_waitcnt lgkmcnt(0)
	s_lshr_b32 s0, s2, 16
	s_delay_alu instid0(SALU_CYCLE_1) | instskip(SKIP_2) | instid1(VALU_DEP_1)
	s_mul_i32 s15, s15, s0
	v_cmp_gt_i32_e64 s0, s10, v2
	v_add_lshl_u32 v3, s15, v1, 1
	v_mad_u64_u32 v[0:1], null, v3, s9, v[2:3]
	v_sub_nc_u32_e32 v4, s8, v3
	s_delay_alu instid0(VALU_DEP_1) | instskip(NEXT) | instid1(VALU_DEP_3)
	v_cmp_lt_i32_e32 vcc_lo, 0, v4
	v_ashrrev_i32_e32 v1, 31, v0
	s_and_b32 s2, s0, vcc_lo
	s_delay_alu instid0(VALU_DEP_1) | instskip(NEXT) | instid1(VALU_DEP_1)
	v_lshlrev_b64 v[0:1], 2, v[0:1]
	v_add_co_u32 v2, s1, s6, v0
	s_delay_alu instid0(VALU_DEP_1)
	v_add_co_ci_u32_e64 v3, s1, s7, v1, s1
	s_and_saveexec_b32 s1, s2
	s_cbranch_execz .LBB386_2
; %bb.1:
	global_load_b32 v6, v[2:3], off
.LBB386_2:
	s_or_b32 exec_lo, exec_lo, s1
	v_cmp_lt_i32_e64 s1, 1, v4
	s_delay_alu instid0(VALU_DEP_1) | instskip(NEXT) | instid1(SALU_CYCLE_1)
	s_and_b32 s1, s0, s1
	s_and_saveexec_b32 s2, s1
	s_cbranch_execz .LBB386_4
; %bb.3:
	s_mov_b32 s11, 0
	s_delay_alu instid0(SALU_CYCLE_1) | instskip(NEXT) | instid1(SALU_CYCLE_1)
	s_lshl_b64 s[6:7], s[10:11], 2
	v_add_co_u32 v2, s1, v2, s6
	s_delay_alu instid0(VALU_DEP_1)
	v_add_co_ci_u32_e64 v3, s1, s7, v3, s1
	global_load_b32 v5, v[2:3], off
.LBB386_4:
	s_or_b32 exec_lo, exec_lo, s2
	v_mbcnt_lo_u32_b32 v2, -1, 0
	s_delay_alu instid0(VALU_DEP_1) | instskip(SKIP_3) | instid1(VALU_DEP_4)
	v_and_b32_e32 v3, 24, v2
	v_xor_b32_e32 v7, 4, v2
	v_xor_b32_e32 v10, 2, v2
	v_xor_b32_e32 v13, 1, v2
	v_add_nc_u32_e32 v3, 8, v3
	s_delay_alu instid0(VALU_DEP_1) | instskip(NEXT) | instid1(VALU_DEP_1)
	v_cmp_lt_i32_e64 s1, v7, v3
	v_cndmask_b32_e64 v7, v2, v7, s1
	v_cmp_lt_i32_e64 s1, v10, v3
	s_delay_alu instid0(VALU_DEP_2) | instskip(NEXT) | instid1(VALU_DEP_2)
	v_lshlrev_b32_e32 v7, 2, v7
	v_cndmask_b32_e64 v10, v2, v10, s1
	s_waitcnt vmcnt(0)
	ds_bpermute_b32 v8, v7, v6
	ds_bpermute_b32 v9, v7, v5
	v_lshlrev_b32_e32 v10, 2, v10
	s_waitcnt lgkmcnt(1)
	v_cmp_lt_f32_e64 s1, v6, v8
	s_delay_alu instid0(VALU_DEP_1)
	v_cndmask_b32_e64 v8, v6, v8, s1
	s_waitcnt lgkmcnt(0)
	v_cmp_lt_f32_e64 s1, v5, v9
	ds_bpermute_b32 v11, v10, v8
	v_cndmask_b32_e64 v9, v5, v9, s1
	v_cmp_lt_i32_e64 s1, v13, v3
	ds_bpermute_b32 v12, v10, v9
	v_cndmask_b32_e64 v2, v2, v13, s1
	s_delay_alu instid0(VALU_DEP_1) | instskip(SKIP_2) | instid1(VALU_DEP_1)
	v_lshlrev_b32_e32 v13, 2, v2
	s_waitcnt lgkmcnt(1)
	v_cmp_lt_f32_e64 s1, v8, v11
	v_cndmask_b32_e64 v2, v8, v11, s1
	s_waitcnt lgkmcnt(0)
	v_cmp_lt_f32_e64 s1, v9, v12
	ds_bpermute_b32 v8, v13, v2
	v_cndmask_b32_e64 v3, v9, v12, s1
	ds_bpermute_b32 v9, v13, v3
	s_waitcnt lgkmcnt(1)
	v_cmp_lt_f32_e64 s1, v2, v8
	s_delay_alu instid0(VALU_DEP_1) | instskip(SKIP_2) | instid1(VALU_DEP_2)
	v_cndmask_b32_e64 v2, v2, v8, s1
	s_waitcnt lgkmcnt(0)
	v_cmp_lt_f32_e64 s1, v3, v9
	v_sub_f32_e32 v2, v6, v2
	s_delay_alu instid0(VALU_DEP_2) | instskip(NEXT) | instid1(VALU_DEP_2)
	v_cndmask_b32_e64 v3, v3, v9, s1
	v_cmp_ngt_f32_e64 s1, 0xc2ce8ed0, v2
	s_delay_alu instid0(VALU_DEP_2) | instskip(NEXT) | instid1(VALU_DEP_1)
	v_sub_f32_e32 v3, v5, v3
	v_mul_f32_e32 v6, 0x3fb8aa3b, v3
	s_delay_alu instid0(VALU_DEP_1) | instskip(SKIP_1) | instid1(VALU_DEP_1)
	v_fma_f32 v11, 0x3fb8aa3b, v3, -v6
	v_rndne_f32_e32 v12, v6
	v_dual_fmac_f32 v11, 0x32a5705f, v3 :: v_dual_sub_f32 v6, v6, v12
	s_delay_alu instid0(VALU_DEP_1) | instskip(NEXT) | instid1(VALU_DEP_1)
	v_dual_mul_f32 v5, 0x3fb8aa3b, v2 :: v_dual_add_f32 v6, v6, v11
	v_fma_f32 v8, 0x3fb8aa3b, v2, -v5
	v_rndne_f32_e32 v9, v5
	s_delay_alu instid0(VALU_DEP_3) | instskip(NEXT) | instid1(VALU_DEP_1)
	v_exp_f32_e32 v6, v6
	v_dual_fmac_f32 v8, 0x32a5705f, v2 :: v_dual_sub_f32 v5, v5, v9
	s_delay_alu instid0(VALU_DEP_1) | instskip(SKIP_2) | instid1(VALU_DEP_3)
	v_add_f32_e32 v5, v5, v8
	v_cvt_i32_f32_e32 v8, v9
	v_cvt_i32_f32_e32 v9, v12
	v_exp_f32_e32 v5, v5
	s_waitcnt_depctr 0xfff
	v_ldexp_f32 v6, v6, v9
	v_ldexp_f32 v5, v5, v8
	s_delay_alu instid0(VALU_DEP_1) | instskip(SKIP_1) | instid1(VALU_DEP_1)
	v_cndmask_b32_e64 v5, 0, v5, s1
	v_cmp_ngt_f32_e64 s1, 0xc2ce8ed0, v3
	v_cndmask_b32_e64 v8, 0, v6, s1
	v_cmp_nlt_f32_e64 s1, 0x42b17218, v2
	s_delay_alu instid0(VALU_DEP_1)
	v_cndmask_b32_e64 v6, 0x7f800000, v5, s1
	v_cmp_nlt_f32_e64 s1, 0x42b17218, v3
	ds_bpermute_b32 v3, v7, v6
	v_cndmask_b32_e64 v2, 0x7f800000, v8, s1
	ds_bpermute_b32 v5, v7, v2
	s_waitcnt lgkmcnt(1)
	v_add_f32_e32 v3, v6, v3
	ds_bpermute_b32 v7, v10, v3
	s_waitcnt lgkmcnt(1)
	v_add_f32_e32 v5, v2, v5
	;; [unrolled: 3-line block ×3, first 2 shown]
	s_waitcnt lgkmcnt(0)
	v_add_f32_e32 v3, v5, v8
	ds_bpermute_b32 v8, v13, v7
	ds_bpermute_b32 v5, v13, v3
	s_and_saveexec_b32 s1, vcc_lo
	s_cbranch_execz .LBB386_10
; %bb.5:
	v_add_co_u32 v0, vcc_lo, s4, v0
	v_add_co_ci_u32_e32 v1, vcc_lo, s5, v1, vcc_lo
	s_and_saveexec_b32 s1, s0
	s_cbranch_execz .LBB386_7
; %bb.6:
	s_waitcnt lgkmcnt(1)
	v_add_f32_e32 v7, v7, v8
	s_delay_alu instid0(VALU_DEP_1) | instskip(NEXT) | instid1(VALU_DEP_1)
	v_div_scale_f32 v8, null, v7, v7, v6
	v_rcp_f32_e32 v9, v8
	s_waitcnt_depctr 0xfff
	v_fma_f32 v10, -v8, v9, 1.0
	s_delay_alu instid0(VALU_DEP_1) | instskip(SKIP_1) | instid1(VALU_DEP_1)
	v_fmac_f32_e32 v9, v10, v9
	v_div_scale_f32 v10, vcc_lo, v6, v7, v6
	v_mul_f32_e32 v11, v10, v9
	s_delay_alu instid0(VALU_DEP_1) | instskip(NEXT) | instid1(VALU_DEP_1)
	v_fma_f32 v12, -v8, v11, v10
	v_fmac_f32_e32 v11, v12, v9
	s_delay_alu instid0(VALU_DEP_1) | instskip(NEXT) | instid1(VALU_DEP_1)
	v_fma_f32 v8, -v8, v11, v10
	v_div_fmas_f32 v8, v8, v9, v11
	v_cmp_neq_f32_e32 vcc_lo, 0, v7
	s_delay_alu instid0(VALU_DEP_2) | instskip(NEXT) | instid1(VALU_DEP_1)
	v_div_fixup_f32 v6, v8, v7, v6
	v_cndmask_b32_e32 v6, 0x7fc00000, v6, vcc_lo
	global_store_b32 v[0:1], v6, off
.LBB386_7:
	s_or_b32 exec_lo, exec_lo, s1
	v_cmp_ne_u32_e32 vcc_lo, 1, v4
	s_and_b32 exec_lo, exec_lo, vcc_lo
	s_cbranch_execz .LBB386_10
; %bb.8:
	s_and_b32 exec_lo, exec_lo, s0
	s_cbranch_execz .LBB386_10
; %bb.9:
	s_waitcnt lgkmcnt(0)
	v_add_f32_e32 v3, v3, v5
	s_mov_b32 s11, 0
	s_delay_alu instid0(SALU_CYCLE_1) | instskip(NEXT) | instid1(VALU_DEP_1)
	s_lshl_b64 s[0:1], s[10:11], 2
	v_div_scale_f32 v4, null, v3, v3, v2
	v_div_scale_f32 v7, vcc_lo, v2, v3, v2
	s_delay_alu instid0(VALU_DEP_2) | instskip(SKIP_2) | instid1(VALU_DEP_1)
	v_rcp_f32_e32 v5, v4
	s_waitcnt_depctr 0xfff
	v_fma_f32 v6, -v4, v5, 1.0
	v_fmac_f32_e32 v5, v6, v5
	s_delay_alu instid0(VALU_DEP_1) | instskip(NEXT) | instid1(VALU_DEP_1)
	v_mul_f32_e32 v6, v7, v5
	v_fma_f32 v8, -v4, v6, v7
	s_delay_alu instid0(VALU_DEP_1) | instskip(NEXT) | instid1(VALU_DEP_1)
	v_fmac_f32_e32 v6, v8, v5
	v_fma_f32 v4, -v4, v6, v7
	s_delay_alu instid0(VALU_DEP_1) | instskip(SKIP_2) | instid1(VALU_DEP_3)
	v_div_fmas_f32 v4, v4, v5, v6
	v_add_co_u32 v0, vcc_lo, v0, s0
	v_add_co_ci_u32_e32 v1, vcc_lo, s1, v1, vcc_lo
	v_div_fixup_f32 v2, v4, v3, v2
	v_cmp_neq_f32_e32 vcc_lo, 0, v3
	s_delay_alu instid0(VALU_DEP_2)
	v_cndmask_b32_e32 v2, 0x7fc00000, v2, vcc_lo
	global_store_b32 v[0:1], v2, off
.LBB386_10:
	s_nop 0
	s_sendmsg sendmsg(MSG_DEALLOC_VGPRS)
	s_endpgm
	.section	.rodata,"a",@progbits
	.p2align	6, 0x0
	.amdhsa_kernel _ZN12_GLOBAL__N_120softmax_warp_forwardIfffLi3ELb0ELb0ELi64EEEvPT0_PKT_iiiPKbib
		.amdhsa_group_segment_fixed_size 0
		.amdhsa_private_segment_fixed_size 0
		.amdhsa_kernarg_size 304
		.amdhsa_user_sgpr_count 15
		.amdhsa_user_sgpr_dispatch_ptr 0
		.amdhsa_user_sgpr_queue_ptr 0
		.amdhsa_user_sgpr_kernarg_segment_ptr 1
		.amdhsa_user_sgpr_dispatch_id 0
		.amdhsa_user_sgpr_private_segment_size 0
		.amdhsa_wavefront_size32 1
		.amdhsa_uses_dynamic_stack 0
		.amdhsa_enable_private_segment 0
		.amdhsa_system_sgpr_workgroup_id_x 1
		.amdhsa_system_sgpr_workgroup_id_y 0
		.amdhsa_system_sgpr_workgroup_id_z 0
		.amdhsa_system_sgpr_workgroup_info 0
		.amdhsa_system_vgpr_workitem_id 1
		.amdhsa_next_free_vgpr 14
		.amdhsa_next_free_sgpr 16
		.amdhsa_reserve_vcc 1
		.amdhsa_float_round_mode_32 0
		.amdhsa_float_round_mode_16_64 0
		.amdhsa_float_denorm_mode_32 3
		.amdhsa_float_denorm_mode_16_64 3
		.amdhsa_dx10_clamp 1
		.amdhsa_ieee_mode 1
		.amdhsa_fp16_overflow 0
		.amdhsa_workgroup_processor_mode 1
		.amdhsa_memory_ordered 1
		.amdhsa_forward_progress 0
		.amdhsa_shared_vgpr_count 0
		.amdhsa_exception_fp_ieee_invalid_op 0
		.amdhsa_exception_fp_denorm_src 0
		.amdhsa_exception_fp_ieee_div_zero 0
		.amdhsa_exception_fp_ieee_overflow 0
		.amdhsa_exception_fp_ieee_underflow 0
		.amdhsa_exception_fp_ieee_inexact 0
		.amdhsa_exception_int_div_zero 0
	.end_amdhsa_kernel
	.section	.text._ZN12_GLOBAL__N_120softmax_warp_forwardIfffLi3ELb0ELb0ELi64EEEvPT0_PKT_iiiPKbib,"axG",@progbits,_ZN12_GLOBAL__N_120softmax_warp_forwardIfffLi3ELb0ELb0ELi64EEEvPT0_PKT_iiiPKbib,comdat
.Lfunc_end386:
	.size	_ZN12_GLOBAL__N_120softmax_warp_forwardIfffLi3ELb0ELb0ELi64EEEvPT0_PKT_iiiPKbib, .Lfunc_end386-_ZN12_GLOBAL__N_120softmax_warp_forwardIfffLi3ELb0ELb0ELi64EEEvPT0_PKT_iiiPKbib
                                        ; -- End function
	.section	.AMDGPU.csdata,"",@progbits
; Kernel info:
; codeLenInByte = 1172
; NumSgprs: 18
; NumVgprs: 14
; ScratchSize: 0
; MemoryBound: 0
; FloatMode: 240
; IeeeMode: 1
; LDSByteSize: 0 bytes/workgroup (compile time only)
; SGPRBlocks: 2
; VGPRBlocks: 1
; NumSGPRsForWavesPerEU: 18
; NumVGPRsForWavesPerEU: 14
; Occupancy: 16
; WaveLimiterHint : 0
; COMPUTE_PGM_RSRC2:SCRATCH_EN: 0
; COMPUTE_PGM_RSRC2:USER_SGPR: 15
; COMPUTE_PGM_RSRC2:TRAP_HANDLER: 0
; COMPUTE_PGM_RSRC2:TGID_X_EN: 1
; COMPUTE_PGM_RSRC2:TGID_Y_EN: 0
; COMPUTE_PGM_RSRC2:TGID_Z_EN: 0
; COMPUTE_PGM_RSRC2:TIDIG_COMP_CNT: 1
	.section	.text._ZN12_GLOBAL__N_120softmax_warp_forwardIfffLi3ELb0ELb0ELi32EEEvPT0_PKT_iiiPKbib,"axG",@progbits,_ZN12_GLOBAL__N_120softmax_warp_forwardIfffLi3ELb0ELb0ELi32EEEvPT0_PKT_iiiPKbib,comdat
	.globl	_ZN12_GLOBAL__N_120softmax_warp_forwardIfffLi3ELb0ELb0ELi32EEEvPT0_PKT_iiiPKbib ; -- Begin function _ZN12_GLOBAL__N_120softmax_warp_forwardIfffLi3ELb0ELb0ELi32EEEvPT0_PKT_iiiPKbib
	.p2align	8
	.type	_ZN12_GLOBAL__N_120softmax_warp_forwardIfffLi3ELb0ELb0ELi32EEEvPT0_PKT_iiiPKbib,@function
_ZN12_GLOBAL__N_120softmax_warp_forwardIfffLi3ELb0ELb0ELi32EEEvPT0_PKT_iiiPKbib: ; @_ZN12_GLOBAL__N_120softmax_warp_forwardIfffLi3ELb0ELb0ELi32EEEvPT0_PKT_iiiPKbib
; %bb.0:
	s_clause 0x1
	s_load_b32 s2, s[0:1], 0x3c
	s_load_b256 s[4:11], s[0:1], 0x0
	v_bfe_u32 v1, v0, 10, 10
	v_and_b32_e32 v2, 0x3ff, v0
	v_dual_mov_b32 v5, 0xff800000 :: v_dual_mov_b32 v6, 0xff800000
	s_waitcnt lgkmcnt(0)
	s_lshr_b32 s0, s2, 16
	s_delay_alu instid0(SALU_CYCLE_1) | instskip(SKIP_2) | instid1(VALU_DEP_1)
	s_mul_i32 s15, s15, s0
	v_cmp_gt_i32_e64 s0, s10, v2
	v_add_lshl_u32 v3, s15, v1, 1
	v_mad_u64_u32 v[0:1], null, v3, s9, v[2:3]
	v_sub_nc_u32_e32 v4, s8, v3
	s_delay_alu instid0(VALU_DEP_1) | instskip(NEXT) | instid1(VALU_DEP_3)
	v_cmp_lt_i32_e32 vcc_lo, 0, v4
	v_ashrrev_i32_e32 v1, 31, v0
	s_and_b32 s2, s0, vcc_lo
	s_delay_alu instid0(VALU_DEP_1) | instskip(NEXT) | instid1(VALU_DEP_1)
	v_lshlrev_b64 v[0:1], 2, v[0:1]
	v_add_co_u32 v2, s1, s6, v0
	s_delay_alu instid0(VALU_DEP_1)
	v_add_co_ci_u32_e64 v3, s1, s7, v1, s1
	s_and_saveexec_b32 s1, s2
	s_cbranch_execz .LBB387_2
; %bb.1:
	global_load_b32 v6, v[2:3], off
.LBB387_2:
	s_or_b32 exec_lo, exec_lo, s1
	v_cmp_lt_i32_e64 s1, 1, v4
	s_delay_alu instid0(VALU_DEP_1) | instskip(NEXT) | instid1(SALU_CYCLE_1)
	s_and_b32 s1, s0, s1
	s_and_saveexec_b32 s2, s1
	s_cbranch_execz .LBB387_4
; %bb.3:
	s_mov_b32 s11, 0
	s_delay_alu instid0(SALU_CYCLE_1) | instskip(NEXT) | instid1(SALU_CYCLE_1)
	s_lshl_b64 s[6:7], s[10:11], 2
	v_add_co_u32 v2, s1, v2, s6
	s_delay_alu instid0(VALU_DEP_1)
	v_add_co_ci_u32_e64 v3, s1, s7, v3, s1
	global_load_b32 v5, v[2:3], off
.LBB387_4:
	s_or_b32 exec_lo, exec_lo, s2
	v_mbcnt_lo_u32_b32 v2, -1, 0
	s_delay_alu instid0(VALU_DEP_1) | instskip(SKIP_3) | instid1(VALU_DEP_4)
	v_and_b32_e32 v3, 24, v2
	v_xor_b32_e32 v7, 4, v2
	v_xor_b32_e32 v10, 2, v2
	v_xor_b32_e32 v13, 1, v2
	v_add_nc_u32_e32 v3, 8, v3
	s_delay_alu instid0(VALU_DEP_1) | instskip(NEXT) | instid1(VALU_DEP_1)
	v_cmp_lt_i32_e64 s1, v7, v3
	v_cndmask_b32_e64 v7, v2, v7, s1
	v_cmp_lt_i32_e64 s1, v10, v3
	s_delay_alu instid0(VALU_DEP_2) | instskip(NEXT) | instid1(VALU_DEP_2)
	v_lshlrev_b32_e32 v7, 2, v7
	v_cndmask_b32_e64 v10, v2, v10, s1
	s_waitcnt vmcnt(0)
	ds_bpermute_b32 v8, v7, v6
	ds_bpermute_b32 v9, v7, v5
	v_lshlrev_b32_e32 v10, 2, v10
	s_waitcnt lgkmcnt(1)
	v_cmp_lt_f32_e64 s1, v6, v8
	s_delay_alu instid0(VALU_DEP_1)
	v_cndmask_b32_e64 v8, v6, v8, s1
	s_waitcnt lgkmcnt(0)
	v_cmp_lt_f32_e64 s1, v5, v9
	ds_bpermute_b32 v11, v10, v8
	v_cndmask_b32_e64 v9, v5, v9, s1
	v_cmp_lt_i32_e64 s1, v13, v3
	ds_bpermute_b32 v12, v10, v9
	v_cndmask_b32_e64 v2, v2, v13, s1
	s_delay_alu instid0(VALU_DEP_1) | instskip(SKIP_2) | instid1(VALU_DEP_1)
	v_lshlrev_b32_e32 v13, 2, v2
	s_waitcnt lgkmcnt(1)
	v_cmp_lt_f32_e64 s1, v8, v11
	v_cndmask_b32_e64 v2, v8, v11, s1
	s_waitcnt lgkmcnt(0)
	v_cmp_lt_f32_e64 s1, v9, v12
	ds_bpermute_b32 v8, v13, v2
	v_cndmask_b32_e64 v3, v9, v12, s1
	ds_bpermute_b32 v9, v13, v3
	s_waitcnt lgkmcnt(1)
	v_cmp_lt_f32_e64 s1, v2, v8
	s_delay_alu instid0(VALU_DEP_1) | instskip(SKIP_2) | instid1(VALU_DEP_2)
	v_cndmask_b32_e64 v2, v2, v8, s1
	s_waitcnt lgkmcnt(0)
	v_cmp_lt_f32_e64 s1, v3, v9
	v_sub_f32_e32 v2, v6, v2
	s_delay_alu instid0(VALU_DEP_2) | instskip(NEXT) | instid1(VALU_DEP_2)
	v_cndmask_b32_e64 v3, v3, v9, s1
	v_cmp_ngt_f32_e64 s1, 0xc2ce8ed0, v2
	s_delay_alu instid0(VALU_DEP_2) | instskip(NEXT) | instid1(VALU_DEP_1)
	v_sub_f32_e32 v3, v5, v3
	v_mul_f32_e32 v6, 0x3fb8aa3b, v3
	s_delay_alu instid0(VALU_DEP_1) | instskip(SKIP_1) | instid1(VALU_DEP_1)
	v_fma_f32 v11, 0x3fb8aa3b, v3, -v6
	v_rndne_f32_e32 v12, v6
	v_dual_fmac_f32 v11, 0x32a5705f, v3 :: v_dual_sub_f32 v6, v6, v12
	s_delay_alu instid0(VALU_DEP_1) | instskip(NEXT) | instid1(VALU_DEP_1)
	v_dual_mul_f32 v5, 0x3fb8aa3b, v2 :: v_dual_add_f32 v6, v6, v11
	v_fma_f32 v8, 0x3fb8aa3b, v2, -v5
	v_rndne_f32_e32 v9, v5
	s_delay_alu instid0(VALU_DEP_3) | instskip(NEXT) | instid1(VALU_DEP_1)
	v_exp_f32_e32 v6, v6
	v_dual_fmac_f32 v8, 0x32a5705f, v2 :: v_dual_sub_f32 v5, v5, v9
	s_delay_alu instid0(VALU_DEP_1) | instskip(SKIP_2) | instid1(VALU_DEP_3)
	v_add_f32_e32 v5, v5, v8
	v_cvt_i32_f32_e32 v8, v9
	v_cvt_i32_f32_e32 v9, v12
	v_exp_f32_e32 v5, v5
	s_waitcnt_depctr 0xfff
	v_ldexp_f32 v6, v6, v9
	v_ldexp_f32 v5, v5, v8
	s_delay_alu instid0(VALU_DEP_1) | instskip(SKIP_1) | instid1(VALU_DEP_1)
	v_cndmask_b32_e64 v5, 0, v5, s1
	v_cmp_ngt_f32_e64 s1, 0xc2ce8ed0, v3
	v_cndmask_b32_e64 v8, 0, v6, s1
	v_cmp_nlt_f32_e64 s1, 0x42b17218, v2
	s_delay_alu instid0(VALU_DEP_1)
	v_cndmask_b32_e64 v6, 0x7f800000, v5, s1
	v_cmp_nlt_f32_e64 s1, 0x42b17218, v3
	ds_bpermute_b32 v3, v7, v6
	v_cndmask_b32_e64 v2, 0x7f800000, v8, s1
	ds_bpermute_b32 v5, v7, v2
	s_waitcnt lgkmcnt(1)
	v_add_f32_e32 v3, v6, v3
	ds_bpermute_b32 v7, v10, v3
	s_waitcnt lgkmcnt(1)
	v_add_f32_e32 v5, v2, v5
	;; [unrolled: 3-line block ×3, first 2 shown]
	s_waitcnt lgkmcnt(0)
	v_add_f32_e32 v3, v5, v8
	ds_bpermute_b32 v8, v13, v7
	ds_bpermute_b32 v5, v13, v3
	s_and_saveexec_b32 s1, vcc_lo
	s_cbranch_execz .LBB387_10
; %bb.5:
	v_add_co_u32 v0, vcc_lo, s4, v0
	v_add_co_ci_u32_e32 v1, vcc_lo, s5, v1, vcc_lo
	s_and_saveexec_b32 s1, s0
	s_cbranch_execz .LBB387_7
; %bb.6:
	s_waitcnt lgkmcnt(1)
	v_add_f32_e32 v7, v7, v8
	s_delay_alu instid0(VALU_DEP_1) | instskip(NEXT) | instid1(VALU_DEP_1)
	v_div_scale_f32 v8, null, v7, v7, v6
	v_rcp_f32_e32 v9, v8
	s_waitcnt_depctr 0xfff
	v_fma_f32 v10, -v8, v9, 1.0
	s_delay_alu instid0(VALU_DEP_1) | instskip(SKIP_1) | instid1(VALU_DEP_1)
	v_fmac_f32_e32 v9, v10, v9
	v_div_scale_f32 v10, vcc_lo, v6, v7, v6
	v_mul_f32_e32 v11, v10, v9
	s_delay_alu instid0(VALU_DEP_1) | instskip(NEXT) | instid1(VALU_DEP_1)
	v_fma_f32 v12, -v8, v11, v10
	v_fmac_f32_e32 v11, v12, v9
	s_delay_alu instid0(VALU_DEP_1) | instskip(NEXT) | instid1(VALU_DEP_1)
	v_fma_f32 v8, -v8, v11, v10
	v_div_fmas_f32 v8, v8, v9, v11
	v_cmp_neq_f32_e32 vcc_lo, 0, v7
	s_delay_alu instid0(VALU_DEP_2) | instskip(NEXT) | instid1(VALU_DEP_1)
	v_div_fixup_f32 v6, v8, v7, v6
	v_cndmask_b32_e32 v6, 0x7fc00000, v6, vcc_lo
	global_store_b32 v[0:1], v6, off
.LBB387_7:
	s_or_b32 exec_lo, exec_lo, s1
	v_cmp_ne_u32_e32 vcc_lo, 1, v4
	s_and_b32 exec_lo, exec_lo, vcc_lo
	s_cbranch_execz .LBB387_10
; %bb.8:
	s_and_b32 exec_lo, exec_lo, s0
	s_cbranch_execz .LBB387_10
; %bb.9:
	s_waitcnt lgkmcnt(0)
	v_add_f32_e32 v3, v3, v5
	s_mov_b32 s11, 0
	s_delay_alu instid0(SALU_CYCLE_1) | instskip(NEXT) | instid1(VALU_DEP_1)
	s_lshl_b64 s[0:1], s[10:11], 2
	v_div_scale_f32 v4, null, v3, v3, v2
	v_div_scale_f32 v7, vcc_lo, v2, v3, v2
	s_delay_alu instid0(VALU_DEP_2) | instskip(SKIP_2) | instid1(VALU_DEP_1)
	v_rcp_f32_e32 v5, v4
	s_waitcnt_depctr 0xfff
	v_fma_f32 v6, -v4, v5, 1.0
	v_fmac_f32_e32 v5, v6, v5
	s_delay_alu instid0(VALU_DEP_1) | instskip(NEXT) | instid1(VALU_DEP_1)
	v_mul_f32_e32 v6, v7, v5
	v_fma_f32 v8, -v4, v6, v7
	s_delay_alu instid0(VALU_DEP_1) | instskip(NEXT) | instid1(VALU_DEP_1)
	v_fmac_f32_e32 v6, v8, v5
	v_fma_f32 v4, -v4, v6, v7
	s_delay_alu instid0(VALU_DEP_1) | instskip(SKIP_2) | instid1(VALU_DEP_3)
	v_div_fmas_f32 v4, v4, v5, v6
	v_add_co_u32 v0, vcc_lo, v0, s0
	v_add_co_ci_u32_e32 v1, vcc_lo, s1, v1, vcc_lo
	v_div_fixup_f32 v2, v4, v3, v2
	v_cmp_neq_f32_e32 vcc_lo, 0, v3
	s_delay_alu instid0(VALU_DEP_2)
	v_cndmask_b32_e32 v2, 0x7fc00000, v2, vcc_lo
	global_store_b32 v[0:1], v2, off
.LBB387_10:
	s_nop 0
	s_sendmsg sendmsg(MSG_DEALLOC_VGPRS)
	s_endpgm
	.section	.rodata,"a",@progbits
	.p2align	6, 0x0
	.amdhsa_kernel _ZN12_GLOBAL__N_120softmax_warp_forwardIfffLi3ELb0ELb0ELi32EEEvPT0_PKT_iiiPKbib
		.amdhsa_group_segment_fixed_size 0
		.amdhsa_private_segment_fixed_size 0
		.amdhsa_kernarg_size 304
		.amdhsa_user_sgpr_count 15
		.amdhsa_user_sgpr_dispatch_ptr 0
		.amdhsa_user_sgpr_queue_ptr 0
		.amdhsa_user_sgpr_kernarg_segment_ptr 1
		.amdhsa_user_sgpr_dispatch_id 0
		.amdhsa_user_sgpr_private_segment_size 0
		.amdhsa_wavefront_size32 1
		.amdhsa_uses_dynamic_stack 0
		.amdhsa_enable_private_segment 0
		.amdhsa_system_sgpr_workgroup_id_x 1
		.amdhsa_system_sgpr_workgroup_id_y 0
		.amdhsa_system_sgpr_workgroup_id_z 0
		.amdhsa_system_sgpr_workgroup_info 0
		.amdhsa_system_vgpr_workitem_id 1
		.amdhsa_next_free_vgpr 14
		.amdhsa_next_free_sgpr 16
		.amdhsa_reserve_vcc 1
		.amdhsa_float_round_mode_32 0
		.amdhsa_float_round_mode_16_64 0
		.amdhsa_float_denorm_mode_32 3
		.amdhsa_float_denorm_mode_16_64 3
		.amdhsa_dx10_clamp 1
		.amdhsa_ieee_mode 1
		.amdhsa_fp16_overflow 0
		.amdhsa_workgroup_processor_mode 1
		.amdhsa_memory_ordered 1
		.amdhsa_forward_progress 0
		.amdhsa_shared_vgpr_count 0
		.amdhsa_exception_fp_ieee_invalid_op 0
		.amdhsa_exception_fp_denorm_src 0
		.amdhsa_exception_fp_ieee_div_zero 0
		.amdhsa_exception_fp_ieee_overflow 0
		.amdhsa_exception_fp_ieee_underflow 0
		.amdhsa_exception_fp_ieee_inexact 0
		.amdhsa_exception_int_div_zero 0
	.end_amdhsa_kernel
	.section	.text._ZN12_GLOBAL__N_120softmax_warp_forwardIfffLi3ELb0ELb0ELi32EEEvPT0_PKT_iiiPKbib,"axG",@progbits,_ZN12_GLOBAL__N_120softmax_warp_forwardIfffLi3ELb0ELb0ELi32EEEvPT0_PKT_iiiPKbib,comdat
.Lfunc_end387:
	.size	_ZN12_GLOBAL__N_120softmax_warp_forwardIfffLi3ELb0ELb0ELi32EEEvPT0_PKT_iiiPKbib, .Lfunc_end387-_ZN12_GLOBAL__N_120softmax_warp_forwardIfffLi3ELb0ELb0ELi32EEEvPT0_PKT_iiiPKbib
                                        ; -- End function
	.section	.AMDGPU.csdata,"",@progbits
; Kernel info:
; codeLenInByte = 1172
; NumSgprs: 18
; NumVgprs: 14
; ScratchSize: 0
; MemoryBound: 0
; FloatMode: 240
; IeeeMode: 1
; LDSByteSize: 0 bytes/workgroup (compile time only)
; SGPRBlocks: 2
; VGPRBlocks: 1
; NumSGPRsForWavesPerEU: 18
; NumVGPRsForWavesPerEU: 14
; Occupancy: 16
; WaveLimiterHint : 0
; COMPUTE_PGM_RSRC2:SCRATCH_EN: 0
; COMPUTE_PGM_RSRC2:USER_SGPR: 15
; COMPUTE_PGM_RSRC2:TRAP_HANDLER: 0
; COMPUTE_PGM_RSRC2:TGID_X_EN: 1
; COMPUTE_PGM_RSRC2:TGID_Y_EN: 0
; COMPUTE_PGM_RSRC2:TGID_Z_EN: 0
; COMPUTE_PGM_RSRC2:TIDIG_COMP_CNT: 1
	.section	.text._ZN12_GLOBAL__N_120softmax_warp_forwardIfffLi4ELb0ELb0ELi64EEEvPT0_PKT_iiiPKbib,"axG",@progbits,_ZN12_GLOBAL__N_120softmax_warp_forwardIfffLi4ELb0ELb0ELi64EEEvPT0_PKT_iiiPKbib,comdat
	.globl	_ZN12_GLOBAL__N_120softmax_warp_forwardIfffLi4ELb0ELb0ELi64EEEvPT0_PKT_iiiPKbib ; -- Begin function _ZN12_GLOBAL__N_120softmax_warp_forwardIfffLi4ELb0ELb0ELi64EEEvPT0_PKT_iiiPKbib
	.p2align	8
	.type	_ZN12_GLOBAL__N_120softmax_warp_forwardIfffLi4ELb0ELb0ELi64EEEvPT0_PKT_iiiPKbib,@function
_ZN12_GLOBAL__N_120softmax_warp_forwardIfffLi4ELb0ELb0ELi64EEEvPT0_PKT_iiiPKbib: ; @_ZN12_GLOBAL__N_120softmax_warp_forwardIfffLi4ELb0ELb0ELi64EEEvPT0_PKT_iiiPKbib
; %bb.0:
	s_clause 0x1
	s_load_b32 s2, s[0:1], 0x3c
	s_load_b256 s[4:11], s[0:1], 0x0
	v_bfe_u32 v1, v0, 10, 10
	v_and_b32_e32 v2, 0x3ff, v0
	v_dual_mov_b32 v5, 0xff800000 :: v_dual_mov_b32 v6, 0xff800000
	s_waitcnt lgkmcnt(0)
	s_lshr_b32 s0, s2, 16
	s_delay_alu instid0(SALU_CYCLE_1) | instskip(SKIP_2) | instid1(VALU_DEP_1)
	s_mul_i32 s15, s15, s0
	v_cmp_gt_i32_e64 s0, s10, v2
	v_add_lshl_u32 v3, s15, v1, 1
	v_mad_u64_u32 v[0:1], null, v3, s9, v[2:3]
	v_sub_nc_u32_e32 v4, s8, v3
	s_delay_alu instid0(VALU_DEP_1) | instskip(NEXT) | instid1(VALU_DEP_3)
	v_cmp_lt_i32_e32 vcc_lo, 0, v4
	v_ashrrev_i32_e32 v1, 31, v0
	s_and_b32 s2, s0, vcc_lo
	s_delay_alu instid0(VALU_DEP_1) | instskip(NEXT) | instid1(VALU_DEP_1)
	v_lshlrev_b64 v[0:1], 2, v[0:1]
	v_add_co_u32 v2, s1, s6, v0
	s_delay_alu instid0(VALU_DEP_1)
	v_add_co_ci_u32_e64 v3, s1, s7, v1, s1
	s_and_saveexec_b32 s1, s2
	s_cbranch_execz .LBB388_2
; %bb.1:
	global_load_b32 v6, v[2:3], off
.LBB388_2:
	s_or_b32 exec_lo, exec_lo, s1
	v_cmp_lt_i32_e64 s1, 1, v4
	s_delay_alu instid0(VALU_DEP_1) | instskip(NEXT) | instid1(SALU_CYCLE_1)
	s_and_b32 s1, s0, s1
	s_and_saveexec_b32 s2, s1
	s_cbranch_execz .LBB388_4
; %bb.3:
	s_mov_b32 s11, 0
	s_delay_alu instid0(SALU_CYCLE_1) | instskip(NEXT) | instid1(SALU_CYCLE_1)
	s_lshl_b64 s[6:7], s[10:11], 2
	v_add_co_u32 v2, s1, v2, s6
	s_delay_alu instid0(VALU_DEP_1)
	v_add_co_ci_u32_e64 v3, s1, s7, v3, s1
	global_load_b32 v5, v[2:3], off
.LBB388_4:
	s_or_b32 exec_lo, exec_lo, s2
	v_mbcnt_lo_u32_b32 v2, -1, 0
	s_delay_alu instid0(VALU_DEP_1)
	v_and_b32_e32 v3, 16, v2
	v_xor_b32_e32 v7, 8, v2
	v_xor_b32_e32 v10, 4, v2
	;; [unrolled: 1-line block ×4, first 2 shown]
	v_add_nc_u32_e32 v3, 16, v3
	s_delay_alu instid0(VALU_DEP_1) | instskip(NEXT) | instid1(VALU_DEP_1)
	v_cmp_lt_i32_e64 s1, v7, v3
	v_cndmask_b32_e64 v7, v2, v7, s1
	v_cmp_lt_i32_e64 s1, v10, v3
	s_delay_alu instid0(VALU_DEP_2) | instskip(NEXT) | instid1(VALU_DEP_2)
	v_lshlrev_b32_e32 v7, 2, v7
	v_cndmask_b32_e64 v10, v2, v10, s1
	s_waitcnt vmcnt(0)
	ds_bpermute_b32 v8, v7, v6
	ds_bpermute_b32 v9, v7, v5
	v_lshlrev_b32_e32 v10, 2, v10
	s_waitcnt lgkmcnt(1)
	v_cmp_lt_f32_e64 s1, v6, v8
	s_delay_alu instid0(VALU_DEP_1)
	v_cndmask_b32_e64 v8, v6, v8, s1
	s_waitcnt lgkmcnt(0)
	v_cmp_lt_f32_e64 s1, v5, v9
	ds_bpermute_b32 v11, v10, v8
	v_cndmask_b32_e64 v9, v5, v9, s1
	v_cmp_lt_i32_e64 s1, v13, v3
	ds_bpermute_b32 v12, v10, v9
	v_cndmask_b32_e64 v13, v2, v13, s1
	s_delay_alu instid0(VALU_DEP_1) | instskip(SKIP_2) | instid1(VALU_DEP_1)
	v_lshlrev_b32_e32 v13, 2, v13
	s_waitcnt lgkmcnt(1)
	v_cmp_lt_f32_e64 s1, v8, v11
	v_cndmask_b32_e64 v8, v8, v11, s1
	s_waitcnt lgkmcnt(0)
	v_cmp_lt_f32_e64 s1, v9, v12
	ds_bpermute_b32 v11, v13, v8
	v_cndmask_b32_e64 v9, v9, v12, s1
	v_cmp_lt_i32_e64 s1, v14, v3
	ds_bpermute_b32 v12, v13, v9
	v_cndmask_b32_e64 v2, v2, v14, s1
	s_delay_alu instid0(VALU_DEP_1) | instskip(SKIP_2) | instid1(VALU_DEP_1)
	v_lshlrev_b32_e32 v14, 2, v2
	s_waitcnt lgkmcnt(1)
	v_cmp_lt_f32_e64 s1, v8, v11
	v_cndmask_b32_e64 v2, v8, v11, s1
	s_waitcnt lgkmcnt(0)
	v_cmp_lt_f32_e64 s1, v9, v12
	ds_bpermute_b32 v8, v14, v2
	v_cndmask_b32_e64 v3, v9, v12, s1
	ds_bpermute_b32 v9, v14, v3
	s_waitcnt lgkmcnt(1)
	v_cmp_lt_f32_e64 s1, v2, v8
	s_delay_alu instid0(VALU_DEP_1) | instskip(SKIP_2) | instid1(VALU_DEP_2)
	v_cndmask_b32_e64 v2, v2, v8, s1
	s_waitcnt lgkmcnt(0)
	v_cmp_lt_f32_e64 s1, v3, v9
	v_sub_f32_e32 v2, v6, v2
	s_delay_alu instid0(VALU_DEP_2) | instskip(NEXT) | instid1(VALU_DEP_2)
	v_cndmask_b32_e64 v3, v3, v9, s1
	v_cmp_ngt_f32_e64 s1, 0xc2ce8ed0, v2
	s_delay_alu instid0(VALU_DEP_2) | instskip(NEXT) | instid1(VALU_DEP_1)
	v_sub_f32_e32 v3, v5, v3
	v_mul_f32_e32 v6, 0x3fb8aa3b, v3
	s_delay_alu instid0(VALU_DEP_1) | instskip(SKIP_1) | instid1(VALU_DEP_1)
	v_fma_f32 v11, 0x3fb8aa3b, v3, -v6
	v_rndne_f32_e32 v12, v6
	v_dual_fmac_f32 v11, 0x32a5705f, v3 :: v_dual_sub_f32 v6, v6, v12
	s_delay_alu instid0(VALU_DEP_1) | instskip(NEXT) | instid1(VALU_DEP_1)
	v_dual_mul_f32 v5, 0x3fb8aa3b, v2 :: v_dual_add_f32 v6, v6, v11
	v_fma_f32 v8, 0x3fb8aa3b, v2, -v5
	v_rndne_f32_e32 v9, v5
	s_delay_alu instid0(VALU_DEP_3) | instskip(NEXT) | instid1(VALU_DEP_1)
	v_exp_f32_e32 v6, v6
	v_dual_fmac_f32 v8, 0x32a5705f, v2 :: v_dual_sub_f32 v5, v5, v9
	s_delay_alu instid0(VALU_DEP_1) | instskip(SKIP_2) | instid1(VALU_DEP_3)
	v_add_f32_e32 v5, v5, v8
	v_cvt_i32_f32_e32 v8, v9
	v_cvt_i32_f32_e32 v9, v12
	v_exp_f32_e32 v5, v5
	s_waitcnt_depctr 0xfff
	v_ldexp_f32 v6, v6, v9
	v_ldexp_f32 v5, v5, v8
	s_delay_alu instid0(VALU_DEP_1) | instskip(SKIP_1) | instid1(VALU_DEP_1)
	v_cndmask_b32_e64 v5, 0, v5, s1
	v_cmp_ngt_f32_e64 s1, 0xc2ce8ed0, v3
	v_cndmask_b32_e64 v8, 0, v6, s1
	v_cmp_nlt_f32_e64 s1, 0x42b17218, v2
	s_delay_alu instid0(VALU_DEP_1)
	v_cndmask_b32_e64 v6, 0x7f800000, v5, s1
	v_cmp_nlt_f32_e64 s1, 0x42b17218, v3
	ds_bpermute_b32 v3, v7, v6
	v_cndmask_b32_e64 v2, 0x7f800000, v8, s1
	ds_bpermute_b32 v5, v7, v2
	s_waitcnt lgkmcnt(1)
	v_add_f32_e32 v3, v6, v3
	ds_bpermute_b32 v7, v10, v3
	s_waitcnt lgkmcnt(1)
	v_add_f32_e32 v5, v2, v5
	;; [unrolled: 3-line block ×5, first 2 shown]
	s_waitcnt lgkmcnt(0)
	v_add_f32_e32 v3, v5, v8
	ds_bpermute_b32 v8, v14, v7
	ds_bpermute_b32 v5, v14, v3
	s_and_saveexec_b32 s1, vcc_lo
	s_cbranch_execz .LBB388_10
; %bb.5:
	v_add_co_u32 v0, vcc_lo, s4, v0
	v_add_co_ci_u32_e32 v1, vcc_lo, s5, v1, vcc_lo
	s_and_saveexec_b32 s1, s0
	s_cbranch_execz .LBB388_7
; %bb.6:
	s_waitcnt lgkmcnt(1)
	v_add_f32_e32 v7, v7, v8
	s_delay_alu instid0(VALU_DEP_1) | instskip(NEXT) | instid1(VALU_DEP_1)
	v_div_scale_f32 v8, null, v7, v7, v6
	v_rcp_f32_e32 v9, v8
	s_waitcnt_depctr 0xfff
	v_fma_f32 v10, -v8, v9, 1.0
	s_delay_alu instid0(VALU_DEP_1) | instskip(SKIP_1) | instid1(VALU_DEP_1)
	v_fmac_f32_e32 v9, v10, v9
	v_div_scale_f32 v10, vcc_lo, v6, v7, v6
	v_mul_f32_e32 v11, v10, v9
	s_delay_alu instid0(VALU_DEP_1) | instskip(NEXT) | instid1(VALU_DEP_1)
	v_fma_f32 v12, -v8, v11, v10
	v_fmac_f32_e32 v11, v12, v9
	s_delay_alu instid0(VALU_DEP_1) | instskip(NEXT) | instid1(VALU_DEP_1)
	v_fma_f32 v8, -v8, v11, v10
	v_div_fmas_f32 v8, v8, v9, v11
	v_cmp_neq_f32_e32 vcc_lo, 0, v7
	s_delay_alu instid0(VALU_DEP_2) | instskip(NEXT) | instid1(VALU_DEP_1)
	v_div_fixup_f32 v6, v8, v7, v6
	v_cndmask_b32_e32 v6, 0x7fc00000, v6, vcc_lo
	global_store_b32 v[0:1], v6, off
.LBB388_7:
	s_or_b32 exec_lo, exec_lo, s1
	v_cmp_ne_u32_e32 vcc_lo, 1, v4
	s_and_b32 exec_lo, exec_lo, vcc_lo
	s_cbranch_execz .LBB388_10
; %bb.8:
	s_and_b32 exec_lo, exec_lo, s0
	s_cbranch_execz .LBB388_10
; %bb.9:
	s_waitcnt lgkmcnt(0)
	v_add_f32_e32 v3, v3, v5
	s_mov_b32 s11, 0
	s_delay_alu instid0(SALU_CYCLE_1) | instskip(NEXT) | instid1(VALU_DEP_1)
	s_lshl_b64 s[0:1], s[10:11], 2
	v_div_scale_f32 v4, null, v3, v3, v2
	v_div_scale_f32 v7, vcc_lo, v2, v3, v2
	s_delay_alu instid0(VALU_DEP_2) | instskip(SKIP_2) | instid1(VALU_DEP_1)
	v_rcp_f32_e32 v5, v4
	s_waitcnt_depctr 0xfff
	v_fma_f32 v6, -v4, v5, 1.0
	v_fmac_f32_e32 v5, v6, v5
	s_delay_alu instid0(VALU_DEP_1) | instskip(NEXT) | instid1(VALU_DEP_1)
	v_mul_f32_e32 v6, v7, v5
	v_fma_f32 v8, -v4, v6, v7
	s_delay_alu instid0(VALU_DEP_1) | instskip(NEXT) | instid1(VALU_DEP_1)
	v_fmac_f32_e32 v6, v8, v5
	v_fma_f32 v4, -v4, v6, v7
	s_delay_alu instid0(VALU_DEP_1) | instskip(SKIP_2) | instid1(VALU_DEP_3)
	v_div_fmas_f32 v4, v4, v5, v6
	v_add_co_u32 v0, vcc_lo, v0, s0
	v_add_co_ci_u32_e32 v1, vcc_lo, s1, v1, vcc_lo
	v_div_fixup_f32 v2, v4, v3, v2
	v_cmp_neq_f32_e32 vcc_lo, 0, v3
	s_delay_alu instid0(VALU_DEP_2)
	v_cndmask_b32_e32 v2, 0x7fc00000, v2, vcc_lo
	global_store_b32 v[0:1], v2, off
.LBB388_10:
	s_nop 0
	s_sendmsg sendmsg(MSG_DEALLOC_VGPRS)
	s_endpgm
	.section	.rodata,"a",@progbits
	.p2align	6, 0x0
	.amdhsa_kernel _ZN12_GLOBAL__N_120softmax_warp_forwardIfffLi4ELb0ELb0ELi64EEEvPT0_PKT_iiiPKbib
		.amdhsa_group_segment_fixed_size 0
		.amdhsa_private_segment_fixed_size 0
		.amdhsa_kernarg_size 304
		.amdhsa_user_sgpr_count 15
		.amdhsa_user_sgpr_dispatch_ptr 0
		.amdhsa_user_sgpr_queue_ptr 0
		.amdhsa_user_sgpr_kernarg_segment_ptr 1
		.amdhsa_user_sgpr_dispatch_id 0
		.amdhsa_user_sgpr_private_segment_size 0
		.amdhsa_wavefront_size32 1
		.amdhsa_uses_dynamic_stack 0
		.amdhsa_enable_private_segment 0
		.amdhsa_system_sgpr_workgroup_id_x 1
		.amdhsa_system_sgpr_workgroup_id_y 0
		.amdhsa_system_sgpr_workgroup_id_z 0
		.amdhsa_system_sgpr_workgroup_info 0
		.amdhsa_system_vgpr_workitem_id 1
		.amdhsa_next_free_vgpr 15
		.amdhsa_next_free_sgpr 16
		.amdhsa_reserve_vcc 1
		.amdhsa_float_round_mode_32 0
		.amdhsa_float_round_mode_16_64 0
		.amdhsa_float_denorm_mode_32 3
		.amdhsa_float_denorm_mode_16_64 3
		.amdhsa_dx10_clamp 1
		.amdhsa_ieee_mode 1
		.amdhsa_fp16_overflow 0
		.amdhsa_workgroup_processor_mode 1
		.amdhsa_memory_ordered 1
		.amdhsa_forward_progress 0
		.amdhsa_shared_vgpr_count 0
		.amdhsa_exception_fp_ieee_invalid_op 0
		.amdhsa_exception_fp_denorm_src 0
		.amdhsa_exception_fp_ieee_div_zero 0
		.amdhsa_exception_fp_ieee_overflow 0
		.amdhsa_exception_fp_ieee_underflow 0
		.amdhsa_exception_fp_ieee_inexact 0
		.amdhsa_exception_int_div_zero 0
	.end_amdhsa_kernel
	.section	.text._ZN12_GLOBAL__N_120softmax_warp_forwardIfffLi4ELb0ELb0ELi64EEEvPT0_PKT_iiiPKbib,"axG",@progbits,_ZN12_GLOBAL__N_120softmax_warp_forwardIfffLi4ELb0ELb0ELi64EEEvPT0_PKT_iiiPKbib,comdat
.Lfunc_end388:
	.size	_ZN12_GLOBAL__N_120softmax_warp_forwardIfffLi4ELb0ELb0ELi64EEEvPT0_PKT_iiiPKbib, .Lfunc_end388-_ZN12_GLOBAL__N_120softmax_warp_forwardIfffLi4ELb0ELb0ELi64EEEvPT0_PKT_iiiPKbib
                                        ; -- End function
	.section	.AMDGPU.csdata,"",@progbits
; Kernel info:
; codeLenInByte = 1288
; NumSgprs: 18
; NumVgprs: 15
; ScratchSize: 0
; MemoryBound: 0
; FloatMode: 240
; IeeeMode: 1
; LDSByteSize: 0 bytes/workgroup (compile time only)
; SGPRBlocks: 2
; VGPRBlocks: 1
; NumSGPRsForWavesPerEU: 18
; NumVGPRsForWavesPerEU: 15
; Occupancy: 16
; WaveLimiterHint : 0
; COMPUTE_PGM_RSRC2:SCRATCH_EN: 0
; COMPUTE_PGM_RSRC2:USER_SGPR: 15
; COMPUTE_PGM_RSRC2:TRAP_HANDLER: 0
; COMPUTE_PGM_RSRC2:TGID_X_EN: 1
; COMPUTE_PGM_RSRC2:TGID_Y_EN: 0
; COMPUTE_PGM_RSRC2:TGID_Z_EN: 0
; COMPUTE_PGM_RSRC2:TIDIG_COMP_CNT: 1
	.section	.text._ZN12_GLOBAL__N_120softmax_warp_forwardIfffLi4ELb0ELb0ELi32EEEvPT0_PKT_iiiPKbib,"axG",@progbits,_ZN12_GLOBAL__N_120softmax_warp_forwardIfffLi4ELb0ELb0ELi32EEEvPT0_PKT_iiiPKbib,comdat
	.globl	_ZN12_GLOBAL__N_120softmax_warp_forwardIfffLi4ELb0ELb0ELi32EEEvPT0_PKT_iiiPKbib ; -- Begin function _ZN12_GLOBAL__N_120softmax_warp_forwardIfffLi4ELb0ELb0ELi32EEEvPT0_PKT_iiiPKbib
	.p2align	8
	.type	_ZN12_GLOBAL__N_120softmax_warp_forwardIfffLi4ELb0ELb0ELi32EEEvPT0_PKT_iiiPKbib,@function
_ZN12_GLOBAL__N_120softmax_warp_forwardIfffLi4ELb0ELb0ELi32EEEvPT0_PKT_iiiPKbib: ; @_ZN12_GLOBAL__N_120softmax_warp_forwardIfffLi4ELb0ELb0ELi32EEEvPT0_PKT_iiiPKbib
; %bb.0:
	s_clause 0x1
	s_load_b32 s2, s[0:1], 0x3c
	s_load_b256 s[4:11], s[0:1], 0x0
	v_bfe_u32 v1, v0, 10, 10
	v_and_b32_e32 v2, 0x3ff, v0
	v_dual_mov_b32 v5, 0xff800000 :: v_dual_mov_b32 v6, 0xff800000
	s_waitcnt lgkmcnt(0)
	s_lshr_b32 s0, s2, 16
	s_delay_alu instid0(SALU_CYCLE_1) | instskip(SKIP_2) | instid1(VALU_DEP_1)
	s_mul_i32 s15, s15, s0
	v_cmp_gt_i32_e64 s0, s10, v2
	v_add_lshl_u32 v3, s15, v1, 1
	v_mad_u64_u32 v[0:1], null, v3, s9, v[2:3]
	v_sub_nc_u32_e32 v4, s8, v3
	s_delay_alu instid0(VALU_DEP_1) | instskip(NEXT) | instid1(VALU_DEP_3)
	v_cmp_lt_i32_e32 vcc_lo, 0, v4
	v_ashrrev_i32_e32 v1, 31, v0
	s_and_b32 s2, s0, vcc_lo
	s_delay_alu instid0(VALU_DEP_1) | instskip(NEXT) | instid1(VALU_DEP_1)
	v_lshlrev_b64 v[0:1], 2, v[0:1]
	v_add_co_u32 v2, s1, s6, v0
	s_delay_alu instid0(VALU_DEP_1)
	v_add_co_ci_u32_e64 v3, s1, s7, v1, s1
	s_and_saveexec_b32 s1, s2
	s_cbranch_execz .LBB389_2
; %bb.1:
	global_load_b32 v6, v[2:3], off
.LBB389_2:
	s_or_b32 exec_lo, exec_lo, s1
	v_cmp_lt_i32_e64 s1, 1, v4
	s_delay_alu instid0(VALU_DEP_1) | instskip(NEXT) | instid1(SALU_CYCLE_1)
	s_and_b32 s1, s0, s1
	s_and_saveexec_b32 s2, s1
	s_cbranch_execz .LBB389_4
; %bb.3:
	s_mov_b32 s11, 0
	s_delay_alu instid0(SALU_CYCLE_1) | instskip(NEXT) | instid1(SALU_CYCLE_1)
	s_lshl_b64 s[6:7], s[10:11], 2
	v_add_co_u32 v2, s1, v2, s6
	s_delay_alu instid0(VALU_DEP_1)
	v_add_co_ci_u32_e64 v3, s1, s7, v3, s1
	global_load_b32 v5, v[2:3], off
.LBB389_4:
	s_or_b32 exec_lo, exec_lo, s2
	v_mbcnt_lo_u32_b32 v2, -1, 0
	s_delay_alu instid0(VALU_DEP_1)
	v_and_b32_e32 v3, 16, v2
	v_xor_b32_e32 v7, 8, v2
	v_xor_b32_e32 v10, 4, v2
	;; [unrolled: 1-line block ×4, first 2 shown]
	v_add_nc_u32_e32 v3, 16, v3
	s_delay_alu instid0(VALU_DEP_1) | instskip(NEXT) | instid1(VALU_DEP_1)
	v_cmp_lt_i32_e64 s1, v7, v3
	v_cndmask_b32_e64 v7, v2, v7, s1
	v_cmp_lt_i32_e64 s1, v10, v3
	s_delay_alu instid0(VALU_DEP_2) | instskip(NEXT) | instid1(VALU_DEP_2)
	v_lshlrev_b32_e32 v7, 2, v7
	v_cndmask_b32_e64 v10, v2, v10, s1
	s_waitcnt vmcnt(0)
	ds_bpermute_b32 v8, v7, v6
	ds_bpermute_b32 v9, v7, v5
	v_lshlrev_b32_e32 v10, 2, v10
	s_waitcnt lgkmcnt(1)
	v_cmp_lt_f32_e64 s1, v6, v8
	s_delay_alu instid0(VALU_DEP_1)
	v_cndmask_b32_e64 v8, v6, v8, s1
	s_waitcnt lgkmcnt(0)
	v_cmp_lt_f32_e64 s1, v5, v9
	ds_bpermute_b32 v11, v10, v8
	v_cndmask_b32_e64 v9, v5, v9, s1
	v_cmp_lt_i32_e64 s1, v13, v3
	ds_bpermute_b32 v12, v10, v9
	v_cndmask_b32_e64 v13, v2, v13, s1
	s_delay_alu instid0(VALU_DEP_1) | instskip(SKIP_2) | instid1(VALU_DEP_1)
	v_lshlrev_b32_e32 v13, 2, v13
	s_waitcnt lgkmcnt(1)
	v_cmp_lt_f32_e64 s1, v8, v11
	v_cndmask_b32_e64 v8, v8, v11, s1
	s_waitcnt lgkmcnt(0)
	v_cmp_lt_f32_e64 s1, v9, v12
	ds_bpermute_b32 v11, v13, v8
	v_cndmask_b32_e64 v9, v9, v12, s1
	v_cmp_lt_i32_e64 s1, v14, v3
	ds_bpermute_b32 v12, v13, v9
	v_cndmask_b32_e64 v2, v2, v14, s1
	s_delay_alu instid0(VALU_DEP_1) | instskip(SKIP_2) | instid1(VALU_DEP_1)
	v_lshlrev_b32_e32 v14, 2, v2
	s_waitcnt lgkmcnt(1)
	v_cmp_lt_f32_e64 s1, v8, v11
	v_cndmask_b32_e64 v2, v8, v11, s1
	s_waitcnt lgkmcnt(0)
	v_cmp_lt_f32_e64 s1, v9, v12
	ds_bpermute_b32 v8, v14, v2
	v_cndmask_b32_e64 v3, v9, v12, s1
	ds_bpermute_b32 v9, v14, v3
	s_waitcnt lgkmcnt(1)
	v_cmp_lt_f32_e64 s1, v2, v8
	s_delay_alu instid0(VALU_DEP_1) | instskip(SKIP_2) | instid1(VALU_DEP_2)
	v_cndmask_b32_e64 v2, v2, v8, s1
	s_waitcnt lgkmcnt(0)
	v_cmp_lt_f32_e64 s1, v3, v9
	v_sub_f32_e32 v2, v6, v2
	s_delay_alu instid0(VALU_DEP_2) | instskip(NEXT) | instid1(VALU_DEP_2)
	v_cndmask_b32_e64 v3, v3, v9, s1
	v_cmp_ngt_f32_e64 s1, 0xc2ce8ed0, v2
	s_delay_alu instid0(VALU_DEP_2) | instskip(NEXT) | instid1(VALU_DEP_1)
	v_sub_f32_e32 v3, v5, v3
	v_mul_f32_e32 v6, 0x3fb8aa3b, v3
	s_delay_alu instid0(VALU_DEP_1) | instskip(SKIP_1) | instid1(VALU_DEP_1)
	v_fma_f32 v11, 0x3fb8aa3b, v3, -v6
	v_rndne_f32_e32 v12, v6
	v_dual_fmac_f32 v11, 0x32a5705f, v3 :: v_dual_sub_f32 v6, v6, v12
	s_delay_alu instid0(VALU_DEP_1) | instskip(NEXT) | instid1(VALU_DEP_1)
	v_dual_mul_f32 v5, 0x3fb8aa3b, v2 :: v_dual_add_f32 v6, v6, v11
	v_fma_f32 v8, 0x3fb8aa3b, v2, -v5
	v_rndne_f32_e32 v9, v5
	s_delay_alu instid0(VALU_DEP_3) | instskip(NEXT) | instid1(VALU_DEP_1)
	v_exp_f32_e32 v6, v6
	v_dual_fmac_f32 v8, 0x32a5705f, v2 :: v_dual_sub_f32 v5, v5, v9
	s_delay_alu instid0(VALU_DEP_1) | instskip(SKIP_2) | instid1(VALU_DEP_3)
	v_add_f32_e32 v5, v5, v8
	v_cvt_i32_f32_e32 v8, v9
	v_cvt_i32_f32_e32 v9, v12
	v_exp_f32_e32 v5, v5
	s_waitcnt_depctr 0xfff
	v_ldexp_f32 v6, v6, v9
	v_ldexp_f32 v5, v5, v8
	s_delay_alu instid0(VALU_DEP_1) | instskip(SKIP_1) | instid1(VALU_DEP_1)
	v_cndmask_b32_e64 v5, 0, v5, s1
	v_cmp_ngt_f32_e64 s1, 0xc2ce8ed0, v3
	v_cndmask_b32_e64 v8, 0, v6, s1
	v_cmp_nlt_f32_e64 s1, 0x42b17218, v2
	s_delay_alu instid0(VALU_DEP_1)
	v_cndmask_b32_e64 v6, 0x7f800000, v5, s1
	v_cmp_nlt_f32_e64 s1, 0x42b17218, v3
	ds_bpermute_b32 v3, v7, v6
	v_cndmask_b32_e64 v2, 0x7f800000, v8, s1
	ds_bpermute_b32 v5, v7, v2
	s_waitcnt lgkmcnt(1)
	v_add_f32_e32 v3, v6, v3
	ds_bpermute_b32 v7, v10, v3
	s_waitcnt lgkmcnt(1)
	v_add_f32_e32 v5, v2, v5
	;; [unrolled: 3-line block ×5, first 2 shown]
	s_waitcnt lgkmcnt(0)
	v_add_f32_e32 v3, v5, v8
	ds_bpermute_b32 v8, v14, v7
	ds_bpermute_b32 v5, v14, v3
	s_and_saveexec_b32 s1, vcc_lo
	s_cbranch_execz .LBB389_10
; %bb.5:
	v_add_co_u32 v0, vcc_lo, s4, v0
	v_add_co_ci_u32_e32 v1, vcc_lo, s5, v1, vcc_lo
	s_and_saveexec_b32 s1, s0
	s_cbranch_execz .LBB389_7
; %bb.6:
	s_waitcnt lgkmcnt(1)
	v_add_f32_e32 v7, v7, v8
	s_delay_alu instid0(VALU_DEP_1) | instskip(NEXT) | instid1(VALU_DEP_1)
	v_div_scale_f32 v8, null, v7, v7, v6
	v_rcp_f32_e32 v9, v8
	s_waitcnt_depctr 0xfff
	v_fma_f32 v10, -v8, v9, 1.0
	s_delay_alu instid0(VALU_DEP_1) | instskip(SKIP_1) | instid1(VALU_DEP_1)
	v_fmac_f32_e32 v9, v10, v9
	v_div_scale_f32 v10, vcc_lo, v6, v7, v6
	v_mul_f32_e32 v11, v10, v9
	s_delay_alu instid0(VALU_DEP_1) | instskip(NEXT) | instid1(VALU_DEP_1)
	v_fma_f32 v12, -v8, v11, v10
	v_fmac_f32_e32 v11, v12, v9
	s_delay_alu instid0(VALU_DEP_1) | instskip(NEXT) | instid1(VALU_DEP_1)
	v_fma_f32 v8, -v8, v11, v10
	v_div_fmas_f32 v8, v8, v9, v11
	v_cmp_neq_f32_e32 vcc_lo, 0, v7
	s_delay_alu instid0(VALU_DEP_2) | instskip(NEXT) | instid1(VALU_DEP_1)
	v_div_fixup_f32 v6, v8, v7, v6
	v_cndmask_b32_e32 v6, 0x7fc00000, v6, vcc_lo
	global_store_b32 v[0:1], v6, off
.LBB389_7:
	s_or_b32 exec_lo, exec_lo, s1
	v_cmp_ne_u32_e32 vcc_lo, 1, v4
	s_and_b32 exec_lo, exec_lo, vcc_lo
	s_cbranch_execz .LBB389_10
; %bb.8:
	s_and_b32 exec_lo, exec_lo, s0
	s_cbranch_execz .LBB389_10
; %bb.9:
	s_waitcnt lgkmcnt(0)
	v_add_f32_e32 v3, v3, v5
	s_mov_b32 s11, 0
	s_delay_alu instid0(SALU_CYCLE_1) | instskip(NEXT) | instid1(VALU_DEP_1)
	s_lshl_b64 s[0:1], s[10:11], 2
	v_div_scale_f32 v4, null, v3, v3, v2
	v_div_scale_f32 v7, vcc_lo, v2, v3, v2
	s_delay_alu instid0(VALU_DEP_2) | instskip(SKIP_2) | instid1(VALU_DEP_1)
	v_rcp_f32_e32 v5, v4
	s_waitcnt_depctr 0xfff
	v_fma_f32 v6, -v4, v5, 1.0
	v_fmac_f32_e32 v5, v6, v5
	s_delay_alu instid0(VALU_DEP_1) | instskip(NEXT) | instid1(VALU_DEP_1)
	v_mul_f32_e32 v6, v7, v5
	v_fma_f32 v8, -v4, v6, v7
	s_delay_alu instid0(VALU_DEP_1) | instskip(NEXT) | instid1(VALU_DEP_1)
	v_fmac_f32_e32 v6, v8, v5
	v_fma_f32 v4, -v4, v6, v7
	s_delay_alu instid0(VALU_DEP_1) | instskip(SKIP_2) | instid1(VALU_DEP_3)
	v_div_fmas_f32 v4, v4, v5, v6
	v_add_co_u32 v0, vcc_lo, v0, s0
	v_add_co_ci_u32_e32 v1, vcc_lo, s1, v1, vcc_lo
	v_div_fixup_f32 v2, v4, v3, v2
	v_cmp_neq_f32_e32 vcc_lo, 0, v3
	s_delay_alu instid0(VALU_DEP_2)
	v_cndmask_b32_e32 v2, 0x7fc00000, v2, vcc_lo
	global_store_b32 v[0:1], v2, off
.LBB389_10:
	s_nop 0
	s_sendmsg sendmsg(MSG_DEALLOC_VGPRS)
	s_endpgm
	.section	.rodata,"a",@progbits
	.p2align	6, 0x0
	.amdhsa_kernel _ZN12_GLOBAL__N_120softmax_warp_forwardIfffLi4ELb0ELb0ELi32EEEvPT0_PKT_iiiPKbib
		.amdhsa_group_segment_fixed_size 0
		.amdhsa_private_segment_fixed_size 0
		.amdhsa_kernarg_size 304
		.amdhsa_user_sgpr_count 15
		.amdhsa_user_sgpr_dispatch_ptr 0
		.amdhsa_user_sgpr_queue_ptr 0
		.amdhsa_user_sgpr_kernarg_segment_ptr 1
		.amdhsa_user_sgpr_dispatch_id 0
		.amdhsa_user_sgpr_private_segment_size 0
		.amdhsa_wavefront_size32 1
		.amdhsa_uses_dynamic_stack 0
		.amdhsa_enable_private_segment 0
		.amdhsa_system_sgpr_workgroup_id_x 1
		.amdhsa_system_sgpr_workgroup_id_y 0
		.amdhsa_system_sgpr_workgroup_id_z 0
		.amdhsa_system_sgpr_workgroup_info 0
		.amdhsa_system_vgpr_workitem_id 1
		.amdhsa_next_free_vgpr 15
		.amdhsa_next_free_sgpr 16
		.amdhsa_reserve_vcc 1
		.amdhsa_float_round_mode_32 0
		.amdhsa_float_round_mode_16_64 0
		.amdhsa_float_denorm_mode_32 3
		.amdhsa_float_denorm_mode_16_64 3
		.amdhsa_dx10_clamp 1
		.amdhsa_ieee_mode 1
		.amdhsa_fp16_overflow 0
		.amdhsa_workgroup_processor_mode 1
		.amdhsa_memory_ordered 1
		.amdhsa_forward_progress 0
		.amdhsa_shared_vgpr_count 0
		.amdhsa_exception_fp_ieee_invalid_op 0
		.amdhsa_exception_fp_denorm_src 0
		.amdhsa_exception_fp_ieee_div_zero 0
		.amdhsa_exception_fp_ieee_overflow 0
		.amdhsa_exception_fp_ieee_underflow 0
		.amdhsa_exception_fp_ieee_inexact 0
		.amdhsa_exception_int_div_zero 0
	.end_amdhsa_kernel
	.section	.text._ZN12_GLOBAL__N_120softmax_warp_forwardIfffLi4ELb0ELb0ELi32EEEvPT0_PKT_iiiPKbib,"axG",@progbits,_ZN12_GLOBAL__N_120softmax_warp_forwardIfffLi4ELb0ELb0ELi32EEEvPT0_PKT_iiiPKbib,comdat
.Lfunc_end389:
	.size	_ZN12_GLOBAL__N_120softmax_warp_forwardIfffLi4ELb0ELb0ELi32EEEvPT0_PKT_iiiPKbib, .Lfunc_end389-_ZN12_GLOBAL__N_120softmax_warp_forwardIfffLi4ELb0ELb0ELi32EEEvPT0_PKT_iiiPKbib
                                        ; -- End function
	.section	.AMDGPU.csdata,"",@progbits
; Kernel info:
; codeLenInByte = 1288
; NumSgprs: 18
; NumVgprs: 15
; ScratchSize: 0
; MemoryBound: 0
; FloatMode: 240
; IeeeMode: 1
; LDSByteSize: 0 bytes/workgroup (compile time only)
; SGPRBlocks: 2
; VGPRBlocks: 1
; NumSGPRsForWavesPerEU: 18
; NumVGPRsForWavesPerEU: 15
; Occupancy: 16
; WaveLimiterHint : 0
; COMPUTE_PGM_RSRC2:SCRATCH_EN: 0
; COMPUTE_PGM_RSRC2:USER_SGPR: 15
; COMPUTE_PGM_RSRC2:TRAP_HANDLER: 0
; COMPUTE_PGM_RSRC2:TGID_X_EN: 1
; COMPUTE_PGM_RSRC2:TGID_Y_EN: 0
; COMPUTE_PGM_RSRC2:TGID_Z_EN: 0
; COMPUTE_PGM_RSRC2:TIDIG_COMP_CNT: 1
	.section	.text._ZN12_GLOBAL__N_120softmax_warp_forwardIfffLi5ELb0ELb0ELi64EEEvPT0_PKT_iiiPKbib,"axG",@progbits,_ZN12_GLOBAL__N_120softmax_warp_forwardIfffLi5ELb0ELb0ELi64EEEvPT0_PKT_iiiPKbib,comdat
	.globl	_ZN12_GLOBAL__N_120softmax_warp_forwardIfffLi5ELb0ELb0ELi64EEEvPT0_PKT_iiiPKbib ; -- Begin function _ZN12_GLOBAL__N_120softmax_warp_forwardIfffLi5ELb0ELb0ELi64EEEvPT0_PKT_iiiPKbib
	.p2align	8
	.type	_ZN12_GLOBAL__N_120softmax_warp_forwardIfffLi5ELb0ELb0ELi64EEEvPT0_PKT_iiiPKbib,@function
_ZN12_GLOBAL__N_120softmax_warp_forwardIfffLi5ELb0ELb0ELi64EEEvPT0_PKT_iiiPKbib: ; @_ZN12_GLOBAL__N_120softmax_warp_forwardIfffLi5ELb0ELb0ELi64EEEvPT0_PKT_iiiPKbib
; %bb.0:
	s_clause 0x1
	s_load_b32 s2, s[0:1], 0x3c
	s_load_b256 s[4:11], s[0:1], 0x0
	v_bfe_u32 v1, v0, 10, 10
	v_and_b32_e32 v2, 0x3ff, v0
	v_dual_mov_b32 v5, 0xff800000 :: v_dual_mov_b32 v6, 0xff800000
	s_waitcnt lgkmcnt(0)
	s_lshr_b32 s0, s2, 16
	s_delay_alu instid0(SALU_CYCLE_1) | instskip(SKIP_2) | instid1(VALU_DEP_1)
	s_mul_i32 s15, s15, s0
	v_cmp_gt_i32_e64 s0, s10, v2
	v_add_lshl_u32 v3, s15, v1, 1
	v_mad_u64_u32 v[0:1], null, v3, s9, v[2:3]
	v_sub_nc_u32_e32 v4, s8, v3
	s_delay_alu instid0(VALU_DEP_1) | instskip(NEXT) | instid1(VALU_DEP_3)
	v_cmp_lt_i32_e32 vcc_lo, 0, v4
	v_ashrrev_i32_e32 v1, 31, v0
	s_and_b32 s2, s0, vcc_lo
	s_delay_alu instid0(VALU_DEP_1) | instskip(NEXT) | instid1(VALU_DEP_1)
	v_lshlrev_b64 v[0:1], 2, v[0:1]
	v_add_co_u32 v2, s1, s6, v0
	s_delay_alu instid0(VALU_DEP_1)
	v_add_co_ci_u32_e64 v3, s1, s7, v1, s1
	s_and_saveexec_b32 s1, s2
	s_cbranch_execz .LBB390_2
; %bb.1:
	global_load_b32 v6, v[2:3], off
.LBB390_2:
	s_or_b32 exec_lo, exec_lo, s1
	v_cmp_lt_i32_e64 s1, 1, v4
	s_delay_alu instid0(VALU_DEP_1) | instskip(NEXT) | instid1(SALU_CYCLE_1)
	s_and_b32 s1, s0, s1
	s_and_saveexec_b32 s2, s1
	s_cbranch_execz .LBB390_4
; %bb.3:
	s_mov_b32 s11, 0
	s_delay_alu instid0(SALU_CYCLE_1) | instskip(NEXT) | instid1(SALU_CYCLE_1)
	s_lshl_b64 s[6:7], s[10:11], 2
	v_add_co_u32 v2, s1, v2, s6
	s_delay_alu instid0(VALU_DEP_1)
	v_add_co_ci_u32_e64 v3, s1, s7, v3, s1
	global_load_b32 v5, v[2:3], off
.LBB390_4:
	s_or_b32 exec_lo, exec_lo, s2
	v_mbcnt_lo_u32_b32 v2, -1, 0
	s_delay_alu instid0(VALU_DEP_1)
	v_xor_b32_e32 v3, 16, v2
	v_xor_b32_e32 v9, 8, v2
	;; [unrolled: 1-line block ×5, first 2 shown]
	v_cmp_gt_i32_e64 s1, 32, v3
	s_delay_alu instid0(VALU_DEP_1) | instskip(SKIP_1) | instid1(VALU_DEP_2)
	v_cndmask_b32_e64 v3, v2, v3, s1
	v_cmp_gt_i32_e64 s1, 32, v9
	v_lshlrev_b32_e32 v7, 2, v3
	s_delay_alu instid0(VALU_DEP_2)
	v_cndmask_b32_e64 v9, v2, v9, s1
	s_waitcnt vmcnt(0)
	ds_bpermute_b32 v3, v7, v6
	ds_bpermute_b32 v8, v7, v5
	v_lshlrev_b32_e32 v9, 2, v9
	s_waitcnt lgkmcnt(1)
	v_cmp_lt_f32_e64 s1, v6, v3
	s_delay_alu instid0(VALU_DEP_1)
	v_cndmask_b32_e64 v3, v6, v3, s1
	s_waitcnt lgkmcnt(0)
	v_cmp_lt_f32_e64 s1, v5, v8
	ds_bpermute_b32 v10, v9, v3
	v_cndmask_b32_e64 v8, v5, v8, s1
	v_cmp_gt_i32_e64 s1, 32, v12
	ds_bpermute_b32 v11, v9, v8
	v_cndmask_b32_e64 v12, v2, v12, s1
	s_delay_alu instid0(VALU_DEP_1) | instskip(SKIP_2) | instid1(VALU_DEP_1)
	v_lshlrev_b32_e32 v12, 2, v12
	s_waitcnt lgkmcnt(1)
	v_cmp_lt_f32_e64 s1, v3, v10
	v_cndmask_b32_e64 v3, v3, v10, s1
	s_waitcnt lgkmcnt(0)
	v_cmp_lt_f32_e64 s1, v8, v11
	ds_bpermute_b32 v10, v12, v3
	v_cndmask_b32_e64 v8, v8, v11, s1
	v_cmp_gt_i32_e64 s1, 32, v13
	ds_bpermute_b32 v11, v12, v8
	v_cndmask_b32_e64 v13, v2, v13, s1
	s_delay_alu instid0(VALU_DEP_1) | instskip(SKIP_2) | instid1(VALU_DEP_1)
	v_lshlrev_b32_e32 v13, 2, v13
	s_waitcnt lgkmcnt(1)
	v_cmp_lt_f32_e64 s1, v3, v10
	;; [unrolled: 12-line block ×3, first 2 shown]
	v_cndmask_b32_e64 v2, v3, v10, s1
	s_waitcnt lgkmcnt(0)
	v_cmp_lt_f32_e64 s1, v8, v11
	s_delay_alu instid0(VALU_DEP_1) | instskip(SKIP_4) | instid1(VALU_DEP_1)
	v_cndmask_b32_e64 v3, v8, v11, s1
	ds_bpermute_b32 v8, v14, v2
	ds_bpermute_b32 v10, v14, v3
	s_waitcnt lgkmcnt(1)
	v_cmp_lt_f32_e64 s1, v2, v8
	v_cndmask_b32_e64 v2, v2, v8, s1
	s_waitcnt lgkmcnt(0)
	v_cmp_lt_f32_e64 s1, v3, v10
	s_delay_alu instid0(VALU_DEP_2) | instskip(NEXT) | instid1(VALU_DEP_2)
	v_sub_f32_e32 v2, v6, v2
	v_cndmask_b32_e64 v3, v3, v10, s1
	s_delay_alu instid0(VALU_DEP_2) | instskip(NEXT) | instid1(VALU_DEP_2)
	v_cmp_ngt_f32_e64 s1, 0xc2ce8ed0, v2
	v_sub_f32_e32 v5, v5, v3
	s_delay_alu instid0(VALU_DEP_1) | instskip(NEXT) | instid1(VALU_DEP_1)
	v_dual_mul_f32 v3, 0x3fb8aa3b, v2 :: v_dual_mul_f32 v6, 0x3fb8aa3b, v5
	v_fma_f32 v8, 0x3fb8aa3b, v2, -v3
	v_rndne_f32_e32 v10, v3
	s_delay_alu instid0(VALU_DEP_3) | instskip(SKIP_1) | instid1(VALU_DEP_2)
	v_fma_f32 v11, 0x3fb8aa3b, v5, -v6
	v_rndne_f32_e32 v15, v6
	v_dual_fmac_f32 v8, 0x32a5705f, v2 :: v_dual_fmac_f32 v11, 0x32a5705f, v5
	s_delay_alu instid0(VALU_DEP_2) | instskip(NEXT) | instid1(VALU_DEP_1)
	v_dual_sub_f32 v6, v6, v15 :: v_dual_sub_f32 v3, v3, v10
	v_dual_add_f32 v6, v6, v11 :: v_dual_add_f32 v3, v3, v8
	v_cvt_i32_f32_e32 v8, v10
	v_cvt_i32_f32_e32 v10, v15
	s_delay_alu instid0(VALU_DEP_3) | instskip(NEXT) | instid1(VALU_DEP_3)
	v_exp_f32_e32 v6, v6
	v_exp_f32_e32 v3, v3
	s_waitcnt_depctr 0xfff
	v_ldexp_f32 v6, v6, v10
	v_ldexp_f32 v3, v3, v8
	s_delay_alu instid0(VALU_DEP_1) | instskip(SKIP_1) | instid1(VALU_DEP_1)
	v_cndmask_b32_e64 v3, 0, v3, s1
	v_cmp_ngt_f32_e64 s1, 0xc2ce8ed0, v5
	v_cndmask_b32_e64 v6, 0, v6, s1
	v_cmp_nlt_f32_e64 s1, 0x42b17218, v2
	s_delay_alu instid0(VALU_DEP_1)
	v_cndmask_b32_e64 v3, 0x7f800000, v3, s1
	v_cmp_nlt_f32_e64 s1, 0x42b17218, v5
	ds_bpermute_b32 v5, v7, v3
	v_cndmask_b32_e64 v2, 0x7f800000, v6, s1
	ds_bpermute_b32 v6, v7, v2
	s_waitcnt lgkmcnt(0)
	v_add_f32_e32 v6, v2, v6
	ds_bpermute_b32 v8, v9, v6
	s_waitcnt lgkmcnt(0)
	v_dual_add_f32 v5, v3, v5 :: v_dual_add_f32 v6, v6, v8
	ds_bpermute_b32 v7, v9, v5
	ds_bpermute_b32 v8, v12, v6
	s_waitcnt lgkmcnt(0)
	v_dual_add_f32 v5, v5, v7 :: v_dual_add_f32 v6, v6, v8
	ds_bpermute_b32 v7, v12, v5
	ds_bpermute_b32 v8, v13, v6
	s_waitcnt lgkmcnt(1)
	v_add_f32_e32 v5, v5, v7
	ds_bpermute_b32 v7, v13, v5
	s_waitcnt lgkmcnt(0)
	v_add_f32_e32 v7, v5, v7
	v_add_f32_e32 v5, v6, v8
	ds_bpermute_b32 v8, v14, v7
	ds_bpermute_b32 v6, v14, v5
	s_and_saveexec_b32 s1, vcc_lo
	s_cbranch_execz .LBB390_10
; %bb.5:
	v_add_co_u32 v0, vcc_lo, s4, v0
	v_add_co_ci_u32_e32 v1, vcc_lo, s5, v1, vcc_lo
	s_and_saveexec_b32 s1, s0
	s_cbranch_execz .LBB390_7
; %bb.6:
	s_waitcnt lgkmcnt(1)
	v_add_f32_e32 v7, v7, v8
	s_delay_alu instid0(VALU_DEP_1) | instskip(NEXT) | instid1(VALU_DEP_1)
	v_div_scale_f32 v8, null, v7, v7, v3
	v_rcp_f32_e32 v9, v8
	s_waitcnt_depctr 0xfff
	v_fma_f32 v10, -v8, v9, 1.0
	s_delay_alu instid0(VALU_DEP_1) | instskip(SKIP_1) | instid1(VALU_DEP_1)
	v_fmac_f32_e32 v9, v10, v9
	v_div_scale_f32 v10, vcc_lo, v3, v7, v3
	v_mul_f32_e32 v11, v10, v9
	s_delay_alu instid0(VALU_DEP_1) | instskip(NEXT) | instid1(VALU_DEP_1)
	v_fma_f32 v12, -v8, v11, v10
	v_fmac_f32_e32 v11, v12, v9
	s_delay_alu instid0(VALU_DEP_1) | instskip(NEXT) | instid1(VALU_DEP_1)
	v_fma_f32 v8, -v8, v11, v10
	v_div_fmas_f32 v8, v8, v9, v11
	v_cmp_neq_f32_e32 vcc_lo, 0, v7
	s_delay_alu instid0(VALU_DEP_2) | instskip(NEXT) | instid1(VALU_DEP_1)
	v_div_fixup_f32 v3, v8, v7, v3
	v_cndmask_b32_e32 v3, 0x7fc00000, v3, vcc_lo
	global_store_b32 v[0:1], v3, off
.LBB390_7:
	s_or_b32 exec_lo, exec_lo, s1
	v_cmp_ne_u32_e32 vcc_lo, 1, v4
	s_and_b32 exec_lo, exec_lo, vcc_lo
	s_cbranch_execz .LBB390_10
; %bb.8:
	s_and_b32 exec_lo, exec_lo, s0
	s_cbranch_execz .LBB390_10
; %bb.9:
	s_waitcnt lgkmcnt(0)
	v_add_f32_e32 v3, v5, v6
	s_mov_b32 s11, 0
	s_delay_alu instid0(SALU_CYCLE_1) | instskip(NEXT) | instid1(VALU_DEP_1)
	s_lshl_b64 s[0:1], s[10:11], 2
	v_div_scale_f32 v4, null, v3, v3, v2
	v_div_scale_f32 v7, vcc_lo, v2, v3, v2
	s_delay_alu instid0(VALU_DEP_2) | instskip(SKIP_2) | instid1(VALU_DEP_1)
	v_rcp_f32_e32 v5, v4
	s_waitcnt_depctr 0xfff
	v_fma_f32 v6, -v4, v5, 1.0
	v_fmac_f32_e32 v5, v6, v5
	s_delay_alu instid0(VALU_DEP_1) | instskip(NEXT) | instid1(VALU_DEP_1)
	v_mul_f32_e32 v6, v7, v5
	v_fma_f32 v8, -v4, v6, v7
	s_delay_alu instid0(VALU_DEP_1) | instskip(NEXT) | instid1(VALU_DEP_1)
	v_fmac_f32_e32 v6, v8, v5
	v_fma_f32 v4, -v4, v6, v7
	s_delay_alu instid0(VALU_DEP_1) | instskip(SKIP_2) | instid1(VALU_DEP_3)
	v_div_fmas_f32 v4, v4, v5, v6
	v_add_co_u32 v0, vcc_lo, v0, s0
	v_add_co_ci_u32_e32 v1, vcc_lo, s1, v1, vcc_lo
	v_div_fixup_f32 v2, v4, v3, v2
	v_cmp_neq_f32_e32 vcc_lo, 0, v3
	s_delay_alu instid0(VALU_DEP_2)
	v_cndmask_b32_e32 v2, 0x7fc00000, v2, vcc_lo
	global_store_b32 v[0:1], v2, off
.LBB390_10:
	s_nop 0
	s_sendmsg sendmsg(MSG_DEALLOC_VGPRS)
	s_endpgm
	.section	.rodata,"a",@progbits
	.p2align	6, 0x0
	.amdhsa_kernel _ZN12_GLOBAL__N_120softmax_warp_forwardIfffLi5ELb0ELb0ELi64EEEvPT0_PKT_iiiPKbib
		.amdhsa_group_segment_fixed_size 0
		.amdhsa_private_segment_fixed_size 0
		.amdhsa_kernarg_size 304
		.amdhsa_user_sgpr_count 15
		.amdhsa_user_sgpr_dispatch_ptr 0
		.amdhsa_user_sgpr_queue_ptr 0
		.amdhsa_user_sgpr_kernarg_segment_ptr 1
		.amdhsa_user_sgpr_dispatch_id 0
		.amdhsa_user_sgpr_private_segment_size 0
		.amdhsa_wavefront_size32 1
		.amdhsa_uses_dynamic_stack 0
		.amdhsa_enable_private_segment 0
		.amdhsa_system_sgpr_workgroup_id_x 1
		.amdhsa_system_sgpr_workgroup_id_y 0
		.amdhsa_system_sgpr_workgroup_id_z 0
		.amdhsa_system_sgpr_workgroup_info 0
		.amdhsa_system_vgpr_workitem_id 1
		.amdhsa_next_free_vgpr 16
		.amdhsa_next_free_sgpr 16
		.amdhsa_reserve_vcc 1
		.amdhsa_float_round_mode_32 0
		.amdhsa_float_round_mode_16_64 0
		.amdhsa_float_denorm_mode_32 3
		.amdhsa_float_denorm_mode_16_64 3
		.amdhsa_dx10_clamp 1
		.amdhsa_ieee_mode 1
		.amdhsa_fp16_overflow 0
		.amdhsa_workgroup_processor_mode 1
		.amdhsa_memory_ordered 1
		.amdhsa_forward_progress 0
		.amdhsa_shared_vgpr_count 0
		.amdhsa_exception_fp_ieee_invalid_op 0
		.amdhsa_exception_fp_denorm_src 0
		.amdhsa_exception_fp_ieee_div_zero 0
		.amdhsa_exception_fp_ieee_overflow 0
		.amdhsa_exception_fp_ieee_underflow 0
		.amdhsa_exception_fp_ieee_inexact 0
		.amdhsa_exception_int_div_zero 0
	.end_amdhsa_kernel
	.section	.text._ZN12_GLOBAL__N_120softmax_warp_forwardIfffLi5ELb0ELb0ELi64EEEvPT0_PKT_iiiPKbib,"axG",@progbits,_ZN12_GLOBAL__N_120softmax_warp_forwardIfffLi5ELb0ELb0ELi64EEEvPT0_PKT_iiiPKbib,comdat
.Lfunc_end390:
	.size	_ZN12_GLOBAL__N_120softmax_warp_forwardIfffLi5ELb0ELb0ELi64EEEvPT0_PKT_iiiPKbib, .Lfunc_end390-_ZN12_GLOBAL__N_120softmax_warp_forwardIfffLi5ELb0ELb0ELi64EEEvPT0_PKT_iiiPKbib
                                        ; -- End function
	.section	.AMDGPU.csdata,"",@progbits
; Kernel info:
; codeLenInByte = 1376
; NumSgprs: 18
; NumVgprs: 16
; ScratchSize: 0
; MemoryBound: 0
; FloatMode: 240
; IeeeMode: 1
; LDSByteSize: 0 bytes/workgroup (compile time only)
; SGPRBlocks: 2
; VGPRBlocks: 1
; NumSGPRsForWavesPerEU: 18
; NumVGPRsForWavesPerEU: 16
; Occupancy: 16
; WaveLimiterHint : 0
; COMPUTE_PGM_RSRC2:SCRATCH_EN: 0
; COMPUTE_PGM_RSRC2:USER_SGPR: 15
; COMPUTE_PGM_RSRC2:TRAP_HANDLER: 0
; COMPUTE_PGM_RSRC2:TGID_X_EN: 1
; COMPUTE_PGM_RSRC2:TGID_Y_EN: 0
; COMPUTE_PGM_RSRC2:TGID_Z_EN: 0
; COMPUTE_PGM_RSRC2:TIDIG_COMP_CNT: 1
	.section	.text._ZN12_GLOBAL__N_120softmax_warp_forwardIfffLi5ELb0ELb0ELi32EEEvPT0_PKT_iiiPKbib,"axG",@progbits,_ZN12_GLOBAL__N_120softmax_warp_forwardIfffLi5ELb0ELb0ELi32EEEvPT0_PKT_iiiPKbib,comdat
	.globl	_ZN12_GLOBAL__N_120softmax_warp_forwardIfffLi5ELb0ELb0ELi32EEEvPT0_PKT_iiiPKbib ; -- Begin function _ZN12_GLOBAL__N_120softmax_warp_forwardIfffLi5ELb0ELb0ELi32EEEvPT0_PKT_iiiPKbib
	.p2align	8
	.type	_ZN12_GLOBAL__N_120softmax_warp_forwardIfffLi5ELb0ELb0ELi32EEEvPT0_PKT_iiiPKbib,@function
_ZN12_GLOBAL__N_120softmax_warp_forwardIfffLi5ELb0ELb0ELi32EEEvPT0_PKT_iiiPKbib: ; @_ZN12_GLOBAL__N_120softmax_warp_forwardIfffLi5ELb0ELb0ELi32EEEvPT0_PKT_iiiPKbib
; %bb.0:
	s_clause 0x1
	s_load_b32 s2, s[0:1], 0x3c
	s_load_b256 s[4:11], s[0:1], 0x0
	v_bfe_u32 v1, v0, 10, 10
	v_and_b32_e32 v2, 0x3ff, v0
	v_dual_mov_b32 v5, 0xff800000 :: v_dual_mov_b32 v6, 0xff800000
	s_waitcnt lgkmcnt(0)
	s_lshr_b32 s0, s2, 16
	s_delay_alu instid0(SALU_CYCLE_1) | instskip(SKIP_2) | instid1(VALU_DEP_1)
	s_mul_i32 s15, s15, s0
	v_cmp_gt_i32_e64 s0, s10, v2
	v_add_lshl_u32 v3, s15, v1, 1
	v_mad_u64_u32 v[0:1], null, v3, s9, v[2:3]
	v_sub_nc_u32_e32 v4, s8, v3
	s_delay_alu instid0(VALU_DEP_1) | instskip(NEXT) | instid1(VALU_DEP_3)
	v_cmp_lt_i32_e32 vcc_lo, 0, v4
	v_ashrrev_i32_e32 v1, 31, v0
	s_and_b32 s2, s0, vcc_lo
	s_delay_alu instid0(VALU_DEP_1) | instskip(NEXT) | instid1(VALU_DEP_1)
	v_lshlrev_b64 v[0:1], 2, v[0:1]
	v_add_co_u32 v2, s1, s6, v0
	s_delay_alu instid0(VALU_DEP_1)
	v_add_co_ci_u32_e64 v3, s1, s7, v1, s1
	s_and_saveexec_b32 s1, s2
	s_cbranch_execz .LBB391_2
; %bb.1:
	global_load_b32 v6, v[2:3], off
.LBB391_2:
	s_or_b32 exec_lo, exec_lo, s1
	v_cmp_lt_i32_e64 s1, 1, v4
	s_delay_alu instid0(VALU_DEP_1) | instskip(NEXT) | instid1(SALU_CYCLE_1)
	s_and_b32 s1, s0, s1
	s_and_saveexec_b32 s2, s1
	s_cbranch_execz .LBB391_4
; %bb.3:
	s_mov_b32 s11, 0
	s_delay_alu instid0(SALU_CYCLE_1) | instskip(NEXT) | instid1(SALU_CYCLE_1)
	s_lshl_b64 s[6:7], s[10:11], 2
	v_add_co_u32 v2, s1, v2, s6
	s_delay_alu instid0(VALU_DEP_1)
	v_add_co_ci_u32_e64 v3, s1, s7, v3, s1
	global_load_b32 v5, v[2:3], off
.LBB391_4:
	s_or_b32 exec_lo, exec_lo, s2
	v_mbcnt_lo_u32_b32 v2, -1, 0
	s_delay_alu instid0(VALU_DEP_1)
	v_xor_b32_e32 v3, 16, v2
	v_xor_b32_e32 v9, 8, v2
	;; [unrolled: 1-line block ×5, first 2 shown]
	v_cmp_gt_i32_e64 s1, 32, v3
	s_delay_alu instid0(VALU_DEP_1) | instskip(SKIP_1) | instid1(VALU_DEP_2)
	v_cndmask_b32_e64 v3, v2, v3, s1
	v_cmp_gt_i32_e64 s1, 32, v9
	v_lshlrev_b32_e32 v7, 2, v3
	s_delay_alu instid0(VALU_DEP_2)
	v_cndmask_b32_e64 v9, v2, v9, s1
	s_waitcnt vmcnt(0)
	ds_bpermute_b32 v3, v7, v6
	ds_bpermute_b32 v8, v7, v5
	v_lshlrev_b32_e32 v9, 2, v9
	s_waitcnt lgkmcnt(1)
	v_cmp_lt_f32_e64 s1, v6, v3
	s_delay_alu instid0(VALU_DEP_1)
	v_cndmask_b32_e64 v3, v6, v3, s1
	s_waitcnt lgkmcnt(0)
	v_cmp_lt_f32_e64 s1, v5, v8
	ds_bpermute_b32 v10, v9, v3
	v_cndmask_b32_e64 v8, v5, v8, s1
	v_cmp_gt_i32_e64 s1, 32, v12
	ds_bpermute_b32 v11, v9, v8
	v_cndmask_b32_e64 v12, v2, v12, s1
	s_delay_alu instid0(VALU_DEP_1) | instskip(SKIP_2) | instid1(VALU_DEP_1)
	v_lshlrev_b32_e32 v12, 2, v12
	s_waitcnt lgkmcnt(1)
	v_cmp_lt_f32_e64 s1, v3, v10
	v_cndmask_b32_e64 v3, v3, v10, s1
	s_waitcnt lgkmcnt(0)
	v_cmp_lt_f32_e64 s1, v8, v11
	ds_bpermute_b32 v10, v12, v3
	v_cndmask_b32_e64 v8, v8, v11, s1
	v_cmp_gt_i32_e64 s1, 32, v13
	ds_bpermute_b32 v11, v12, v8
	v_cndmask_b32_e64 v13, v2, v13, s1
	s_delay_alu instid0(VALU_DEP_1) | instskip(SKIP_2) | instid1(VALU_DEP_1)
	v_lshlrev_b32_e32 v13, 2, v13
	s_waitcnt lgkmcnt(1)
	v_cmp_lt_f32_e64 s1, v3, v10
	;; [unrolled: 12-line block ×3, first 2 shown]
	v_cndmask_b32_e64 v2, v3, v10, s1
	s_waitcnt lgkmcnt(0)
	v_cmp_lt_f32_e64 s1, v8, v11
	s_delay_alu instid0(VALU_DEP_1) | instskip(SKIP_4) | instid1(VALU_DEP_1)
	v_cndmask_b32_e64 v3, v8, v11, s1
	ds_bpermute_b32 v8, v14, v2
	ds_bpermute_b32 v10, v14, v3
	s_waitcnt lgkmcnt(1)
	v_cmp_lt_f32_e64 s1, v2, v8
	v_cndmask_b32_e64 v2, v2, v8, s1
	s_waitcnt lgkmcnt(0)
	v_cmp_lt_f32_e64 s1, v3, v10
	s_delay_alu instid0(VALU_DEP_2) | instskip(NEXT) | instid1(VALU_DEP_2)
	v_sub_f32_e32 v2, v6, v2
	v_cndmask_b32_e64 v3, v3, v10, s1
	s_delay_alu instid0(VALU_DEP_2) | instskip(NEXT) | instid1(VALU_DEP_2)
	v_cmp_ngt_f32_e64 s1, 0xc2ce8ed0, v2
	v_sub_f32_e32 v5, v5, v3
	s_delay_alu instid0(VALU_DEP_1) | instskip(NEXT) | instid1(VALU_DEP_1)
	v_dual_mul_f32 v3, 0x3fb8aa3b, v2 :: v_dual_mul_f32 v6, 0x3fb8aa3b, v5
	v_fma_f32 v8, 0x3fb8aa3b, v2, -v3
	v_rndne_f32_e32 v10, v3
	s_delay_alu instid0(VALU_DEP_3) | instskip(SKIP_1) | instid1(VALU_DEP_2)
	v_fma_f32 v11, 0x3fb8aa3b, v5, -v6
	v_rndne_f32_e32 v15, v6
	v_dual_fmac_f32 v8, 0x32a5705f, v2 :: v_dual_fmac_f32 v11, 0x32a5705f, v5
	s_delay_alu instid0(VALU_DEP_2) | instskip(NEXT) | instid1(VALU_DEP_1)
	v_dual_sub_f32 v6, v6, v15 :: v_dual_sub_f32 v3, v3, v10
	v_dual_add_f32 v6, v6, v11 :: v_dual_add_f32 v3, v3, v8
	v_cvt_i32_f32_e32 v8, v10
	v_cvt_i32_f32_e32 v10, v15
	s_delay_alu instid0(VALU_DEP_3) | instskip(NEXT) | instid1(VALU_DEP_3)
	v_exp_f32_e32 v6, v6
	v_exp_f32_e32 v3, v3
	s_waitcnt_depctr 0xfff
	v_ldexp_f32 v6, v6, v10
	v_ldexp_f32 v3, v3, v8
	s_delay_alu instid0(VALU_DEP_1) | instskip(SKIP_1) | instid1(VALU_DEP_1)
	v_cndmask_b32_e64 v3, 0, v3, s1
	v_cmp_ngt_f32_e64 s1, 0xc2ce8ed0, v5
	v_cndmask_b32_e64 v6, 0, v6, s1
	v_cmp_nlt_f32_e64 s1, 0x42b17218, v2
	s_delay_alu instid0(VALU_DEP_1)
	v_cndmask_b32_e64 v3, 0x7f800000, v3, s1
	v_cmp_nlt_f32_e64 s1, 0x42b17218, v5
	ds_bpermute_b32 v5, v7, v3
	v_cndmask_b32_e64 v2, 0x7f800000, v6, s1
	ds_bpermute_b32 v6, v7, v2
	s_waitcnt lgkmcnt(0)
	v_add_f32_e32 v6, v2, v6
	ds_bpermute_b32 v8, v9, v6
	s_waitcnt lgkmcnt(0)
	v_dual_add_f32 v5, v3, v5 :: v_dual_add_f32 v6, v6, v8
	ds_bpermute_b32 v7, v9, v5
	ds_bpermute_b32 v8, v12, v6
	s_waitcnt lgkmcnt(0)
	v_dual_add_f32 v5, v5, v7 :: v_dual_add_f32 v6, v6, v8
	ds_bpermute_b32 v7, v12, v5
	ds_bpermute_b32 v8, v13, v6
	s_waitcnt lgkmcnt(1)
	v_add_f32_e32 v5, v5, v7
	ds_bpermute_b32 v7, v13, v5
	s_waitcnt lgkmcnt(0)
	v_add_f32_e32 v7, v5, v7
	v_add_f32_e32 v5, v6, v8
	ds_bpermute_b32 v8, v14, v7
	ds_bpermute_b32 v6, v14, v5
	s_and_saveexec_b32 s1, vcc_lo
	s_cbranch_execz .LBB391_10
; %bb.5:
	v_add_co_u32 v0, vcc_lo, s4, v0
	v_add_co_ci_u32_e32 v1, vcc_lo, s5, v1, vcc_lo
	s_and_saveexec_b32 s1, s0
	s_cbranch_execz .LBB391_7
; %bb.6:
	s_waitcnt lgkmcnt(1)
	v_add_f32_e32 v7, v7, v8
	s_delay_alu instid0(VALU_DEP_1) | instskip(NEXT) | instid1(VALU_DEP_1)
	v_div_scale_f32 v8, null, v7, v7, v3
	v_rcp_f32_e32 v9, v8
	s_waitcnt_depctr 0xfff
	v_fma_f32 v10, -v8, v9, 1.0
	s_delay_alu instid0(VALU_DEP_1) | instskip(SKIP_1) | instid1(VALU_DEP_1)
	v_fmac_f32_e32 v9, v10, v9
	v_div_scale_f32 v10, vcc_lo, v3, v7, v3
	v_mul_f32_e32 v11, v10, v9
	s_delay_alu instid0(VALU_DEP_1) | instskip(NEXT) | instid1(VALU_DEP_1)
	v_fma_f32 v12, -v8, v11, v10
	v_fmac_f32_e32 v11, v12, v9
	s_delay_alu instid0(VALU_DEP_1) | instskip(NEXT) | instid1(VALU_DEP_1)
	v_fma_f32 v8, -v8, v11, v10
	v_div_fmas_f32 v8, v8, v9, v11
	v_cmp_neq_f32_e32 vcc_lo, 0, v7
	s_delay_alu instid0(VALU_DEP_2) | instskip(NEXT) | instid1(VALU_DEP_1)
	v_div_fixup_f32 v3, v8, v7, v3
	v_cndmask_b32_e32 v3, 0x7fc00000, v3, vcc_lo
	global_store_b32 v[0:1], v3, off
.LBB391_7:
	s_or_b32 exec_lo, exec_lo, s1
	v_cmp_ne_u32_e32 vcc_lo, 1, v4
	s_and_b32 exec_lo, exec_lo, vcc_lo
	s_cbranch_execz .LBB391_10
; %bb.8:
	s_and_b32 exec_lo, exec_lo, s0
	s_cbranch_execz .LBB391_10
; %bb.9:
	s_waitcnt lgkmcnt(0)
	v_add_f32_e32 v3, v5, v6
	s_mov_b32 s11, 0
	s_delay_alu instid0(SALU_CYCLE_1) | instskip(NEXT) | instid1(VALU_DEP_1)
	s_lshl_b64 s[0:1], s[10:11], 2
	v_div_scale_f32 v4, null, v3, v3, v2
	v_div_scale_f32 v7, vcc_lo, v2, v3, v2
	s_delay_alu instid0(VALU_DEP_2) | instskip(SKIP_2) | instid1(VALU_DEP_1)
	v_rcp_f32_e32 v5, v4
	s_waitcnt_depctr 0xfff
	v_fma_f32 v6, -v4, v5, 1.0
	v_fmac_f32_e32 v5, v6, v5
	s_delay_alu instid0(VALU_DEP_1) | instskip(NEXT) | instid1(VALU_DEP_1)
	v_mul_f32_e32 v6, v7, v5
	v_fma_f32 v8, -v4, v6, v7
	s_delay_alu instid0(VALU_DEP_1) | instskip(NEXT) | instid1(VALU_DEP_1)
	v_fmac_f32_e32 v6, v8, v5
	v_fma_f32 v4, -v4, v6, v7
	s_delay_alu instid0(VALU_DEP_1) | instskip(SKIP_2) | instid1(VALU_DEP_3)
	v_div_fmas_f32 v4, v4, v5, v6
	v_add_co_u32 v0, vcc_lo, v0, s0
	v_add_co_ci_u32_e32 v1, vcc_lo, s1, v1, vcc_lo
	v_div_fixup_f32 v2, v4, v3, v2
	v_cmp_neq_f32_e32 vcc_lo, 0, v3
	s_delay_alu instid0(VALU_DEP_2)
	v_cndmask_b32_e32 v2, 0x7fc00000, v2, vcc_lo
	global_store_b32 v[0:1], v2, off
.LBB391_10:
	s_nop 0
	s_sendmsg sendmsg(MSG_DEALLOC_VGPRS)
	s_endpgm
	.section	.rodata,"a",@progbits
	.p2align	6, 0x0
	.amdhsa_kernel _ZN12_GLOBAL__N_120softmax_warp_forwardIfffLi5ELb0ELb0ELi32EEEvPT0_PKT_iiiPKbib
		.amdhsa_group_segment_fixed_size 0
		.amdhsa_private_segment_fixed_size 0
		.amdhsa_kernarg_size 304
		.amdhsa_user_sgpr_count 15
		.amdhsa_user_sgpr_dispatch_ptr 0
		.amdhsa_user_sgpr_queue_ptr 0
		.amdhsa_user_sgpr_kernarg_segment_ptr 1
		.amdhsa_user_sgpr_dispatch_id 0
		.amdhsa_user_sgpr_private_segment_size 0
		.amdhsa_wavefront_size32 1
		.amdhsa_uses_dynamic_stack 0
		.amdhsa_enable_private_segment 0
		.amdhsa_system_sgpr_workgroup_id_x 1
		.amdhsa_system_sgpr_workgroup_id_y 0
		.amdhsa_system_sgpr_workgroup_id_z 0
		.amdhsa_system_sgpr_workgroup_info 0
		.amdhsa_system_vgpr_workitem_id 1
		.amdhsa_next_free_vgpr 16
		.amdhsa_next_free_sgpr 16
		.amdhsa_reserve_vcc 1
		.amdhsa_float_round_mode_32 0
		.amdhsa_float_round_mode_16_64 0
		.amdhsa_float_denorm_mode_32 3
		.amdhsa_float_denorm_mode_16_64 3
		.amdhsa_dx10_clamp 1
		.amdhsa_ieee_mode 1
		.amdhsa_fp16_overflow 0
		.amdhsa_workgroup_processor_mode 1
		.amdhsa_memory_ordered 1
		.amdhsa_forward_progress 0
		.amdhsa_shared_vgpr_count 0
		.amdhsa_exception_fp_ieee_invalid_op 0
		.amdhsa_exception_fp_denorm_src 0
		.amdhsa_exception_fp_ieee_div_zero 0
		.amdhsa_exception_fp_ieee_overflow 0
		.amdhsa_exception_fp_ieee_underflow 0
		.amdhsa_exception_fp_ieee_inexact 0
		.amdhsa_exception_int_div_zero 0
	.end_amdhsa_kernel
	.section	.text._ZN12_GLOBAL__N_120softmax_warp_forwardIfffLi5ELb0ELb0ELi32EEEvPT0_PKT_iiiPKbib,"axG",@progbits,_ZN12_GLOBAL__N_120softmax_warp_forwardIfffLi5ELb0ELb0ELi32EEEvPT0_PKT_iiiPKbib,comdat
.Lfunc_end391:
	.size	_ZN12_GLOBAL__N_120softmax_warp_forwardIfffLi5ELb0ELb0ELi32EEEvPT0_PKT_iiiPKbib, .Lfunc_end391-_ZN12_GLOBAL__N_120softmax_warp_forwardIfffLi5ELb0ELb0ELi32EEEvPT0_PKT_iiiPKbib
                                        ; -- End function
	.section	.AMDGPU.csdata,"",@progbits
; Kernel info:
; codeLenInByte = 1376
; NumSgprs: 18
; NumVgprs: 16
; ScratchSize: 0
; MemoryBound: 0
; FloatMode: 240
; IeeeMode: 1
; LDSByteSize: 0 bytes/workgroup (compile time only)
; SGPRBlocks: 2
; VGPRBlocks: 1
; NumSGPRsForWavesPerEU: 18
; NumVGPRsForWavesPerEU: 16
; Occupancy: 16
; WaveLimiterHint : 0
; COMPUTE_PGM_RSRC2:SCRATCH_EN: 0
; COMPUTE_PGM_RSRC2:USER_SGPR: 15
; COMPUTE_PGM_RSRC2:TRAP_HANDLER: 0
; COMPUTE_PGM_RSRC2:TGID_X_EN: 1
; COMPUTE_PGM_RSRC2:TGID_Y_EN: 0
; COMPUTE_PGM_RSRC2:TGID_Z_EN: 0
; COMPUTE_PGM_RSRC2:TIDIG_COMP_CNT: 1
	.section	.text._ZN12_GLOBAL__N_120softmax_warp_forwardIfffLi6ELb0ELb0ELi64EEEvPT0_PKT_iiiPKbib,"axG",@progbits,_ZN12_GLOBAL__N_120softmax_warp_forwardIfffLi6ELb0ELb0ELi64EEEvPT0_PKT_iiiPKbib,comdat
	.globl	_ZN12_GLOBAL__N_120softmax_warp_forwardIfffLi6ELb0ELb0ELi64EEEvPT0_PKT_iiiPKbib ; -- Begin function _ZN12_GLOBAL__N_120softmax_warp_forwardIfffLi6ELb0ELb0ELi64EEEvPT0_PKT_iiiPKbib
	.p2align	8
	.type	_ZN12_GLOBAL__N_120softmax_warp_forwardIfffLi6ELb0ELb0ELi64EEEvPT0_PKT_iiiPKbib,@function
_ZN12_GLOBAL__N_120softmax_warp_forwardIfffLi6ELb0ELb0ELi64EEEvPT0_PKT_iiiPKbib: ; @_ZN12_GLOBAL__N_120softmax_warp_forwardIfffLi6ELb0ELb0ELi64EEEvPT0_PKT_iiiPKbib
; %bb.0:
	s_clause 0x1
	s_load_b32 s2, s[0:1], 0x3c
	s_load_b256 s[4:11], s[0:1], 0x0
	v_bfe_u32 v1, v0, 10, 10
	v_and_b32_e32 v2, 0x3ff, v0
	v_dual_mov_b32 v5, 0xff800000 :: v_dual_mov_b32 v6, 0xff800000
	s_waitcnt lgkmcnt(0)
	s_lshr_b32 s0, s2, 16
	s_delay_alu instid0(SALU_CYCLE_1) | instskip(SKIP_2) | instid1(VALU_DEP_1)
	s_mul_i32 s15, s15, s0
	v_cmp_gt_i32_e64 s0, s10, v2
	v_add_lshl_u32 v3, s15, v1, 1
	v_mad_u64_u32 v[0:1], null, v3, s9, v[2:3]
	v_sub_nc_u32_e32 v4, s8, v3
	s_delay_alu instid0(VALU_DEP_1) | instskip(NEXT) | instid1(VALU_DEP_3)
	v_cmp_lt_i32_e32 vcc_lo, 0, v4
	v_ashrrev_i32_e32 v1, 31, v0
	s_and_b32 s2, s0, vcc_lo
	s_delay_alu instid0(VALU_DEP_1) | instskip(NEXT) | instid1(VALU_DEP_1)
	v_lshlrev_b64 v[0:1], 2, v[0:1]
	v_add_co_u32 v2, s1, s6, v0
	s_delay_alu instid0(VALU_DEP_1)
	v_add_co_ci_u32_e64 v3, s1, s7, v1, s1
	s_and_saveexec_b32 s1, s2
	s_cbranch_execz .LBB392_2
; %bb.1:
	global_load_b32 v6, v[2:3], off
.LBB392_2:
	s_or_b32 exec_lo, exec_lo, s1
	v_cmp_lt_i32_e64 s1, 1, v4
	s_delay_alu instid0(VALU_DEP_1) | instskip(NEXT) | instid1(SALU_CYCLE_1)
	s_and_b32 s1, s0, s1
	s_and_saveexec_b32 s2, s1
	s_cbranch_execz .LBB392_4
; %bb.3:
	s_mov_b32 s11, 0
	s_delay_alu instid0(SALU_CYCLE_1) | instskip(NEXT) | instid1(SALU_CYCLE_1)
	s_lshl_b64 s[6:7], s[10:11], 2
	v_add_co_u32 v2, s1, v2, s6
	s_delay_alu instid0(VALU_DEP_1)
	v_add_co_ci_u32_e64 v3, s1, s7, v3, s1
	global_load_b32 v5, v[2:3], off
.LBB392_4:
	s_or_b32 exec_lo, exec_lo, s2
	v_mbcnt_lo_u32_b32 v2, -1, 0
	s_delay_alu instid0(VALU_DEP_1)
	v_or_b32_e32 v3, 32, v2
	v_xor_b32_e32 v9, 16, v2
	v_xor_b32_e32 v12, 8, v2
	;; [unrolled: 1-line block ×4, first 2 shown]
	v_cmp_gt_i32_e64 s1, 64, v3
	v_xor_b32_e32 v15, 1, v2
	s_delay_alu instid0(VALU_DEP_2) | instskip(SKIP_1) | instid1(VALU_DEP_2)
	v_cndmask_b32_e64 v3, v2, v3, s1
	v_cmp_gt_i32_e64 s1, 64, v9
	v_lshlrev_b32_e32 v7, 2, v3
	s_delay_alu instid0(VALU_DEP_2)
	v_cndmask_b32_e64 v9, v2, v9, s1
	s_waitcnt vmcnt(0)
	ds_bpermute_b32 v3, v7, v6
	ds_bpermute_b32 v8, v7, v5
	v_lshlrev_b32_e32 v9, 2, v9
	s_waitcnt lgkmcnt(1)
	v_cmp_lt_f32_e64 s1, v6, v3
	s_delay_alu instid0(VALU_DEP_1)
	v_cndmask_b32_e64 v3, v6, v3, s1
	s_waitcnt lgkmcnt(0)
	v_cmp_lt_f32_e64 s1, v5, v8
	ds_bpermute_b32 v10, v9, v3
	v_cndmask_b32_e64 v8, v5, v8, s1
	v_cmp_gt_i32_e64 s1, 64, v12
	ds_bpermute_b32 v11, v9, v8
	v_cndmask_b32_e64 v12, v2, v12, s1
	s_delay_alu instid0(VALU_DEP_1) | instskip(SKIP_2) | instid1(VALU_DEP_1)
	v_lshlrev_b32_e32 v12, 2, v12
	s_waitcnt lgkmcnt(1)
	v_cmp_lt_f32_e64 s1, v3, v10
	v_cndmask_b32_e64 v3, v3, v10, s1
	s_waitcnt lgkmcnt(0)
	v_cmp_lt_f32_e64 s1, v8, v11
	ds_bpermute_b32 v10, v12, v3
	v_cndmask_b32_e64 v8, v8, v11, s1
	v_cmp_gt_i32_e64 s1, 64, v13
	ds_bpermute_b32 v11, v12, v8
	v_cndmask_b32_e64 v13, v2, v13, s1
	s_delay_alu instid0(VALU_DEP_1) | instskip(SKIP_2) | instid1(VALU_DEP_1)
	v_lshlrev_b32_e32 v13, 2, v13
	s_waitcnt lgkmcnt(1)
	v_cmp_lt_f32_e64 s1, v3, v10
	;; [unrolled: 12-line block ×4, first 2 shown]
	v_cndmask_b32_e64 v2, v3, v10, s1
	s_waitcnt lgkmcnt(0)
	v_cmp_lt_f32_e64 s1, v8, v11
	s_delay_alu instid0(VALU_DEP_1) | instskip(SKIP_4) | instid1(VALU_DEP_1)
	v_cndmask_b32_e64 v3, v8, v11, s1
	ds_bpermute_b32 v8, v15, v2
	ds_bpermute_b32 v10, v15, v3
	s_waitcnt lgkmcnt(1)
	v_cmp_lt_f32_e64 s1, v2, v8
	v_cndmask_b32_e64 v2, v2, v8, s1
	s_waitcnt lgkmcnt(0)
	v_cmp_lt_f32_e64 s1, v3, v10
	s_delay_alu instid0(VALU_DEP_2) | instskip(NEXT) | instid1(VALU_DEP_2)
	v_sub_f32_e32 v2, v6, v2
	v_cndmask_b32_e64 v3, v3, v10, s1
	s_delay_alu instid0(VALU_DEP_2) | instskip(NEXT) | instid1(VALU_DEP_2)
	v_cmp_ngt_f32_e64 s1, 0xc2ce8ed0, v2
	v_sub_f32_e32 v5, v5, v3
	s_delay_alu instid0(VALU_DEP_1) | instskip(NEXT) | instid1(VALU_DEP_1)
	v_mul_f32_e32 v6, 0x3fb8aa3b, v5
	v_fma_f32 v11, 0x3fb8aa3b, v5, -v6
	v_rndne_f32_e32 v16, v6
	s_delay_alu instid0(VALU_DEP_1) | instskip(NEXT) | instid1(VALU_DEP_1)
	v_dual_fmac_f32 v11, 0x32a5705f, v5 :: v_dual_sub_f32 v6, v6, v16
	v_dual_mul_f32 v3, 0x3fb8aa3b, v2 :: v_dual_add_f32 v6, v6, v11
	s_delay_alu instid0(VALU_DEP_1) | instskip(SKIP_1) | instid1(VALU_DEP_3)
	v_fma_f32 v8, 0x3fb8aa3b, v2, -v3
	v_rndne_f32_e32 v10, v3
	v_exp_f32_e32 v6, v6
	s_delay_alu instid0(VALU_DEP_2) | instskip(NEXT) | instid1(VALU_DEP_2)
	v_fmac_f32_e32 v8, 0x32a5705f, v2
	v_sub_f32_e32 v3, v3, v10
	s_delay_alu instid0(VALU_DEP_1) | instskip(SKIP_2) | instid1(VALU_DEP_3)
	v_add_f32_e32 v3, v3, v8
	v_cvt_i32_f32_e32 v8, v10
	v_cvt_i32_f32_e32 v10, v16
	v_exp_f32_e32 v3, v3
	s_delay_alu instid0(TRANS32_DEP_2) | instid1(VALU_DEP_1)
	v_ldexp_f32 v6, v6, v10
	s_waitcnt_depctr 0xfff
	v_ldexp_f32 v3, v3, v8
	s_delay_alu instid0(VALU_DEP_1) | instskip(SKIP_1) | instid1(VALU_DEP_1)
	v_cndmask_b32_e64 v3, 0, v3, s1
	v_cmp_ngt_f32_e64 s1, 0xc2ce8ed0, v5
	v_cndmask_b32_e64 v6, 0, v6, s1
	v_cmp_nlt_f32_e64 s1, 0x42b17218, v2
	s_delay_alu instid0(VALU_DEP_1)
	v_cndmask_b32_e64 v3, 0x7f800000, v3, s1
	v_cmp_nlt_f32_e64 s1, 0x42b17218, v5
	ds_bpermute_b32 v5, v7, v3
	v_cndmask_b32_e64 v2, 0x7f800000, v6, s1
	ds_bpermute_b32 v6, v7, v2
	s_waitcnt lgkmcnt(0)
	v_add_f32_e32 v6, v2, v6
	ds_bpermute_b32 v8, v9, v6
	s_waitcnt lgkmcnt(0)
	v_add_f32_e32 v6, v6, v8
	ds_bpermute_b32 v8, v12, v6
	s_waitcnt lgkmcnt(0)
	v_dual_add_f32 v5, v3, v5 :: v_dual_add_f32 v6, v6, v8
	ds_bpermute_b32 v7, v9, v5
	ds_bpermute_b32 v8, v13, v6
	s_waitcnt lgkmcnt(0)
	v_dual_add_f32 v5, v5, v7 :: v_dual_add_f32 v6, v6, v8
	ds_bpermute_b32 v7, v12, v5
	ds_bpermute_b32 v8, v14, v6
	s_waitcnt lgkmcnt(1)
	v_add_f32_e32 v5, v5, v7
	ds_bpermute_b32 v7, v13, v5
	s_waitcnt lgkmcnt(0)
	v_add_f32_e32 v5, v5, v7
	ds_bpermute_b32 v7, v14, v5
	s_waitcnt lgkmcnt(0)
	v_add_f32_e32 v7, v5, v7
	v_add_f32_e32 v5, v6, v8
	ds_bpermute_b32 v8, v15, v7
	ds_bpermute_b32 v6, v15, v5
	s_and_saveexec_b32 s1, vcc_lo
	s_cbranch_execz .LBB392_10
; %bb.5:
	v_add_co_u32 v0, vcc_lo, s4, v0
	v_add_co_ci_u32_e32 v1, vcc_lo, s5, v1, vcc_lo
	s_and_saveexec_b32 s1, s0
	s_cbranch_execz .LBB392_7
; %bb.6:
	s_waitcnt lgkmcnt(1)
	v_add_f32_e32 v7, v7, v8
	s_delay_alu instid0(VALU_DEP_1) | instskip(NEXT) | instid1(VALU_DEP_1)
	v_div_scale_f32 v8, null, v7, v7, v3
	v_rcp_f32_e32 v9, v8
	s_waitcnt_depctr 0xfff
	v_fma_f32 v10, -v8, v9, 1.0
	s_delay_alu instid0(VALU_DEP_1) | instskip(SKIP_1) | instid1(VALU_DEP_1)
	v_fmac_f32_e32 v9, v10, v9
	v_div_scale_f32 v10, vcc_lo, v3, v7, v3
	v_mul_f32_e32 v11, v10, v9
	s_delay_alu instid0(VALU_DEP_1) | instskip(NEXT) | instid1(VALU_DEP_1)
	v_fma_f32 v12, -v8, v11, v10
	v_fmac_f32_e32 v11, v12, v9
	s_delay_alu instid0(VALU_DEP_1) | instskip(NEXT) | instid1(VALU_DEP_1)
	v_fma_f32 v8, -v8, v11, v10
	v_div_fmas_f32 v8, v8, v9, v11
	v_cmp_neq_f32_e32 vcc_lo, 0, v7
	s_delay_alu instid0(VALU_DEP_2) | instskip(NEXT) | instid1(VALU_DEP_1)
	v_div_fixup_f32 v3, v8, v7, v3
	v_cndmask_b32_e32 v3, 0x7fc00000, v3, vcc_lo
	global_store_b32 v[0:1], v3, off
.LBB392_7:
	s_or_b32 exec_lo, exec_lo, s1
	v_cmp_ne_u32_e32 vcc_lo, 1, v4
	s_and_b32 exec_lo, exec_lo, vcc_lo
	s_cbranch_execz .LBB392_10
; %bb.8:
	s_and_b32 exec_lo, exec_lo, s0
	s_cbranch_execz .LBB392_10
; %bb.9:
	s_waitcnt lgkmcnt(0)
	v_add_f32_e32 v3, v5, v6
	s_mov_b32 s11, 0
	s_delay_alu instid0(SALU_CYCLE_1) | instskip(NEXT) | instid1(VALU_DEP_1)
	s_lshl_b64 s[0:1], s[10:11], 2
	v_div_scale_f32 v4, null, v3, v3, v2
	v_div_scale_f32 v7, vcc_lo, v2, v3, v2
	s_delay_alu instid0(VALU_DEP_2) | instskip(SKIP_2) | instid1(VALU_DEP_1)
	v_rcp_f32_e32 v5, v4
	s_waitcnt_depctr 0xfff
	v_fma_f32 v6, -v4, v5, 1.0
	v_fmac_f32_e32 v5, v6, v5
	s_delay_alu instid0(VALU_DEP_1) | instskip(NEXT) | instid1(VALU_DEP_1)
	v_mul_f32_e32 v6, v7, v5
	v_fma_f32 v8, -v4, v6, v7
	s_delay_alu instid0(VALU_DEP_1) | instskip(NEXT) | instid1(VALU_DEP_1)
	v_fmac_f32_e32 v6, v8, v5
	v_fma_f32 v4, -v4, v6, v7
	s_delay_alu instid0(VALU_DEP_1) | instskip(SKIP_2) | instid1(VALU_DEP_3)
	v_div_fmas_f32 v4, v4, v5, v6
	v_add_co_u32 v0, vcc_lo, v0, s0
	v_add_co_ci_u32_e32 v1, vcc_lo, s1, v1, vcc_lo
	v_div_fixup_f32 v2, v4, v3, v2
	v_cmp_neq_f32_e32 vcc_lo, 0, v3
	s_delay_alu instid0(VALU_DEP_2)
	v_cndmask_b32_e32 v2, 0x7fc00000, v2, vcc_lo
	global_store_b32 v[0:1], v2, off
.LBB392_10:
	s_nop 0
	s_sendmsg sendmsg(MSG_DEALLOC_VGPRS)
	s_endpgm
	.section	.rodata,"a",@progbits
	.p2align	6, 0x0
	.amdhsa_kernel _ZN12_GLOBAL__N_120softmax_warp_forwardIfffLi6ELb0ELb0ELi64EEEvPT0_PKT_iiiPKbib
		.amdhsa_group_segment_fixed_size 0
		.amdhsa_private_segment_fixed_size 0
		.amdhsa_kernarg_size 304
		.amdhsa_user_sgpr_count 15
		.amdhsa_user_sgpr_dispatch_ptr 0
		.amdhsa_user_sgpr_queue_ptr 0
		.amdhsa_user_sgpr_kernarg_segment_ptr 1
		.amdhsa_user_sgpr_dispatch_id 0
		.amdhsa_user_sgpr_private_segment_size 0
		.amdhsa_wavefront_size32 1
		.amdhsa_uses_dynamic_stack 0
		.amdhsa_enable_private_segment 0
		.amdhsa_system_sgpr_workgroup_id_x 1
		.amdhsa_system_sgpr_workgroup_id_y 0
		.amdhsa_system_sgpr_workgroup_id_z 0
		.amdhsa_system_sgpr_workgroup_info 0
		.amdhsa_system_vgpr_workitem_id 1
		.amdhsa_next_free_vgpr 17
		.amdhsa_next_free_sgpr 16
		.amdhsa_reserve_vcc 1
		.amdhsa_float_round_mode_32 0
		.amdhsa_float_round_mode_16_64 0
		.amdhsa_float_denorm_mode_32 3
		.amdhsa_float_denorm_mode_16_64 3
		.amdhsa_dx10_clamp 1
		.amdhsa_ieee_mode 1
		.amdhsa_fp16_overflow 0
		.amdhsa_workgroup_processor_mode 1
		.amdhsa_memory_ordered 1
		.amdhsa_forward_progress 0
		.amdhsa_shared_vgpr_count 0
		.amdhsa_exception_fp_ieee_invalid_op 0
		.amdhsa_exception_fp_denorm_src 0
		.amdhsa_exception_fp_ieee_div_zero 0
		.amdhsa_exception_fp_ieee_overflow 0
		.amdhsa_exception_fp_ieee_underflow 0
		.amdhsa_exception_fp_ieee_inexact 0
		.amdhsa_exception_int_div_zero 0
	.end_amdhsa_kernel
	.section	.text._ZN12_GLOBAL__N_120softmax_warp_forwardIfffLi6ELb0ELb0ELi64EEEvPT0_PKT_iiiPKbib,"axG",@progbits,_ZN12_GLOBAL__N_120softmax_warp_forwardIfffLi6ELb0ELb0ELi64EEEvPT0_PKT_iiiPKbib,comdat
.Lfunc_end392:
	.size	_ZN12_GLOBAL__N_120softmax_warp_forwardIfffLi6ELb0ELb0ELi64EEEvPT0_PKT_iiiPKbib, .Lfunc_end392-_ZN12_GLOBAL__N_120softmax_warp_forwardIfffLi6ELb0ELb0ELi64EEEvPT0_PKT_iiiPKbib
                                        ; -- End function
	.section	.AMDGPU.csdata,"",@progbits
; Kernel info:
; codeLenInByte = 1508
; NumSgprs: 18
; NumVgprs: 17
; ScratchSize: 0
; MemoryBound: 0
; FloatMode: 240
; IeeeMode: 1
; LDSByteSize: 0 bytes/workgroup (compile time only)
; SGPRBlocks: 2
; VGPRBlocks: 2
; NumSGPRsForWavesPerEU: 18
; NumVGPRsForWavesPerEU: 17
; Occupancy: 16
; WaveLimiterHint : 0
; COMPUTE_PGM_RSRC2:SCRATCH_EN: 0
; COMPUTE_PGM_RSRC2:USER_SGPR: 15
; COMPUTE_PGM_RSRC2:TRAP_HANDLER: 0
; COMPUTE_PGM_RSRC2:TGID_X_EN: 1
; COMPUTE_PGM_RSRC2:TGID_Y_EN: 0
; COMPUTE_PGM_RSRC2:TGID_Z_EN: 0
; COMPUTE_PGM_RSRC2:TIDIG_COMP_CNT: 1
	.section	.text._ZN12_GLOBAL__N_120softmax_warp_forwardIfffLi6ELb0ELb0ELi32EEEvPT0_PKT_iiiPKbib,"axG",@progbits,_ZN12_GLOBAL__N_120softmax_warp_forwardIfffLi6ELb0ELb0ELi32EEEvPT0_PKT_iiiPKbib,comdat
	.globl	_ZN12_GLOBAL__N_120softmax_warp_forwardIfffLi6ELb0ELb0ELi32EEEvPT0_PKT_iiiPKbib ; -- Begin function _ZN12_GLOBAL__N_120softmax_warp_forwardIfffLi6ELb0ELb0ELi32EEEvPT0_PKT_iiiPKbib
	.p2align	8
	.type	_ZN12_GLOBAL__N_120softmax_warp_forwardIfffLi6ELb0ELb0ELi32EEEvPT0_PKT_iiiPKbib,@function
_ZN12_GLOBAL__N_120softmax_warp_forwardIfffLi6ELb0ELb0ELi32EEEvPT0_PKT_iiiPKbib: ; @_ZN12_GLOBAL__N_120softmax_warp_forwardIfffLi6ELb0ELb0ELi32EEEvPT0_PKT_iiiPKbib
; %bb.0:
	s_clause 0x1
	s_load_b32 s2, s[0:1], 0x3c
	s_load_b256 s[4:11], s[0:1], 0x0
	v_bfe_u32 v1, v0, 10, 10
	v_and_b32_e32 v4, 0x3ff, v0
	v_dual_mov_b32 v6, 0xff800000 :: v_dual_mov_b32 v7, 0xff800000
	s_waitcnt lgkmcnt(0)
	s_lshr_b32 s0, s2, 16
	s_delay_alu instid0(VALU_DEP_2) | instskip(SKIP_1) | instid1(SALU_CYCLE_1)
	v_cmp_gt_i32_e64 s1, s10, v4
	s_mul_i32 s15, s15, s0
	v_add_lshl_u32 v2, s15, v1, 1
	s_delay_alu instid0(VALU_DEP_1) | instskip(SKIP_1) | instid1(VALU_DEP_1)
	v_mad_u64_u32 v[0:1], null, v2, s9, v[4:5]
	v_sub_nc_u32_e32 v5, s8, v2
	v_cmp_lt_i32_e32 vcc_lo, 0, v5
	s_delay_alu instid0(VALU_DEP_3) | instskip(SKIP_1) | instid1(VALU_DEP_1)
	v_ashrrev_i32_e32 v1, 31, v0
	s_and_b32 s2, vcc_lo, s1
	v_lshlrev_b64 v[0:1], 2, v[0:1]
	s_delay_alu instid0(VALU_DEP_1) | instskip(NEXT) | instid1(VALU_DEP_1)
	v_add_co_u32 v2, s0, s6, v0
	v_add_co_ci_u32_e64 v3, s0, s7, v1, s0
	s_and_saveexec_b32 s0, s2
	s_cbranch_execz .LBB393_2
; %bb.1:
	global_load_b32 v7, v[2:3], off
.LBB393_2:
	s_or_b32 exec_lo, exec_lo, s0
	v_add_nc_u32_e32 v4, 32, v4
	s_delay_alu instid0(VALU_DEP_1) | instskip(NEXT) | instid1(VALU_DEP_1)
	v_cmp_gt_i32_e64 s0, s10, v4
	s_and_b32 s3, vcc_lo, s0
	s_delay_alu instid0(SALU_CYCLE_1)
	s_and_saveexec_b32 s2, s3
	s_cbranch_execz .LBB393_4
; %bb.3:
	global_load_b32 v6, v[2:3], off offset:128
.LBB393_4:
	s_or_b32 exec_lo, exec_lo, s2
	v_cmp_lt_i32_e64 s2, 1, v5
	v_mov_b32_e32 v4, 0xff800000
	v_mov_b32_e32 v8, 0xff800000
	s_delay_alu instid0(VALU_DEP_3) | instskip(NEXT) | instid1(SALU_CYCLE_1)
	s_and_b32 s3, s2, s1
	s_and_saveexec_b32 s6, s3
	s_cbranch_execz .LBB393_6
; %bb.5:
	s_mov_b32 s11, 0
	s_delay_alu instid0(SALU_CYCLE_1) | instskip(NEXT) | instid1(SALU_CYCLE_1)
	s_lshl_b64 s[8:9], s[10:11], 2
	v_add_co_u32 v8, s3, v2, s8
	s_delay_alu instid0(VALU_DEP_1)
	v_add_co_ci_u32_e64 v9, s3, s9, v3, s3
	global_load_b32 v8, v[8:9], off
.LBB393_6:
	s_or_b32 exec_lo, exec_lo, s6
	s_and_b32 s2, s2, s0
	s_delay_alu instid0(SALU_CYCLE_1)
	s_and_saveexec_b32 s3, s2
	s_cbranch_execz .LBB393_8
; %bb.7:
	s_mov_b32 s11, 0
	s_delay_alu instid0(SALU_CYCLE_1) | instskip(NEXT) | instid1(SALU_CYCLE_1)
	s_lshl_b64 s[6:7], s[10:11], 2
	v_add_co_u32 v2, s2, v2, s6
	s_delay_alu instid0(VALU_DEP_1)
	v_add_co_ci_u32_e64 v3, s2, s7, v3, s2
	global_load_b32 v4, v[2:3], off offset:128
.LBB393_8:
	s_or_b32 exec_lo, exec_lo, s3
	v_mbcnt_lo_u32_b32 v2, -1, 0
	s_delay_alu instid0(VALU_DEP_1)
	v_xor_b32_e32 v3, 16, v2
	v_xor_b32_e32 v13, 8, v2
	;; [unrolled: 1-line block ×5, first 2 shown]
	v_cmp_gt_i32_e64 s2, 32, v3
	s_delay_alu instid0(VALU_DEP_1) | instskip(SKIP_2) | instid1(VALU_DEP_2)
	v_cndmask_b32_e64 v3, v2, v3, s2
	s_waitcnt vmcnt(0)
	v_cmp_gt_f32_e64 s2, v7, v6
	v_lshlrev_b32_e32 v10, 2, v3
	s_delay_alu instid0(VALU_DEP_2)
	v_cndmask_b32_e64 v9, v6, v7, s2
	v_cmp_gt_f32_e64 s2, v8, v4
	ds_bpermute_b32 v11, v10, v9
	v_cndmask_b32_e64 v3, v4, v8, s2
	v_cmp_gt_i32_e64 s2, 32, v13
	ds_bpermute_b32 v12, v10, v3
	v_cndmask_b32_e64 v13, v2, v13, s2
	s_delay_alu instid0(VALU_DEP_1) | instskip(SKIP_2) | instid1(VALU_DEP_1)
	v_lshlrev_b32_e32 v13, 2, v13
	s_waitcnt lgkmcnt(1)
	v_cmp_lt_f32_e64 s2, v9, v11
	v_cndmask_b32_e64 v9, v9, v11, s2
	s_waitcnt lgkmcnt(0)
	v_cmp_lt_f32_e64 s2, v3, v12
	ds_bpermute_b32 v11, v13, v9
	v_cndmask_b32_e64 v3, v3, v12, s2
	v_cmp_gt_i32_e64 s2, 32, v14
	ds_bpermute_b32 v12, v13, v3
	v_cndmask_b32_e64 v14, v2, v14, s2
	s_delay_alu instid0(VALU_DEP_1) | instskip(SKIP_2) | instid1(VALU_DEP_1)
	v_lshlrev_b32_e32 v14, 2, v14
	s_waitcnt lgkmcnt(1)
	v_cmp_lt_f32_e64 s2, v9, v11
	v_cndmask_b32_e64 v9, v9, v11, s2
	s_waitcnt lgkmcnt(0)
	v_cmp_lt_f32_e64 s2, v3, v12
	;; [unrolled: 12-line block ×4, first 2 shown]
	ds_bpermute_b32 v9, v16, v2
	v_cndmask_b32_e64 v3, v3, v12, s2
	ds_bpermute_b32 v11, v16, v3
	s_waitcnt lgkmcnt(1)
	v_cmp_lt_f32_e64 s2, v2, v9
	s_delay_alu instid0(VALU_DEP_1) | instskip(SKIP_2) | instid1(VALU_DEP_2)
	v_cndmask_b32_e64 v2, v2, v9, s2
	s_waitcnt lgkmcnt(0)
	v_cmp_lt_f32_e64 s2, v3, v11
	v_sub_f32_e32 v7, v7, v2
	s_delay_alu instid0(VALU_DEP_2) | instskip(SKIP_1) | instid1(VALU_DEP_3)
	v_cndmask_b32_e64 v3, v3, v11, s2
	v_sub_f32_e32 v2, v6, v2
	v_cmp_ngt_f32_e64 s2, 0xc2ce8ed0, v7
	s_delay_alu instid0(VALU_DEP_3) | instskip(SKIP_1) | instid1(VALU_DEP_4)
	v_sub_f32_e32 v9, v4, v3
	v_sub_f32_e32 v6, v8, v3
	v_dual_mul_f32 v3, 0x3fb8aa3b, v7 :: v_dual_mul_f32 v4, 0x3fb8aa3b, v2
	s_delay_alu instid0(VALU_DEP_3) | instskip(NEXT) | instid1(VALU_DEP_2)
	v_mul_f32_e32 v11, 0x3fb8aa3b, v9
	v_fma_f32 v12, 0x3fb8aa3b, v7, -v3
	v_rndne_f32_e32 v17, v3
	s_delay_alu instid0(VALU_DEP_4) | instskip(NEXT) | instid1(VALU_DEP_4)
	v_fma_f32 v18, 0x3fb8aa3b, v2, -v4
	v_fma_f32 v22, 0x3fb8aa3b, v9, -v11
	v_rndne_f32_e32 v23, v11
	s_delay_alu instid0(VALU_DEP_4) | instskip(SKIP_1) | instid1(VALU_DEP_3)
	v_dual_mul_f32 v8, 0x3fb8aa3b, v6 :: v_dual_sub_f32 v3, v3, v17
	v_rndne_f32_e32 v19, v4
	v_dual_fmac_f32 v18, 0x32a5705f, v2 :: v_dual_sub_f32 v11, v11, v23
	v_fmac_f32_e32 v22, 0x32a5705f, v9
	v_fmac_f32_e32 v12, 0x32a5705f, v7
	v_fma_f32 v20, 0x3fb8aa3b, v6, -v8
	v_rndne_f32_e32 v21, v8
	s_delay_alu instid0(VALU_DEP_4) | instskip(NEXT) | instid1(VALU_DEP_3)
	v_dual_add_f32 v11, v11, v22 :: v_dual_sub_f32 v4, v4, v19
	v_dual_add_f32 v3, v3, v12 :: v_dual_fmac_f32 v20, 0x32a5705f, v6
	s_delay_alu instid0(VALU_DEP_3) | instskip(SKIP_1) | instid1(VALU_DEP_4)
	v_sub_f32_e32 v8, v8, v21
	v_cvt_i32_f32_e32 v12, v17
	v_add_f32_e32 v4, v4, v18
	s_delay_alu instid0(VALU_DEP_4)
	v_exp_f32_e32 v3, v3
	v_cvt_i32_f32_e32 v17, v19
	v_add_f32_e32 v8, v8, v20
	v_exp_f32_e32 v11, v11
	v_exp_f32_e32 v4, v4
	v_cvt_i32_f32_e32 v18, v21
	v_cvt_i32_f32_e32 v19, v23
	v_exp_f32_e32 v8, v8
	v_ldexp_f32 v3, v3, v12
	s_delay_alu instid0(TRANS32_DEP_3) | instid1(VALU_DEP_2)
	v_ldexp_f32 v11, v11, v19
	s_waitcnt_depctr 0xfff
	v_ldexp_f32 v4, v4, v17
	v_cndmask_b32_e64 v3, 0, v3, s2
	v_cmp_ngt_f32_e64 s2, 0xc2ce8ed0, v2
	v_ldexp_f32 v8, v8, v18
	s_delay_alu instid0(VALU_DEP_2) | instskip(SKIP_1) | instid1(VALU_DEP_1)
	v_cndmask_b32_e64 v4, 0, v4, s2
	v_cmp_ngt_f32_e64 s2, 0xc2ce8ed0, v6
	v_cndmask_b32_e64 v12, 0, v8, s2
	v_cmp_ngt_f32_e64 s2, 0xc2ce8ed0, v9
	s_delay_alu instid0(VALU_DEP_1) | instskip(SKIP_1) | instid1(VALU_DEP_1)
	v_cndmask_b32_e64 v11, 0, v11, s2
	v_cmp_nlt_f32_e64 s2, 0x42b17218, v7
	v_cndmask_b32_e64 v8, 0x7f800000, v3, s2
	v_cmp_nlt_f32_e64 s2, 0x42b17218, v2
	s_delay_alu instid0(VALU_DEP_1) | instskip(SKIP_1) | instid1(VALU_DEP_2)
	v_cndmask_b32_e64 v4, 0x7f800000, v4, s2
	v_cmp_nlt_f32_e64 s2, 0x42b17218, v6
	v_add_f32_e32 v6, v8, v4
	s_delay_alu instid0(VALU_DEP_2) | instskip(SKIP_3) | instid1(VALU_DEP_1)
	v_cndmask_b32_e64 v3, 0x7f800000, v12, s2
	v_cmp_nlt_f32_e64 s2, 0x42b17218, v9
	ds_bpermute_b32 v9, v10, v6
	v_cndmask_b32_e64 v2, 0x7f800000, v11, s2
	v_add_f32_e32 v7, v3, v2
	ds_bpermute_b32 v10, v10, v7
	s_waitcnt lgkmcnt(0)
	v_add_f32_e32 v7, v7, v10
	ds_bpermute_b32 v10, v13, v7
	s_waitcnt lgkmcnt(0)
	;; [unrolled: 3-line block ×3, first 2 shown]
	v_dual_add_f32 v7, v7, v10 :: v_dual_add_f32 v6, v6, v9
	ds_bpermute_b32 v10, v15, v7
	ds_bpermute_b32 v9, v13, v6
	s_waitcnt lgkmcnt(0)
	v_add_f32_e32 v6, v6, v9
	ds_bpermute_b32 v9, v14, v6
	s_waitcnt lgkmcnt(0)
	v_add_f32_e32 v6, v6, v9
	ds_bpermute_b32 v9, v15, v6
	s_waitcnt lgkmcnt(0)
	v_dual_add_f32 v9, v6, v9 :: v_dual_add_f32 v6, v7, v10
	ds_bpermute_b32 v10, v16, v9
	ds_bpermute_b32 v7, v16, v6
	s_and_saveexec_b32 s2, vcc_lo
	s_cbranch_execz .LBB393_16
; %bb.9:
	v_add_co_u32 v0, vcc_lo, s4, v0
	v_add_co_ci_u32_e32 v1, vcc_lo, s5, v1, vcc_lo
	s_and_saveexec_b32 s3, s1
	s_cbranch_execz .LBB393_12
; %bb.10:
	s_waitcnt lgkmcnt(1)
	v_add_f32_e32 v9, v9, v10
	s_delay_alu instid0(VALU_DEP_1) | instskip(SKIP_1) | instid1(VALU_DEP_2)
	v_div_scale_f32 v10, null, v9, v9, v8
	v_cmp_eq_f32_e64 s2, 0, v9
	v_rcp_f32_e32 v11, v10
	s_waitcnt_depctr 0xfff
	v_fma_f32 v12, -v10, v11, 1.0
	s_delay_alu instid0(VALU_DEP_1) | instskip(SKIP_1) | instid1(VALU_DEP_1)
	v_fmac_f32_e32 v11, v12, v11
	v_div_scale_f32 v12, vcc_lo, v8, v9, v8
	v_mul_f32_e32 v13, v12, v11
	s_delay_alu instid0(VALU_DEP_1) | instskip(NEXT) | instid1(VALU_DEP_1)
	v_fma_f32 v14, -v10, v13, v12
	v_fmac_f32_e32 v13, v14, v11
	s_delay_alu instid0(VALU_DEP_1) | instskip(NEXT) | instid1(VALU_DEP_1)
	v_fma_f32 v10, -v10, v13, v12
	v_div_fmas_f32 v10, v10, v11, v13
	s_delay_alu instid0(VALU_DEP_1) | instskip(NEXT) | instid1(VALU_DEP_1)
	v_div_fixup_f32 v8, v10, v9, v8
	v_cndmask_b32_e64 v8, v8, 0x7fc00000, s2
	global_store_b32 v[0:1], v8, off
	s_and_b32 exec_lo, exec_lo, s0
	s_cbranch_execz .LBB393_12
; %bb.11:
	v_div_scale_f32 v8, null, v9, v9, v4
	s_delay_alu instid0(VALU_DEP_1) | instskip(SKIP_2) | instid1(VALU_DEP_1)
	v_rcp_f32_e32 v10, v8
	s_waitcnt_depctr 0xfff
	v_fma_f32 v11, -v8, v10, 1.0
	v_fmac_f32_e32 v10, v11, v10
	v_div_scale_f32 v11, vcc_lo, v4, v9, v4
	s_delay_alu instid0(VALU_DEP_1) | instskip(NEXT) | instid1(VALU_DEP_1)
	v_mul_f32_e32 v12, v11, v10
	v_fma_f32 v13, -v8, v12, v11
	s_delay_alu instid0(VALU_DEP_1) | instskip(NEXT) | instid1(VALU_DEP_1)
	v_fmac_f32_e32 v12, v13, v10
	v_fma_f32 v8, -v8, v12, v11
	s_delay_alu instid0(VALU_DEP_1) | instskip(NEXT) | instid1(VALU_DEP_1)
	v_div_fmas_f32 v8, v8, v10, v12
	v_div_fixup_f32 v4, v8, v9, v4
	s_delay_alu instid0(VALU_DEP_1)
	v_cndmask_b32_e64 v4, v4, 0x7fc00000, s2
	global_store_b32 v[0:1], v4, off offset:128
.LBB393_12:
	s_or_b32 exec_lo, exec_lo, s3
	v_cmp_ne_u32_e32 vcc_lo, 1, v5
	s_and_b32 exec_lo, exec_lo, vcc_lo
	s_cbranch_execz .LBB393_16
; %bb.13:
	s_and_b32 exec_lo, exec_lo, s1
	s_cbranch_execz .LBB393_16
; %bb.14:
	s_waitcnt lgkmcnt(0)
	v_add_f32_e32 v4, v6, v7
	s_mov_b32 s11, 0
	s_delay_alu instid0(SALU_CYCLE_1) | instskip(NEXT) | instid1(VALU_DEP_1)
	s_lshl_b64 s[2:3], s[10:11], 2
	v_div_scale_f32 v5, null, v4, v4, v3
	v_div_scale_f32 v8, vcc_lo, v3, v4, v3
	s_delay_alu instid0(VALU_DEP_2) | instskip(SKIP_2) | instid1(VALU_DEP_1)
	v_rcp_f32_e32 v6, v5
	s_waitcnt_depctr 0xfff
	v_fma_f32 v7, -v5, v6, 1.0
	v_fmac_f32_e32 v6, v7, v6
	s_delay_alu instid0(VALU_DEP_1) | instskip(SKIP_1) | instid1(VALU_DEP_2)
	v_mul_f32_e32 v7, v8, v6
	v_cmp_eq_f32_e64 s1, 0, v4
	v_fma_f32 v9, -v5, v7, v8
	s_delay_alu instid0(VALU_DEP_1) | instskip(NEXT) | instid1(VALU_DEP_1)
	v_fmac_f32_e32 v7, v9, v6
	v_fma_f32 v5, -v5, v7, v8
	s_delay_alu instid0(VALU_DEP_1) | instskip(NEXT) | instid1(VALU_DEP_1)
	v_div_fmas_f32 v5, v5, v6, v7
	v_div_fixup_f32 v3, v5, v4, v3
	v_add_co_u32 v5, vcc_lo, v0, s2
	v_add_co_ci_u32_e32 v6, vcc_lo, s3, v1, vcc_lo
	s_delay_alu instid0(VALU_DEP_3)
	v_cndmask_b32_e64 v3, v3, 0x7fc00000, s1
	global_store_b32 v[5:6], v3, off
	s_and_b32 exec_lo, exec_lo, s0
	s_cbranch_execz .LBB393_16
; %bb.15:
	v_div_scale_f32 v3, null, v4, v4, v2
	v_div_scale_f32 v7, vcc_lo, v2, v4, v2
	s_ashr_i32 s11, s10, 31
	s_delay_alu instid0(VALU_DEP_2) | instskip(SKIP_3) | instid1(VALU_DEP_1)
	v_rcp_f32_e32 v5, v3
	s_lshl_b64 s[2:3], s[10:11], 2
	s_waitcnt_depctr 0xfff
	v_fma_f32 v6, -v3, v5, 1.0
	v_fmac_f32_e32 v5, v6, v5
	s_delay_alu instid0(VALU_DEP_1) | instskip(NEXT) | instid1(VALU_DEP_1)
	v_mul_f32_e32 v6, v7, v5
	v_fma_f32 v8, -v3, v6, v7
	s_delay_alu instid0(VALU_DEP_1) | instskip(NEXT) | instid1(VALU_DEP_1)
	v_fmac_f32_e32 v6, v8, v5
	v_fma_f32 v3, -v3, v6, v7
	s_delay_alu instid0(VALU_DEP_1) | instskip(SKIP_2) | instid1(VALU_DEP_3)
	v_div_fmas_f32 v3, v3, v5, v6
	v_add_co_u32 v0, vcc_lo, v0, s2
	v_add_co_ci_u32_e32 v1, vcc_lo, s3, v1, vcc_lo
	v_div_fixup_f32 v2, v3, v4, v2
	s_delay_alu instid0(VALU_DEP_1)
	v_cndmask_b32_e64 v2, v2, 0x7fc00000, s1
	global_store_b32 v[0:1], v2, off offset:128
.LBB393_16:
	s_nop 0
	s_sendmsg sendmsg(MSG_DEALLOC_VGPRS)
	s_endpgm
	.section	.rodata,"a",@progbits
	.p2align	6, 0x0
	.amdhsa_kernel _ZN12_GLOBAL__N_120softmax_warp_forwardIfffLi6ELb0ELb0ELi32EEEvPT0_PKT_iiiPKbib
		.amdhsa_group_segment_fixed_size 0
		.amdhsa_private_segment_fixed_size 0
		.amdhsa_kernarg_size 304
		.amdhsa_user_sgpr_count 15
		.amdhsa_user_sgpr_dispatch_ptr 0
		.amdhsa_user_sgpr_queue_ptr 0
		.amdhsa_user_sgpr_kernarg_segment_ptr 1
		.amdhsa_user_sgpr_dispatch_id 0
		.amdhsa_user_sgpr_private_segment_size 0
		.amdhsa_wavefront_size32 1
		.amdhsa_uses_dynamic_stack 0
		.amdhsa_enable_private_segment 0
		.amdhsa_system_sgpr_workgroup_id_x 1
		.amdhsa_system_sgpr_workgroup_id_y 0
		.amdhsa_system_sgpr_workgroup_id_z 0
		.amdhsa_system_sgpr_workgroup_info 0
		.amdhsa_system_vgpr_workitem_id 1
		.amdhsa_next_free_vgpr 24
		.amdhsa_next_free_sgpr 16
		.amdhsa_reserve_vcc 1
		.amdhsa_float_round_mode_32 0
		.amdhsa_float_round_mode_16_64 0
		.amdhsa_float_denorm_mode_32 3
		.amdhsa_float_denorm_mode_16_64 3
		.amdhsa_dx10_clamp 1
		.amdhsa_ieee_mode 1
		.amdhsa_fp16_overflow 0
		.amdhsa_workgroup_processor_mode 1
		.amdhsa_memory_ordered 1
		.amdhsa_forward_progress 0
		.amdhsa_shared_vgpr_count 0
		.amdhsa_exception_fp_ieee_invalid_op 0
		.amdhsa_exception_fp_denorm_src 0
		.amdhsa_exception_fp_ieee_div_zero 0
		.amdhsa_exception_fp_ieee_overflow 0
		.amdhsa_exception_fp_ieee_underflow 0
		.amdhsa_exception_fp_ieee_inexact 0
		.amdhsa_exception_int_div_zero 0
	.end_amdhsa_kernel
	.section	.text._ZN12_GLOBAL__N_120softmax_warp_forwardIfffLi6ELb0ELb0ELi32EEEvPT0_PKT_iiiPKbib,"axG",@progbits,_ZN12_GLOBAL__N_120softmax_warp_forwardIfffLi6ELb0ELb0ELi32EEEvPT0_PKT_iiiPKbib,comdat
.Lfunc_end393:
	.size	_ZN12_GLOBAL__N_120softmax_warp_forwardIfffLi6ELb0ELb0ELi32EEEvPT0_PKT_iiiPKbib, .Lfunc_end393-_ZN12_GLOBAL__N_120softmax_warp_forwardIfffLi6ELb0ELb0ELi32EEEvPT0_PKT_iiiPKbib
                                        ; -- End function
	.section	.AMDGPU.csdata,"",@progbits
; Kernel info:
; codeLenInByte = 2056
; NumSgprs: 18
; NumVgprs: 24
; ScratchSize: 0
; MemoryBound: 0
; FloatMode: 240
; IeeeMode: 1
; LDSByteSize: 0 bytes/workgroup (compile time only)
; SGPRBlocks: 2
; VGPRBlocks: 2
; NumSGPRsForWavesPerEU: 18
; NumVGPRsForWavesPerEU: 24
; Occupancy: 16
; WaveLimiterHint : 0
; COMPUTE_PGM_RSRC2:SCRATCH_EN: 0
; COMPUTE_PGM_RSRC2:USER_SGPR: 15
; COMPUTE_PGM_RSRC2:TRAP_HANDLER: 0
; COMPUTE_PGM_RSRC2:TGID_X_EN: 1
; COMPUTE_PGM_RSRC2:TGID_Y_EN: 0
; COMPUTE_PGM_RSRC2:TGID_Z_EN: 0
; COMPUTE_PGM_RSRC2:TIDIG_COMP_CNT: 1
	.section	.text._ZN12_GLOBAL__N_120softmax_warp_forwardIfffLi7ELb0ELb0ELi64EEEvPT0_PKT_iiiPKbib,"axG",@progbits,_ZN12_GLOBAL__N_120softmax_warp_forwardIfffLi7ELb0ELb0ELi64EEEvPT0_PKT_iiiPKbib,comdat
	.globl	_ZN12_GLOBAL__N_120softmax_warp_forwardIfffLi7ELb0ELb0ELi64EEEvPT0_PKT_iiiPKbib ; -- Begin function _ZN12_GLOBAL__N_120softmax_warp_forwardIfffLi7ELb0ELb0ELi64EEEvPT0_PKT_iiiPKbib
	.p2align	8
	.type	_ZN12_GLOBAL__N_120softmax_warp_forwardIfffLi7ELb0ELb0ELi64EEEvPT0_PKT_iiiPKbib,@function
_ZN12_GLOBAL__N_120softmax_warp_forwardIfffLi7ELb0ELb0ELi64EEEvPT0_PKT_iiiPKbib: ; @_ZN12_GLOBAL__N_120softmax_warp_forwardIfffLi7ELb0ELb0ELi64EEEvPT0_PKT_iiiPKbib
; %bb.0:
	s_clause 0x1
	s_load_b32 s2, s[0:1], 0x3c
	s_load_b256 s[4:11], s[0:1], 0x0
	v_bfe_u32 v1, v0, 10, 10
	v_and_b32_e32 v4, 0x3ff, v0
	v_dual_mov_b32 v6, 0xff800000 :: v_dual_mov_b32 v7, 0xff800000
	s_waitcnt lgkmcnt(0)
	s_lshr_b32 s0, s2, 16
	s_delay_alu instid0(VALU_DEP_2) | instskip(SKIP_1) | instid1(SALU_CYCLE_1)
	v_cmp_gt_i32_e64 s1, s10, v4
	s_mul_i32 s15, s15, s0
	v_add_lshl_u32 v2, s15, v1, 1
	s_delay_alu instid0(VALU_DEP_1) | instskip(SKIP_1) | instid1(VALU_DEP_1)
	v_mad_u64_u32 v[0:1], null, v2, s9, v[4:5]
	v_sub_nc_u32_e32 v5, s8, v2
	v_cmp_lt_i32_e32 vcc_lo, 0, v5
	s_delay_alu instid0(VALU_DEP_3) | instskip(SKIP_1) | instid1(VALU_DEP_1)
	v_ashrrev_i32_e32 v1, 31, v0
	s_and_b32 s2, vcc_lo, s1
	v_lshlrev_b64 v[0:1], 2, v[0:1]
	s_delay_alu instid0(VALU_DEP_1) | instskip(NEXT) | instid1(VALU_DEP_1)
	v_add_co_u32 v2, s0, s6, v0
	v_add_co_ci_u32_e64 v3, s0, s7, v1, s0
	s_and_saveexec_b32 s0, s2
	s_cbranch_execz .LBB394_2
; %bb.1:
	global_load_b32 v7, v[2:3], off
.LBB394_2:
	s_or_b32 exec_lo, exec_lo, s0
	v_add_nc_u32_e32 v4, 64, v4
	s_delay_alu instid0(VALU_DEP_1) | instskip(NEXT) | instid1(VALU_DEP_1)
	v_cmp_gt_i32_e64 s0, s10, v4
	s_and_b32 s3, vcc_lo, s0
	s_delay_alu instid0(SALU_CYCLE_1)
	s_and_saveexec_b32 s2, s3
	s_cbranch_execz .LBB394_4
; %bb.3:
	global_load_b32 v6, v[2:3], off offset:256
.LBB394_4:
	s_or_b32 exec_lo, exec_lo, s2
	v_cmp_lt_i32_e64 s2, 1, v5
	v_mov_b32_e32 v4, 0xff800000
	v_mov_b32_e32 v8, 0xff800000
	s_delay_alu instid0(VALU_DEP_3) | instskip(NEXT) | instid1(SALU_CYCLE_1)
	s_and_b32 s3, s2, s1
	s_and_saveexec_b32 s6, s3
	s_cbranch_execz .LBB394_6
; %bb.5:
	s_mov_b32 s11, 0
	s_delay_alu instid0(SALU_CYCLE_1) | instskip(NEXT) | instid1(SALU_CYCLE_1)
	s_lshl_b64 s[8:9], s[10:11], 2
	v_add_co_u32 v8, s3, v2, s8
	s_delay_alu instid0(VALU_DEP_1)
	v_add_co_ci_u32_e64 v9, s3, s9, v3, s3
	global_load_b32 v8, v[8:9], off
.LBB394_6:
	s_or_b32 exec_lo, exec_lo, s6
	s_and_b32 s2, s2, s0
	s_delay_alu instid0(SALU_CYCLE_1)
	s_and_saveexec_b32 s3, s2
	s_cbranch_execz .LBB394_8
; %bb.7:
	s_mov_b32 s11, 0
	s_delay_alu instid0(SALU_CYCLE_1) | instskip(NEXT) | instid1(SALU_CYCLE_1)
	s_lshl_b64 s[6:7], s[10:11], 2
	v_add_co_u32 v2, s2, v2, s6
	s_delay_alu instid0(VALU_DEP_1)
	v_add_co_ci_u32_e64 v3, s2, s7, v3, s2
	global_load_b32 v4, v[2:3], off offset:256
.LBB394_8:
	s_or_b32 exec_lo, exec_lo, s3
	v_mbcnt_lo_u32_b32 v2, -1, 0
	s_delay_alu instid0(VALU_DEP_1)
	v_or_b32_e32 v3, 32, v2
	v_xor_b32_e32 v13, 16, v2
	v_xor_b32_e32 v14, 8, v2
	;; [unrolled: 1-line block ×4, first 2 shown]
	v_cmp_gt_i32_e64 s2, 64, v3
	v_xor_b32_e32 v17, 1, v2
	s_delay_alu instid0(VALU_DEP_2) | instskip(SKIP_2) | instid1(VALU_DEP_2)
	v_cndmask_b32_e64 v3, v2, v3, s2
	s_waitcnt vmcnt(0)
	v_cmp_gt_f32_e64 s2, v7, v6
	v_lshlrev_b32_e32 v10, 2, v3
	s_delay_alu instid0(VALU_DEP_2)
	v_cndmask_b32_e64 v9, v6, v7, s2
	v_cmp_gt_f32_e64 s2, v8, v4
	ds_bpermute_b32 v11, v10, v9
	v_cndmask_b32_e64 v3, v4, v8, s2
	v_cmp_gt_i32_e64 s2, 64, v13
	ds_bpermute_b32 v12, v10, v3
	v_cndmask_b32_e64 v13, v2, v13, s2
	s_delay_alu instid0(VALU_DEP_1) | instskip(SKIP_2) | instid1(VALU_DEP_1)
	v_lshlrev_b32_e32 v13, 2, v13
	s_waitcnt lgkmcnt(1)
	v_cmp_lt_f32_e64 s2, v9, v11
	v_cndmask_b32_e64 v9, v9, v11, s2
	s_waitcnt lgkmcnt(0)
	v_cmp_lt_f32_e64 s2, v3, v12
	ds_bpermute_b32 v11, v13, v9
	v_cndmask_b32_e64 v3, v3, v12, s2
	v_cmp_gt_i32_e64 s2, 64, v14
	ds_bpermute_b32 v12, v13, v3
	v_cndmask_b32_e64 v14, v2, v14, s2
	s_delay_alu instid0(VALU_DEP_1) | instskip(SKIP_2) | instid1(VALU_DEP_1)
	v_lshlrev_b32_e32 v14, 2, v14
	s_waitcnt lgkmcnt(1)
	v_cmp_lt_f32_e64 s2, v9, v11
	v_cndmask_b32_e64 v9, v9, v11, s2
	s_waitcnt lgkmcnt(0)
	v_cmp_lt_f32_e64 s2, v3, v12
	ds_bpermute_b32 v11, v14, v9
	v_cndmask_b32_e64 v3, v3, v12, s2
	v_cmp_gt_i32_e64 s2, 64, v15
	ds_bpermute_b32 v12, v14, v3
	v_cndmask_b32_e64 v15, v2, v15, s2
	s_delay_alu instid0(VALU_DEP_1) | instskip(SKIP_2) | instid1(VALU_DEP_1)
	v_lshlrev_b32_e32 v15, 2, v15
	s_waitcnt lgkmcnt(1)
	v_cmp_lt_f32_e64 s2, v9, v11
	v_cndmask_b32_e64 v9, v9, v11, s2
	s_waitcnt lgkmcnt(0)
	v_cmp_lt_f32_e64 s2, v3, v12
	ds_bpermute_b32 v11, v15, v9
	v_cndmask_b32_e64 v3, v3, v12, s2
	v_cmp_gt_i32_e64 s2, 64, v16
	ds_bpermute_b32 v12, v15, v3
	v_cndmask_b32_e64 v16, v2, v16, s2
	s_delay_alu instid0(VALU_DEP_1) | instskip(SKIP_2) | instid1(VALU_DEP_1)
	v_lshlrev_b32_e32 v16, 2, v16
	s_waitcnt lgkmcnt(1)
	v_cmp_lt_f32_e64 s2, v9, v11
	v_cndmask_b32_e64 v9, v9, v11, s2
	s_waitcnt lgkmcnt(0)
	v_cmp_lt_f32_e64 s2, v3, v12
	ds_bpermute_b32 v11, v16, v9
	v_cndmask_b32_e64 v3, v3, v12, s2
	v_cmp_gt_i32_e64 s2, 64, v17
	ds_bpermute_b32 v12, v16, v3
	v_cndmask_b32_e64 v2, v2, v17, s2
	s_delay_alu instid0(VALU_DEP_1) | instskip(SKIP_2) | instid1(VALU_DEP_1)
	v_lshlrev_b32_e32 v17, 2, v2
	s_waitcnt lgkmcnt(1)
	v_cmp_lt_f32_e64 s2, v9, v11
	v_cndmask_b32_e64 v2, v9, v11, s2
	s_waitcnt lgkmcnt(0)
	v_cmp_lt_f32_e64 s2, v3, v12
	ds_bpermute_b32 v9, v17, v2
	v_cndmask_b32_e64 v3, v3, v12, s2
	ds_bpermute_b32 v11, v17, v3
	s_waitcnt lgkmcnt(1)
	v_cmp_lt_f32_e64 s2, v2, v9
	s_delay_alu instid0(VALU_DEP_1) | instskip(SKIP_2) | instid1(VALU_DEP_2)
	v_cndmask_b32_e64 v2, v2, v9, s2
	s_waitcnt lgkmcnt(0)
	v_cmp_lt_f32_e64 s2, v3, v11
	v_sub_f32_e32 v7, v7, v2
	s_delay_alu instid0(VALU_DEP_2) | instskip(SKIP_1) | instid1(VALU_DEP_3)
	v_cndmask_b32_e64 v3, v3, v11, s2
	v_sub_f32_e32 v2, v6, v2
	v_cmp_ngt_f32_e64 s2, 0xc2ce8ed0, v7
	s_delay_alu instid0(VALU_DEP_3) | instskip(SKIP_1) | instid1(VALU_DEP_4)
	v_sub_f32_e32 v6, v8, v3
	v_sub_f32_e32 v9, v4, v3
	v_dual_mul_f32 v3, 0x3fb8aa3b, v7 :: v_dual_mul_f32 v4, 0x3fb8aa3b, v2
	s_delay_alu instid0(VALU_DEP_2) | instskip(NEXT) | instid1(VALU_DEP_2)
	v_dual_mul_f32 v8, 0x3fb8aa3b, v6 :: v_dual_mul_f32 v11, 0x3fb8aa3b, v9
	v_fma_f32 v12, 0x3fb8aa3b, v7, -v3
	v_rndne_f32_e32 v18, v3
	s_delay_alu instid0(VALU_DEP_4) | instskip(SKIP_2) | instid1(VALU_DEP_4)
	v_fma_f32 v19, 0x3fb8aa3b, v2, -v4
	v_rndne_f32_e32 v20, v4
	v_fma_f32 v21, 0x3fb8aa3b, v6, -v8
	v_dual_fmac_f32 v12, 0x32a5705f, v7 :: v_dual_sub_f32 v3, v3, v18
	v_rndne_f32_e32 v22, v8
	s_delay_alu instid0(VALU_DEP_4) | instskip(SKIP_1) | instid1(VALU_DEP_4)
	v_dual_fmac_f32 v19, 0x32a5705f, v2 :: v_dual_sub_f32 v4, v4, v20
	v_fma_f32 v23, 0x3fb8aa3b, v9, -v11
	v_add_f32_e32 v3, v3, v12
	v_rndne_f32_e32 v24, v11
	s_delay_alu instid0(VALU_DEP_4) | instskip(NEXT) | instid1(VALU_DEP_4)
	v_dual_fmac_f32 v21, 0x32a5705f, v6 :: v_dual_add_f32 v4, v4, v19
	v_dual_sub_f32 v8, v8, v22 :: v_dual_fmac_f32 v23, 0x32a5705f, v9
	s_delay_alu instid0(VALU_DEP_4) | instskip(NEXT) | instid1(VALU_DEP_3)
	v_exp_f32_e32 v3, v3
	v_sub_f32_e32 v11, v11, v24
	s_delay_alu instid0(VALU_DEP_3) | instskip(NEXT) | instid1(VALU_DEP_2)
	v_exp_f32_e32 v4, v4
	v_add_f32_e32 v8, v8, v21
	v_cvt_i32_f32_e32 v12, v18
	v_cvt_i32_f32_e32 v18, v20
	v_add_f32_e32 v11, v11, v23
	v_cvt_i32_f32_e32 v19, v22
	v_exp_f32_e32 v8, v8
	v_cvt_i32_f32_e32 v20, v24
	v_ldexp_f32 v3, v3, v12
	v_exp_f32_e32 v11, v11
	v_ldexp_f32 v4, v4, v18
	s_delay_alu instid0(VALU_DEP_2) | instskip(SKIP_1) | instid1(TRANS32_DEP_2)
	v_cndmask_b32_e64 v3, 0, v3, s2
	v_cmp_ngt_f32_e64 s2, 0xc2ce8ed0, v2
	v_ldexp_f32 v8, v8, v19
	s_delay_alu instid0(VALU_DEP_2) | instskip(SKIP_1) | instid1(TRANS32_DEP_1)
	v_cndmask_b32_e64 v4, 0, v4, s2
	v_cmp_ngt_f32_e64 s2, 0xc2ce8ed0, v6
	v_ldexp_f32 v11, v11, v20
	s_delay_alu instid0(VALU_DEP_2) | instskip(SKIP_1) | instid1(VALU_DEP_1)
	v_cndmask_b32_e64 v12, 0, v8, s2
	v_cmp_ngt_f32_e64 s2, 0xc2ce8ed0, v9
	v_cndmask_b32_e64 v11, 0, v11, s2
	v_cmp_nlt_f32_e64 s2, 0x42b17218, v7
	s_delay_alu instid0(VALU_DEP_1) | instskip(SKIP_1) | instid1(VALU_DEP_1)
	v_cndmask_b32_e64 v8, 0x7f800000, v3, s2
	v_cmp_nlt_f32_e64 s2, 0x42b17218, v2
	v_cndmask_b32_e64 v4, 0x7f800000, v4, s2
	v_cmp_nlt_f32_e64 s2, 0x42b17218, v6
	s_delay_alu instid0(VALU_DEP_2) | instskip(NEXT) | instid1(VALU_DEP_2)
	v_add_f32_e32 v6, v8, v4
	v_cndmask_b32_e64 v3, 0x7f800000, v12, s2
	v_cmp_nlt_f32_e64 s2, 0x42b17218, v9
	ds_bpermute_b32 v9, v10, v6
	v_cndmask_b32_e64 v2, 0x7f800000, v11, s2
	s_waitcnt lgkmcnt(0)
	v_add_f32_e32 v6, v6, v9
	ds_bpermute_b32 v9, v13, v6
	s_waitcnt lgkmcnt(0)
	v_dual_add_f32 v7, v3, v2 :: v_dual_add_f32 v6, v6, v9
	ds_bpermute_b32 v10, v10, v7
	ds_bpermute_b32 v9, v14, v6
	s_waitcnt lgkmcnt(0)
	v_dual_add_f32 v7, v7, v10 :: v_dual_add_f32 v6, v6, v9
	ds_bpermute_b32 v10, v13, v7
	;; [unrolled: 4-line block ×3, first 2 shown]
	ds_bpermute_b32 v9, v16, v6
	s_waitcnt lgkmcnt(1)
	v_add_f32_e32 v7, v7, v10
	ds_bpermute_b32 v10, v15, v7
	s_waitcnt lgkmcnt(0)
	v_add_f32_e32 v7, v7, v10
	ds_bpermute_b32 v10, v16, v7
	s_waitcnt lgkmcnt(0)
	v_dual_add_f32 v9, v6, v9 :: v_dual_add_f32 v6, v7, v10
	ds_bpermute_b32 v10, v17, v9
	ds_bpermute_b32 v7, v17, v6
	s_and_saveexec_b32 s2, vcc_lo
	s_cbranch_execz .LBB394_16
; %bb.9:
	v_add_co_u32 v0, vcc_lo, s4, v0
	v_add_co_ci_u32_e32 v1, vcc_lo, s5, v1, vcc_lo
	s_and_saveexec_b32 s3, s1
	s_cbranch_execz .LBB394_12
; %bb.10:
	s_waitcnt lgkmcnt(1)
	v_add_f32_e32 v9, v9, v10
	s_delay_alu instid0(VALU_DEP_1) | instskip(SKIP_1) | instid1(VALU_DEP_2)
	v_div_scale_f32 v10, null, v9, v9, v8
	v_cmp_eq_f32_e64 s2, 0, v9
	v_rcp_f32_e32 v11, v10
	s_waitcnt_depctr 0xfff
	v_fma_f32 v12, -v10, v11, 1.0
	s_delay_alu instid0(VALU_DEP_1) | instskip(SKIP_1) | instid1(VALU_DEP_1)
	v_fmac_f32_e32 v11, v12, v11
	v_div_scale_f32 v12, vcc_lo, v8, v9, v8
	v_mul_f32_e32 v13, v12, v11
	s_delay_alu instid0(VALU_DEP_1) | instskip(NEXT) | instid1(VALU_DEP_1)
	v_fma_f32 v14, -v10, v13, v12
	v_fmac_f32_e32 v13, v14, v11
	s_delay_alu instid0(VALU_DEP_1) | instskip(NEXT) | instid1(VALU_DEP_1)
	v_fma_f32 v10, -v10, v13, v12
	v_div_fmas_f32 v10, v10, v11, v13
	s_delay_alu instid0(VALU_DEP_1) | instskip(NEXT) | instid1(VALU_DEP_1)
	v_div_fixup_f32 v8, v10, v9, v8
	v_cndmask_b32_e64 v8, v8, 0x7fc00000, s2
	global_store_b32 v[0:1], v8, off
	s_and_b32 exec_lo, exec_lo, s0
	s_cbranch_execz .LBB394_12
; %bb.11:
	v_div_scale_f32 v8, null, v9, v9, v4
	s_delay_alu instid0(VALU_DEP_1) | instskip(SKIP_2) | instid1(VALU_DEP_1)
	v_rcp_f32_e32 v10, v8
	s_waitcnt_depctr 0xfff
	v_fma_f32 v11, -v8, v10, 1.0
	v_fmac_f32_e32 v10, v11, v10
	v_div_scale_f32 v11, vcc_lo, v4, v9, v4
	s_delay_alu instid0(VALU_DEP_1) | instskip(NEXT) | instid1(VALU_DEP_1)
	v_mul_f32_e32 v12, v11, v10
	v_fma_f32 v13, -v8, v12, v11
	s_delay_alu instid0(VALU_DEP_1) | instskip(NEXT) | instid1(VALU_DEP_1)
	v_fmac_f32_e32 v12, v13, v10
	v_fma_f32 v8, -v8, v12, v11
	s_delay_alu instid0(VALU_DEP_1) | instskip(NEXT) | instid1(VALU_DEP_1)
	v_div_fmas_f32 v8, v8, v10, v12
	v_div_fixup_f32 v4, v8, v9, v4
	s_delay_alu instid0(VALU_DEP_1)
	v_cndmask_b32_e64 v4, v4, 0x7fc00000, s2
	global_store_b32 v[0:1], v4, off offset:256
.LBB394_12:
	s_or_b32 exec_lo, exec_lo, s3
	v_cmp_ne_u32_e32 vcc_lo, 1, v5
	s_and_b32 exec_lo, exec_lo, vcc_lo
	s_cbranch_execz .LBB394_16
; %bb.13:
	s_and_b32 exec_lo, exec_lo, s1
	s_cbranch_execz .LBB394_16
; %bb.14:
	s_waitcnt lgkmcnt(0)
	v_add_f32_e32 v4, v6, v7
	s_mov_b32 s11, 0
	s_delay_alu instid0(SALU_CYCLE_1) | instskip(NEXT) | instid1(VALU_DEP_1)
	s_lshl_b64 s[2:3], s[10:11], 2
	v_div_scale_f32 v5, null, v4, v4, v3
	v_div_scale_f32 v8, vcc_lo, v3, v4, v3
	s_delay_alu instid0(VALU_DEP_2) | instskip(SKIP_2) | instid1(VALU_DEP_1)
	v_rcp_f32_e32 v6, v5
	s_waitcnt_depctr 0xfff
	v_fma_f32 v7, -v5, v6, 1.0
	v_fmac_f32_e32 v6, v7, v6
	s_delay_alu instid0(VALU_DEP_1) | instskip(SKIP_1) | instid1(VALU_DEP_2)
	v_mul_f32_e32 v7, v8, v6
	v_cmp_eq_f32_e64 s1, 0, v4
	v_fma_f32 v9, -v5, v7, v8
	s_delay_alu instid0(VALU_DEP_1) | instskip(NEXT) | instid1(VALU_DEP_1)
	v_fmac_f32_e32 v7, v9, v6
	v_fma_f32 v5, -v5, v7, v8
	s_delay_alu instid0(VALU_DEP_1) | instskip(NEXT) | instid1(VALU_DEP_1)
	v_div_fmas_f32 v5, v5, v6, v7
	v_div_fixup_f32 v3, v5, v4, v3
	v_add_co_u32 v5, vcc_lo, v0, s2
	v_add_co_ci_u32_e32 v6, vcc_lo, s3, v1, vcc_lo
	s_delay_alu instid0(VALU_DEP_3)
	v_cndmask_b32_e64 v3, v3, 0x7fc00000, s1
	global_store_b32 v[5:6], v3, off
	s_and_b32 exec_lo, exec_lo, s0
	s_cbranch_execz .LBB394_16
; %bb.15:
	v_div_scale_f32 v3, null, v4, v4, v2
	v_div_scale_f32 v7, vcc_lo, v2, v4, v2
	s_ashr_i32 s11, s10, 31
	s_delay_alu instid0(VALU_DEP_2) | instskip(SKIP_3) | instid1(VALU_DEP_1)
	v_rcp_f32_e32 v5, v3
	s_lshl_b64 s[2:3], s[10:11], 2
	s_waitcnt_depctr 0xfff
	v_fma_f32 v6, -v3, v5, 1.0
	v_fmac_f32_e32 v5, v6, v5
	s_delay_alu instid0(VALU_DEP_1) | instskip(NEXT) | instid1(VALU_DEP_1)
	v_mul_f32_e32 v6, v7, v5
	v_fma_f32 v8, -v3, v6, v7
	s_delay_alu instid0(VALU_DEP_1) | instskip(NEXT) | instid1(VALU_DEP_1)
	v_fmac_f32_e32 v6, v8, v5
	v_fma_f32 v3, -v3, v6, v7
	s_delay_alu instid0(VALU_DEP_1) | instskip(SKIP_2) | instid1(VALU_DEP_3)
	v_div_fmas_f32 v3, v3, v5, v6
	v_add_co_u32 v0, vcc_lo, v0, s2
	v_add_co_ci_u32_e32 v1, vcc_lo, s3, v1, vcc_lo
	v_div_fixup_f32 v2, v3, v4, v2
	s_delay_alu instid0(VALU_DEP_1)
	v_cndmask_b32_e64 v2, v2, 0x7fc00000, s1
	global_store_b32 v[0:1], v2, off offset:256
.LBB394_16:
	s_nop 0
	s_sendmsg sendmsg(MSG_DEALLOC_VGPRS)
	s_endpgm
	.section	.rodata,"a",@progbits
	.p2align	6, 0x0
	.amdhsa_kernel _ZN12_GLOBAL__N_120softmax_warp_forwardIfffLi7ELb0ELb0ELi64EEEvPT0_PKT_iiiPKbib
		.amdhsa_group_segment_fixed_size 0
		.amdhsa_private_segment_fixed_size 0
		.amdhsa_kernarg_size 304
		.amdhsa_user_sgpr_count 15
		.amdhsa_user_sgpr_dispatch_ptr 0
		.amdhsa_user_sgpr_queue_ptr 0
		.amdhsa_user_sgpr_kernarg_segment_ptr 1
		.amdhsa_user_sgpr_dispatch_id 0
		.amdhsa_user_sgpr_private_segment_size 0
		.amdhsa_wavefront_size32 1
		.amdhsa_uses_dynamic_stack 0
		.amdhsa_enable_private_segment 0
		.amdhsa_system_sgpr_workgroup_id_x 1
		.amdhsa_system_sgpr_workgroup_id_y 0
		.amdhsa_system_sgpr_workgroup_id_z 0
		.amdhsa_system_sgpr_workgroup_info 0
		.amdhsa_system_vgpr_workitem_id 1
		.amdhsa_next_free_vgpr 25
		.amdhsa_next_free_sgpr 16
		.amdhsa_reserve_vcc 1
		.amdhsa_float_round_mode_32 0
		.amdhsa_float_round_mode_16_64 0
		.amdhsa_float_denorm_mode_32 3
		.amdhsa_float_denorm_mode_16_64 3
		.amdhsa_dx10_clamp 1
		.amdhsa_ieee_mode 1
		.amdhsa_fp16_overflow 0
		.amdhsa_workgroup_processor_mode 1
		.amdhsa_memory_ordered 1
		.amdhsa_forward_progress 0
		.amdhsa_shared_vgpr_count 0
		.amdhsa_exception_fp_ieee_invalid_op 0
		.amdhsa_exception_fp_denorm_src 0
		.amdhsa_exception_fp_ieee_div_zero 0
		.amdhsa_exception_fp_ieee_overflow 0
		.amdhsa_exception_fp_ieee_underflow 0
		.amdhsa_exception_fp_ieee_inexact 0
		.amdhsa_exception_int_div_zero 0
	.end_amdhsa_kernel
	.section	.text._ZN12_GLOBAL__N_120softmax_warp_forwardIfffLi7ELb0ELb0ELi64EEEvPT0_PKT_iiiPKbib,"axG",@progbits,_ZN12_GLOBAL__N_120softmax_warp_forwardIfffLi7ELb0ELb0ELi64EEEvPT0_PKT_iiiPKbib,comdat
.Lfunc_end394:
	.size	_ZN12_GLOBAL__N_120softmax_warp_forwardIfffLi7ELb0ELb0ELi64EEEvPT0_PKT_iiiPKbib, .Lfunc_end394-_ZN12_GLOBAL__N_120softmax_warp_forwardIfffLi7ELb0ELb0ELi64EEEvPT0_PKT_iiiPKbib
                                        ; -- End function
	.section	.AMDGPU.csdata,"",@progbits
; Kernel info:
; codeLenInByte = 2160
; NumSgprs: 18
; NumVgprs: 25
; ScratchSize: 0
; MemoryBound: 0
; FloatMode: 240
; IeeeMode: 1
; LDSByteSize: 0 bytes/workgroup (compile time only)
; SGPRBlocks: 2
; VGPRBlocks: 3
; NumSGPRsForWavesPerEU: 18
; NumVGPRsForWavesPerEU: 25
; Occupancy: 16
; WaveLimiterHint : 0
; COMPUTE_PGM_RSRC2:SCRATCH_EN: 0
; COMPUTE_PGM_RSRC2:USER_SGPR: 15
; COMPUTE_PGM_RSRC2:TRAP_HANDLER: 0
; COMPUTE_PGM_RSRC2:TGID_X_EN: 1
; COMPUTE_PGM_RSRC2:TGID_Y_EN: 0
; COMPUTE_PGM_RSRC2:TGID_Z_EN: 0
; COMPUTE_PGM_RSRC2:TIDIG_COMP_CNT: 1
	.section	.text._ZN12_GLOBAL__N_120softmax_warp_forwardIfffLi7ELb0ELb0ELi32EEEvPT0_PKT_iiiPKbib,"axG",@progbits,_ZN12_GLOBAL__N_120softmax_warp_forwardIfffLi7ELb0ELb0ELi32EEEvPT0_PKT_iiiPKbib,comdat
	.globl	_ZN12_GLOBAL__N_120softmax_warp_forwardIfffLi7ELb0ELb0ELi32EEEvPT0_PKT_iiiPKbib ; -- Begin function _ZN12_GLOBAL__N_120softmax_warp_forwardIfffLi7ELb0ELb0ELi32EEEvPT0_PKT_iiiPKbib
	.p2align	8
	.type	_ZN12_GLOBAL__N_120softmax_warp_forwardIfffLi7ELb0ELb0ELi32EEEvPT0_PKT_iiiPKbib,@function
_ZN12_GLOBAL__N_120softmax_warp_forwardIfffLi7ELb0ELb0ELi32EEEvPT0_PKT_iiiPKbib: ; @_ZN12_GLOBAL__N_120softmax_warp_forwardIfffLi7ELb0ELb0ELi32EEEvPT0_PKT_iiiPKbib
; %bb.0:
	s_clause 0x1
	s_load_b32 s2, s[0:1], 0x3c
	s_load_b256 s[16:23], s[0:1], 0x0
	v_bfe_u32 v1, v0, 10, 10
	v_and_b32_e32 v4, 0x3ff, v0
	v_mov_b32_e32 v6, 0xff800000
	v_mov_b32_e32 v8, 0xff800000
	s_waitcnt lgkmcnt(0)
	s_lshr_b32 s0, s2, 16
	v_cmp_gt_i32_e64 s3, s22, v4
	s_mul_i32 s15, s15, s0
	s_delay_alu instid0(SALU_CYCLE_1) | instskip(NEXT) | instid1(VALU_DEP_1)
	v_add_lshl_u32 v2, s15, v1, 1
	v_mad_u64_u32 v[0:1], null, v2, s21, v[4:5]
	v_sub_nc_u32_e32 v5, s20, v2
	s_delay_alu instid0(VALU_DEP_1) | instskip(NEXT) | instid1(VALU_DEP_3)
	v_cmp_lt_i32_e32 vcc_lo, 0, v5
	v_ashrrev_i32_e32 v1, 31, v0
	s_and_b32 s1, vcc_lo, s3
	s_delay_alu instid0(VALU_DEP_1) | instskip(NEXT) | instid1(VALU_DEP_1)
	v_lshlrev_b64 v[0:1], 2, v[0:1]
	v_add_co_u32 v2, s0, s18, v0
	s_delay_alu instid0(VALU_DEP_1)
	v_add_co_ci_u32_e64 v3, s0, s19, v1, s0
	s_and_saveexec_b32 s0, s1
	s_cbranch_execz .LBB395_2
; %bb.1:
	global_load_b32 v8, v[2:3], off
.LBB395_2:
	s_or_b32 exec_lo, exec_lo, s0
	v_add_nc_u32_e32 v7, 32, v4
	s_delay_alu instid0(VALU_DEP_1) | instskip(NEXT) | instid1(VALU_DEP_1)
	v_cmp_gt_i32_e64 s2, s22, v7
	s_and_b32 s1, vcc_lo, s2
	s_delay_alu instid0(SALU_CYCLE_1)
	s_and_saveexec_b32 s0, s1
	s_cbranch_execz .LBB395_4
; %bb.3:
	global_load_b32 v6, v[2:3], off offset:128
.LBB395_4:
	s_or_b32 exec_lo, exec_lo, s0
	v_add_nc_u32_e32 v7, 64, v4
	v_mov_b32_e32 v9, 0xff800000
	s_delay_alu instid0(VALU_DEP_2) | instskip(SKIP_1) | instid1(VALU_DEP_2)
	v_cmp_gt_i32_e64 s1, s22, v7
	v_mov_b32_e32 v7, 0xff800000
	s_and_b32 s4, vcc_lo, s1
	s_delay_alu instid0(SALU_CYCLE_1)
	s_and_saveexec_b32 s0, s4
	s_cbranch_execz .LBB395_6
; %bb.5:
	global_load_b32 v9, v[2:3], off offset:256
.LBB395_6:
	s_or_b32 exec_lo, exec_lo, s0
	v_add_nc_u32_e32 v4, 0x60, v4
	s_delay_alu instid0(VALU_DEP_1) | instskip(NEXT) | instid1(VALU_DEP_1)
	v_cmp_gt_i32_e64 s0, s22, v4
	s_and_b32 s5, vcc_lo, s0
	s_delay_alu instid0(SALU_CYCLE_1)
	s_and_saveexec_b32 s4, s5
	s_cbranch_execz .LBB395_8
; %bb.7:
	global_load_b32 v7, v[2:3], off offset:384
.LBB395_8:
	s_or_b32 exec_lo, exec_lo, s4
	v_cmp_lt_i32_e64 s4, 1, v5
	v_dual_mov_b32 v4, 0xff800000 :: v_dual_mov_b32 v11, 0xff800000
	s_delay_alu instid0(VALU_DEP_2) | instskip(NEXT) | instid1(SALU_CYCLE_1)
	s_and_b32 s5, s4, s3
	s_and_saveexec_b32 s6, s5
	s_cbranch_execz .LBB395_10
; %bb.9:
	s_mov_b32 s23, 0
	s_delay_alu instid0(SALU_CYCLE_1) | instskip(NEXT) | instid1(SALU_CYCLE_1)
	s_lshl_b64 s[8:9], s[22:23], 2
	v_add_co_u32 v10, s5, v2, s8
	s_delay_alu instid0(VALU_DEP_1)
	v_add_co_ci_u32_e64 v11, s5, s9, v3, s5
	global_load_b32 v11, v[10:11], off
.LBB395_10:
	s_or_b32 exec_lo, exec_lo, s6
	s_and_b32 s5, s4, s2
	s_delay_alu instid0(SALU_CYCLE_1)
	s_and_saveexec_b32 s6, s5
	s_cbranch_execz .LBB395_12
; %bb.11:
	s_mov_b32 s23, 0
	s_delay_alu instid0(SALU_CYCLE_1) | instskip(NEXT) | instid1(SALU_CYCLE_1)
	s_lshl_b64 s[8:9], s[22:23], 2
	v_add_co_u32 v12, s5, v2, s8
	s_delay_alu instid0(VALU_DEP_1)
	v_add_co_ci_u32_e64 v13, s5, s9, v3, s5
	global_load_b32 v4, v[12:13], off offset:128
.LBB395_12:
	s_or_b32 exec_lo, exec_lo, s6
	v_mov_b32_e32 v10, 0xff800000
	v_mov_b32_e32 v12, 0xff800000
	s_and_b32 s5, s4, s1
	s_delay_alu instid0(SALU_CYCLE_1)
	s_and_saveexec_b32 s6, s5
	s_cbranch_execz .LBB395_14
; %bb.13:
	s_mov_b32 s23, 0
	s_delay_alu instid0(SALU_CYCLE_1) | instskip(NEXT) | instid1(SALU_CYCLE_1)
	s_lshl_b64 s[8:9], s[22:23], 2
	v_add_co_u32 v12, s5, v2, s8
	s_delay_alu instid0(VALU_DEP_1)
	v_add_co_ci_u32_e64 v13, s5, s9, v3, s5
	global_load_b32 v12, v[12:13], off offset:256
.LBB395_14:
	s_or_b32 exec_lo, exec_lo, s6
	s_and_b32 s4, s4, s0
	s_delay_alu instid0(SALU_CYCLE_1)
	s_and_saveexec_b32 s5, s4
	s_cbranch_execz .LBB395_16
; %bb.15:
	s_mov_b32 s23, 0
	s_delay_alu instid0(SALU_CYCLE_1) | instskip(NEXT) | instid1(SALU_CYCLE_1)
	s_lshl_b64 s[6:7], s[22:23], 2
	v_add_co_u32 v2, s4, v2, s6
	s_delay_alu instid0(VALU_DEP_1)
	v_add_co_ci_u32_e64 v3, s4, s7, v3, s4
	global_load_b32 v10, v[2:3], off offset:384
.LBB395_16:
	s_or_b32 exec_lo, exec_lo, s5
	s_waitcnt vmcnt(0)
	v_cmp_gt_f32_e64 s4, v8, v6
	v_mbcnt_lo_u32_b32 v2, -1, 0
	s_delay_alu instid0(VALU_DEP_2) | instskip(SKIP_1) | instid1(VALU_DEP_3)
	v_cndmask_b32_e64 v3, v6, v8, s4
	v_cmp_gt_f32_e64 s4, v11, v4
	v_xor_b32_e32 v13, 16, v2
	v_xor_b32_e32 v17, 8, v2
	;; [unrolled: 1-line block ×4, first 2 shown]
	v_cndmask_b32_e64 v14, v4, v11, s4
	v_cmp_gt_f32_e64 s4, v3, v9
	v_xor_b32_e32 v20, 1, v2
	s_delay_alu instid0(VALU_DEP_2) | instskip(SKIP_1) | instid1(VALU_DEP_1)
	v_cndmask_b32_e64 v3, v9, v3, s4
	v_cmp_gt_i32_e64 s4, 32, v13
	v_cndmask_b32_e64 v13, v2, v13, s4
	v_cmp_gt_f32_e64 s4, v14, v12
	s_delay_alu instid0(VALU_DEP_2) | instskip(NEXT) | instid1(VALU_DEP_2)
	v_lshlrev_b32_e32 v15, 2, v13
	v_cndmask_b32_e64 v14, v12, v14, s4
	v_cmp_gt_f32_e64 s4, v3, v7
	s_delay_alu instid0(VALU_DEP_1) | instskip(NEXT) | instid1(VALU_DEP_3)
	v_cndmask_b32_e64 v3, v7, v3, s4
	v_cmp_gt_f32_e64 s4, v14, v10
	s_delay_alu instid0(VALU_DEP_1) | instskip(SKIP_4) | instid1(VALU_DEP_1)
	v_cndmask_b32_e64 v13, v10, v14, s4
	ds_bpermute_b32 v14, v15, v3
	v_cmp_gt_i32_e64 s4, 32, v17
	ds_bpermute_b32 v16, v15, v13
	v_cndmask_b32_e64 v17, v2, v17, s4
	v_lshlrev_b32_e32 v17, 2, v17
	s_waitcnt lgkmcnt(1)
	v_cmp_lt_f32_e64 s4, v3, v14
	s_delay_alu instid0(VALU_DEP_1)
	v_cndmask_b32_e64 v3, v3, v14, s4
	s_waitcnt lgkmcnt(0)
	v_cmp_lt_f32_e64 s4, v13, v16
	ds_bpermute_b32 v14, v17, v3
	v_cndmask_b32_e64 v13, v13, v16, s4
	v_cmp_gt_i32_e64 s4, 32, v18
	ds_bpermute_b32 v16, v17, v13
	v_cndmask_b32_e64 v18, v2, v18, s4
	s_delay_alu instid0(VALU_DEP_1) | instskip(SKIP_2) | instid1(VALU_DEP_1)
	v_lshlrev_b32_e32 v18, 2, v18
	s_waitcnt lgkmcnt(1)
	v_cmp_lt_f32_e64 s4, v3, v14
	v_cndmask_b32_e64 v3, v3, v14, s4
	s_waitcnt lgkmcnt(0)
	v_cmp_lt_f32_e64 s4, v13, v16
	ds_bpermute_b32 v14, v18, v3
	v_cndmask_b32_e64 v13, v13, v16, s4
	v_cmp_gt_i32_e64 s4, 32, v19
	ds_bpermute_b32 v16, v18, v13
	v_cndmask_b32_e64 v19, v2, v19, s4
	s_delay_alu instid0(VALU_DEP_1) | instskip(SKIP_2) | instid1(VALU_DEP_1)
	v_lshlrev_b32_e32 v19, 2, v19
	s_waitcnt lgkmcnt(1)
	v_cmp_lt_f32_e64 s4, v3, v14
	;; [unrolled: 12-line block ×3, first 2 shown]
	v_cndmask_b32_e64 v2, v3, v14, s4
	s_waitcnt lgkmcnt(0)
	v_cmp_lt_f32_e64 s4, v13, v16
	s_delay_alu instid0(VALU_DEP_1) | instskip(SKIP_4) | instid1(VALU_DEP_1)
	v_cndmask_b32_e64 v3, v13, v16, s4
	ds_bpermute_b32 v13, v20, v2
	ds_bpermute_b32 v14, v20, v3
	s_waitcnt lgkmcnt(1)
	v_cmp_lt_f32_e64 s4, v2, v13
	v_cndmask_b32_e64 v2, v2, v13, s4
	s_waitcnt lgkmcnt(0)
	v_cmp_lt_f32_e64 s4, v3, v14
	s_delay_alu instid0(VALU_DEP_2) | instskip(NEXT) | instid1(VALU_DEP_2)
	v_sub_f32_e32 v8, v8, v2
	v_cndmask_b32_e64 v3, v3, v14, s4
	v_sub_f32_e32 v6, v6, v2
	v_sub_f32_e32 v9, v9, v2
	;; [unrolled: 1-line block ×3, first 2 shown]
	v_cmp_ngt_f32_e64 s4, 0xc2ce8ed0, v8
	v_sub_f32_e32 v4, v4, v3
	v_sub_f32_e32 v7, v11, v3
	v_dual_sub_f32 v12, v12, v3 :: v_dual_mul_f32 v11, 0x3fb8aa3b, v9
	v_dual_sub_f32 v14, v10, v3 :: v_dual_mul_f32 v13, 0x3fb8aa3b, v2
	v_dual_mul_f32 v3, 0x3fb8aa3b, v8 :: v_dual_mul_f32 v10, 0x3fb8aa3b, v6
	s_delay_alu instid0(VALU_DEP_4) | instskip(NEXT) | instid1(VALU_DEP_3)
	v_dual_mul_f32 v21, 0x3fb8aa3b, v4 :: v_dual_mul_f32 v16, 0x3fb8aa3b, v7
	v_mul_f32_e32 v23, 0x3fb8aa3b, v14
	s_delay_alu instid0(VALU_DEP_3)
	v_fma_f32 v24, 0x3fb8aa3b, v8, -v3
	v_rndne_f32_e32 v25, v3
	v_mul_f32_e32 v22, 0x3fb8aa3b, v12
	v_fma_f32 v26, 0x3fb8aa3b, v6, -v10
	v_rndne_f32_e32 v27, v10
	v_rndne_f32_e32 v29, v11
	v_dual_sub_f32 v3, v3, v25 :: v_dual_fmac_f32 v24, 0x32a5705f, v8
	v_fma_f32 v28, 0x3fb8aa3b, v9, -v11
	v_fma_f32 v30, 0x3fb8aa3b, v2, -v13
	s_delay_alu instid0(VALU_DEP_4)
	v_sub_f32_e32 v11, v11, v29
	v_rndne_f32_e32 v31, v13
	v_fma_f32 v38, 0x3fb8aa3b, v14, -v23
	v_rndne_f32_e32 v39, v23
	v_fmac_f32_e32 v26, 0x32a5705f, v6
	v_dual_sub_f32 v10, v10, v27 :: v_dual_add_f32 v3, v3, v24
	v_fma_f32 v32, 0x3fb8aa3b, v7, -v16
	v_fma_f32 v34, 0x3fb8aa3b, v4, -v21
	v_rndne_f32_e32 v35, v21
	v_fma_f32 v36, 0x3fb8aa3b, v12, -v22
	v_rndne_f32_e32 v37, v22
	v_fmac_f32_e32 v28, 0x32a5705f, v9
	v_dual_fmac_f32 v30, 0x32a5705f, v2 :: v_dual_sub_f32 v23, v23, v39
	v_dual_sub_f32 v13, v13, v31 :: v_dual_fmac_f32 v38, 0x32a5705f, v14
	v_add_f32_e32 v10, v10, v26
	v_exp_f32_e32 v3, v3
	v_rndne_f32_e32 v33, v16
	v_cvt_i32_f32_e32 v25, v25
	v_dual_fmac_f32 v34, 0x32a5705f, v4 :: v_dual_add_f32 v23, v23, v38
	v_sub_f32_e32 v21, v21, v35
	v_dual_fmac_f32 v32, 0x32a5705f, v7 :: v_dual_add_f32 v11, v11, v28
	v_fmac_f32_e32 v36, 0x32a5705f, v12
	v_sub_f32_e32 v22, v22, v37
	v_exp_f32_e32 v10, v10
	v_cvt_i32_f32_e32 v27, v27
	v_dual_sub_f32 v16, v16, v33 :: v_dual_add_f32 v13, v13, v30
	s_delay_alu instid0(VALU_DEP_3)
	v_dual_add_f32 v21, v21, v34 :: v_dual_add_f32 v22, v22, v36
	v_exp_f32_e32 v11, v11
	v_ldexp_f32 v3, v3, v25
	v_cvt_i32_f32_e32 v29, v29
	v_add_f32_e32 v16, v16, v32
	v_exp_f32_e32 v13, v13
	v_exp_f32_e32 v22, v22
	v_ldexp_f32 v10, v10, v27
	v_cndmask_b32_e64 v3, 0, v3, s4
	v_cmp_ngt_f32_e64 s4, 0xc2ce8ed0, v6
	v_cvt_i32_f32_e32 v31, v31
	v_exp_f32_e32 v16, v16
	v_cvt_i32_f32_e32 v24, v37
	v_ldexp_f32 v11, v11, v29
	v_cndmask_b32_e64 v10, 0, v10, s4
	v_cmp_ngt_f32_e64 s4, 0xc2ce8ed0, v9
	v_cvt_i32_f32_e32 v33, v33
	v_exp_f32_e32 v21, v21
	v_ldexp_f32 v13, v13, v31
	v_ldexp_f32 v22, v22, v24
	v_cndmask_b32_e64 v24, 0, v11, s4
	v_cmp_ngt_f32_e64 s4, 0xc2ce8ed0, v2
	v_cvt_i32_f32_e32 v35, v35
	v_ldexp_f32 v16, v16, v33
	v_exp_f32_e32 v23, v23
	v_cvt_i32_f32_e32 v26, v39
	v_cndmask_b32_e64 v25, 0, v13, s4
	v_cmp_ngt_f32_e64 s4, 0xc2ce8ed0, v7
	v_ldexp_f32 v21, v21, v35
	s_delay_alu instid0(VALU_DEP_2) | instskip(SKIP_1) | instid1(TRANS32_DEP_1)
	v_cndmask_b32_e64 v16, 0, v16, s4
	v_cmp_ngt_f32_e64 s4, 0xc2ce8ed0, v4
	v_ldexp_f32 v23, v23, v26
	s_delay_alu instid0(VALU_DEP_2) | instskip(SKIP_1) | instid1(VALU_DEP_1)
	v_cndmask_b32_e64 v21, 0, v21, s4
	v_cmp_ngt_f32_e64 s4, 0xc2ce8ed0, v12
	v_cndmask_b32_e64 v22, 0, v22, s4
	v_cmp_ngt_f32_e64 s4, 0xc2ce8ed0, v14
	s_delay_alu instid0(VALU_DEP_1) | instskip(SKIP_1) | instid1(VALU_DEP_1)
	v_cndmask_b32_e64 v23, 0, v23, s4
	v_cmp_nlt_f32_e64 s4, 0x42b17218, v8
	v_cndmask_b32_e64 v13, 0x7f800000, v3, s4
	v_cmp_nlt_f32_e64 s4, 0x42b17218, v6
	s_delay_alu instid0(VALU_DEP_1) | instskip(SKIP_1) | instid1(VALU_DEP_2)
	v_cndmask_b32_e64 v11, 0x7f800000, v10, s4
	v_cmp_nlt_f32_e64 s4, 0x42b17218, v7
	v_add_f32_e32 v8, v13, v11
	s_delay_alu instid0(VALU_DEP_2) | instskip(SKIP_1) | instid1(VALU_DEP_1)
	v_cndmask_b32_e64 v6, 0x7f800000, v16, s4
	v_cmp_nlt_f32_e64 s4, 0x42b17218, v4
	v_cndmask_b32_e64 v4, 0x7f800000, v21, s4
	v_cmp_nlt_f32_e64 s4, 0x42b17218, v9
	s_delay_alu instid0(VALU_DEP_2) | instskip(NEXT) | instid1(VALU_DEP_2)
	v_add_f32_e32 v9, v6, v4
	v_cndmask_b32_e64 v10, 0x7f800000, v24, s4
	v_cmp_nlt_f32_e64 s4, 0x42b17218, v12
	s_delay_alu instid0(VALU_DEP_2) | instskip(NEXT) | instid1(VALU_DEP_2)
	v_add_f32_e32 v8, v8, v10
	;; [unrolled: 4-line block ×3, first 2 shown]
	v_cndmask_b32_e64 v7, 0x7f800000, v25, s4
	v_cmp_nlt_f32_e64 s4, 0x42b17218, v14
	s_delay_alu instid0(VALU_DEP_1) | instskip(NEXT) | instid1(VALU_DEP_1)
	v_cndmask_b32_e64 v2, 0x7f800000, v23, s4
	v_add_f32_e32 v9, v9, v2
	ds_bpermute_b32 v14, v15, v9
	s_waitcnt lgkmcnt(0)
	v_add_f32_e32 v9, v9, v14
	ds_bpermute_b32 v14, v17, v9
	s_waitcnt lgkmcnt(0)
	v_dual_add_f32 v8, v8, v7 :: v_dual_add_f32 v9, v9, v14
	ds_bpermute_b32 v12, v15, v8
	ds_bpermute_b32 v14, v18, v9
	s_waitcnt lgkmcnt(0)
	v_dual_add_f32 v8, v8, v12 :: v_dual_add_f32 v9, v9, v14
	ds_bpermute_b32 v12, v17, v8
	ds_bpermute_b32 v14, v19, v9
	s_waitcnt lgkmcnt(1)
	v_add_f32_e32 v8, v8, v12
	ds_bpermute_b32 v12, v18, v8
	s_waitcnt lgkmcnt(0)
	v_add_f32_e32 v8, v8, v12
	;; [unrolled: 3-line block ×3, first 2 shown]
	v_add_f32_e32 v8, v9, v14
	ds_bpermute_b32 v14, v20, v12
	ds_bpermute_b32 v9, v20, v8
	s_and_saveexec_b32 s4, vcc_lo
	s_cbranch_execz .LBB395_28
; %bb.17:
	v_add_co_u32 v0, vcc_lo, s16, v0
	v_add_co_ci_u32_e32 v1, vcc_lo, s17, v1, vcc_lo
	s_and_saveexec_b32 s5, s3
	s_cbranch_execz .LBB395_22
; %bb.18:
	s_waitcnt lgkmcnt(1)
	v_add_f32_e32 v12, v12, v14
	s_delay_alu instid0(VALU_DEP_1) | instskip(NEXT) | instid1(VALU_DEP_1)
	v_div_scale_f32 v14, null, v12, v12, v13
	v_rcp_f32_e32 v15, v14
	s_waitcnt_depctr 0xfff
	v_fma_f32 v16, -v14, v15, 1.0
	s_delay_alu instid0(VALU_DEP_1) | instskip(SKIP_1) | instid1(VALU_DEP_1)
	v_fmac_f32_e32 v15, v16, v15
	v_div_scale_f32 v16, vcc_lo, v13, v12, v13
	v_mul_f32_e32 v17, v16, v15
	s_delay_alu instid0(VALU_DEP_1) | instskip(NEXT) | instid1(VALU_DEP_1)
	v_fma_f32 v18, -v14, v17, v16
	v_fmac_f32_e32 v17, v18, v15
	v_cmp_eq_f32_e64 s4, 0, v12
	s_delay_alu instid0(VALU_DEP_2) | instskip(NEXT) | instid1(VALU_DEP_1)
	v_fma_f32 v14, -v14, v17, v16
	v_div_fmas_f32 v14, v14, v15, v17
	s_delay_alu instid0(VALU_DEP_1) | instskip(NEXT) | instid1(VALU_DEP_1)
	v_div_fixup_f32 v13, v14, v12, v13
	v_cndmask_b32_e64 v13, v13, 0x7fc00000, s4
	global_store_b32 v[0:1], v13, off
	s_and_b32 exec_lo, exec_lo, s2
	s_cbranch_execz .LBB395_22
; %bb.19:
	v_div_scale_f32 v13, null, v12, v12, v11
	s_delay_alu instid0(VALU_DEP_1) | instskip(SKIP_2) | instid1(VALU_DEP_1)
	v_rcp_f32_e32 v14, v13
	s_waitcnt_depctr 0xfff
	v_fma_f32 v15, -v13, v14, 1.0
	v_fmac_f32_e32 v14, v15, v14
	v_div_scale_f32 v15, vcc_lo, v11, v12, v11
	s_delay_alu instid0(VALU_DEP_1) | instskip(NEXT) | instid1(VALU_DEP_1)
	v_mul_f32_e32 v16, v15, v14
	v_fma_f32 v17, -v13, v16, v15
	s_delay_alu instid0(VALU_DEP_1) | instskip(NEXT) | instid1(VALU_DEP_1)
	v_fmac_f32_e32 v16, v17, v14
	v_fma_f32 v13, -v13, v16, v15
	s_delay_alu instid0(VALU_DEP_1) | instskip(NEXT) | instid1(VALU_DEP_1)
	v_div_fmas_f32 v13, v13, v14, v16
	v_div_fixup_f32 v11, v13, v12, v11
	s_delay_alu instid0(VALU_DEP_1)
	v_cndmask_b32_e64 v11, v11, 0x7fc00000, s4
	global_store_b32 v[0:1], v11, off offset:128
	s_and_b32 exec_lo, exec_lo, s1
	s_cbranch_execz .LBB395_22
; %bb.20:
	v_div_scale_f32 v11, null, v12, v12, v10
	s_delay_alu instid0(VALU_DEP_1) | instskip(SKIP_2) | instid1(VALU_DEP_1)
	v_rcp_f32_e32 v13, v11
	s_waitcnt_depctr 0xfff
	v_fma_f32 v14, -v11, v13, 1.0
	v_fmac_f32_e32 v13, v14, v13
	v_div_scale_f32 v14, vcc_lo, v10, v12, v10
	s_delay_alu instid0(VALU_DEP_1) | instskip(NEXT) | instid1(VALU_DEP_1)
	v_mul_f32_e32 v15, v14, v13
	v_fma_f32 v16, -v11, v15, v14
	s_delay_alu instid0(VALU_DEP_1) | instskip(NEXT) | instid1(VALU_DEP_1)
	v_fmac_f32_e32 v15, v16, v13
	v_fma_f32 v11, -v11, v15, v14
	s_delay_alu instid0(VALU_DEP_1) | instskip(NEXT) | instid1(VALU_DEP_1)
	v_div_fmas_f32 v11, v11, v13, v15
	v_div_fixup_f32 v10, v11, v12, v10
	s_delay_alu instid0(VALU_DEP_1)
	v_cndmask_b32_e64 v10, v10, 0x7fc00000, s4
	global_store_b32 v[0:1], v10, off offset:256
	s_and_b32 exec_lo, exec_lo, s0
	s_cbranch_execz .LBB395_22
; %bb.21:
	v_div_scale_f32 v10, null, v12, v12, v7
	s_delay_alu instid0(VALU_DEP_1) | instskip(SKIP_2) | instid1(VALU_DEP_1)
	v_rcp_f32_e32 v11, v10
	s_waitcnt_depctr 0xfff
	v_fma_f32 v13, -v10, v11, 1.0
	v_fmac_f32_e32 v11, v13, v11
	v_div_scale_f32 v13, vcc_lo, v7, v12, v7
	s_delay_alu instid0(VALU_DEP_1) | instskip(NEXT) | instid1(VALU_DEP_1)
	v_mul_f32_e32 v14, v13, v11
	v_fma_f32 v15, -v10, v14, v13
	s_delay_alu instid0(VALU_DEP_1) | instskip(NEXT) | instid1(VALU_DEP_1)
	v_fmac_f32_e32 v14, v15, v11
	v_fma_f32 v10, -v10, v14, v13
	s_delay_alu instid0(VALU_DEP_1) | instskip(NEXT) | instid1(VALU_DEP_1)
	v_div_fmas_f32 v10, v10, v11, v14
	v_div_fixup_f32 v7, v10, v12, v7
	s_delay_alu instid0(VALU_DEP_1)
	v_cndmask_b32_e64 v7, v7, 0x7fc00000, s4
	global_store_b32 v[0:1], v7, off offset:384
.LBB395_22:
	s_or_b32 exec_lo, exec_lo, s5
	v_cmp_ne_u32_e32 vcc_lo, 1, v5
	s_and_b32 exec_lo, exec_lo, vcc_lo
	s_cbranch_execz .LBB395_28
; %bb.23:
	s_and_b32 exec_lo, exec_lo, s3
	s_cbranch_execz .LBB395_28
; %bb.24:
	s_waitcnt lgkmcnt(0)
	v_add_f32_e32 v5, v8, v9
	s_ashr_i32 s23, s22, 31
	s_delay_alu instid0(SALU_CYCLE_1) | instskip(NEXT) | instid1(VALU_DEP_1)
	s_lshl_b64 s[4:5], s[22:23], 2
	v_div_scale_f32 v7, null, v5, v5, v6
	s_delay_alu instid0(VALU_DEP_1) | instskip(SKIP_2) | instid1(VALU_DEP_1)
	v_rcp_f32_e32 v8, v7
	s_waitcnt_depctr 0xfff
	v_fma_f32 v9, -v7, v8, 1.0
	v_fmac_f32_e32 v8, v9, v8
	v_div_scale_f32 v10, vcc_lo, v6, v5, v6
	v_cmp_eq_f32_e64 s3, 0, v5
	s_delay_alu instid0(VALU_DEP_2) | instskip(NEXT) | instid1(VALU_DEP_1)
	v_mul_f32_e32 v9, v10, v8
	v_fma_f32 v11, -v7, v9, v10
	s_delay_alu instid0(VALU_DEP_1) | instskip(NEXT) | instid1(VALU_DEP_1)
	v_fmac_f32_e32 v9, v11, v8
	v_fma_f32 v7, -v7, v9, v10
	s_delay_alu instid0(VALU_DEP_1) | instskip(SKIP_2) | instid1(VALU_DEP_3)
	v_div_fmas_f32 v7, v7, v8, v9
	v_add_co_u32 v0, vcc_lo, v0, s4
	v_add_co_ci_u32_e32 v1, vcc_lo, s5, v1, vcc_lo
	v_div_fixup_f32 v6, v7, v5, v6
	s_delay_alu instid0(VALU_DEP_1)
	v_cndmask_b32_e64 v6, v6, 0x7fc00000, s3
	global_store_b32 v[0:1], v6, off
	s_and_b32 exec_lo, exec_lo, s2
	s_cbranch_execz .LBB395_28
; %bb.25:
	v_div_scale_f32 v6, null, v5, v5, v4
	s_delay_alu instid0(VALU_DEP_1) | instskip(SKIP_2) | instid1(VALU_DEP_1)
	v_rcp_f32_e32 v7, v6
	s_waitcnt_depctr 0xfff
	v_fma_f32 v8, -v6, v7, 1.0
	v_fmac_f32_e32 v7, v8, v7
	v_div_scale_f32 v8, vcc_lo, v4, v5, v4
	s_delay_alu instid0(VALU_DEP_1) | instskip(NEXT) | instid1(VALU_DEP_1)
	v_mul_f32_e32 v9, v8, v7
	v_fma_f32 v10, -v6, v9, v8
	s_delay_alu instid0(VALU_DEP_1) | instskip(NEXT) | instid1(VALU_DEP_1)
	v_fmac_f32_e32 v9, v10, v7
	v_fma_f32 v6, -v6, v9, v8
	s_delay_alu instid0(VALU_DEP_1) | instskip(NEXT) | instid1(VALU_DEP_1)
	v_div_fmas_f32 v6, v6, v7, v9
	v_div_fixup_f32 v4, v6, v5, v4
	s_delay_alu instid0(VALU_DEP_1)
	v_cndmask_b32_e64 v4, v4, 0x7fc00000, s3
	global_store_b32 v[0:1], v4, off offset:128
	s_and_b32 exec_lo, exec_lo, s1
	s_cbranch_execz .LBB395_28
; %bb.26:
	v_div_scale_f32 v4, null, v5, v5, v3
	s_delay_alu instid0(VALU_DEP_1) | instskip(SKIP_2) | instid1(VALU_DEP_1)
	v_rcp_f32_e32 v6, v4
	s_waitcnt_depctr 0xfff
	v_fma_f32 v7, -v4, v6, 1.0
	v_fmac_f32_e32 v6, v7, v6
	v_div_scale_f32 v7, vcc_lo, v3, v5, v3
	s_delay_alu instid0(VALU_DEP_1) | instskip(NEXT) | instid1(VALU_DEP_1)
	v_mul_f32_e32 v8, v7, v6
	v_fma_f32 v9, -v4, v8, v7
	s_delay_alu instid0(VALU_DEP_1) | instskip(NEXT) | instid1(VALU_DEP_1)
	v_fmac_f32_e32 v8, v9, v6
	v_fma_f32 v4, -v4, v8, v7
	s_delay_alu instid0(VALU_DEP_1) | instskip(NEXT) | instid1(VALU_DEP_1)
	v_div_fmas_f32 v4, v4, v6, v8
	v_div_fixup_f32 v3, v4, v5, v3
	s_delay_alu instid0(VALU_DEP_1)
	v_cndmask_b32_e64 v3, v3, 0x7fc00000, s3
	global_store_b32 v[0:1], v3, off offset:256
	;; [unrolled: 22-line block ×3, first 2 shown]
.LBB395_28:
	s_nop 0
	s_sendmsg sendmsg(MSG_DEALLOC_VGPRS)
	s_endpgm
	.section	.rodata,"a",@progbits
	.p2align	6, 0x0
	.amdhsa_kernel _ZN12_GLOBAL__N_120softmax_warp_forwardIfffLi7ELb0ELb0ELi32EEEvPT0_PKT_iiiPKbib
		.amdhsa_group_segment_fixed_size 0
		.amdhsa_private_segment_fixed_size 0
		.amdhsa_kernarg_size 304
		.amdhsa_user_sgpr_count 15
		.amdhsa_user_sgpr_dispatch_ptr 0
		.amdhsa_user_sgpr_queue_ptr 0
		.amdhsa_user_sgpr_kernarg_segment_ptr 1
		.amdhsa_user_sgpr_dispatch_id 0
		.amdhsa_user_sgpr_private_segment_size 0
		.amdhsa_wavefront_size32 1
		.amdhsa_uses_dynamic_stack 0
		.amdhsa_enable_private_segment 0
		.amdhsa_system_sgpr_workgroup_id_x 1
		.amdhsa_system_sgpr_workgroup_id_y 0
		.amdhsa_system_sgpr_workgroup_id_z 0
		.amdhsa_system_sgpr_workgroup_info 0
		.amdhsa_system_vgpr_workitem_id 1
		.amdhsa_next_free_vgpr 40
		.amdhsa_next_free_sgpr 24
		.amdhsa_reserve_vcc 1
		.amdhsa_float_round_mode_32 0
		.amdhsa_float_round_mode_16_64 0
		.amdhsa_float_denorm_mode_32 3
		.amdhsa_float_denorm_mode_16_64 3
		.amdhsa_dx10_clamp 1
		.amdhsa_ieee_mode 1
		.amdhsa_fp16_overflow 0
		.amdhsa_workgroup_processor_mode 1
		.amdhsa_memory_ordered 1
		.amdhsa_forward_progress 0
		.amdhsa_shared_vgpr_count 0
		.amdhsa_exception_fp_ieee_invalid_op 0
		.amdhsa_exception_fp_denorm_src 0
		.amdhsa_exception_fp_ieee_div_zero 0
		.amdhsa_exception_fp_ieee_overflow 0
		.amdhsa_exception_fp_ieee_underflow 0
		.amdhsa_exception_fp_ieee_inexact 0
		.amdhsa_exception_int_div_zero 0
	.end_amdhsa_kernel
	.section	.text._ZN12_GLOBAL__N_120softmax_warp_forwardIfffLi7ELb0ELb0ELi32EEEvPT0_PKT_iiiPKbib,"axG",@progbits,_ZN12_GLOBAL__N_120softmax_warp_forwardIfffLi7ELb0ELb0ELi32EEEvPT0_PKT_iiiPKbib,comdat
.Lfunc_end395:
	.size	_ZN12_GLOBAL__N_120softmax_warp_forwardIfffLi7ELb0ELb0ELi32EEEvPT0_PKT_iiiPKbib, .Lfunc_end395-_ZN12_GLOBAL__N_120softmax_warp_forwardIfffLi7ELb0ELb0ELi32EEEvPT0_PKT_iiiPKbib
                                        ; -- End function
	.section	.AMDGPU.csdata,"",@progbits
; Kernel info:
; codeLenInByte = 3276
; NumSgprs: 26
; NumVgprs: 40
; ScratchSize: 0
; MemoryBound: 0
; FloatMode: 240
; IeeeMode: 1
; LDSByteSize: 0 bytes/workgroup (compile time only)
; SGPRBlocks: 3
; VGPRBlocks: 4
; NumSGPRsForWavesPerEU: 26
; NumVGPRsForWavesPerEU: 40
; Occupancy: 16
; WaveLimiterHint : 0
; COMPUTE_PGM_RSRC2:SCRATCH_EN: 0
; COMPUTE_PGM_RSRC2:USER_SGPR: 15
; COMPUTE_PGM_RSRC2:TRAP_HANDLER: 0
; COMPUTE_PGM_RSRC2:TGID_X_EN: 1
; COMPUTE_PGM_RSRC2:TGID_Y_EN: 0
; COMPUTE_PGM_RSRC2:TGID_Z_EN: 0
; COMPUTE_PGM_RSRC2:TIDIG_COMP_CNT: 1
	.section	.text._ZN12_GLOBAL__N_120softmax_warp_forwardIfffLi8ELb0ELb0ELi64EEEvPT0_PKT_iiiPKbib,"axG",@progbits,_ZN12_GLOBAL__N_120softmax_warp_forwardIfffLi8ELb0ELb0ELi64EEEvPT0_PKT_iiiPKbib,comdat
	.globl	_ZN12_GLOBAL__N_120softmax_warp_forwardIfffLi8ELb0ELb0ELi64EEEvPT0_PKT_iiiPKbib ; -- Begin function _ZN12_GLOBAL__N_120softmax_warp_forwardIfffLi8ELb0ELb0ELi64EEEvPT0_PKT_iiiPKbib
	.p2align	8
	.type	_ZN12_GLOBAL__N_120softmax_warp_forwardIfffLi8ELb0ELb0ELi64EEEvPT0_PKT_iiiPKbib,@function
_ZN12_GLOBAL__N_120softmax_warp_forwardIfffLi8ELb0ELb0ELi64EEEvPT0_PKT_iiiPKbib: ; @_ZN12_GLOBAL__N_120softmax_warp_forwardIfffLi8ELb0ELb0ELi64EEEvPT0_PKT_iiiPKbib
; %bb.0:
	s_clause 0x1
	s_load_b32 s2, s[0:1], 0x3c
	s_load_b256 s[4:11], s[0:1], 0x0
	v_bfe_u32 v1, v0, 10, 10
	v_mov_b32_e32 v6, 0xff800000
	v_mov_b32_e32 v8, 0xff800000
	s_waitcnt lgkmcnt(0)
	s_lshr_b32 s0, s2, 16
	s_delay_alu instid0(SALU_CYCLE_1) | instskip(SKIP_1) | instid1(VALU_DEP_1)
	v_mad_u64_u32 v[3:4], null, s15, s0, v[1:2]
	v_and_b32_e32 v2, 0x3ff, v0
	v_cmp_gt_i32_e32 vcc_lo, s10, v2
	s_delay_alu instid0(VALU_DEP_3) | instskip(SKIP_1) | instid1(VALU_DEP_1)
	v_mad_u64_u32 v[0:1], null, v3, s9, v[2:3]
	v_sub_nc_u32_e32 v5, s8, v3
	v_cmp_lt_i32_e64 s3, 0, v5
	s_delay_alu instid0(VALU_DEP_3) | instskip(NEXT) | instid1(VALU_DEP_2)
	v_ashrrev_i32_e32 v1, 31, v0
	s_and_b32 s1, s3, vcc_lo
	s_delay_alu instid0(VALU_DEP_1) | instskip(NEXT) | instid1(VALU_DEP_1)
	v_lshlrev_b64 v[0:1], 2, v[0:1]
	v_add_co_u32 v3, s0, s6, v0
	s_delay_alu instid0(VALU_DEP_1)
	v_add_co_ci_u32_e64 v4, s0, s7, v1, s0
	s_and_saveexec_b32 s0, s1
	s_cbranch_execz .LBB396_2
; %bb.1:
	global_load_b32 v8, v[3:4], off
.LBB396_2:
	s_or_b32 exec_lo, exec_lo, s0
	v_add_nc_u32_e32 v7, 64, v2
	s_delay_alu instid0(VALU_DEP_1) | instskip(NEXT) | instid1(VALU_DEP_1)
	v_cmp_gt_i32_e64 s2, s10, v7
	s_and_b32 s1, s3, s2
	s_delay_alu instid0(SALU_CYCLE_1)
	s_and_saveexec_b32 s0, s1
	s_cbranch_execz .LBB396_4
; %bb.3:
	global_load_b32 v6, v[3:4], off offset:256
.LBB396_4:
	s_or_b32 exec_lo, exec_lo, s0
	v_add_nc_u32_e32 v7, 0x80, v2
	v_mov_b32_e32 v9, 0xff800000
	s_delay_alu instid0(VALU_DEP_2) | instskip(SKIP_1) | instid1(VALU_DEP_2)
	v_cmp_gt_i32_e64 s1, s10, v7
	v_mov_b32_e32 v7, 0xff800000
	s_and_b32 s6, s3, s1
	s_delay_alu instid0(SALU_CYCLE_1)
	s_and_saveexec_b32 s0, s6
	s_cbranch_execz .LBB396_6
; %bb.5:
	global_load_b32 v9, v[3:4], off offset:512
.LBB396_6:
	s_or_b32 exec_lo, exec_lo, s0
	v_add_nc_u32_e32 v2, 0xc0, v2
	s_delay_alu instid0(VALU_DEP_1) | instskip(NEXT) | instid1(VALU_DEP_1)
	v_cmp_gt_i32_e64 s0, s10, v2
	s_and_b32 s6, s3, s0
	s_delay_alu instid0(SALU_CYCLE_1)
	s_and_saveexec_b32 s3, s6
	s_cbranch_execz .LBB396_8
; %bb.7:
	global_load_b32 v7, v[3:4], off offset:768
.LBB396_8:
	s_or_b32 exec_lo, exec_lo, s3
	s_waitcnt vmcnt(0)
	v_cmp_gt_f32_e64 s3, v8, v6
	v_mbcnt_lo_u32_b32 v2, -1, 0
	s_mov_b32 s6, exec_lo
	s_delay_alu instid0(VALU_DEP_2) | instskip(NEXT) | instid1(VALU_DEP_2)
	v_cndmask_b32_e64 v3, v6, v8, s3
	v_or_b32_e32 v4, 32, v2
	v_xor_b32_e32 v11, 16, v2
	v_xor_b32_e32 v12, 8, v2
	;; [unrolled: 1-line block ×3, first 2 shown]
	v_cmp_gt_f32_e64 s3, v3, v9
	v_xor_b32_e32 v14, 2, v2
	v_xor_b32_e32 v15, 1, v2
	s_delay_alu instid0(VALU_DEP_3) | instskip(SKIP_1) | instid1(VALU_DEP_1)
	v_cndmask_b32_e64 v3, v9, v3, s3
	v_cmp_gt_i32_e64 s3, 64, v4
	v_cndmask_b32_e64 v4, v2, v4, s3
	s_delay_alu instid0(VALU_DEP_3) | instskip(NEXT) | instid1(VALU_DEP_2)
	v_cmp_gt_f32_e64 s3, v3, v7
	v_lshlrev_b32_e32 v4, 2, v4
	s_delay_alu instid0(VALU_DEP_2) | instskip(SKIP_3) | instid1(VALU_DEP_1)
	v_cndmask_b32_e64 v3, v7, v3, s3
	v_cmp_gt_i32_e64 s3, 64, v11
	ds_bpermute_b32 v10, v4, v3
	v_cndmask_b32_e64 v11, v2, v11, s3
	v_lshlrev_b32_e32 v11, 2, v11
	s_waitcnt lgkmcnt(0)
	v_cmp_lt_f32_e64 s3, v3, v10
	s_delay_alu instid0(VALU_DEP_1) | instskip(SKIP_3) | instid1(VALU_DEP_1)
	v_cndmask_b32_e64 v3, v3, v10, s3
	v_cmp_gt_i32_e64 s3, 64, v12
	ds_bpermute_b32 v10, v11, v3
	v_cndmask_b32_e64 v12, v2, v12, s3
	v_lshlrev_b32_e32 v12, 2, v12
	s_waitcnt lgkmcnt(0)
	v_cmp_lt_f32_e64 s3, v3, v10
	s_delay_alu instid0(VALU_DEP_1) | instskip(SKIP_3) | instid1(VALU_DEP_1)
	;; [unrolled: 8-line block ×5, first 2 shown]
	v_cndmask_b32_e64 v2, v3, v10, s3
	ds_bpermute_b32 v3, v15, v2
	s_waitcnt lgkmcnt(0)
	v_cmp_lt_f32_e64 s3, v2, v3
	v_cndmask_b32_e64 v2, v2, v3, s3
	s_delay_alu instid0(VALU_DEP_1) | instskip(SKIP_2) | instid1(VALU_DEP_3)
	v_sub_f32_e32 v3, v8, v2
	v_sub_f32_e32 v8, v9, v2
	;; [unrolled: 1-line block ×3, first 2 shown]
	v_cmp_ngt_f32_e64 s3, 0xc2ce8ed0, v3
	s_delay_alu instid0(VALU_DEP_3) | instskip(NEXT) | instid1(VALU_DEP_1)
	v_mul_f32_e32 v10, 0x3fb8aa3b, v8
	v_fma_f32 v21, 0x3fb8aa3b, v8, -v10
	v_rndne_f32_e32 v22, v10
	s_delay_alu instid0(VALU_DEP_1) | instskip(NEXT) | instid1(VALU_DEP_1)
	v_dual_fmac_f32 v21, 0x32a5705f, v8 :: v_dual_sub_f32 v10, v10, v22
	v_dual_mul_f32 v9, 0x3fb8aa3b, v6 :: v_dual_add_f32 v10, v10, v21
	s_delay_alu instid0(VALU_DEP_1) | instskip(SKIP_2) | instid1(VALU_DEP_4)
	v_rndne_f32_e32 v20, v9
	v_dual_sub_f32 v2, v7, v2 :: v_dual_mul_f32 v7, 0x3fb8aa3b, v3
	v_fma_f32 v19, 0x3fb8aa3b, v6, -v9
	v_exp_f32_e32 v10, v10
	s_delay_alu instid0(VALU_DEP_3) | instskip(NEXT) | instid1(VALU_DEP_3)
	v_sub_f32_e32 v9, v9, v20
	v_fma_f32 v17, 0x3fb8aa3b, v3, -v7
	v_rndne_f32_e32 v18, v7
	s_delay_alu instid0(VALU_DEP_2) | instskip(NEXT) | instid1(VALU_DEP_2)
	v_fmac_f32_e32 v17, 0x32a5705f, v3
	v_sub_f32_e32 v7, v7, v18
	v_mul_f32_e32 v16, 0x3fb8aa3b, v2
	v_cvt_i32_f32_e32 v18, v18
	s_delay_alu instid0(VALU_DEP_3) | instskip(NEXT) | instid1(VALU_DEP_3)
	v_add_f32_e32 v7, v7, v17
	v_fma_f32 v23, 0x3fb8aa3b, v2, -v16
	v_rndne_f32_e32 v17, v16
	s_delay_alu instid0(VALU_DEP_3) | instskip(NEXT) | instid1(VALU_DEP_1)
	v_exp_f32_e32 v7, v7
	v_dual_fmac_f32 v23, 0x32a5705f, v2 :: v_dual_sub_f32 v16, v16, v17
	v_fmac_f32_e32 v19, 0x32a5705f, v6
	v_cvt_i32_f32_e32 v17, v17
	s_delay_alu instid0(VALU_DEP_3) | instskip(NEXT) | instid1(VALU_DEP_3)
	v_add_f32_e32 v16, v16, v23
	v_add_f32_e32 v9, v9, v19
	v_cvt_i32_f32_e32 v19, v20
	s_delay_alu instid0(TRANS32_DEP_1) | instskip(SKIP_3) | instid1(VALU_DEP_2)
	v_ldexp_f32 v7, v7, v18
	v_cvt_i32_f32_e32 v20, v22
	v_exp_f32_e32 v16, v16
	v_exp_f32_e32 v9, v9
	v_cndmask_b32_e64 v7, 0, v7, s3
	v_cmp_ngt_f32_e64 s3, 0xc2ce8ed0, v6
	v_ldexp_f32 v10, v10, v20
	s_waitcnt_depctr 0xfff
	v_ldexp_f32 v9, v9, v19
	s_delay_alu instid0(VALU_DEP_1) | instskip(SKIP_1) | instid1(VALU_DEP_1)
	v_cndmask_b32_e64 v9, 0, v9, s3
	v_cmp_ngt_f32_e64 s3, 0xc2ce8ed0, v8
	v_cndmask_b32_e64 v10, 0, v10, s3
	v_cmp_nlt_f32_e64 s3, 0x42b17218, v3
	s_delay_alu instid0(VALU_DEP_1) | instskip(SKIP_1) | instid1(VALU_DEP_1)
	v_cndmask_b32_e64 v7, 0x7f800000, v7, s3
	v_cmp_nlt_f32_e64 s3, 0x42b17218, v6
	v_cndmask_b32_e64 v6, 0x7f800000, v9, s3
	v_cmp_nlt_f32_e64 s3, 0x42b17218, v8
	v_ldexp_f32 v9, v16, v17
	s_delay_alu instid0(VALU_DEP_3) | instskip(NEXT) | instid1(VALU_DEP_3)
	v_add_f32_e32 v8, v7, v6
	v_cndmask_b32_e64 v3, 0x7f800000, v10, s3
	v_cmp_ngt_f32_e64 s3, 0xc2ce8ed0, v2
	s_delay_alu instid0(VALU_DEP_2) | instskip(NEXT) | instid1(VALU_DEP_2)
	v_add_f32_e32 v8, v8, v3
	v_cndmask_b32_e64 v9, 0, v9, s3
	v_cmp_nlt_f32_e64 s3, 0x42b17218, v2
	s_delay_alu instid0(VALU_DEP_1) | instskip(NEXT) | instid1(VALU_DEP_1)
	v_cndmask_b32_e64 v2, 0x7f800000, v9, s3
	v_add_f32_e32 v8, v8, v2
	ds_bpermute_b32 v4, v4, v8
	s_waitcnt lgkmcnt(0)
	v_add_f32_e32 v4, v8, v4
	ds_bpermute_b32 v8, v11, v4
	s_waitcnt lgkmcnt(0)
	;; [unrolled: 3-line block ×5, first 2 shown]
	v_add_f32_e32 v4, v4, v8
	ds_bpermute_b32 v8, v15, v4
	v_cmpx_lt_i32_e32 0, v5
	s_cbranch_execz .LBB396_14
; %bb.9:
	s_and_b32 exec_lo, exec_lo, vcc_lo
	s_cbranch_execz .LBB396_14
; %bb.10:
	s_waitcnt lgkmcnt(0)
	v_add_f32_e32 v4, v4, v8
	s_delay_alu instid0(VALU_DEP_1) | instskip(SKIP_2) | instid1(VALU_DEP_3)
	v_div_scale_f32 v5, null, v4, v4, v7
	v_div_scale_f32 v10, vcc_lo, v7, v4, v7
	v_cmp_eq_f32_e64 s3, 0, v4
	v_rcp_f32_e32 v8, v5
	s_waitcnt_depctr 0xfff
	v_fma_f32 v9, -v5, v8, 1.0
	s_delay_alu instid0(VALU_DEP_1) | instskip(NEXT) | instid1(VALU_DEP_1)
	v_fmac_f32_e32 v8, v9, v8
	v_mul_f32_e32 v9, v10, v8
	s_delay_alu instid0(VALU_DEP_1) | instskip(NEXT) | instid1(VALU_DEP_1)
	v_fma_f32 v11, -v5, v9, v10
	v_fmac_f32_e32 v9, v11, v8
	s_delay_alu instid0(VALU_DEP_1) | instskip(NEXT) | instid1(VALU_DEP_1)
	v_fma_f32 v5, -v5, v9, v10
	v_div_fmas_f32 v5, v5, v8, v9
	v_add_co_u32 v0, vcc_lo, s4, v0
	v_add_co_ci_u32_e32 v1, vcc_lo, s5, v1, vcc_lo
	s_delay_alu instid0(VALU_DEP_3) | instskip(NEXT) | instid1(VALU_DEP_1)
	v_div_fixup_f32 v5, v5, v4, v7
	v_cndmask_b32_e64 v5, v5, 0x7fc00000, s3
	global_store_b32 v[0:1], v5, off
	s_and_b32 exec_lo, exec_lo, s2
	s_cbranch_execz .LBB396_14
; %bb.11:
	v_div_scale_f32 v5, null, v4, v4, v6
	s_delay_alu instid0(VALU_DEP_1) | instskip(SKIP_2) | instid1(VALU_DEP_1)
	v_rcp_f32_e32 v7, v5
	s_waitcnt_depctr 0xfff
	v_fma_f32 v8, -v5, v7, 1.0
	v_fmac_f32_e32 v7, v8, v7
	v_div_scale_f32 v8, vcc_lo, v6, v4, v6
	s_delay_alu instid0(VALU_DEP_1) | instskip(NEXT) | instid1(VALU_DEP_1)
	v_mul_f32_e32 v9, v8, v7
	v_fma_f32 v10, -v5, v9, v8
	s_delay_alu instid0(VALU_DEP_1) | instskip(NEXT) | instid1(VALU_DEP_1)
	v_fmac_f32_e32 v9, v10, v7
	v_fma_f32 v5, -v5, v9, v8
	s_delay_alu instid0(VALU_DEP_1) | instskip(NEXT) | instid1(VALU_DEP_1)
	v_div_fmas_f32 v5, v5, v7, v9
	v_div_fixup_f32 v5, v5, v4, v6
	s_delay_alu instid0(VALU_DEP_1)
	v_cndmask_b32_e64 v5, v5, 0x7fc00000, s3
	global_store_b32 v[0:1], v5, off offset:256
	s_and_b32 exec_lo, exec_lo, s1
	s_cbranch_execz .LBB396_14
; %bb.12:
	v_div_scale_f32 v5, null, v4, v4, v3
	s_delay_alu instid0(VALU_DEP_1) | instskip(SKIP_2) | instid1(VALU_DEP_1)
	v_rcp_f32_e32 v6, v5
	s_waitcnt_depctr 0xfff
	v_fma_f32 v7, -v5, v6, 1.0
	v_fmac_f32_e32 v6, v7, v6
	v_div_scale_f32 v7, vcc_lo, v3, v4, v3
	s_delay_alu instid0(VALU_DEP_1) | instskip(NEXT) | instid1(VALU_DEP_1)
	v_mul_f32_e32 v8, v7, v6
	v_fma_f32 v9, -v5, v8, v7
	s_delay_alu instid0(VALU_DEP_1) | instskip(NEXT) | instid1(VALU_DEP_1)
	v_fmac_f32_e32 v8, v9, v6
	v_fma_f32 v5, -v5, v8, v7
	s_delay_alu instid0(VALU_DEP_1) | instskip(NEXT) | instid1(VALU_DEP_1)
	v_div_fmas_f32 v5, v5, v6, v8
	v_div_fixup_f32 v3, v5, v4, v3
	s_delay_alu instid0(VALU_DEP_1)
	v_cndmask_b32_e64 v3, v3, 0x7fc00000, s3
	global_store_b32 v[0:1], v3, off offset:512
	;; [unrolled: 22-line block ×3, first 2 shown]
.LBB396_14:
	s_nop 0
	s_sendmsg sendmsg(MSG_DEALLOC_VGPRS)
	s_endpgm
	.section	.rodata,"a",@progbits
	.p2align	6, 0x0
	.amdhsa_kernel _ZN12_GLOBAL__N_120softmax_warp_forwardIfffLi8ELb0ELb0ELi64EEEvPT0_PKT_iiiPKbib
		.amdhsa_group_segment_fixed_size 0
		.amdhsa_private_segment_fixed_size 0
		.amdhsa_kernarg_size 304
		.amdhsa_user_sgpr_count 15
		.amdhsa_user_sgpr_dispatch_ptr 0
		.amdhsa_user_sgpr_queue_ptr 0
		.amdhsa_user_sgpr_kernarg_segment_ptr 1
		.amdhsa_user_sgpr_dispatch_id 0
		.amdhsa_user_sgpr_private_segment_size 0
		.amdhsa_wavefront_size32 1
		.amdhsa_uses_dynamic_stack 0
		.amdhsa_enable_private_segment 0
		.amdhsa_system_sgpr_workgroup_id_x 1
		.amdhsa_system_sgpr_workgroup_id_y 0
		.amdhsa_system_sgpr_workgroup_id_z 0
		.amdhsa_system_sgpr_workgroup_info 0
		.amdhsa_system_vgpr_workitem_id 1
		.amdhsa_next_free_vgpr 24
		.amdhsa_next_free_sgpr 16
		.amdhsa_reserve_vcc 1
		.amdhsa_float_round_mode_32 0
		.amdhsa_float_round_mode_16_64 0
		.amdhsa_float_denorm_mode_32 3
		.amdhsa_float_denorm_mode_16_64 3
		.amdhsa_dx10_clamp 1
		.amdhsa_ieee_mode 1
		.amdhsa_fp16_overflow 0
		.amdhsa_workgroup_processor_mode 1
		.amdhsa_memory_ordered 1
		.amdhsa_forward_progress 0
		.amdhsa_shared_vgpr_count 0
		.amdhsa_exception_fp_ieee_invalid_op 0
		.amdhsa_exception_fp_denorm_src 0
		.amdhsa_exception_fp_ieee_div_zero 0
		.amdhsa_exception_fp_ieee_overflow 0
		.amdhsa_exception_fp_ieee_underflow 0
		.amdhsa_exception_fp_ieee_inexact 0
		.amdhsa_exception_int_div_zero 0
	.end_amdhsa_kernel
	.section	.text._ZN12_GLOBAL__N_120softmax_warp_forwardIfffLi8ELb0ELb0ELi64EEEvPT0_PKT_iiiPKbib,"axG",@progbits,_ZN12_GLOBAL__N_120softmax_warp_forwardIfffLi8ELb0ELb0ELi64EEEvPT0_PKT_iiiPKbib,comdat
.Lfunc_end396:
	.size	_ZN12_GLOBAL__N_120softmax_warp_forwardIfffLi8ELb0ELb0ELi64EEEvPT0_PKT_iiiPKbib, .Lfunc_end396-_ZN12_GLOBAL__N_120softmax_warp_forwardIfffLi8ELb0ELb0ELi64EEEvPT0_PKT_iiiPKbib
                                        ; -- End function
	.section	.AMDGPU.csdata,"",@progbits
; Kernel info:
; codeLenInByte = 1856
; NumSgprs: 18
; NumVgprs: 24
; ScratchSize: 0
; MemoryBound: 0
; FloatMode: 240
; IeeeMode: 1
; LDSByteSize: 0 bytes/workgroup (compile time only)
; SGPRBlocks: 2
; VGPRBlocks: 2
; NumSGPRsForWavesPerEU: 18
; NumVGPRsForWavesPerEU: 24
; Occupancy: 16
; WaveLimiterHint : 0
; COMPUTE_PGM_RSRC2:SCRATCH_EN: 0
; COMPUTE_PGM_RSRC2:USER_SGPR: 15
; COMPUTE_PGM_RSRC2:TRAP_HANDLER: 0
; COMPUTE_PGM_RSRC2:TGID_X_EN: 1
; COMPUTE_PGM_RSRC2:TGID_Y_EN: 0
; COMPUTE_PGM_RSRC2:TGID_Z_EN: 0
; COMPUTE_PGM_RSRC2:TIDIG_COMP_CNT: 1
	.section	.text._ZN12_GLOBAL__N_120softmax_warp_forwardIfffLi8ELb0ELb0ELi32EEEvPT0_PKT_iiiPKbib,"axG",@progbits,_ZN12_GLOBAL__N_120softmax_warp_forwardIfffLi8ELb0ELb0ELi32EEEvPT0_PKT_iiiPKbib,comdat
	.globl	_ZN12_GLOBAL__N_120softmax_warp_forwardIfffLi8ELb0ELb0ELi32EEEvPT0_PKT_iiiPKbib ; -- Begin function _ZN12_GLOBAL__N_120softmax_warp_forwardIfffLi8ELb0ELb0ELi32EEEvPT0_PKT_iiiPKbib
	.p2align	8
	.type	_ZN12_GLOBAL__N_120softmax_warp_forwardIfffLi8ELb0ELb0ELi32EEEvPT0_PKT_iiiPKbib,@function
_ZN12_GLOBAL__N_120softmax_warp_forwardIfffLi8ELb0ELb0ELi32EEEvPT0_PKT_iiiPKbib: ; @_ZN12_GLOBAL__N_120softmax_warp_forwardIfffLi8ELb0ELb0ELi32EEEvPT0_PKT_iiiPKbib
; %bb.0:
	s_clause 0x1
	s_load_b32 s2, s[0:1], 0x3c
	s_load_b256 s[16:23], s[0:1], 0x0
	v_bfe_u32 v1, v0, 10, 10
	v_mov_b32_e32 v6, 0xff800000
	v_mov_b32_e32 v10, 0xff800000
	s_waitcnt lgkmcnt(0)
	s_lshr_b32 s0, s2, 16
	s_delay_alu instid0(SALU_CYCLE_1) | instskip(SKIP_1) | instid1(VALU_DEP_1)
	v_mad_u64_u32 v[3:4], null, s15, s0, v[1:2]
	v_and_b32_e32 v2, 0x3ff, v0
	v_cmp_gt_i32_e32 vcc_lo, s22, v2
	s_delay_alu instid0(VALU_DEP_3) | instskip(SKIP_1) | instid1(VALU_DEP_1)
	v_mad_u64_u32 v[0:1], null, v3, s21, v[2:3]
	v_sub_nc_u32_e32 v5, s20, v3
	v_cmp_lt_i32_e64 s7, 0, v5
	s_delay_alu instid0(VALU_DEP_3) | instskip(NEXT) | instid1(VALU_DEP_2)
	v_ashrrev_i32_e32 v1, 31, v0
	s_and_b32 s1, s7, vcc_lo
	s_delay_alu instid0(VALU_DEP_1) | instskip(NEXT) | instid1(VALU_DEP_1)
	v_lshlrev_b64 v[0:1], 2, v[0:1]
	v_add_co_u32 v3, s0, s18, v0
	s_delay_alu instid0(VALU_DEP_1)
	v_add_co_ci_u32_e64 v4, s0, s19, v1, s0
	s_and_saveexec_b32 s0, s1
	s_cbranch_execz .LBB397_2
; %bb.1:
	global_load_b32 v10, v[3:4], off
.LBB397_2:
	s_or_b32 exec_lo, exec_lo, s0
	v_add_nc_u32_e32 v7, 32, v2
	s_delay_alu instid0(VALU_DEP_1) | instskip(NEXT) | instid1(VALU_DEP_1)
	v_cmp_gt_i32_e64 s6, s22, v7
	s_and_b32 s1, s7, s6
	s_delay_alu instid0(SALU_CYCLE_1)
	s_and_saveexec_b32 s0, s1
	s_cbranch_execz .LBB397_4
; %bb.3:
	global_load_b32 v6, v[3:4], off offset:128
.LBB397_4:
	s_or_b32 exec_lo, exec_lo, s0
	v_add_nc_u32_e32 v7, 64, v2
	v_mov_b32_e32 v11, 0xff800000
	s_delay_alu instid0(VALU_DEP_2) | instskip(SKIP_1) | instid1(VALU_DEP_2)
	v_cmp_gt_i32_e64 s5, s22, v7
	v_mov_b32_e32 v7, 0xff800000
	s_and_b32 s1, s7, s5
	s_delay_alu instid0(SALU_CYCLE_1)
	s_and_saveexec_b32 s0, s1
	s_cbranch_execz .LBB397_6
; %bb.5:
	global_load_b32 v11, v[3:4], off offset:256
.LBB397_6:
	s_or_b32 exec_lo, exec_lo, s0
	v_add_nc_u32_e32 v8, 0x60, v2
	s_delay_alu instid0(VALU_DEP_1) | instskip(NEXT) | instid1(VALU_DEP_1)
	v_cmp_gt_i32_e64 s4, s22, v8
	s_and_b32 s1, s7, s4
	s_delay_alu instid0(SALU_CYCLE_1)
	s_and_saveexec_b32 s0, s1
	s_cbranch_execz .LBB397_8
; %bb.7:
	global_load_b32 v7, v[3:4], off offset:384
.LBB397_8:
	s_or_b32 exec_lo, exec_lo, s0
	v_add_nc_u32_e32 v8, 0x80, v2
	v_mov_b32_e32 v12, 0xff800000
	s_delay_alu instid0(VALU_DEP_2) | instskip(SKIP_1) | instid1(VALU_DEP_2)
	v_cmp_gt_i32_e64 s3, s22, v8
	v_mov_b32_e32 v8, 0xff800000
	s_and_b32 s1, s7, s3
	s_delay_alu instid0(SALU_CYCLE_1)
	s_and_saveexec_b32 s0, s1
	s_cbranch_execz .LBB397_10
; %bb.9:
	global_load_b32 v12, v[3:4], off offset:512
.LBB397_10:
	;; [unrolled: 24-line block ×3, first 2 shown]
	s_or_b32 exec_lo, exec_lo, s0
	v_add_nc_u32_e32 v2, 0xe0, v2
	s_delay_alu instid0(VALU_DEP_1) | instskip(NEXT) | instid1(VALU_DEP_1)
	v_cmp_gt_i32_e64 s0, s22, v2
	s_and_b32 s8, s7, s0
	s_delay_alu instid0(SALU_CYCLE_1)
	s_and_saveexec_b32 s7, s8
	s_cbranch_execz .LBB397_16
; %bb.15:
	global_load_b32 v9, v[3:4], off offset:896
.LBB397_16:
	s_or_b32 exec_lo, exec_lo, s7
	s_waitcnt vmcnt(0)
	v_cmp_gt_f32_e64 s7, v10, v6
	v_mbcnt_lo_u32_b32 v3, -1, 0
	s_mov_b32 s8, exec_lo
	s_delay_alu instid0(VALU_DEP_2) | instskip(NEXT) | instid1(VALU_DEP_2)
	v_cndmask_b32_e64 v2, v6, v10, s7
	v_xor_b32_e32 v4, 16, v3
	v_xor_b32_e32 v15, 8, v3
	v_xor_b32_e32 v16, 4, v3
	v_xor_b32_e32 v17, 2, v3
	v_cmp_gt_f32_e64 s7, v2, v11
	v_xor_b32_e32 v18, 1, v3
	s_delay_alu instid0(VALU_DEP_2) | instskip(NEXT) | instid1(VALU_DEP_1)
	v_cndmask_b32_e64 v2, v11, v2, s7
	v_cmp_gt_f32_e64 s7, v2, v7
	s_delay_alu instid0(VALU_DEP_1) | instskip(NEXT) | instid1(VALU_DEP_1)
	v_cndmask_b32_e64 v2, v7, v2, s7
	v_cmp_gt_f32_e64 s7, v2, v12
	s_delay_alu instid0(VALU_DEP_1) | instskip(NEXT) | instid1(VALU_DEP_1)
	v_cndmask_b32_e64 v2, v12, v2, s7
	v_cmp_gt_f32_e64 s7, v2, v8
	s_delay_alu instid0(VALU_DEP_1) | instskip(SKIP_1) | instid1(VALU_DEP_1)
	v_cndmask_b32_e64 v2, v8, v2, s7
	v_cmp_gt_i32_e64 s7, 32, v4
	v_cndmask_b32_e64 v4, v3, v4, s7
	s_delay_alu instid0(VALU_DEP_3) | instskip(NEXT) | instid1(VALU_DEP_2)
	v_cmp_gt_f32_e64 s7, v2, v13
	v_lshlrev_b32_e32 v4, 2, v4
	s_delay_alu instid0(VALU_DEP_2) | instskip(NEXT) | instid1(VALU_DEP_1)
	v_cndmask_b32_e64 v2, v13, v2, s7
	v_cmp_gt_f32_e64 s7, v2, v9
	s_delay_alu instid0(VALU_DEP_1) | instskip(SKIP_3) | instid1(VALU_DEP_1)
	v_cndmask_b32_e64 v2, v9, v2, s7
	v_cmp_gt_i32_e64 s7, 32, v15
	ds_bpermute_b32 v14, v4, v2
	v_cndmask_b32_e64 v15, v3, v15, s7
	v_lshlrev_b32_e32 v15, 2, v15
	s_waitcnt lgkmcnt(0)
	v_cmp_lt_f32_e64 s7, v2, v14
	s_delay_alu instid0(VALU_DEP_1) | instskip(SKIP_3) | instid1(VALU_DEP_1)
	v_cndmask_b32_e64 v2, v2, v14, s7
	v_cmp_gt_i32_e64 s7, 32, v16
	ds_bpermute_b32 v14, v15, v2
	v_cndmask_b32_e64 v16, v3, v16, s7
	v_lshlrev_b32_e32 v16, 2, v16
	s_waitcnt lgkmcnt(0)
	v_cmp_lt_f32_e64 s7, v2, v14
	;; [unrolled: 8-line block ×4, first 2 shown]
	s_delay_alu instid0(VALU_DEP_1) | instskip(SKIP_3) | instid1(VALU_DEP_1)
	v_cndmask_b32_e64 v2, v2, v14, s7
	ds_bpermute_b32 v3, v18, v2
	s_waitcnt lgkmcnt(0)
	v_cmp_lt_f32_e64 s7, v2, v3
	v_cndmask_b32_e64 v2, v2, v3, s7
	s_delay_alu instid0(VALU_DEP_1)
	v_sub_f32_e32 v19, v8, v2
	v_sub_f32_e32 v3, v10, v2
	;; [unrolled: 1-line block ×6, first 2 shown]
	v_dual_sub_f32 v13, v13, v2 :: v_dual_mul_f32 v8, 0x3fb8aa3b, v3
	v_dual_sub_f32 v2, v9, v2 :: v_dual_mul_f32 v21, 0x3fb8aa3b, v19
	v_mul_f32_e32 v11, 0x3fb8aa3b, v7
	s_delay_alu instid0(VALU_DEP_4) | instskip(NEXT) | instid1(VALU_DEP_4)
	v_dual_mul_f32 v9, 0x3fb8aa3b, v6 :: v_dual_mul_f32 v20, 0x3fb8aa3b, v12
	v_fma_f32 v24, 0x3fb8aa3b, v3, -v8
	v_rndne_f32_e32 v25, v8
	v_rndne_f32_e32 v35, v21
	s_delay_alu instid0(VALU_DEP_4)
	v_fma_f32 v26, 0x3fb8aa3b, v6, -v9
	v_rndne_f32_e32 v27, v9
	v_mul_f32_e32 v10, 0x3fb8aa3b, v14
	v_rndne_f32_e32 v31, v11
	v_fma_f32 v34, 0x3fb8aa3b, v19, -v21
	v_sub_f32_e32 v8, v8, v25
	v_dual_fmac_f32 v26, 0x32a5705f, v6 :: v_dual_sub_f32 v21, v21, v35
	v_sub_f32_e32 v9, v9, v27
	v_fmac_f32_e32 v24, 0x32a5705f, v3
	v_dual_mul_f32 v22, 0x3fb8aa3b, v13 :: v_dual_mul_f32 v23, 0x3fb8aa3b, v2
	v_fma_f32 v28, 0x3fb8aa3b, v14, -v10
	v_rndne_f32_e32 v29, v10
	v_fma_f32 v30, 0x3fb8aa3b, v7, -v11
	v_sub_f32_e32 v11, v11, v31
	v_dual_fmac_f32 v34, 0x32a5705f, v19 :: v_dual_add_f32 v9, v9, v26
	v_add_f32_e32 v8, v8, v24
	v_fma_f32 v36, 0x3fb8aa3b, v13, -v22
	v_rndne_f32_e32 v37, v22
	v_rndne_f32_e32 v39, v23
	v_fmac_f32_e32 v28, 0x32a5705f, v14
	v_dual_fmac_f32 v30, 0x32a5705f, v7 :: v_dual_add_f32 v21, v21, v34
	v_sub_f32_e32 v10, v10, v29
	v_exp_f32_e32 v8, v8
	v_fma_f32 v38, 0x3fb8aa3b, v2, -v23
	s_delay_alu instid0(VALU_DEP_3)
	v_add_f32_e32 v11, v11, v30
	v_cvt_i32_f32_e32 v25, v25
	v_fmac_f32_e32 v36, 0x32a5705f, v13
	v_dual_sub_f32 v22, v22, v37 :: v_dual_sub_f32 v23, v23, v39
	v_add_f32_e32 v10, v10, v28
	v_exp_f32_e32 v9, v9
	v_cvt_i32_f32_e32 v27, v27
	s_delay_alu instid0(VALU_DEP_3)
	v_add_f32_e32 v22, v22, v36
	v_ldexp_f32 v8, v8, v25
	v_exp_f32_e32 v10, v10
	v_cmp_ngt_f32_e64 s7, 0xc2ce8ed0, v3
	v_cvt_i32_f32_e32 v29, v29
	v_exp_f32_e32 v22, v22
	v_fma_f32 v32, 0x3fb8aa3b, v12, -v20
	v_rndne_f32_e32 v33, v20
	v_ldexp_f32 v9, v9, v27
	v_cndmask_b32_e64 v8, 0, v8, s7
	v_cmp_ngt_f32_e64 s7, 0xc2ce8ed0, v6
	v_exp_f32_e32 v11, v11
	v_cvt_i32_f32_e32 v24, v37
	v_ldexp_f32 v10, v10, v29
	v_cvt_i32_f32_e32 v31, v31
	v_cndmask_b32_e64 v9, 0, v9, s7
	v_cmp_ngt_f32_e64 s7, 0xc2ce8ed0, v14
	v_sub_f32_e32 v20, v20, v33
	v_fmac_f32_e32 v38, 0x32a5705f, v2
	v_fmac_f32_e32 v32, 0x32a5705f, v12
	v_ldexp_f32 v22, v22, v24
	v_cndmask_b32_e64 v24, 0, v10, s7
	v_cmp_nlt_f32_e64 s7, 0x42b17218, v3
	s_delay_alu instid0(VALU_DEP_4) | instskip(SKIP_2) | instid1(VALU_DEP_4)
	v_dual_add_f32 v23, v23, v38 :: v_dual_add_f32 v20, v20, v32
	v_ldexp_f32 v25, v11, v31
	v_cvt_i32_f32_e32 v33, v33
	v_cndmask_b32_e64 v11, 0x7f800000, v8, s7
	v_cmp_nlt_f32_e64 s7, 0x42b17218, v6
	v_exp_f32_e32 v20, v20
	v_exp_f32_e32 v21, v21
	v_cvt_i32_f32_e32 v35, v35
	v_exp_f32_e32 v23, v23
	v_cndmask_b32_e64 v10, 0x7f800000, v9, s7
	v_cmp_ngt_f32_e64 s7, 0xc2ce8ed0, v7
	v_cvt_i32_f32_e32 v26, v39
	s_delay_alu instid0(VALU_DEP_3) | instskip(NEXT) | instid1(VALU_DEP_3)
	v_add_f32_e32 v6, v11, v10
	v_cndmask_b32_e64 v3, 0, v25, s7
	v_cmp_nlt_f32_e64 s7, 0x42b17218, v14
	v_ldexp_f32 v20, v20, v33
	v_ldexp_f32 v21, v21, v35
	s_delay_alu instid0(VALU_DEP_3) | instskip(SKIP_1) | instid1(VALU_DEP_1)
	v_cndmask_b32_e64 v9, 0x7f800000, v24, s7
	v_cmp_ngt_f32_e64 s7, 0xc2ce8ed0, v12
	v_cndmask_b32_e64 v14, 0, v20, s7
	v_cmp_nlt_f32_e64 s7, 0x42b17218, v7
	s_delay_alu instid0(VALU_DEP_1) | instskip(SKIP_2) | instid1(VALU_DEP_2)
	v_cndmask_b32_e64 v8, 0x7f800000, v3, s7
	v_cmp_ngt_f32_e64 s7, 0xc2ce8ed0, v19
	v_add_f32_e32 v3, v6, v9
	v_cndmask_b32_e64 v6, 0, v21, s7
	v_cmp_nlt_f32_e64 s7, 0x42b17218, v12
	s_delay_alu instid0(VALU_DEP_3) | instskip(NEXT) | instid1(VALU_DEP_2)
	v_add_f32_e32 v3, v3, v8
	v_cndmask_b32_e64 v7, 0x7f800000, v14, s7
	v_cmp_ngt_f32_e64 s7, 0xc2ce8ed0, v13
	s_delay_alu instid0(VALU_DEP_2) | instskip(NEXT) | instid1(VALU_DEP_2)
	v_add_f32_e32 v14, v3, v7
	v_cndmask_b32_e64 v12, 0, v22, s7
	v_cmp_nlt_f32_e64 s7, 0x42b17218, v19
	v_ldexp_f32 v19, v23, v26
	s_delay_alu instid0(VALU_DEP_2) | instskip(SKIP_1) | instid1(VALU_DEP_1)
	v_cndmask_b32_e64 v6, 0x7f800000, v6, s7
	v_cmp_nlt_f32_e64 s7, 0x42b17218, v13
	v_cndmask_b32_e64 v3, 0x7f800000, v12, s7
	v_cmp_ngt_f32_e64 s7, 0xc2ce8ed0, v2
	s_delay_alu instid0(VALU_DEP_4) | instskip(NEXT) | instid1(VALU_DEP_2)
	v_add_f32_e32 v12, v14, v6
	v_cndmask_b32_e64 v13, 0, v19, s7
	v_cmp_nlt_f32_e64 s7, 0x42b17218, v2
	s_delay_alu instid0(VALU_DEP_3) | instskip(NEXT) | instid1(VALU_DEP_2)
	v_add_f32_e32 v12, v12, v3
	v_cndmask_b32_e64 v2, 0x7f800000, v13, s7
	s_delay_alu instid0(VALU_DEP_1)
	v_add_f32_e32 v12, v12, v2
	ds_bpermute_b32 v4, v4, v12
	s_waitcnt lgkmcnt(0)
	v_add_f32_e32 v4, v12, v4
	ds_bpermute_b32 v12, v15, v4
	s_waitcnt lgkmcnt(0)
	;; [unrolled: 3-line block ×4, first 2 shown]
	v_add_f32_e32 v4, v4, v12
	ds_bpermute_b32 v12, v18, v4
	v_cmpx_lt_i32_e32 0, v5
	s_cbranch_execz .LBB397_26
; %bb.17:
	s_and_b32 exec_lo, exec_lo, vcc_lo
	s_cbranch_execz .LBB397_26
; %bb.18:
	s_waitcnt lgkmcnt(0)
	v_add_f32_e32 v4, v4, v12
	s_delay_alu instid0(VALU_DEP_1) | instskip(SKIP_2) | instid1(VALU_DEP_3)
	v_div_scale_f32 v5, null, v4, v4, v11
	v_div_scale_f32 v14, vcc_lo, v11, v4, v11
	v_cmp_eq_f32_e64 s7, 0, v4
	v_rcp_f32_e32 v12, v5
	s_waitcnt_depctr 0xfff
	v_fma_f32 v13, -v5, v12, 1.0
	s_delay_alu instid0(VALU_DEP_1) | instskip(NEXT) | instid1(VALU_DEP_1)
	v_fmac_f32_e32 v12, v13, v12
	v_mul_f32_e32 v13, v14, v12
	s_delay_alu instid0(VALU_DEP_1) | instskip(NEXT) | instid1(VALU_DEP_1)
	v_fma_f32 v15, -v5, v13, v14
	v_fmac_f32_e32 v13, v15, v12
	s_delay_alu instid0(VALU_DEP_1) | instskip(NEXT) | instid1(VALU_DEP_1)
	v_fma_f32 v5, -v5, v13, v14
	v_div_fmas_f32 v5, v5, v12, v13
	v_add_co_u32 v0, vcc_lo, s16, v0
	v_add_co_ci_u32_e32 v1, vcc_lo, s17, v1, vcc_lo
	s_delay_alu instid0(VALU_DEP_3) | instskip(NEXT) | instid1(VALU_DEP_1)
	v_div_fixup_f32 v5, v5, v4, v11
	v_cndmask_b32_e64 v5, v5, 0x7fc00000, s7
	global_store_b32 v[0:1], v5, off
	s_and_b32 exec_lo, exec_lo, s6
	s_cbranch_execz .LBB397_26
; %bb.19:
	v_div_scale_f32 v5, null, v4, v4, v10
	s_delay_alu instid0(VALU_DEP_1) | instskip(SKIP_2) | instid1(VALU_DEP_1)
	v_rcp_f32_e32 v11, v5
	s_waitcnt_depctr 0xfff
	v_fma_f32 v12, -v5, v11, 1.0
	v_fmac_f32_e32 v11, v12, v11
	v_div_scale_f32 v12, vcc_lo, v10, v4, v10
	s_delay_alu instid0(VALU_DEP_1) | instskip(NEXT) | instid1(VALU_DEP_1)
	v_mul_f32_e32 v13, v12, v11
	v_fma_f32 v14, -v5, v13, v12
	s_delay_alu instid0(VALU_DEP_1) | instskip(NEXT) | instid1(VALU_DEP_1)
	v_fmac_f32_e32 v13, v14, v11
	v_fma_f32 v5, -v5, v13, v12
	s_delay_alu instid0(VALU_DEP_1) | instskip(NEXT) | instid1(VALU_DEP_1)
	v_div_fmas_f32 v5, v5, v11, v13
	v_div_fixup_f32 v5, v5, v4, v10
	s_delay_alu instid0(VALU_DEP_1)
	v_cndmask_b32_e64 v5, v5, 0x7fc00000, s7
	global_store_b32 v[0:1], v5, off offset:128
	s_and_b32 exec_lo, exec_lo, s5
	s_cbranch_execz .LBB397_26
; %bb.20:
	v_div_scale_f32 v5, null, v4, v4, v9
	s_delay_alu instid0(VALU_DEP_1) | instskip(SKIP_2) | instid1(VALU_DEP_1)
	v_rcp_f32_e32 v10, v5
	s_waitcnt_depctr 0xfff
	v_fma_f32 v11, -v5, v10, 1.0
	v_fmac_f32_e32 v10, v11, v10
	v_div_scale_f32 v11, vcc_lo, v9, v4, v9
	s_delay_alu instid0(VALU_DEP_1) | instskip(NEXT) | instid1(VALU_DEP_1)
	v_mul_f32_e32 v12, v11, v10
	v_fma_f32 v13, -v5, v12, v11
	s_delay_alu instid0(VALU_DEP_1) | instskip(NEXT) | instid1(VALU_DEP_1)
	v_fmac_f32_e32 v12, v13, v10
	v_fma_f32 v5, -v5, v12, v11
	s_delay_alu instid0(VALU_DEP_1) | instskip(NEXT) | instid1(VALU_DEP_1)
	v_div_fmas_f32 v5, v5, v10, v12
	v_div_fixup_f32 v5, v5, v4, v9
	s_delay_alu instid0(VALU_DEP_1)
	v_cndmask_b32_e64 v5, v5, 0x7fc00000, s7
	global_store_b32 v[0:1], v5, off offset:256
	;; [unrolled: 22-line block ×7, first 2 shown]
.LBB397_26:
	s_nop 0
	s_sendmsg sendmsg(MSG_DEALLOC_VGPRS)
	s_endpgm
	.section	.rodata,"a",@progbits
	.p2align	6, 0x0
	.amdhsa_kernel _ZN12_GLOBAL__N_120softmax_warp_forwardIfffLi8ELb0ELb0ELi32EEEvPT0_PKT_iiiPKbib
		.amdhsa_group_segment_fixed_size 0
		.amdhsa_private_segment_fixed_size 0
		.amdhsa_kernarg_size 304
		.amdhsa_user_sgpr_count 15
		.amdhsa_user_sgpr_dispatch_ptr 0
		.amdhsa_user_sgpr_queue_ptr 0
		.amdhsa_user_sgpr_kernarg_segment_ptr 1
		.amdhsa_user_sgpr_dispatch_id 0
		.amdhsa_user_sgpr_private_segment_size 0
		.amdhsa_wavefront_size32 1
		.amdhsa_uses_dynamic_stack 0
		.amdhsa_enable_private_segment 0
		.amdhsa_system_sgpr_workgroup_id_x 1
		.amdhsa_system_sgpr_workgroup_id_y 0
		.amdhsa_system_sgpr_workgroup_id_z 0
		.amdhsa_system_sgpr_workgroup_info 0
		.amdhsa_system_vgpr_workitem_id 1
		.amdhsa_next_free_vgpr 40
		.amdhsa_next_free_sgpr 24
		.amdhsa_reserve_vcc 1
		.amdhsa_float_round_mode_32 0
		.amdhsa_float_round_mode_16_64 0
		.amdhsa_float_denorm_mode_32 3
		.amdhsa_float_denorm_mode_16_64 3
		.amdhsa_dx10_clamp 1
		.amdhsa_ieee_mode 1
		.amdhsa_fp16_overflow 0
		.amdhsa_workgroup_processor_mode 1
		.amdhsa_memory_ordered 1
		.amdhsa_forward_progress 0
		.amdhsa_shared_vgpr_count 0
		.amdhsa_exception_fp_ieee_invalid_op 0
		.amdhsa_exception_fp_denorm_src 0
		.amdhsa_exception_fp_ieee_div_zero 0
		.amdhsa_exception_fp_ieee_overflow 0
		.amdhsa_exception_fp_ieee_underflow 0
		.amdhsa_exception_fp_ieee_inexact 0
		.amdhsa_exception_int_div_zero 0
	.end_amdhsa_kernel
	.section	.text._ZN12_GLOBAL__N_120softmax_warp_forwardIfffLi8ELb0ELb0ELi32EEEvPT0_PKT_iiiPKbib,"axG",@progbits,_ZN12_GLOBAL__N_120softmax_warp_forwardIfffLi8ELb0ELb0ELi32EEEvPT0_PKT_iiiPKbib,comdat
.Lfunc_end397:
	.size	_ZN12_GLOBAL__N_120softmax_warp_forwardIfffLi8ELb0ELb0ELi32EEEvPT0_PKT_iiiPKbib, .Lfunc_end397-_ZN12_GLOBAL__N_120softmax_warp_forwardIfffLi8ELb0ELb0ELi32EEEvPT0_PKT_iiiPKbib
                                        ; -- End function
	.section	.AMDGPU.csdata,"",@progbits
; Kernel info:
; codeLenInByte = 3000
; NumSgprs: 26
; NumVgprs: 40
; ScratchSize: 0
; MemoryBound: 0
; FloatMode: 240
; IeeeMode: 1
; LDSByteSize: 0 bytes/workgroup (compile time only)
; SGPRBlocks: 3
; VGPRBlocks: 4
; NumSGPRsForWavesPerEU: 26
; NumVGPRsForWavesPerEU: 40
; Occupancy: 16
; WaveLimiterHint : 0
; COMPUTE_PGM_RSRC2:SCRATCH_EN: 0
; COMPUTE_PGM_RSRC2:USER_SGPR: 15
; COMPUTE_PGM_RSRC2:TRAP_HANDLER: 0
; COMPUTE_PGM_RSRC2:TGID_X_EN: 1
; COMPUTE_PGM_RSRC2:TGID_Y_EN: 0
; COMPUTE_PGM_RSRC2:TGID_Z_EN: 0
; COMPUTE_PGM_RSRC2:TIDIG_COMP_CNT: 1
	.section	.text._ZN12_GLOBAL__N_120softmax_warp_forwardIfffLi9ELb0ELb0ELi64EEEvPT0_PKT_iiiPKbib,"axG",@progbits,_ZN12_GLOBAL__N_120softmax_warp_forwardIfffLi9ELb0ELb0ELi64EEEvPT0_PKT_iiiPKbib,comdat
	.globl	_ZN12_GLOBAL__N_120softmax_warp_forwardIfffLi9ELb0ELb0ELi64EEEvPT0_PKT_iiiPKbib ; -- Begin function _ZN12_GLOBAL__N_120softmax_warp_forwardIfffLi9ELb0ELb0ELi64EEEvPT0_PKT_iiiPKbib
	.p2align	8
	.type	_ZN12_GLOBAL__N_120softmax_warp_forwardIfffLi9ELb0ELb0ELi64EEEvPT0_PKT_iiiPKbib,@function
_ZN12_GLOBAL__N_120softmax_warp_forwardIfffLi9ELb0ELb0ELi64EEEvPT0_PKT_iiiPKbib: ; @_ZN12_GLOBAL__N_120softmax_warp_forwardIfffLi9ELb0ELb0ELi64EEEvPT0_PKT_iiiPKbib
; %bb.0:
	s_clause 0x1
	s_load_b32 s2, s[0:1], 0x3c
	s_load_b256 s[16:23], s[0:1], 0x0
	v_bfe_u32 v1, v0, 10, 10
	v_mov_b32_e32 v6, 0xff800000
	v_mov_b32_e32 v10, 0xff800000
	s_waitcnt lgkmcnt(0)
	s_lshr_b32 s0, s2, 16
	s_delay_alu instid0(SALU_CYCLE_1) | instskip(SKIP_1) | instid1(VALU_DEP_1)
	v_mad_u64_u32 v[3:4], null, s15, s0, v[1:2]
	v_and_b32_e32 v2, 0x3ff, v0
	v_cmp_gt_i32_e32 vcc_lo, s22, v2
	s_delay_alu instid0(VALU_DEP_3) | instskip(SKIP_1) | instid1(VALU_DEP_1)
	v_mad_u64_u32 v[0:1], null, v3, s21, v[2:3]
	v_sub_nc_u32_e32 v5, s20, v3
	v_cmp_lt_i32_e64 s7, 0, v5
	s_delay_alu instid0(VALU_DEP_3) | instskip(NEXT) | instid1(VALU_DEP_2)
	v_ashrrev_i32_e32 v1, 31, v0
	s_and_b32 s1, s7, vcc_lo
	s_delay_alu instid0(VALU_DEP_1) | instskip(NEXT) | instid1(VALU_DEP_1)
	v_lshlrev_b64 v[0:1], 2, v[0:1]
	v_add_co_u32 v3, s0, s18, v0
	s_delay_alu instid0(VALU_DEP_1)
	v_add_co_ci_u32_e64 v4, s0, s19, v1, s0
	s_and_saveexec_b32 s0, s1
	s_cbranch_execz .LBB398_2
; %bb.1:
	global_load_b32 v10, v[3:4], off
.LBB398_2:
	s_or_b32 exec_lo, exec_lo, s0
	v_add_nc_u32_e32 v7, 64, v2
	s_delay_alu instid0(VALU_DEP_1) | instskip(NEXT) | instid1(VALU_DEP_1)
	v_cmp_gt_i32_e64 s6, s22, v7
	s_and_b32 s1, s7, s6
	s_delay_alu instid0(SALU_CYCLE_1)
	s_and_saveexec_b32 s0, s1
	s_cbranch_execz .LBB398_4
; %bb.3:
	global_load_b32 v6, v[3:4], off offset:256
.LBB398_4:
	s_or_b32 exec_lo, exec_lo, s0
	v_add_nc_u32_e32 v7, 0x80, v2
	v_mov_b32_e32 v11, 0xff800000
	s_delay_alu instid0(VALU_DEP_2) | instskip(SKIP_1) | instid1(VALU_DEP_2)
	v_cmp_gt_i32_e64 s5, s22, v7
	v_mov_b32_e32 v7, 0xff800000
	s_and_b32 s1, s7, s5
	s_delay_alu instid0(SALU_CYCLE_1)
	s_and_saveexec_b32 s0, s1
	s_cbranch_execz .LBB398_6
; %bb.5:
	global_load_b32 v11, v[3:4], off offset:512
.LBB398_6:
	s_or_b32 exec_lo, exec_lo, s0
	v_add_nc_u32_e32 v8, 0xc0, v2
	s_delay_alu instid0(VALU_DEP_1) | instskip(NEXT) | instid1(VALU_DEP_1)
	v_cmp_gt_i32_e64 s4, s22, v8
	s_and_b32 s1, s7, s4
	s_delay_alu instid0(SALU_CYCLE_1)
	s_and_saveexec_b32 s0, s1
	s_cbranch_execz .LBB398_8
; %bb.7:
	global_load_b32 v7, v[3:4], off offset:768
.LBB398_8:
	s_or_b32 exec_lo, exec_lo, s0
	v_add_nc_u32_e32 v8, 0x100, v2
	v_mov_b32_e32 v12, 0xff800000
	s_delay_alu instid0(VALU_DEP_2) | instskip(SKIP_1) | instid1(VALU_DEP_2)
	v_cmp_gt_i32_e64 s3, s22, v8
	v_mov_b32_e32 v8, 0xff800000
	s_and_b32 s1, s7, s3
	s_delay_alu instid0(SALU_CYCLE_1)
	s_and_saveexec_b32 s0, s1
	s_cbranch_execz .LBB398_10
; %bb.9:
	global_load_b32 v12, v[3:4], off offset:1024
.LBB398_10:
	;; [unrolled: 24-line block ×3, first 2 shown]
	s_or_b32 exec_lo, exec_lo, s0
	v_add_nc_u32_e32 v2, 0x1c0, v2
	s_delay_alu instid0(VALU_DEP_1) | instskip(NEXT) | instid1(VALU_DEP_1)
	v_cmp_gt_i32_e64 s0, s22, v2
	s_and_b32 s8, s7, s0
	s_delay_alu instid0(SALU_CYCLE_1)
	s_and_saveexec_b32 s7, s8
	s_cbranch_execz .LBB398_16
; %bb.15:
	global_load_b32 v9, v[3:4], off offset:1792
.LBB398_16:
	s_or_b32 exec_lo, exec_lo, s7
	s_waitcnt vmcnt(0)
	v_cmp_gt_f32_e64 s7, v10, v6
	v_mbcnt_lo_u32_b32 v3, -1, 0
	s_mov_b32 s8, exec_lo
	s_delay_alu instid0(VALU_DEP_2) | instskip(NEXT) | instid1(VALU_DEP_2)
	v_cndmask_b32_e64 v2, v6, v10, s7
	v_or_b32_e32 v4, 32, v3
	v_xor_b32_e32 v15, 16, v3
	v_xor_b32_e32 v16, 8, v3
	;; [unrolled: 1-line block ×3, first 2 shown]
	v_cmp_gt_f32_e64 s7, v2, v11
	v_xor_b32_e32 v18, 2, v3
	v_xor_b32_e32 v19, 1, v3
	s_delay_alu instid0(VALU_DEP_3) | instskip(NEXT) | instid1(VALU_DEP_1)
	v_cndmask_b32_e64 v2, v11, v2, s7
	v_cmp_gt_f32_e64 s7, v2, v7
	s_delay_alu instid0(VALU_DEP_1) | instskip(NEXT) | instid1(VALU_DEP_1)
	v_cndmask_b32_e64 v2, v7, v2, s7
	v_cmp_gt_f32_e64 s7, v2, v12
	s_delay_alu instid0(VALU_DEP_1) | instskip(NEXT) | instid1(VALU_DEP_1)
	v_cndmask_b32_e64 v2, v12, v2, s7
	v_cmp_gt_f32_e64 s7, v2, v8
	s_delay_alu instid0(VALU_DEP_1) | instskip(SKIP_1) | instid1(VALU_DEP_1)
	v_cndmask_b32_e64 v2, v8, v2, s7
	v_cmp_gt_i32_e64 s7, 64, v4
	v_cndmask_b32_e64 v4, v3, v4, s7
	s_delay_alu instid0(VALU_DEP_3) | instskip(NEXT) | instid1(VALU_DEP_2)
	v_cmp_gt_f32_e64 s7, v2, v13
	v_lshlrev_b32_e32 v4, 2, v4
	s_delay_alu instid0(VALU_DEP_2) | instskip(NEXT) | instid1(VALU_DEP_1)
	v_cndmask_b32_e64 v2, v13, v2, s7
	v_cmp_gt_f32_e64 s7, v2, v9
	s_delay_alu instid0(VALU_DEP_1) | instskip(SKIP_3) | instid1(VALU_DEP_1)
	v_cndmask_b32_e64 v2, v9, v2, s7
	v_cmp_gt_i32_e64 s7, 64, v15
	ds_bpermute_b32 v14, v4, v2
	v_cndmask_b32_e64 v15, v3, v15, s7
	v_lshlrev_b32_e32 v15, 2, v15
	s_waitcnt lgkmcnt(0)
	v_cmp_lt_f32_e64 s7, v2, v14
	s_delay_alu instid0(VALU_DEP_1) | instskip(SKIP_3) | instid1(VALU_DEP_1)
	v_cndmask_b32_e64 v2, v2, v14, s7
	v_cmp_gt_i32_e64 s7, 64, v16
	ds_bpermute_b32 v14, v15, v2
	v_cndmask_b32_e64 v16, v3, v16, s7
	v_lshlrev_b32_e32 v16, 2, v16
	s_waitcnt lgkmcnt(0)
	v_cmp_lt_f32_e64 s7, v2, v14
	;; [unrolled: 8-line block ×5, first 2 shown]
	s_delay_alu instid0(VALU_DEP_1) | instskip(SKIP_3) | instid1(VALU_DEP_1)
	v_cndmask_b32_e64 v2, v2, v14, s7
	ds_bpermute_b32 v3, v19, v2
	s_waitcnt lgkmcnt(0)
	v_cmp_lt_f32_e64 s7, v2, v3
	v_cndmask_b32_e64 v2, v2, v3, s7
	s_delay_alu instid0(VALU_DEP_1) | instskip(SKIP_3) | instid1(VALU_DEP_4)
	v_sub_f32_e32 v12, v12, v2
	v_sub_f32_e32 v3, v10, v2
	;; [unrolled: 1-line block ×4, first 2 shown]
	v_dual_sub_f32 v20, v8, v2 :: v_dual_mul_f32 v21, 0x3fb8aa3b, v12
	s_delay_alu instid0(VALU_DEP_4) | instskip(SKIP_2) | instid1(VALU_DEP_4)
	v_dual_sub_f32 v13, v13, v2 :: v_dual_mul_f32 v8, 0x3fb8aa3b, v3
	v_sub_f32_e32 v14, v11, v2
	v_sub_f32_e32 v2, v9, v2
	v_dual_mul_f32 v9, 0x3fb8aa3b, v6 :: v_dual_mul_f32 v22, 0x3fb8aa3b, v20
	v_mul_f32_e32 v11, 0x3fb8aa3b, v7
	v_fma_f32 v25, 0x3fb8aa3b, v3, -v8
	v_rndne_f32_e32 v26, v8
	v_mul_f32_e32 v23, 0x3fb8aa3b, v13
	v_fma_f32 v27, 0x3fb8aa3b, v6, -v9
	v_rndne_f32_e32 v28, v9
	v_mul_f32_e32 v10, 0x3fb8aa3b, v14
	v_rndne_f32_e32 v32, v11
	v_mul_f32_e32 v24, 0x3fb8aa3b, v2
	v_fma_f32 v33, 0x3fb8aa3b, v12, -v21
	v_dual_fmac_f32 v25, 0x32a5705f, v3 :: v_dual_sub_f32 v8, v8, v26
	v_fma_f32 v31, 0x3fb8aa3b, v7, -v11
	v_rndne_f32_e32 v36, v22
	v_fmac_f32_e32 v27, 0x32a5705f, v6
	v_sub_f32_e32 v9, v9, v28
	v_fma_f32 v29, 0x3fb8aa3b, v14, -v10
	v_rndne_f32_e32 v30, v10
	v_sub_f32_e32 v11, v11, v32
	v_fma_f32 v39, 0x3fb8aa3b, v2, -v24
	v_rndne_f32_e32 v40, v24
	v_dual_fmac_f32 v33, 0x32a5705f, v12 :: v_dual_add_f32 v8, v8, v25
	v_rndne_f32_e32 v34, v21
	v_fma_f32 v35, 0x3fb8aa3b, v20, -v22
	v_fma_f32 v37, 0x3fb8aa3b, v13, -v23
	v_rndne_f32_e32 v38, v23
	v_dual_fmac_f32 v29, 0x32a5705f, v14 :: v_dual_sub_f32 v24, v24, v40
	v_dual_sub_f32 v10, v10, v30 :: v_dual_fmac_f32 v31, 0x32a5705f, v7
	v_dual_sub_f32 v22, v22, v36 :: v_dual_fmac_f32 v39, 0x32a5705f, v2
	v_add_f32_e32 v9, v9, v27
	v_exp_f32_e32 v8, v8
	v_cvt_i32_f32_e32 v26, v26
	v_dual_sub_f32 v21, v21, v34 :: v_dual_add_f32 v10, v10, v29
	v_dual_fmac_f32 v35, 0x32a5705f, v20 :: v_dual_add_f32 v24, v24, v39
	v_fmac_f32_e32 v37, 0x32a5705f, v13
	v_sub_f32_e32 v23, v23, v38
	v_exp_f32_e32 v9, v9
	v_cvt_i32_f32_e32 v28, v28
	v_add_f32_e32 v22, v22, v35
	v_exp_f32_e32 v10, v10
	v_add_f32_e32 v23, v23, v37
	v_ldexp_f32 v8, v8, v26
	v_cmp_ngt_f32_e64 s7, 0xc2ce8ed0, v3
	v_cvt_i32_f32_e32 v30, v30
	v_add_f32_e32 v11, v11, v31
	v_exp_f32_e32 v23, v23
	v_ldexp_f32 v9, v9, v28
	v_cndmask_b32_e64 v8, 0, v8, s7
	v_cmp_ngt_f32_e64 s7, 0xc2ce8ed0, v6
	v_exp_f32_e32 v11, v11
	v_cvt_i32_f32_e32 v25, v38
	v_ldexp_f32 v10, v10, v30
	v_cvt_i32_f32_e32 v32, v32
	v_cndmask_b32_e64 v9, 0, v9, s7
	v_cmp_ngt_f32_e64 s7, 0xc2ce8ed0, v14
	v_ldexp_f32 v23, v23, v25
	v_add_f32_e32 v21, v21, v33
	v_cvt_i32_f32_e32 v34, v34
	v_exp_f32_e32 v22, v22
	v_cndmask_b32_e64 v25, 0, v10, s7
	v_cmp_nlt_f32_e64 s7, 0x42b17218, v3
	v_ldexp_f32 v26, v11, v32
	v_exp_f32_e32 v21, v21
	v_cvt_i32_f32_e32 v36, v36
	v_exp_f32_e32 v24, v24
	v_cndmask_b32_e64 v11, 0x7f800000, v8, s7
	v_cmp_nlt_f32_e64 s7, 0x42b17218, v6
	v_cvt_i32_f32_e32 v27, v40
	v_ldexp_f32 v22, v22, v36
	s_delay_alu instid0(VALU_DEP_3) | instskip(SKIP_1) | instid1(TRANS32_DEP_2)
	v_cndmask_b32_e64 v10, 0x7f800000, v9, s7
	v_cmp_ngt_f32_e64 s7, 0xc2ce8ed0, v7
	v_ldexp_f32 v21, v21, v34
	s_delay_alu instid0(VALU_DEP_3) | instskip(NEXT) | instid1(VALU_DEP_3)
	v_add_f32_e32 v6, v11, v10
	v_cndmask_b32_e64 v3, 0, v26, s7
	v_cmp_nlt_f32_e64 s7, 0x42b17218, v14
	s_delay_alu instid0(VALU_DEP_1) | instskip(SKIP_1) | instid1(VALU_DEP_1)
	v_cndmask_b32_e64 v9, 0x7f800000, v25, s7
	v_cmp_ngt_f32_e64 s7, 0xc2ce8ed0, v12
	v_cndmask_b32_e64 v14, 0, v21, s7
	v_cmp_nlt_f32_e64 s7, 0x42b17218, v7
	s_delay_alu instid0(VALU_DEP_1) | instskip(SKIP_2) | instid1(VALU_DEP_2)
	v_cndmask_b32_e64 v8, 0x7f800000, v3, s7
	v_cmp_ngt_f32_e64 s7, 0xc2ce8ed0, v20
	v_add_f32_e32 v3, v6, v9
	v_cndmask_b32_e64 v6, 0, v22, s7
	v_cmp_nlt_f32_e64 s7, 0x42b17218, v12
	s_delay_alu instid0(VALU_DEP_3) | instskip(NEXT) | instid1(VALU_DEP_2)
	v_add_f32_e32 v3, v3, v8
	v_cndmask_b32_e64 v7, 0x7f800000, v14, s7
	v_cmp_ngt_f32_e64 s7, 0xc2ce8ed0, v13
	s_delay_alu instid0(VALU_DEP_2) | instskip(NEXT) | instid1(VALU_DEP_2)
	v_add_f32_e32 v14, v3, v7
	v_cndmask_b32_e64 v12, 0, v23, s7
	v_cmp_nlt_f32_e64 s7, 0x42b17218, v20
	v_ldexp_f32 v20, v24, v27
	s_delay_alu instid0(VALU_DEP_2) | instskip(SKIP_1) | instid1(VALU_DEP_1)
	v_cndmask_b32_e64 v6, 0x7f800000, v6, s7
	v_cmp_nlt_f32_e64 s7, 0x42b17218, v13
	v_cndmask_b32_e64 v3, 0x7f800000, v12, s7
	v_cmp_ngt_f32_e64 s7, 0xc2ce8ed0, v2
	s_delay_alu instid0(VALU_DEP_4) | instskip(NEXT) | instid1(VALU_DEP_2)
	v_add_f32_e32 v12, v14, v6
	v_cndmask_b32_e64 v13, 0, v20, s7
	v_cmp_nlt_f32_e64 s7, 0x42b17218, v2
	s_delay_alu instid0(VALU_DEP_3) | instskip(NEXT) | instid1(VALU_DEP_2)
	v_add_f32_e32 v12, v12, v3
	v_cndmask_b32_e64 v2, 0x7f800000, v13, s7
	s_delay_alu instid0(VALU_DEP_1)
	v_add_f32_e32 v12, v12, v2
	ds_bpermute_b32 v4, v4, v12
	s_waitcnt lgkmcnt(0)
	v_add_f32_e32 v4, v12, v4
	ds_bpermute_b32 v12, v15, v4
	s_waitcnt lgkmcnt(0)
	;; [unrolled: 3-line block ×5, first 2 shown]
	v_add_f32_e32 v4, v4, v12
	ds_bpermute_b32 v12, v19, v4
	v_cmpx_lt_i32_e32 0, v5
	s_cbranch_execz .LBB398_26
; %bb.17:
	s_and_b32 exec_lo, exec_lo, vcc_lo
	s_cbranch_execz .LBB398_26
; %bb.18:
	s_waitcnt lgkmcnt(0)
	v_add_f32_e32 v4, v4, v12
	s_delay_alu instid0(VALU_DEP_1) | instskip(SKIP_2) | instid1(VALU_DEP_3)
	v_div_scale_f32 v5, null, v4, v4, v11
	v_div_scale_f32 v14, vcc_lo, v11, v4, v11
	v_cmp_eq_f32_e64 s7, 0, v4
	v_rcp_f32_e32 v12, v5
	s_waitcnt_depctr 0xfff
	v_fma_f32 v13, -v5, v12, 1.0
	s_delay_alu instid0(VALU_DEP_1) | instskip(NEXT) | instid1(VALU_DEP_1)
	v_fmac_f32_e32 v12, v13, v12
	v_mul_f32_e32 v13, v14, v12
	s_delay_alu instid0(VALU_DEP_1) | instskip(NEXT) | instid1(VALU_DEP_1)
	v_fma_f32 v15, -v5, v13, v14
	v_fmac_f32_e32 v13, v15, v12
	s_delay_alu instid0(VALU_DEP_1) | instskip(NEXT) | instid1(VALU_DEP_1)
	v_fma_f32 v5, -v5, v13, v14
	v_div_fmas_f32 v5, v5, v12, v13
	v_add_co_u32 v0, vcc_lo, s16, v0
	v_add_co_ci_u32_e32 v1, vcc_lo, s17, v1, vcc_lo
	s_delay_alu instid0(VALU_DEP_3) | instskip(NEXT) | instid1(VALU_DEP_1)
	v_div_fixup_f32 v5, v5, v4, v11
	v_cndmask_b32_e64 v5, v5, 0x7fc00000, s7
	global_store_b32 v[0:1], v5, off
	s_and_b32 exec_lo, exec_lo, s6
	s_cbranch_execz .LBB398_26
; %bb.19:
	v_div_scale_f32 v5, null, v4, v4, v10
	s_delay_alu instid0(VALU_DEP_1) | instskip(SKIP_2) | instid1(VALU_DEP_1)
	v_rcp_f32_e32 v11, v5
	s_waitcnt_depctr 0xfff
	v_fma_f32 v12, -v5, v11, 1.0
	v_fmac_f32_e32 v11, v12, v11
	v_div_scale_f32 v12, vcc_lo, v10, v4, v10
	s_delay_alu instid0(VALU_DEP_1) | instskip(NEXT) | instid1(VALU_DEP_1)
	v_mul_f32_e32 v13, v12, v11
	v_fma_f32 v14, -v5, v13, v12
	s_delay_alu instid0(VALU_DEP_1) | instskip(NEXT) | instid1(VALU_DEP_1)
	v_fmac_f32_e32 v13, v14, v11
	v_fma_f32 v5, -v5, v13, v12
	s_delay_alu instid0(VALU_DEP_1) | instskip(NEXT) | instid1(VALU_DEP_1)
	v_div_fmas_f32 v5, v5, v11, v13
	v_div_fixup_f32 v5, v5, v4, v10
	s_delay_alu instid0(VALU_DEP_1)
	v_cndmask_b32_e64 v5, v5, 0x7fc00000, s7
	global_store_b32 v[0:1], v5, off offset:256
	s_and_b32 exec_lo, exec_lo, s5
	s_cbranch_execz .LBB398_26
; %bb.20:
	v_div_scale_f32 v5, null, v4, v4, v9
	s_delay_alu instid0(VALU_DEP_1) | instskip(SKIP_2) | instid1(VALU_DEP_1)
	v_rcp_f32_e32 v10, v5
	s_waitcnt_depctr 0xfff
	v_fma_f32 v11, -v5, v10, 1.0
	v_fmac_f32_e32 v10, v11, v10
	v_div_scale_f32 v11, vcc_lo, v9, v4, v9
	s_delay_alu instid0(VALU_DEP_1) | instskip(NEXT) | instid1(VALU_DEP_1)
	v_mul_f32_e32 v12, v11, v10
	v_fma_f32 v13, -v5, v12, v11
	s_delay_alu instid0(VALU_DEP_1) | instskip(NEXT) | instid1(VALU_DEP_1)
	v_fmac_f32_e32 v12, v13, v10
	v_fma_f32 v5, -v5, v12, v11
	s_delay_alu instid0(VALU_DEP_1) | instskip(NEXT) | instid1(VALU_DEP_1)
	v_div_fmas_f32 v5, v5, v10, v12
	v_div_fixup_f32 v5, v5, v4, v9
	s_delay_alu instid0(VALU_DEP_1)
	v_cndmask_b32_e64 v5, v5, 0x7fc00000, s7
	global_store_b32 v[0:1], v5, off offset:512
	;; [unrolled: 22-line block ×7, first 2 shown]
.LBB398_26:
	s_nop 0
	s_sendmsg sendmsg(MSG_DEALLOC_VGPRS)
	s_endpgm
	.section	.rodata,"a",@progbits
	.p2align	6, 0x0
	.amdhsa_kernel _ZN12_GLOBAL__N_120softmax_warp_forwardIfffLi9ELb0ELb0ELi64EEEvPT0_PKT_iiiPKbib
		.amdhsa_group_segment_fixed_size 0
		.amdhsa_private_segment_fixed_size 0
		.amdhsa_kernarg_size 304
		.amdhsa_user_sgpr_count 15
		.amdhsa_user_sgpr_dispatch_ptr 0
		.amdhsa_user_sgpr_queue_ptr 0
		.amdhsa_user_sgpr_kernarg_segment_ptr 1
		.amdhsa_user_sgpr_dispatch_id 0
		.amdhsa_user_sgpr_private_segment_size 0
		.amdhsa_wavefront_size32 1
		.amdhsa_uses_dynamic_stack 0
		.amdhsa_enable_private_segment 0
		.amdhsa_system_sgpr_workgroup_id_x 1
		.amdhsa_system_sgpr_workgroup_id_y 0
		.amdhsa_system_sgpr_workgroup_id_z 0
		.amdhsa_system_sgpr_workgroup_info 0
		.amdhsa_system_vgpr_workitem_id 1
		.amdhsa_next_free_vgpr 41
		.amdhsa_next_free_sgpr 24
		.amdhsa_reserve_vcc 1
		.amdhsa_float_round_mode_32 0
		.amdhsa_float_round_mode_16_64 0
		.amdhsa_float_denorm_mode_32 3
		.amdhsa_float_denorm_mode_16_64 3
		.amdhsa_dx10_clamp 1
		.amdhsa_ieee_mode 1
		.amdhsa_fp16_overflow 0
		.amdhsa_workgroup_processor_mode 1
		.amdhsa_memory_ordered 1
		.amdhsa_forward_progress 0
		.amdhsa_shared_vgpr_count 0
		.amdhsa_exception_fp_ieee_invalid_op 0
		.amdhsa_exception_fp_denorm_src 0
		.amdhsa_exception_fp_ieee_div_zero 0
		.amdhsa_exception_fp_ieee_overflow 0
		.amdhsa_exception_fp_ieee_underflow 0
		.amdhsa_exception_fp_ieee_inexact 0
		.amdhsa_exception_int_div_zero 0
	.end_amdhsa_kernel
	.section	.text._ZN12_GLOBAL__N_120softmax_warp_forwardIfffLi9ELb0ELb0ELi64EEEvPT0_PKT_iiiPKbib,"axG",@progbits,_ZN12_GLOBAL__N_120softmax_warp_forwardIfffLi9ELb0ELb0ELi64EEEvPT0_PKT_iiiPKbib,comdat
.Lfunc_end398:
	.size	_ZN12_GLOBAL__N_120softmax_warp_forwardIfffLi9ELb0ELb0ELi64EEEvPT0_PKT_iiiPKbib, .Lfunc_end398-_ZN12_GLOBAL__N_120softmax_warp_forwardIfffLi9ELb0ELb0ELi64EEEvPT0_PKT_iiiPKbib
                                        ; -- End function
	.section	.AMDGPU.csdata,"",@progbits
; Kernel info:
; codeLenInByte = 3068
; NumSgprs: 26
; NumVgprs: 41
; ScratchSize: 0
; MemoryBound: 0
; FloatMode: 240
; IeeeMode: 1
; LDSByteSize: 0 bytes/workgroup (compile time only)
; SGPRBlocks: 3
; VGPRBlocks: 5
; NumSGPRsForWavesPerEU: 26
; NumVGPRsForWavesPerEU: 41
; Occupancy: 16
; WaveLimiterHint : 0
; COMPUTE_PGM_RSRC2:SCRATCH_EN: 0
; COMPUTE_PGM_RSRC2:USER_SGPR: 15
; COMPUTE_PGM_RSRC2:TRAP_HANDLER: 0
; COMPUTE_PGM_RSRC2:TGID_X_EN: 1
; COMPUTE_PGM_RSRC2:TGID_Y_EN: 0
; COMPUTE_PGM_RSRC2:TGID_Z_EN: 0
; COMPUTE_PGM_RSRC2:TIDIG_COMP_CNT: 1
	.section	.text._ZN12_GLOBAL__N_120softmax_warp_forwardIfffLi9ELb0ELb0ELi32EEEvPT0_PKT_iiiPKbib,"axG",@progbits,_ZN12_GLOBAL__N_120softmax_warp_forwardIfffLi9ELb0ELb0ELi32EEEvPT0_PKT_iiiPKbib,comdat
	.globl	_ZN12_GLOBAL__N_120softmax_warp_forwardIfffLi9ELb0ELb0ELi32EEEvPT0_PKT_iiiPKbib ; -- Begin function _ZN12_GLOBAL__N_120softmax_warp_forwardIfffLi9ELb0ELb0ELi32EEEvPT0_PKT_iiiPKbib
	.p2align	8
	.type	_ZN12_GLOBAL__N_120softmax_warp_forwardIfffLi9ELb0ELb0ELi32EEEvPT0_PKT_iiiPKbib,@function
_ZN12_GLOBAL__N_120softmax_warp_forwardIfffLi9ELb0ELb0ELi32EEEvPT0_PKT_iiiPKbib: ; @_ZN12_GLOBAL__N_120softmax_warp_forwardIfffLi9ELb0ELb0ELi32EEEvPT0_PKT_iiiPKbib
; %bb.0:
	s_clause 0x1
	s_load_b32 s2, s[0:1], 0x3c
	s_load_b256 s[16:23], s[0:1], 0x0
	v_bfe_u32 v1, v0, 10, 10
	v_dual_mov_b32 v9, 0xff800000 :: v_dual_mov_b32 v8, 0xff800000
	s_waitcnt lgkmcnt(0)
	s_lshr_b32 s0, s2, 16
	s_delay_alu instid0(VALU_DEP_2) | instid1(SALU_CYCLE_1)
	v_mad_u64_u32 v[3:4], null, s15, s0, v[1:2]
	v_and_b32_e32 v2, 0x3ff, v0
	s_delay_alu instid0(VALU_DEP_1) | instskip(NEXT) | instid1(VALU_DEP_3)
	v_cmp_gt_i32_e32 vcc_lo, s22, v2
	v_mad_u64_u32 v[0:1], null, v3, s21, v[2:3]
	v_sub_nc_u32_e32 v5, s20, v3
	s_delay_alu instid0(VALU_DEP_1) | instskip(NEXT) | instid1(VALU_DEP_3)
	v_cmp_lt_i32_e64 s15, 0, v5
	v_ashrrev_i32_e32 v1, 31, v0
	s_delay_alu instid0(VALU_DEP_2) | instskip(NEXT) | instid1(VALU_DEP_1)
	s_and_b32 s1, s15, vcc_lo
	v_lshlrev_b64 v[0:1], 2, v[0:1]
	s_delay_alu instid0(VALU_DEP_1) | instskip(NEXT) | instid1(VALU_DEP_1)
	v_add_co_u32 v3, s0, s18, v0
	v_add_co_ci_u32_e64 v4, s0, s19, v1, s0
	s_and_saveexec_b32 s0, s1
	s_cbranch_execz .LBB399_2
; %bb.1:
	global_load_b32 v8, v[3:4], off
.LBB399_2:
	s_or_b32 exec_lo, exec_lo, s0
	v_add_nc_u32_e32 v6, 32, v2
	s_delay_alu instid0(VALU_DEP_1) | instskip(NEXT) | instid1(VALU_DEP_1)
	v_cmp_gt_i32_e64 s14, s22, v6
	s_and_b32 s1, s15, s14
	s_delay_alu instid0(SALU_CYCLE_1)
	s_and_saveexec_b32 s0, s1
	s_cbranch_execz .LBB399_4
; %bb.3:
	global_load_b32 v9, v[3:4], off offset:128
.LBB399_4:
	s_or_b32 exec_lo, exec_lo, s0
	v_dual_mov_b32 v17, 0xff800000 :: v_dual_add_nc_u32 v6, 64, v2
	v_mov_b32_e32 v10, 0xff800000
	s_delay_alu instid0(VALU_DEP_2) | instskip(NEXT) | instid1(VALU_DEP_1)
	v_cmp_gt_i32_e64 s13, s22, v6
	s_and_b32 s1, s15, s13
	s_delay_alu instid0(SALU_CYCLE_1)
	s_and_saveexec_b32 s0, s1
	s_cbranch_execz .LBB399_6
; %bb.5:
	global_load_b32 v17, v[3:4], off offset:256
.LBB399_6:
	s_or_b32 exec_lo, exec_lo, s0
	v_add_nc_u32_e32 v6, 0x60, v2
	s_delay_alu instid0(VALU_DEP_1) | instskip(NEXT) | instid1(VALU_DEP_1)
	v_cmp_gt_i32_e64 s12, s22, v6
	s_and_b32 s1, s15, s12
	s_delay_alu instid0(SALU_CYCLE_1)
	s_and_saveexec_b32 s0, s1
	s_cbranch_execz .LBB399_8
; %bb.7:
	global_load_b32 v10, v[3:4], off offset:384
.LBB399_8:
	s_or_b32 exec_lo, exec_lo, s0
	v_add_nc_u32_e32 v6, 0x80, v2
	v_dual_mov_b32 v11, 0xff800000 :: v_dual_mov_b32 v18, 0xff800000
	s_delay_alu instid0(VALU_DEP_2) | instskip(NEXT) | instid1(VALU_DEP_1)
	v_cmp_gt_i32_e64 s11, s22, v6
	s_and_b32 s1, s15, s11
	s_delay_alu instid0(SALU_CYCLE_1)
	s_and_saveexec_b32 s0, s1
	s_cbranch_execz .LBB399_10
; %bb.9:
	global_load_b32 v18, v[3:4], off offset:512
.LBB399_10:
	s_or_b32 exec_lo, exec_lo, s0
	v_add_nc_u32_e32 v6, 0xa0, v2
	s_delay_alu instid0(VALU_DEP_1) | instskip(NEXT) | instid1(VALU_DEP_1)
	v_cmp_gt_i32_e64 s10, s22, v6
	s_and_b32 s1, s15, s10
	s_delay_alu instid0(SALU_CYCLE_1)
	s_and_saveexec_b32 s0, s1
	s_cbranch_execz .LBB399_12
; %bb.11:
	global_load_b32 v11, v[3:4], off offset:640
.LBB399_12:
	s_or_b32 exec_lo, exec_lo, s0
	v_add_nc_u32_e32 v6, 0xc0, v2
	v_dual_mov_b32 v12, 0xff800000 :: v_dual_mov_b32 v19, 0xff800000
	;; [unrolled: 23-line block ×6, first 2 shown]
	s_delay_alu instid0(VALU_DEP_2) | instskip(NEXT) | instid1(VALU_DEP_1)
	v_cmp_gt_i32_e64 s1, s22, v6
	s_and_b32 s18, s15, s1
	s_delay_alu instid0(SALU_CYCLE_1)
	s_and_saveexec_b32 s0, s18
	s_cbranch_execz .LBB399_30
; %bb.29:
	global_load_b32 v23, v[3:4], off offset:1792
.LBB399_30:
	s_or_b32 exec_lo, exec_lo, s0
	v_add_nc_u32_e32 v2, 0x1e0, v2
	s_delay_alu instid0(VALU_DEP_1) | instskip(NEXT) | instid1(VALU_DEP_1)
	v_cmp_gt_i32_e64 s0, s22, v2
	s_and_b32 s18, s15, s0
	s_delay_alu instid0(SALU_CYCLE_1)
	s_and_saveexec_b32 s15, s18
	s_cbranch_execz .LBB399_32
; %bb.31:
	global_load_b32 v16, v[3:4], off offset:1920
.LBB399_32:
	s_or_b32 exec_lo, exec_lo, s15
	s_waitcnt vmcnt(0)
	v_cmp_gt_f32_e64 s15, v8, v9
	v_mbcnt_lo_u32_b32 v7, -1, 0
	s_mov_b32 s18, exec_lo
	s_delay_alu instid0(VALU_DEP_2) | instskip(NEXT) | instid1(VALU_DEP_2)
	v_cndmask_b32_e64 v2, v9, v8, s15
	v_xor_b32_e32 v3, 16, v7
	v_xor_b32_e32 v26, 1, v7
	s_delay_alu instid0(VALU_DEP_3) | instskip(NEXT) | instid1(VALU_DEP_1)
	v_cmp_gt_f32_e64 s15, v2, v17
	v_cndmask_b32_e64 v2, v17, v2, s15
	s_delay_alu instid0(VALU_DEP_1) | instskip(NEXT) | instid1(VALU_DEP_1)
	v_cmp_gt_f32_e64 s15, v2, v10
	v_cndmask_b32_e64 v2, v10, v2, s15
	s_delay_alu instid0(VALU_DEP_1) | instskip(NEXT) | instid1(VALU_DEP_1)
	;; [unrolled: 3-line block ×11, first 2 shown]
	v_cmp_gt_f32_e64 s15, v2, v15
	v_cndmask_b32_e64 v2, v15, v2, s15
	v_cmp_gt_i32_e64 s15, 32, v3
	s_delay_alu instid0(VALU_DEP_1) | instskip(NEXT) | instid1(VALU_DEP_3)
	v_cndmask_b32_e64 v3, v7, v3, s15
	v_cmp_gt_f32_e64 s15, v2, v23
	s_delay_alu instid0(VALU_DEP_1) | instskip(NEXT) | instid1(VALU_DEP_3)
	v_cndmask_b32_e64 v4, v23, v2, s15
	v_lshlrev_b32_e32 v2, 2, v3
	v_xor_b32_e32 v3, 8, v7
	s_delay_alu instid0(VALU_DEP_3) | instskip(NEXT) | instid1(VALU_DEP_1)
	v_cmp_gt_f32_e64 s15, v4, v16
	v_cndmask_b32_e64 v4, v16, v4, s15
	s_delay_alu instid0(VALU_DEP_3) | instskip(SKIP_2) | instid1(VALU_DEP_1)
	v_cmp_gt_i32_e64 s15, 32, v3
	ds_bpermute_b32 v6, v2, v4
	v_cndmask_b32_e64 v3, v7, v3, s15
	v_lshlrev_b32_e32 v3, 2, v3
	s_waitcnt lgkmcnt(0)
	v_cmp_lt_f32_e64 s15, v4, v6
	s_delay_alu instid0(VALU_DEP_1) | instskip(SKIP_3) | instid1(VALU_DEP_1)
	v_cndmask_b32_e64 v6, v4, v6, s15
	v_xor_b32_e32 v4, 4, v7
	ds_bpermute_b32 v24, v3, v6
	v_cmp_gt_i32_e64 s15, 32, v4
	v_cndmask_b32_e64 v4, v7, v4, s15
	s_delay_alu instid0(VALU_DEP_1) | instskip(SKIP_2) | instid1(VALU_DEP_1)
	v_lshlrev_b32_e32 v4, 2, v4
	s_waitcnt lgkmcnt(0)
	v_cmp_lt_f32_e64 s15, v6, v24
	v_cndmask_b32_e64 v24, v6, v24, s15
	v_xor_b32_e32 v6, 2, v7
	ds_bpermute_b32 v25, v4, v24
	v_cmp_gt_i32_e64 s15, 32, v6
	s_delay_alu instid0(VALU_DEP_1) | instskip(NEXT) | instid1(VALU_DEP_1)
	v_cndmask_b32_e64 v6, v7, v6, s15
	v_lshlrev_b32_e32 v6, 2, v6
	s_waitcnt lgkmcnt(0)
	v_cmp_lt_f32_e64 s15, v24, v25
	s_delay_alu instid0(VALU_DEP_1) | instskip(SKIP_3) | instid1(VALU_DEP_1)
	v_cndmask_b32_e64 v24, v24, v25, s15
	v_cmp_gt_i32_e64 s15, 32, v26
	ds_bpermute_b32 v25, v6, v24
	v_cndmask_b32_e64 v7, v7, v26, s15
	v_lshlrev_b32_e32 v7, 2, v7
	s_waitcnt lgkmcnt(0)
	v_cmp_lt_f32_e64 s15, v24, v25
	s_delay_alu instid0(VALU_DEP_1) | instskip(SKIP_3) | instid1(VALU_DEP_1)
	v_cndmask_b32_e64 v24, v24, v25, s15
	ds_bpermute_b32 v25, v7, v24
	s_waitcnt lgkmcnt(0)
	v_cmp_lt_f32_e64 s15, v24, v25
	v_cndmask_b32_e64 v24, v24, v25, s15
	s_delay_alu instid0(VALU_DEP_1)
	v_sub_f32_e32 v10, v10, v24
	v_sub_f32_e32 v9, v9, v24
	;; [unrolled: 1-line block ×10, first 2 shown]
	v_dual_sub_f32 v30, v15, v24 :: v_dual_mul_f32 v15, 0x3fb8aa3b, v9
	v_mul_f32_e32 v19, 0x3fb8aa3b, v10
	v_mul_f32_e32 v20, 0x3fb8aa3b, v18
	;; [unrolled: 1-line block ×4, first 2 shown]
	v_dual_sub_f32 v27, v21, v24 :: v_dual_mul_f32 v32, 0x3fb8aa3b, v26
	v_sub_f32_e32 v12, v12, v24
	v_sub_f32_e32 v28, v14, v24
	v_rndne_f32_e32 v43, v15
	s_delay_alu instid0(VALU_DEP_4)
	v_dual_mul_f32 v34, 0x3fb8aa3b, v27 :: v_dual_sub_f32 v31, v23, v24
	v_mul_f32_e32 v36, 0x3fb8aa3b, v29
	v_sub_f32_e32 v24, v16, v24
	v_dual_mul_f32 v16, 0x3fb8aa3b, v17 :: v_dual_mul_f32 v21, 0x3fb8aa3b, v11
	v_rndne_f32_e32 v47, v19
	v_mul_f32_e32 v14, 0x3fb8aa3b, v8
	v_dual_mul_f32 v23, 0x3fb8aa3b, v12 :: v_dual_mul_f32 v38, 0x3fb8aa3b, v31
	v_fma_f32 v46, 0x3fb8aa3b, v10, -v19
	v_rndne_f32_e32 v51, v21
	v_sub_f32_e32 v19, v19, v47
	v_fma_f32 v40, 0x3fb8aa3b, v8, -v14
	v_rndne_f32_e32 v41, v14
	v_fma_f32 v42, 0x3fb8aa3b, v9, -v15
	v_fma_f32 v50, 0x3fb8aa3b, v11, -v21
	v_rndne_f32_e32 v55, v23
	v_fmac_f32_e32 v40, 0x32a5705f, v8
	v_dual_sub_f32 v14, v14, v41 :: v_dual_sub_f32 v21, v21, v51
	v_mul_f32_e32 v37, 0x3fb8aa3b, v30
	v_mul_f32_e32 v35, 0x3fb8aa3b, v28
	v_fma_f32 v44, 0x3fb8aa3b, v17, -v16
	v_rndne_f32_e32 v45, v16
	v_rndne_f32_e32 v49, v20
	v_fma_f32 v54, 0x3fb8aa3b, v12, -v23
	v_rndne_f32_e32 v59, v33
	v_dual_fmac_f32 v42, 0x32a5705f, v9 :: v_dual_sub_f32 v15, v15, v43
	v_dual_sub_f32 v23, v23, v55 :: v_dual_add_f32 v14, v14, v40
	v_dual_mul_f32 v39, 0x3fb8aa3b, v24 :: v_dual_sub_f32 v16, v16, v45
	v_fma_f32 v48, 0x3fb8aa3b, v18, -v20
	v_fma_f32 v58, 0x3fb8aa3b, v13, -v33
	v_rndne_f32_e32 v63, v35
	v_fma_f32 v66, 0x3fb8aa3b, v30, -v37
	v_rndne_f32_e32 v67, v37
	v_dual_fmac_f32 v44, 0x32a5705f, v17 :: v_dual_sub_f32 v33, v33, v59
	v_dual_sub_f32 v20, v20, v49 :: v_dual_add_f32 v15, v15, v42
	v_exp_f32_e32 v14, v14
	v_fma_f32 v62, 0x3fb8aa3b, v28, -v35
	v_cvt_i32_f32_e32 v41, v41
	v_dual_fmac_f32 v46, 0x32a5705f, v10 :: v_dual_sub_f32 v37, v37, v67
	v_dual_sub_f32 v35, v35, v63 :: v_dual_fmac_f32 v66, 0x32a5705f, v30
	v_add_f32_e32 v16, v16, v44
	v_exp_f32_e32 v15, v15
	v_fma_f32 v52, 0x3fb8aa3b, v25, -v22
	v_rndne_f32_e32 v53, v22
	v_cvt_i32_f32_e32 v43, v43
	v_dual_fmac_f32 v58, 0x32a5705f, v13 :: v_dual_add_f32 v37, v37, v66
	v_fmac_f32_e32 v54, 0x32a5705f, v12
	v_exp_f32_e32 v16, v16
	v_ldexp_f32 v14, v14, v41
	s_delay_alu instid0(VALU_DEP_3)
	v_add_f32_e32 v33, v33, v58
	v_cmp_ngt_f32_e64 s15, 0xc2ce8ed0, v8
	v_cvt_i32_f32_e32 v45, v45
	v_dual_fmac_f32 v50, 0x32a5705f, v11 :: v_dual_add_f32 v19, v19, v46
	v_fmac_f32_e32 v52, 0x32a5705f, v25
	v_dual_sub_f32 v22, v22, v53 :: v_dual_add_f32 v23, v23, v54
	v_ldexp_f32 v15, v15, v43
	v_cndmask_b32_e64 v14, 0, v14, s15
	v_cmp_ngt_f32_e64 s15, 0xc2ce8ed0, v9
	s_delay_alu instid0(VALU_DEP_4) | instskip(SKIP_2) | instid1(VALU_DEP_3)
	v_dual_add_f32 v21, v21, v50 :: v_dual_add_f32 v22, v22, v52
	v_exp_f32_e32 v23, v23
	v_ldexp_f32 v16, v16, v45
	v_cndmask_b32_e64 v15, 0, v15, s15
	v_cmp_ngt_f32_e64 s15, 0xc2ce8ed0, v17
	v_rndne_f32_e32 v71, v39
	v_fmac_f32_e32 v48, 0x32a5705f, v18
	v_cvt_i32_f32_e32 v55, v55
	v_exp_f32_e32 v19, v19
	v_exp_f32_e32 v22, v22
	v_cndmask_b32_e64 v16, 0, v16, s15
	v_cmp_nlt_f32_e64 s15, 0x42b17218, v8
	v_fma_f32 v70, 0x3fb8aa3b, v24, -v39
	v_sub_f32_e32 v39, v39, v71
	v_cvt_i32_f32_e32 v47, v47
	v_cvt_i32_f32_e32 v53, v53
	v_add_f32_e32 v20, v20, v48
	v_ldexp_f32 v42, v23, v55
	v_cndmask_b32_e64 v23, 0x7f800000, v14, s15
	v_cmp_nlt_f32_e64 s15, 0x42b17218, v9
	v_exp_f32_e32 v21, v21
	v_exp_f32_e32 v20, v20
	v_ldexp_f32 v19, v19, v47
	v_ldexp_f32 v41, v22, v53
	v_cndmask_b32_e64 v22, 0x7f800000, v15, s15
	v_cmp_ngt_f32_e64 s15, 0xc2ce8ed0, v10
	v_cvt_i32_f32_e32 v49, v49
	v_cvt_i32_f32_e32 v51, v51
	v_rndne_f32_e32 v61, v34
	v_fma_f32 v60, 0x3fb8aa3b, v27, -v34
	v_cndmask_b32_e64 v8, 0, v19, s15
	v_cmp_nlt_f32_e64 s15, 0x42b17218, v17
	v_ldexp_f32 v20, v20, v49
	v_ldexp_f32 v40, v21, v51
	v_dual_sub_f32 v34, v34, v61 :: v_dual_add_f32 v9, v23, v22
	s_delay_alu instid0(VALU_DEP_4)
	v_cndmask_b32_e64 v21, 0x7f800000, v16, s15
	v_cmp_ngt_f32_e64 s15, 0xc2ce8ed0, v18
	v_fma_f32 v56, 0x3fb8aa3b, v26, -v32
	v_rndne_f32_e32 v57, v32
	v_fmac_f32_e32 v62, 0x32a5705f, v28
	v_fmac_f32_e32 v70, 0x32a5705f, v24
	v_cndmask_b32_e64 v14, 0, v20, s15
	v_cmp_nlt_f32_e64 s15, 0x42b17218, v10
	v_fmac_f32_e32 v56, 0x32a5705f, v26
	v_dual_sub_f32 v32, v32, v57 :: v_dual_add_f32 v35, v35, v62
	v_cvt_i32_f32_e32 v57, v57
	s_delay_alu instid0(VALU_DEP_4) | instskip(SKIP_4) | instid1(VALU_DEP_4)
	v_cndmask_b32_e64 v20, 0x7f800000, v8, s15
	v_cmp_ngt_f32_e64 s15, 0xc2ce8ed0, v11
	v_add_f32_e32 v8, v9, v21
	v_add_f32_e32 v32, v32, v56
	v_dual_fmac_f32 v60, 0x32a5705f, v27 :: v_dual_add_f32 v39, v39, v70
	v_cndmask_b32_e64 v9, 0, v40, s15
	v_cmp_nlt_f32_e64 s15, 0x42b17218, v18
	s_delay_alu instid0(VALU_DEP_4)
	v_exp_f32_e32 v32, v32
	v_exp_f32_e32 v33, v33
	v_cvt_i32_f32_e32 v59, v59
	v_add_f32_e32 v34, v34, v60
	v_cndmask_b32_e64 v19, 0x7f800000, v14, s15
	v_cmp_ngt_f32_e64 s15, 0xc2ce8ed0, v25
	v_fma_f32 v64, 0x3fb8aa3b, v29, -v36
	v_rndne_f32_e32 v65, v36
	v_exp_f32_e32 v34, v34
	v_cvt_i32_f32_e32 v61, v61
	v_cndmask_b32_e64 v10, 0, v41, s15
	v_cmp_nlt_f32_e64 s15, 0x42b17218, v11
	v_ldexp_f32 v32, v32, v57
	v_ldexp_f32 v33, v33, v59
	v_fmac_f32_e32 v64, 0x32a5705f, v29
	v_sub_f32_e32 v36, v36, v65
	v_cndmask_b32_e64 v18, 0x7f800000, v9, s15
	v_cmp_ngt_f32_e64 s15, 0xc2ce8ed0, v12
	v_exp_f32_e32 v35, v35
	v_ldexp_f32 v34, v34, v61
	v_cvt_i32_f32_e32 v63, v63
	v_add_f32_e32 v36, v36, v64
	v_cndmask_b32_e64 v9, 0, v42, s15
	v_cmp_nlt_f32_e64 s15, 0x42b17218, v25
	v_add_f32_e32 v8, v8, v20
	v_fma_f32 v68, 0x3fb8aa3b, v31, -v38
	v_exp_f32_e32 v36, v36
	v_rndne_f32_e32 v69, v38
	v_cndmask_b32_e64 v17, 0x7f800000, v10, s15
	v_cmp_ngt_f32_e64 s15, 0xc2ce8ed0, v26
	v_ldexp_f32 v35, v35, v63
	v_cvt_i32_f32_e32 v65, v65
	v_add_f32_e32 v8, v8, v19
	v_fmac_f32_e32 v68, 0x32a5705f, v31
	v_cndmask_b32_e64 v10, 0, v32, s15
	v_cmp_nlt_f32_e64 s15, 0x42b17218, v12
	v_sub_f32_e32 v38, v38, v69
	v_exp_f32_e32 v37, v37
	v_ldexp_f32 v36, v36, v65
	v_add_f32_e32 v8, v8, v18
	v_cndmask_b32_e64 v16, 0x7f800000, v9, s15
	v_cmp_ngt_f32_e64 s15, 0xc2ce8ed0, v13
	v_cvt_i32_f32_e32 v67, v67
	v_add_f32_e32 v38, v38, v68
	v_add_f32_e32 v8, v8, v17
	v_cvt_i32_f32_e32 v69, v69
	v_cndmask_b32_e64 v9, 0, v33, s15
	v_cmp_nlt_f32_e64 s15, 0x42b17218, v26
	v_exp_f32_e32 v38, v38
	v_ldexp_f32 v37, v37, v67
	v_add_f32_e32 v8, v8, v16
	v_exp_f32_e32 v39, v39
	v_cndmask_b32_e64 v15, 0x7f800000, v10, s15
	v_cmp_ngt_f32_e64 s15, 0xc2ce8ed0, v27
	v_cvt_i32_f32_e32 v71, v71
	s_delay_alu instid0(VALU_DEP_3) | instskip(NEXT) | instid1(VALU_DEP_3)
	v_add_f32_e32 v8, v8, v15
	v_cndmask_b32_e64 v10, 0, v34, s15
	v_cmp_nlt_f32_e64 s15, 0x42b17218, v13
	v_ldexp_f32 v38, v38, v69
	s_delay_alu instid0(TRANS32_DEP_1) | instskip(NEXT) | instid1(VALU_DEP_3)
	v_ldexp_f32 v26, v39, v71
	v_cndmask_b32_e64 v14, 0x7f800000, v9, s15
	v_cmp_ngt_f32_e64 s15, 0xc2ce8ed0, v28
	s_delay_alu instid0(VALU_DEP_2) | instskip(NEXT) | instid1(VALU_DEP_2)
	v_add_f32_e32 v8, v8, v14
	v_cndmask_b32_e64 v9, 0, v35, s15
	v_cmp_nlt_f32_e64 s15, 0x42b17218, v27
	s_delay_alu instid0(VALU_DEP_1) | instskip(SKIP_1) | instid1(VALU_DEP_2)
	v_cndmask_b32_e64 v13, 0x7f800000, v10, s15
	v_cmp_ngt_f32_e64 s15, 0xc2ce8ed0, v29
	v_add_f32_e32 v8, v8, v13
	s_delay_alu instid0(VALU_DEP_2) | instskip(SKIP_1) | instid1(VALU_DEP_1)
	v_cndmask_b32_e64 v10, 0, v36, s15
	v_cmp_nlt_f32_e64 s15, 0x42b17218, v28
	v_cndmask_b32_e64 v12, 0x7f800000, v9, s15
	v_cmp_ngt_f32_e64 s15, 0xc2ce8ed0, v30
	s_delay_alu instid0(VALU_DEP_2) | instskip(NEXT) | instid1(VALU_DEP_2)
	v_add_f32_e32 v8, v8, v12
	v_cndmask_b32_e64 v9, 0, v37, s15
	v_cmp_nlt_f32_e64 s15, 0x42b17218, v29
	s_delay_alu instid0(VALU_DEP_1) | instskip(SKIP_1) | instid1(VALU_DEP_2)
	v_cndmask_b32_e64 v11, 0x7f800000, v10, s15
	v_cmp_ngt_f32_e64 s15, 0xc2ce8ed0, v31
	v_add_f32_e32 v8, v8, v11
	s_delay_alu instid0(VALU_DEP_2) | instskip(SKIP_1) | instid1(VALU_DEP_1)
	v_cndmask_b32_e64 v25, 0, v38, s15
	v_cmp_nlt_f32_e64 s15, 0x42b17218, v30
	v_cndmask_b32_e64 v10, 0x7f800000, v9, s15
	v_cmp_nlt_f32_e64 s15, 0x42b17218, v31
	s_delay_alu instid0(VALU_DEP_2) | instskip(NEXT) | instid1(VALU_DEP_2)
	v_add_f32_e32 v8, v8, v10
	v_cndmask_b32_e64 v9, 0x7f800000, v25, s15
	v_cmp_ngt_f32_e64 s15, 0xc2ce8ed0, v24
	s_delay_alu instid0(VALU_DEP_1) | instskip(SKIP_1) | instid1(VALU_DEP_4)
	v_cndmask_b32_e64 v25, 0, v26, s15
	v_cmp_nlt_f32_e64 s15, 0x42b17218, v24
	v_add_f32_e32 v26, v8, v9
	s_delay_alu instid0(VALU_DEP_2) | instskip(NEXT) | instid1(VALU_DEP_1)
	v_cndmask_b32_e64 v8, 0x7f800000, v25, s15
	v_add_f32_e32 v24, v26, v8
	ds_bpermute_b32 v2, v2, v24
	s_waitcnt lgkmcnt(0)
	v_add_f32_e32 v2, v24, v2
	ds_bpermute_b32 v3, v3, v2
	s_waitcnt lgkmcnt(0)
	;; [unrolled: 3-line block ×4, first 2 shown]
	v_add_f32_e32 v2, v2, v3
	ds_bpermute_b32 v3, v7, v2
	v_cmpx_lt_i32_e32 0, v5
	s_cbranch_execz .LBB399_50
; %bb.33:
	s_and_b32 exec_lo, exec_lo, vcc_lo
	s_cbranch_execz .LBB399_50
; %bb.34:
	s_waitcnt lgkmcnt(0)
	v_add_f32_e32 v2, v2, v3
	s_delay_alu instid0(VALU_DEP_1) | instskip(SKIP_1) | instid1(VALU_DEP_2)
	v_div_scale_f32 v3, null, v2, v2, v23
	v_div_scale_f32 v6, vcc_lo, v23, v2, v23
	v_rcp_f32_e32 v4, v3
	s_waitcnt_depctr 0xfff
	v_fma_f32 v5, -v3, v4, 1.0
	s_delay_alu instid0(VALU_DEP_1) | instskip(NEXT) | instid1(VALU_DEP_1)
	v_fmac_f32_e32 v4, v5, v4
	v_mul_f32_e32 v5, v6, v4
	s_delay_alu instid0(VALU_DEP_1) | instskip(NEXT) | instid1(VALU_DEP_1)
	v_fma_f32 v7, -v3, v5, v6
	v_fmac_f32_e32 v5, v7, v4
	v_cmp_eq_f32_e64 s15, 0, v2
	s_delay_alu instid0(VALU_DEP_2) | instskip(NEXT) | instid1(VALU_DEP_1)
	v_fma_f32 v3, -v3, v5, v6
	v_div_fmas_f32 v3, v3, v4, v5
	v_add_co_u32 v0, vcc_lo, s16, v0
	v_add_co_ci_u32_e32 v1, vcc_lo, s17, v1, vcc_lo
	s_delay_alu instid0(VALU_DEP_3) | instskip(NEXT) | instid1(VALU_DEP_1)
	v_div_fixup_f32 v3, v3, v2, v23
	v_cndmask_b32_e64 v3, v3, 0x7fc00000, s15
	global_store_b32 v[0:1], v3, off
	s_and_b32 exec_lo, exec_lo, s14
	s_cbranch_execz .LBB399_50
; %bb.35:
	v_div_scale_f32 v3, null, v2, v2, v22
	s_delay_alu instid0(VALU_DEP_1) | instskip(SKIP_2) | instid1(VALU_DEP_1)
	v_rcp_f32_e32 v4, v3
	s_waitcnt_depctr 0xfff
	v_fma_f32 v5, -v3, v4, 1.0
	v_fmac_f32_e32 v4, v5, v4
	v_div_scale_f32 v5, vcc_lo, v22, v2, v22
	s_delay_alu instid0(VALU_DEP_1) | instskip(NEXT) | instid1(VALU_DEP_1)
	v_mul_f32_e32 v6, v5, v4
	v_fma_f32 v7, -v3, v6, v5
	s_delay_alu instid0(VALU_DEP_1) | instskip(NEXT) | instid1(VALU_DEP_1)
	v_fmac_f32_e32 v6, v7, v4
	v_fma_f32 v3, -v3, v6, v5
	s_delay_alu instid0(VALU_DEP_1) | instskip(NEXT) | instid1(VALU_DEP_1)
	v_div_fmas_f32 v3, v3, v4, v6
	v_div_fixup_f32 v3, v3, v2, v22
	s_delay_alu instid0(VALU_DEP_1)
	v_cndmask_b32_e64 v3, v3, 0x7fc00000, s15
	global_store_b32 v[0:1], v3, off offset:128
	s_and_b32 exec_lo, exec_lo, s13
	s_cbranch_execz .LBB399_50
; %bb.36:
	v_div_scale_f32 v3, null, v2, v2, v21
	s_delay_alu instid0(VALU_DEP_1) | instskip(SKIP_2) | instid1(VALU_DEP_1)
	v_rcp_f32_e32 v4, v3
	s_waitcnt_depctr 0xfff
	v_fma_f32 v5, -v3, v4, 1.0
	v_fmac_f32_e32 v4, v5, v4
	v_div_scale_f32 v5, vcc_lo, v21, v2, v21
	s_delay_alu instid0(VALU_DEP_1) | instskip(NEXT) | instid1(VALU_DEP_1)
	v_mul_f32_e32 v6, v5, v4
	v_fma_f32 v7, -v3, v6, v5
	s_delay_alu instid0(VALU_DEP_1) | instskip(NEXT) | instid1(VALU_DEP_1)
	v_fmac_f32_e32 v6, v7, v4
	v_fma_f32 v3, -v3, v6, v5
	s_delay_alu instid0(VALU_DEP_1) | instskip(NEXT) | instid1(VALU_DEP_1)
	v_div_fmas_f32 v3, v3, v4, v6
	v_div_fixup_f32 v3, v3, v2, v21
	s_delay_alu instid0(VALU_DEP_1)
	v_cndmask_b32_e64 v3, v3, 0x7fc00000, s15
	global_store_b32 v[0:1], v3, off offset:256
	;; [unrolled: 22-line block ×15, first 2 shown]
.LBB399_50:
	s_nop 0
	s_sendmsg sendmsg(MSG_DEALLOC_VGPRS)
	s_endpgm
	.section	.rodata,"a",@progbits
	.p2align	6, 0x0
	.amdhsa_kernel _ZN12_GLOBAL__N_120softmax_warp_forwardIfffLi9ELb0ELb0ELi32EEEvPT0_PKT_iiiPKbib
		.amdhsa_group_segment_fixed_size 0
		.amdhsa_private_segment_fixed_size 0
		.amdhsa_kernarg_size 304
		.amdhsa_user_sgpr_count 15
		.amdhsa_user_sgpr_dispatch_ptr 0
		.amdhsa_user_sgpr_queue_ptr 0
		.amdhsa_user_sgpr_kernarg_segment_ptr 1
		.amdhsa_user_sgpr_dispatch_id 0
		.amdhsa_user_sgpr_private_segment_size 0
		.amdhsa_wavefront_size32 1
		.amdhsa_uses_dynamic_stack 0
		.amdhsa_enable_private_segment 0
		.amdhsa_system_sgpr_workgroup_id_x 1
		.amdhsa_system_sgpr_workgroup_id_y 0
		.amdhsa_system_sgpr_workgroup_id_z 0
		.amdhsa_system_sgpr_workgroup_info 0
		.amdhsa_system_vgpr_workitem_id 1
		.amdhsa_next_free_vgpr 72
		.amdhsa_next_free_sgpr 24
		.amdhsa_reserve_vcc 1
		.amdhsa_float_round_mode_32 0
		.amdhsa_float_round_mode_16_64 0
		.amdhsa_float_denorm_mode_32 3
		.amdhsa_float_denorm_mode_16_64 3
		.amdhsa_dx10_clamp 1
		.amdhsa_ieee_mode 1
		.amdhsa_fp16_overflow 0
		.amdhsa_workgroup_processor_mode 1
		.amdhsa_memory_ordered 1
		.amdhsa_forward_progress 0
		.amdhsa_shared_vgpr_count 0
		.amdhsa_exception_fp_ieee_invalid_op 0
		.amdhsa_exception_fp_denorm_src 0
		.amdhsa_exception_fp_ieee_div_zero 0
		.amdhsa_exception_fp_ieee_overflow 0
		.amdhsa_exception_fp_ieee_underflow 0
		.amdhsa_exception_fp_ieee_inexact 0
		.amdhsa_exception_int_div_zero 0
	.end_amdhsa_kernel
	.section	.text._ZN12_GLOBAL__N_120softmax_warp_forwardIfffLi9ELb0ELb0ELi32EEEvPT0_PKT_iiiPKbib,"axG",@progbits,_ZN12_GLOBAL__N_120softmax_warp_forwardIfffLi9ELb0ELb0ELi32EEEvPT0_PKT_iiiPKbib,comdat
.Lfunc_end399:
	.size	_ZN12_GLOBAL__N_120softmax_warp_forwardIfffLi9ELb0ELb0ELi32EEEvPT0_PKT_iiiPKbib, .Lfunc_end399-_ZN12_GLOBAL__N_120softmax_warp_forwardIfffLi9ELb0ELb0ELi32EEEvPT0_PKT_iiiPKbib
                                        ; -- End function
	.section	.AMDGPU.csdata,"",@progbits
; Kernel info:
; codeLenInByte = 5456
; NumSgprs: 26
; NumVgprs: 72
; ScratchSize: 0
; MemoryBound: 0
; FloatMode: 240
; IeeeMode: 1
; LDSByteSize: 0 bytes/workgroup (compile time only)
; SGPRBlocks: 3
; VGPRBlocks: 8
; NumSGPRsForWavesPerEU: 26
; NumVGPRsForWavesPerEU: 72
; Occupancy: 16
; WaveLimiterHint : 0
; COMPUTE_PGM_RSRC2:SCRATCH_EN: 0
; COMPUTE_PGM_RSRC2:USER_SGPR: 15
; COMPUTE_PGM_RSRC2:TRAP_HANDLER: 0
; COMPUTE_PGM_RSRC2:TGID_X_EN: 1
; COMPUTE_PGM_RSRC2:TGID_Y_EN: 0
; COMPUTE_PGM_RSRC2:TGID_Z_EN: 0
; COMPUTE_PGM_RSRC2:TIDIG_COMP_CNT: 1
	.section	.text._ZN12_GLOBAL__N_120softmax_warp_forwardIfffLi10ELb0ELb0ELi64EEEvPT0_PKT_iiiPKbib,"axG",@progbits,_ZN12_GLOBAL__N_120softmax_warp_forwardIfffLi10ELb0ELb0ELi64EEEvPT0_PKT_iiiPKbib,comdat
	.globl	_ZN12_GLOBAL__N_120softmax_warp_forwardIfffLi10ELb0ELb0ELi64EEEvPT0_PKT_iiiPKbib ; -- Begin function _ZN12_GLOBAL__N_120softmax_warp_forwardIfffLi10ELb0ELb0ELi64EEEvPT0_PKT_iiiPKbib
	.p2align	8
	.type	_ZN12_GLOBAL__N_120softmax_warp_forwardIfffLi10ELb0ELb0ELi64EEEvPT0_PKT_iiiPKbib,@function
_ZN12_GLOBAL__N_120softmax_warp_forwardIfffLi10ELb0ELb0ELi64EEEvPT0_PKT_iiiPKbib: ; @_ZN12_GLOBAL__N_120softmax_warp_forwardIfffLi10ELb0ELb0ELi64EEEvPT0_PKT_iiiPKbib
; %bb.0:
	s_clause 0x1
	s_load_b32 s2, s[0:1], 0x3c
	s_load_b256 s[16:23], s[0:1], 0x0
	v_bfe_u32 v1, v0, 10, 10
	v_dual_mov_b32 v10, 0xff800000 :: v_dual_mov_b32 v9, 0xff800000
	s_waitcnt lgkmcnt(0)
	s_lshr_b32 s0, s2, 16
	s_delay_alu instid0(VALU_DEP_2) | instid1(SALU_CYCLE_1)
	v_mad_u64_u32 v[3:4], null, s15, s0, v[1:2]
	v_and_b32_e32 v2, 0x3ff, v0
	s_delay_alu instid0(VALU_DEP_1) | instskip(NEXT) | instid1(VALU_DEP_3)
	v_cmp_gt_i32_e32 vcc_lo, s22, v2
	v_mad_u64_u32 v[0:1], null, v3, s21, v[2:3]
	v_sub_nc_u32_e32 v5, s20, v3
	s_delay_alu instid0(VALU_DEP_1) | instskip(NEXT) | instid1(VALU_DEP_3)
	v_cmp_lt_i32_e64 s15, 0, v5
	v_ashrrev_i32_e32 v1, 31, v0
	s_delay_alu instid0(VALU_DEP_2) | instskip(NEXT) | instid1(VALU_DEP_1)
	s_and_b32 s1, s15, vcc_lo
	v_lshlrev_b64 v[0:1], 2, v[0:1]
	s_delay_alu instid0(VALU_DEP_1) | instskip(NEXT) | instid1(VALU_DEP_1)
	v_add_co_u32 v3, s0, s18, v0
	v_add_co_ci_u32_e64 v4, s0, s19, v1, s0
	s_and_saveexec_b32 s0, s1
	s_cbranch_execz .LBB400_2
; %bb.1:
	global_load_b32 v9, v[3:4], off
.LBB400_2:
	s_or_b32 exec_lo, exec_lo, s0
	v_add_nc_u32_e32 v6, 64, v2
	s_delay_alu instid0(VALU_DEP_1) | instskip(NEXT) | instid1(VALU_DEP_1)
	v_cmp_gt_i32_e64 s14, s22, v6
	s_and_b32 s1, s15, s14
	s_delay_alu instid0(SALU_CYCLE_1)
	s_and_saveexec_b32 s0, s1
	s_cbranch_execz .LBB400_4
; %bb.3:
	global_load_b32 v10, v[3:4], off offset:256
.LBB400_4:
	s_or_b32 exec_lo, exec_lo, s0
	v_add_nc_u32_e32 v6, 0x80, v2
	v_dual_mov_b32 v11, 0xff800000 :: v_dual_mov_b32 v18, 0xff800000
	s_delay_alu instid0(VALU_DEP_2) | instskip(NEXT) | instid1(VALU_DEP_1)
	v_cmp_gt_i32_e64 s13, s22, v6
	s_and_b32 s1, s15, s13
	s_delay_alu instid0(SALU_CYCLE_1)
	s_and_saveexec_b32 s0, s1
	s_cbranch_execz .LBB400_6
; %bb.5:
	global_load_b32 v18, v[3:4], off offset:512
.LBB400_6:
	s_or_b32 exec_lo, exec_lo, s0
	v_add_nc_u32_e32 v6, 0xc0, v2
	s_delay_alu instid0(VALU_DEP_1) | instskip(NEXT) | instid1(VALU_DEP_1)
	v_cmp_gt_i32_e64 s12, s22, v6
	s_and_b32 s1, s15, s12
	s_delay_alu instid0(SALU_CYCLE_1)
	s_and_saveexec_b32 s0, s1
	s_cbranch_execz .LBB400_8
; %bb.7:
	global_load_b32 v11, v[3:4], off offset:768
.LBB400_8:
	s_or_b32 exec_lo, exec_lo, s0
	v_add_nc_u32_e32 v6, 0x100, v2
	v_dual_mov_b32 v12, 0xff800000 :: v_dual_mov_b32 v19, 0xff800000
	s_delay_alu instid0(VALU_DEP_2) | instskip(NEXT) | instid1(VALU_DEP_1)
	v_cmp_gt_i32_e64 s11, s22, v6
	s_and_b32 s1, s15, s11
	s_delay_alu instid0(SALU_CYCLE_1)
	s_and_saveexec_b32 s0, s1
	s_cbranch_execz .LBB400_10
; %bb.9:
	global_load_b32 v19, v[3:4], off offset:1024
.LBB400_10:
	;; [unrolled: 23-line block ×7, first 2 shown]
	s_or_b32 exec_lo, exec_lo, s0
	v_add_nc_u32_e32 v2, 0x3c0, v2
	s_delay_alu instid0(VALU_DEP_1) | instskip(NEXT) | instid1(VALU_DEP_1)
	v_cmp_gt_i32_e64 s0, s22, v2
	s_and_b32 s18, s15, s0
	s_delay_alu instid0(SALU_CYCLE_1)
	s_and_saveexec_b32 s15, s18
	s_cbranch_execz .LBB400_32
; %bb.31:
	global_load_b32 v17, v[3:4], off offset:3840
.LBB400_32:
	s_or_b32 exec_lo, exec_lo, s15
	s_waitcnt vmcnt(0)
	v_cmp_gt_f32_e64 s15, v9, v10
	v_mbcnt_lo_u32_b32 v8, -1, 0
	s_mov_b32 s18, exec_lo
	s_delay_alu instid0(VALU_DEP_2) | instskip(NEXT) | instid1(VALU_DEP_2)
	v_cndmask_b32_e64 v2, v10, v9, s15
	v_or_b32_e32 v3, 32, v8
	v_xor_b32_e32 v27, 1, v8
	s_delay_alu instid0(VALU_DEP_3) | instskip(NEXT) | instid1(VALU_DEP_1)
	v_cmp_gt_f32_e64 s15, v2, v18
	v_cndmask_b32_e64 v2, v18, v2, s15
	s_delay_alu instid0(VALU_DEP_1) | instskip(NEXT) | instid1(VALU_DEP_1)
	v_cmp_gt_f32_e64 s15, v2, v11
	v_cndmask_b32_e64 v2, v11, v2, s15
	s_delay_alu instid0(VALU_DEP_1) | instskip(NEXT) | instid1(VALU_DEP_1)
	;; [unrolled: 3-line block ×11, first 2 shown]
	v_cmp_gt_f32_e64 s15, v2, v16
	v_cndmask_b32_e64 v2, v16, v2, s15
	v_cmp_gt_i32_e64 s15, 64, v3
	s_delay_alu instid0(VALU_DEP_1) | instskip(NEXT) | instid1(VALU_DEP_3)
	v_cndmask_b32_e64 v3, v8, v3, s15
	v_cmp_gt_f32_e64 s15, v2, v24
	s_delay_alu instid0(VALU_DEP_1) | instskip(NEXT) | instid1(VALU_DEP_3)
	v_cndmask_b32_e64 v4, v24, v2, s15
	v_lshlrev_b32_e32 v2, 2, v3
	v_xor_b32_e32 v3, 16, v8
	s_delay_alu instid0(VALU_DEP_3) | instskip(NEXT) | instid1(VALU_DEP_1)
	v_cmp_gt_f32_e64 s15, v4, v17
	v_cndmask_b32_e64 v4, v17, v4, s15
	s_delay_alu instid0(VALU_DEP_3) | instskip(SKIP_2) | instid1(VALU_DEP_1)
	v_cmp_gt_i32_e64 s15, 64, v3
	ds_bpermute_b32 v6, v2, v4
	v_cndmask_b32_e64 v3, v8, v3, s15
	v_lshlrev_b32_e32 v3, 2, v3
	s_waitcnt lgkmcnt(0)
	v_cmp_lt_f32_e64 s15, v4, v6
	s_delay_alu instid0(VALU_DEP_1) | instskip(SKIP_3) | instid1(VALU_DEP_1)
	v_cndmask_b32_e64 v6, v4, v6, s15
	v_xor_b32_e32 v4, 8, v8
	ds_bpermute_b32 v7, v3, v6
	v_cmp_gt_i32_e64 s15, 64, v4
	v_cndmask_b32_e64 v4, v8, v4, s15
	s_delay_alu instid0(VALU_DEP_1) | instskip(SKIP_2) | instid1(VALU_DEP_1)
	v_lshlrev_b32_e32 v4, 2, v4
	s_waitcnt lgkmcnt(0)
	v_cmp_lt_f32_e64 s15, v6, v7
	v_cndmask_b32_e64 v7, v6, v7, s15
	v_xor_b32_e32 v6, 4, v8
	ds_bpermute_b32 v25, v4, v7
	v_cmp_gt_i32_e64 s15, 64, v6
	s_delay_alu instid0(VALU_DEP_1) | instskip(NEXT) | instid1(VALU_DEP_1)
	v_cndmask_b32_e64 v6, v8, v6, s15
	v_lshlrev_b32_e32 v6, 2, v6
	s_waitcnt lgkmcnt(0)
	v_cmp_lt_f32_e64 s15, v7, v25
	s_delay_alu instid0(VALU_DEP_1) | instskip(SKIP_3) | instid1(VALU_DEP_1)
	v_cndmask_b32_e64 v25, v7, v25, s15
	v_xor_b32_e32 v7, 2, v8
	ds_bpermute_b32 v26, v6, v25
	v_cmp_gt_i32_e64 s15, 64, v7
	v_cndmask_b32_e64 v7, v8, v7, s15
	s_delay_alu instid0(VALU_DEP_1) | instskip(SKIP_2) | instid1(VALU_DEP_1)
	v_lshlrev_b32_e32 v7, 2, v7
	s_waitcnt lgkmcnt(0)
	v_cmp_lt_f32_e64 s15, v25, v26
	v_cndmask_b32_e64 v25, v25, v26, s15
	v_cmp_gt_i32_e64 s15, 64, v27
	ds_bpermute_b32 v26, v7, v25
	v_cndmask_b32_e64 v8, v8, v27, s15
	s_delay_alu instid0(VALU_DEP_1) | instskip(SKIP_2) | instid1(VALU_DEP_1)
	v_lshlrev_b32_e32 v8, 2, v8
	s_waitcnt lgkmcnt(0)
	v_cmp_lt_f32_e64 s15, v25, v26
	v_cndmask_b32_e64 v25, v25, v26, s15
	ds_bpermute_b32 v26, v8, v25
	s_waitcnt lgkmcnt(0)
	v_cmp_lt_f32_e64 s15, v25, v26
	s_delay_alu instid0(VALU_DEP_1) | instskip(NEXT) | instid1(VALU_DEP_1)
	v_cndmask_b32_e64 v25, v25, v26, s15
	v_sub_f32_e32 v13, v13, v25
	v_sub_f32_e32 v10, v10, v25
	;; [unrolled: 1-line block ×8, first 2 shown]
	v_dual_sub_f32 v31, v16, v25 :: v_dual_mul_f32 v16, 0x3fb8aa3b, v10
	v_sub_f32_e32 v28, v22, v25
	v_sub_f32_e32 v11, v11, v25
	s_delay_alu instid0(VALU_DEP_4) | instskip(SKIP_1) | instid1(VALU_DEP_4)
	v_mul_f32_e32 v33, 0x3fb8aa3b, v27
	v_sub_f32_e32 v29, v15, v25
	v_dual_sub_f32 v30, v23, v25 :: v_dual_mul_f32 v35, 0x3fb8aa3b, v28
	v_dual_sub_f32 v32, v24, v25 :: v_dual_mul_f32 v21, 0x3fb8aa3b, v19
	v_dual_sub_f32 v14, v14, v25 :: v_dual_mul_f32 v23, 0x3fb8aa3b, v26
	v_sub_f32_e32 v25, v17, v25
	v_dual_mul_f32 v17, 0x3fb8aa3b, v18 :: v_dual_mul_f32 v22, 0x3fb8aa3b, v12
	s_delay_alu instid0(VALU_DEP_3)
	v_dual_mul_f32 v34, 0x3fb8aa3b, v14 :: v_dual_mul_f32 v15, 0x3fb8aa3b, v9
	v_mul_f32_e32 v38, 0x3fb8aa3b, v31
	v_mul_f32_e32 v20, 0x3fb8aa3b, v11
	v_fma_f32 v43, 0x3fb8aa3b, v10, -v16
	v_rndne_f32_e32 v44, v16
	v_fma_f32 v41, 0x3fb8aa3b, v9, -v15
	v_rndne_f32_e32 v42, v15
	v_mul_f32_e32 v36, 0x3fb8aa3b, v29
	v_fma_f32 v45, 0x3fb8aa3b, v18, -v17
	v_rndne_f32_e32 v46, v17
	v_dual_fmac_f32 v41, 0x32a5705f, v9 :: v_dual_sub_f32 v16, v16, v44
	v_sub_f32_e32 v15, v15, v42
	v_rndne_f32_e32 v48, v20
	v_fma_f32 v51, 0x3fb8aa3b, v12, -v22
	v_fmac_f32_e32 v43, 0x32a5705f, v10
	v_mul_f32_e32 v37, 0x3fb8aa3b, v30
	v_add_f32_e32 v15, v15, v41
	v_dual_mul_f32 v24, 0x3fb8aa3b, v13 :: v_dual_mul_f32 v39, 0x3fb8aa3b, v32
	v_dual_mul_f32 v40, 0x3fb8aa3b, v25 :: v_dual_sub_f32 v17, v17, v46
	v_fma_f32 v47, 0x3fb8aa3b, v11, -v20
	v_rndne_f32_e32 v52, v22
	v_dual_fmac_f32 v45, 0x32a5705f, v18 :: v_dual_sub_f32 v20, v20, v48
	v_dual_fmac_f32 v51, 0x32a5705f, v12 :: v_dual_add_f32 v16, v16, v43
	v_exp_f32_e32 v15, v15
	v_fma_f32 v55, 0x3fb8aa3b, v13, -v24
	v_rndne_f32_e32 v56, v24
	v_cvt_i32_f32_e32 v42, v42
	v_dual_sub_f32 v22, v22, v52 :: v_dual_add_f32 v17, v17, v45
	v_exp_f32_e32 v16, v16
	v_fma_f32 v53, 0x3fb8aa3b, v26, -v23
	v_rndne_f32_e32 v54, v23
	v_fma_f32 v59, 0x3fb8aa3b, v14, -v34
	v_cvt_i32_f32_e32 v44, v44
	v_dual_fmac_f32 v47, 0x32a5705f, v11 :: v_dual_sub_f32 v24, v24, v56
	v_fmac_f32_e32 v55, 0x32a5705f, v13
	v_exp_f32_e32 v17, v17
	v_ldexp_f32 v15, v15, v42
	s_delay_alu instid0(VALU_DEP_3)
	v_add_f32_e32 v20, v20, v47
	v_cmp_ngt_f32_e64 s15, 0xc2ce8ed0, v9
	v_rndne_f32_e32 v68, v38
	v_rndne_f32_e32 v72, v40
	v_cvt_i32_f32_e32 v46, v46
	v_fmac_f32_e32 v53, 0x32a5705f, v26
	v_sub_f32_e32 v23, v23, v54
	v_dual_fmac_f32 v59, 0x32a5705f, v14 :: v_dual_add_f32 v24, v24, v55
	v_ldexp_f32 v16, v16, v44
	v_cndmask_b32_e64 v15, 0, v15, s15
	v_cmp_ngt_f32_e64 s15, 0xc2ce8ed0, v10
	v_fma_f32 v49, 0x3fb8aa3b, v19, -v21
	v_rndne_f32_e32 v50, v21
	v_fma_f32 v67, 0x3fb8aa3b, v31, -v38
	v_fma_f32 v71, 0x3fb8aa3b, v25, -v40
	v_sub_f32_e32 v38, v38, v68
	v_dual_sub_f32 v40, v40, v72 :: v_dual_add_f32 v23, v23, v53
	v_exp_f32_e32 v24, v24
	v_ldexp_f32 v17, v17, v46
	v_cndmask_b32_e64 v16, 0, v16, s15
	v_cmp_ngt_f32_e64 s15, 0xc2ce8ed0, v18
	v_rndne_f32_e32 v58, v33
	v_rndne_f32_e32 v60, v34
	;; [unrolled: 1-line block ×3, first 2 shown]
	v_fmac_f32_e32 v49, 0x32a5705f, v19
	v_sub_f32_e32 v21, v21, v50
	v_cvt_i32_f32_e32 v56, v56
	v_exp_f32_e32 v20, v20
	v_exp_f32_e32 v23, v23
	v_cndmask_b32_e64 v17, 0, v17, s15
	v_cmp_nlt_f32_e64 s15, 0x42b17218, v9
	v_fma_f32 v57, 0x3fb8aa3b, v27, -v33
	v_fma_f32 v63, 0x3fb8aa3b, v29, -v36
	v_sub_f32_e32 v36, v36, v64
	v_cvt_i32_f32_e32 v48, v48
	v_cvt_i32_f32_e32 v54, v54
	v_dual_sub_f32 v33, v33, v58 :: v_dual_add_f32 v22, v22, v51
	v_dual_sub_f32 v34, v34, v60 :: v_dual_add_f32 v21, v21, v49
	v_ldexp_f32 v43, v24, v56
	v_cndmask_b32_e64 v24, 0x7f800000, v15, s15
	v_cmp_nlt_f32_e64 s15, 0x42b17218, v10
	v_exp_f32_e32 v22, v22
	v_exp_f32_e32 v21, v21
	v_ldexp_f32 v20, v20, v48
	v_ldexp_f32 v42, v23, v54
	v_cndmask_b32_e64 v23, 0x7f800000, v16, s15
	v_cmp_ngt_f32_e64 s15, 0xc2ce8ed0, v11
	v_cvt_i32_f32_e32 v50, v50
	v_cvt_i32_f32_e32 v52, v52
	v_rndne_f32_e32 v66, v37
	v_fma_f32 v65, 0x3fb8aa3b, v30, -v37
	v_cndmask_b32_e64 v9, 0, v20, s15
	v_cmp_nlt_f32_e64 s15, 0x42b17218, v18
	v_ldexp_f32 v21, v21, v50
	v_ldexp_f32 v41, v22, v52
	v_dual_sub_f32 v37, v37, v66 :: v_dual_add_f32 v10, v24, v23
	s_delay_alu instid0(VALU_DEP_4)
	v_cndmask_b32_e64 v22, 0x7f800000, v17, s15
	v_cmp_ngt_f32_e64 s15, 0xc2ce8ed0, v19
	v_fmac_f32_e32 v57, 0x32a5705f, v27
	v_fma_f32 v61, 0x3fb8aa3b, v28, -v35
	v_rndne_f32_e32 v62, v35
	v_cvt_i32_f32_e32 v58, v58
	v_cndmask_b32_e64 v15, 0, v21, s15
	v_cmp_nlt_f32_e64 s15, 0x42b17218, v11
	v_add_f32_e32 v33, v33, v57
	v_dual_fmac_f32 v61, 0x32a5705f, v28 :: v_dual_add_f32 v34, v34, v59
	v_fmac_f32_e32 v67, 0x32a5705f, v31
	s_delay_alu instid0(VALU_DEP_4) | instskip(SKIP_4) | instid1(VALU_DEP_3)
	v_cndmask_b32_e64 v21, 0x7f800000, v9, s15
	v_cmp_ngt_f32_e64 s15, 0xc2ce8ed0, v12
	v_add_f32_e32 v9, v10, v22
	v_exp_f32_e32 v33, v33
	v_dual_fmac_f32 v63, 0x32a5705f, v29 :: v_dual_add_f32 v38, v38, v67
	v_cndmask_b32_e64 v10, 0, v41, s15
	v_cmp_nlt_f32_e64 s15, 0x42b17218, v19
	s_delay_alu instid0(VALU_DEP_3) | instskip(SKIP_2) | instid1(VALU_DEP_3)
	v_dual_sub_f32 v35, v35, v62 :: v_dual_add_f32 v36, v36, v63
	v_exp_f32_e32 v34, v34
	v_cvt_i32_f32_e32 v60, v60
	v_cndmask_b32_e64 v20, 0x7f800000, v15, s15
	v_cmp_ngt_f32_e64 s15, 0xc2ce8ed0, v26
	s_delay_alu instid0(TRANS32_DEP_2)
	v_ldexp_f32 v33, v33, v58
	v_add_f32_e32 v35, v35, v61
	v_cvt_i32_f32_e32 v62, v62
	v_fmac_f32_e32 v71, 0x32a5705f, v25
	v_cndmask_b32_e64 v11, 0, v42, s15
	v_cmp_nlt_f32_e64 s15, 0x42b17218, v12
	v_exp_f32_e32 v35, v35
	v_ldexp_f32 v34, v34, v60
	v_dual_fmac_f32 v65, 0x32a5705f, v30 :: v_dual_add_f32 v40, v40, v71
	s_delay_alu instid0(VALU_DEP_3)
	v_cndmask_b32_e64 v19, 0x7f800000, v10, s15
	v_cmp_ngt_f32_e64 s15, 0xc2ce8ed0, v13
	v_exp_f32_e32 v36, v36
	v_cvt_i32_f32_e32 v64, v64
	v_add_f32_e32 v37, v37, v65
	v_add_f32_e32 v9, v9, v21
	v_cndmask_b32_e64 v10, 0, v43, s15
	v_cmp_nlt_f32_e64 s15, 0x42b17218, v26
	v_ldexp_f32 v35, v35, v62
	v_exp_f32_e32 v37, v37
	v_fma_f32 v69, 0x3fb8aa3b, v32, -v39
	v_rndne_f32_e32 v70, v39
	v_cndmask_b32_e64 v18, 0x7f800000, v11, s15
	v_cmp_ngt_f32_e64 s15, 0xc2ce8ed0, v27
	v_ldexp_f32 v36, v36, v64
	v_cvt_i32_f32_e32 v66, v66
	v_add_f32_e32 v9, v9, v20
	v_fmac_f32_e32 v69, 0x32a5705f, v32
	v_cndmask_b32_e64 v11, 0, v33, s15
	v_cmp_nlt_f32_e64 s15, 0x42b17218, v13
	v_sub_f32_e32 v39, v39, v70
	v_exp_f32_e32 v38, v38
	v_ldexp_f32 v37, v37, v66
	v_add_f32_e32 v9, v9, v19
	v_cndmask_b32_e64 v17, 0x7f800000, v10, s15
	v_cmp_ngt_f32_e64 s15, 0xc2ce8ed0, v14
	v_cvt_i32_f32_e32 v68, v68
	v_add_f32_e32 v39, v39, v69
	v_add_f32_e32 v9, v9, v18
	v_cvt_i32_f32_e32 v70, v70
	v_cndmask_b32_e64 v10, 0, v34, s15
	v_cmp_nlt_f32_e64 s15, 0x42b17218, v27
	v_exp_f32_e32 v39, v39
	v_ldexp_f32 v38, v38, v68
	v_add_f32_e32 v9, v9, v17
	v_exp_f32_e32 v40, v40
	v_cndmask_b32_e64 v16, 0x7f800000, v11, s15
	v_cmp_ngt_f32_e64 s15, 0xc2ce8ed0, v28
	v_cvt_i32_f32_e32 v72, v72
	s_delay_alu instid0(VALU_DEP_3) | instskip(NEXT) | instid1(VALU_DEP_3)
	v_add_f32_e32 v9, v9, v16
	v_cndmask_b32_e64 v11, 0, v35, s15
	v_cmp_nlt_f32_e64 s15, 0x42b17218, v14
	v_ldexp_f32 v39, v39, v70
	s_delay_alu instid0(TRANS32_DEP_1) | instskip(NEXT) | instid1(VALU_DEP_3)
	v_ldexp_f32 v27, v40, v72
	v_cndmask_b32_e64 v15, 0x7f800000, v10, s15
	v_cmp_ngt_f32_e64 s15, 0xc2ce8ed0, v29
	s_delay_alu instid0(VALU_DEP_2) | instskip(NEXT) | instid1(VALU_DEP_2)
	v_add_f32_e32 v9, v9, v15
	v_cndmask_b32_e64 v10, 0, v36, s15
	v_cmp_nlt_f32_e64 s15, 0x42b17218, v28
	s_delay_alu instid0(VALU_DEP_1) | instskip(SKIP_1) | instid1(VALU_DEP_2)
	v_cndmask_b32_e64 v14, 0x7f800000, v11, s15
	v_cmp_ngt_f32_e64 s15, 0xc2ce8ed0, v30
	v_add_f32_e32 v9, v9, v14
	s_delay_alu instid0(VALU_DEP_2) | instskip(SKIP_1) | instid1(VALU_DEP_1)
	v_cndmask_b32_e64 v11, 0, v37, s15
	v_cmp_nlt_f32_e64 s15, 0x42b17218, v29
	v_cndmask_b32_e64 v13, 0x7f800000, v10, s15
	v_cmp_ngt_f32_e64 s15, 0xc2ce8ed0, v31
	s_delay_alu instid0(VALU_DEP_2) | instskip(NEXT) | instid1(VALU_DEP_2)
	v_add_f32_e32 v9, v9, v13
	v_cndmask_b32_e64 v10, 0, v38, s15
	v_cmp_nlt_f32_e64 s15, 0x42b17218, v30
	s_delay_alu instid0(VALU_DEP_1) | instskip(SKIP_1) | instid1(VALU_DEP_2)
	v_cndmask_b32_e64 v12, 0x7f800000, v11, s15
	v_cmp_ngt_f32_e64 s15, 0xc2ce8ed0, v32
	v_add_f32_e32 v9, v9, v12
	s_delay_alu instid0(VALU_DEP_2) | instskip(SKIP_1) | instid1(VALU_DEP_1)
	v_cndmask_b32_e64 v26, 0, v39, s15
	v_cmp_nlt_f32_e64 s15, 0x42b17218, v31
	v_cndmask_b32_e64 v11, 0x7f800000, v10, s15
	v_cmp_nlt_f32_e64 s15, 0x42b17218, v32
	s_delay_alu instid0(VALU_DEP_2) | instskip(NEXT) | instid1(VALU_DEP_2)
	v_add_f32_e32 v9, v9, v11
	v_cndmask_b32_e64 v10, 0x7f800000, v26, s15
	v_cmp_ngt_f32_e64 s15, 0xc2ce8ed0, v25
	s_delay_alu instid0(VALU_DEP_1) | instskip(SKIP_1) | instid1(VALU_DEP_4)
	v_cndmask_b32_e64 v26, 0, v27, s15
	v_cmp_nlt_f32_e64 s15, 0x42b17218, v25
	v_add_f32_e32 v27, v9, v10
	s_delay_alu instid0(VALU_DEP_2) | instskip(NEXT) | instid1(VALU_DEP_1)
	v_cndmask_b32_e64 v9, 0x7f800000, v26, s15
	v_add_f32_e32 v25, v27, v9
	ds_bpermute_b32 v2, v2, v25
	s_waitcnt lgkmcnt(0)
	v_add_f32_e32 v2, v25, v2
	ds_bpermute_b32 v3, v3, v2
	s_waitcnt lgkmcnt(0)
	;; [unrolled: 3-line block ×5, first 2 shown]
	v_add_f32_e32 v2, v2, v3
	ds_bpermute_b32 v3, v8, v2
	v_cmpx_lt_i32_e32 0, v5
	s_cbranch_execz .LBB400_50
; %bb.33:
	s_and_b32 exec_lo, exec_lo, vcc_lo
	s_cbranch_execz .LBB400_50
; %bb.34:
	s_waitcnt lgkmcnt(0)
	v_add_f32_e32 v2, v2, v3
	s_delay_alu instid0(VALU_DEP_1) | instskip(SKIP_1) | instid1(VALU_DEP_2)
	v_div_scale_f32 v3, null, v2, v2, v24
	v_div_scale_f32 v6, vcc_lo, v24, v2, v24
	v_rcp_f32_e32 v4, v3
	s_waitcnt_depctr 0xfff
	v_fma_f32 v5, -v3, v4, 1.0
	s_delay_alu instid0(VALU_DEP_1) | instskip(NEXT) | instid1(VALU_DEP_1)
	v_fmac_f32_e32 v4, v5, v4
	v_mul_f32_e32 v5, v6, v4
	s_delay_alu instid0(VALU_DEP_1) | instskip(NEXT) | instid1(VALU_DEP_1)
	v_fma_f32 v7, -v3, v5, v6
	v_fmac_f32_e32 v5, v7, v4
	v_cmp_eq_f32_e64 s15, 0, v2
	s_delay_alu instid0(VALU_DEP_2) | instskip(NEXT) | instid1(VALU_DEP_1)
	v_fma_f32 v3, -v3, v5, v6
	v_div_fmas_f32 v3, v3, v4, v5
	v_add_co_u32 v0, vcc_lo, s16, v0
	v_add_co_ci_u32_e32 v1, vcc_lo, s17, v1, vcc_lo
	s_delay_alu instid0(VALU_DEP_3) | instskip(NEXT) | instid1(VALU_DEP_1)
	v_div_fixup_f32 v3, v3, v2, v24
	v_cndmask_b32_e64 v3, v3, 0x7fc00000, s15
	global_store_b32 v[0:1], v3, off
	s_and_b32 exec_lo, exec_lo, s14
	s_cbranch_execz .LBB400_50
; %bb.35:
	v_div_scale_f32 v3, null, v2, v2, v23
	s_delay_alu instid0(VALU_DEP_1) | instskip(SKIP_2) | instid1(VALU_DEP_1)
	v_rcp_f32_e32 v4, v3
	s_waitcnt_depctr 0xfff
	v_fma_f32 v5, -v3, v4, 1.0
	v_fmac_f32_e32 v4, v5, v4
	v_div_scale_f32 v5, vcc_lo, v23, v2, v23
	s_delay_alu instid0(VALU_DEP_1) | instskip(NEXT) | instid1(VALU_DEP_1)
	v_mul_f32_e32 v6, v5, v4
	v_fma_f32 v7, -v3, v6, v5
	s_delay_alu instid0(VALU_DEP_1) | instskip(NEXT) | instid1(VALU_DEP_1)
	v_fmac_f32_e32 v6, v7, v4
	v_fma_f32 v3, -v3, v6, v5
	s_delay_alu instid0(VALU_DEP_1) | instskip(NEXT) | instid1(VALU_DEP_1)
	v_div_fmas_f32 v3, v3, v4, v6
	v_div_fixup_f32 v3, v3, v2, v23
	s_delay_alu instid0(VALU_DEP_1)
	v_cndmask_b32_e64 v3, v3, 0x7fc00000, s15
	global_store_b32 v[0:1], v3, off offset:256
	s_and_b32 exec_lo, exec_lo, s13
	s_cbranch_execz .LBB400_50
; %bb.36:
	v_div_scale_f32 v3, null, v2, v2, v22
	s_delay_alu instid0(VALU_DEP_1) | instskip(SKIP_2) | instid1(VALU_DEP_1)
	v_rcp_f32_e32 v4, v3
	s_waitcnt_depctr 0xfff
	v_fma_f32 v5, -v3, v4, 1.0
	v_fmac_f32_e32 v4, v5, v4
	v_div_scale_f32 v5, vcc_lo, v22, v2, v22
	s_delay_alu instid0(VALU_DEP_1) | instskip(NEXT) | instid1(VALU_DEP_1)
	v_mul_f32_e32 v6, v5, v4
	v_fma_f32 v7, -v3, v6, v5
	s_delay_alu instid0(VALU_DEP_1) | instskip(NEXT) | instid1(VALU_DEP_1)
	v_fmac_f32_e32 v6, v7, v4
	v_fma_f32 v3, -v3, v6, v5
	s_delay_alu instid0(VALU_DEP_1) | instskip(NEXT) | instid1(VALU_DEP_1)
	v_div_fmas_f32 v3, v3, v4, v6
	v_div_fixup_f32 v3, v3, v2, v22
	s_delay_alu instid0(VALU_DEP_1)
	v_cndmask_b32_e64 v3, v3, 0x7fc00000, s15
	global_store_b32 v[0:1], v3, off offset:512
	;; [unrolled: 22-line block ×15, first 2 shown]
.LBB400_50:
	s_nop 0
	s_sendmsg sendmsg(MSG_DEALLOC_VGPRS)
	s_endpgm
	.section	.rodata,"a",@progbits
	.p2align	6, 0x0
	.amdhsa_kernel _ZN12_GLOBAL__N_120softmax_warp_forwardIfffLi10ELb0ELb0ELi64EEEvPT0_PKT_iiiPKbib
		.amdhsa_group_segment_fixed_size 0
		.amdhsa_private_segment_fixed_size 0
		.amdhsa_kernarg_size 304
		.amdhsa_user_sgpr_count 15
		.amdhsa_user_sgpr_dispatch_ptr 0
		.amdhsa_user_sgpr_queue_ptr 0
		.amdhsa_user_sgpr_kernarg_segment_ptr 1
		.amdhsa_user_sgpr_dispatch_id 0
		.amdhsa_user_sgpr_private_segment_size 0
		.amdhsa_wavefront_size32 1
		.amdhsa_uses_dynamic_stack 0
		.amdhsa_enable_private_segment 0
		.amdhsa_system_sgpr_workgroup_id_x 1
		.amdhsa_system_sgpr_workgroup_id_y 0
		.amdhsa_system_sgpr_workgroup_id_z 0
		.amdhsa_system_sgpr_workgroup_info 0
		.amdhsa_system_vgpr_workitem_id 1
		.amdhsa_next_free_vgpr 73
		.amdhsa_next_free_sgpr 24
		.amdhsa_reserve_vcc 1
		.amdhsa_float_round_mode_32 0
		.amdhsa_float_round_mode_16_64 0
		.amdhsa_float_denorm_mode_32 3
		.amdhsa_float_denorm_mode_16_64 3
		.amdhsa_dx10_clamp 1
		.amdhsa_ieee_mode 1
		.amdhsa_fp16_overflow 0
		.amdhsa_workgroup_processor_mode 1
		.amdhsa_memory_ordered 1
		.amdhsa_forward_progress 0
		.amdhsa_shared_vgpr_count 0
		.amdhsa_exception_fp_ieee_invalid_op 0
		.amdhsa_exception_fp_denorm_src 0
		.amdhsa_exception_fp_ieee_div_zero 0
		.amdhsa_exception_fp_ieee_overflow 0
		.amdhsa_exception_fp_ieee_underflow 0
		.amdhsa_exception_fp_ieee_inexact 0
		.amdhsa_exception_int_div_zero 0
	.end_amdhsa_kernel
	.section	.text._ZN12_GLOBAL__N_120softmax_warp_forwardIfffLi10ELb0ELb0ELi64EEEvPT0_PKT_iiiPKbib,"axG",@progbits,_ZN12_GLOBAL__N_120softmax_warp_forwardIfffLi10ELb0ELb0ELi64EEEvPT0_PKT_iiiPKbib,comdat
.Lfunc_end400:
	.size	_ZN12_GLOBAL__N_120softmax_warp_forwardIfffLi10ELb0ELb0ELi64EEEvPT0_PKT_iiiPKbib, .Lfunc_end400-_ZN12_GLOBAL__N_120softmax_warp_forwardIfffLi10ELb0ELb0ELi64EEEvPT0_PKT_iiiPKbib
                                        ; -- End function
	.section	.AMDGPU.csdata,"",@progbits
; Kernel info:
; codeLenInByte = 5532
; NumSgprs: 26
; NumVgprs: 73
; ScratchSize: 0
; MemoryBound: 0
; FloatMode: 240
; IeeeMode: 1
; LDSByteSize: 0 bytes/workgroup (compile time only)
; SGPRBlocks: 3
; VGPRBlocks: 9
; NumSGPRsForWavesPerEU: 26
; NumVGPRsForWavesPerEU: 73
; Occupancy: 16
; WaveLimiterHint : 0
; COMPUTE_PGM_RSRC2:SCRATCH_EN: 0
; COMPUTE_PGM_RSRC2:USER_SGPR: 15
; COMPUTE_PGM_RSRC2:TRAP_HANDLER: 0
; COMPUTE_PGM_RSRC2:TGID_X_EN: 1
; COMPUTE_PGM_RSRC2:TGID_Y_EN: 0
; COMPUTE_PGM_RSRC2:TGID_Z_EN: 0
; COMPUTE_PGM_RSRC2:TIDIG_COMP_CNT: 1
	.section	.text._ZN12_GLOBAL__N_120softmax_warp_forwardIfffLi10ELb0ELb0ELi32EEEvPT0_PKT_iiiPKbib,"axG",@progbits,_ZN12_GLOBAL__N_120softmax_warp_forwardIfffLi10ELb0ELb0ELi32EEEvPT0_PKT_iiiPKbib,comdat
	.globl	_ZN12_GLOBAL__N_120softmax_warp_forwardIfffLi10ELb0ELb0ELi32EEEvPT0_PKT_iiiPKbib ; -- Begin function _ZN12_GLOBAL__N_120softmax_warp_forwardIfffLi10ELb0ELb0ELi32EEEvPT0_PKT_iiiPKbib
	.p2align	8
	.type	_ZN12_GLOBAL__N_120softmax_warp_forwardIfffLi10ELb0ELb0ELi32EEEvPT0_PKT_iiiPKbib,@function
_ZN12_GLOBAL__N_120softmax_warp_forwardIfffLi10ELb0ELb0ELi32EEEvPT0_PKT_iiiPKbib: ; @_ZN12_GLOBAL__N_120softmax_warp_forwardIfffLi10ELb0ELb0ELi32EEEvPT0_PKT_iiiPKbib
; %bb.0:
	s_clause 0x1
	s_load_b32 s2, s[0:1], 0x3c
	s_load_b256 s[36:43], s[0:1], 0x0
	v_bfe_u32 v1, v0, 10, 10
	v_dual_mov_b32 v18, 0xff800000 :: v_dual_mov_b32 v29, 0xff800000
	s_waitcnt lgkmcnt(0)
	s_lshr_b32 s0, s2, 16
	s_delay_alu instid0(VALU_DEP_2) | instid1(SALU_CYCLE_1)
	v_mad_u64_u32 v[3:4], null, s15, s0, v[1:2]
	v_and_b32_e32 v2, 0x3ff, v0
	s_delay_alu instid0(VALU_DEP_1) | instskip(NEXT) | instid1(VALU_DEP_3)
	v_cmp_gt_i32_e32 vcc_lo, s42, v2
	v_mad_u64_u32 v[0:1], null, v3, s41, v[2:3]
	v_sub_nc_u32_e32 v5, s40, v3
	s_delay_alu instid0(VALU_DEP_1) | instskip(NEXT) | instid1(VALU_DEP_3)
	v_cmp_lt_i32_e64 s31, 0, v5
	v_ashrrev_i32_e32 v1, 31, v0
	s_delay_alu instid0(VALU_DEP_2) | instskip(NEXT) | instid1(VALU_DEP_1)
	s_and_b32 s1, s31, vcc_lo
	v_lshlrev_b64 v[0:1], 2, v[0:1]
	s_delay_alu instid0(VALU_DEP_1) | instskip(NEXT) | instid1(VALU_DEP_1)
	v_add_co_u32 v3, s0, s38, v0
	v_add_co_ci_u32_e64 v4, s0, s39, v1, s0
	s_and_saveexec_b32 s0, s1
	s_cbranch_execz .LBB401_2
; %bb.1:
	global_load_b32 v29, v[3:4], off
.LBB401_2:
	s_or_b32 exec_lo, exec_lo, s0
	v_add_nc_u32_e32 v6, 32, v2
	s_delay_alu instid0(VALU_DEP_1) | instskip(NEXT) | instid1(VALU_DEP_1)
	v_cmp_gt_i32_e64 s30, s42, v6
	s_and_b32 s1, s31, s30
	s_delay_alu instid0(SALU_CYCLE_1)
	s_and_saveexec_b32 s0, s1
	s_cbranch_execz .LBB401_4
; %bb.3:
	global_load_b32 v18, v[3:4], off offset:128
.LBB401_4:
	s_or_b32 exec_lo, exec_lo, s0
	v_dual_mov_b32 v19, 0xff800000 :: v_dual_add_nc_u32 v6, 64, v2
	v_mov_b32_e32 v30, 0xff800000
	s_delay_alu instid0(VALU_DEP_2) | instskip(NEXT) | instid1(VALU_DEP_1)
	v_cmp_gt_i32_e64 s29, s42, v6
	s_and_b32 s1, s31, s29
	s_delay_alu instid0(SALU_CYCLE_1)
	s_and_saveexec_b32 s0, s1
	s_cbranch_execz .LBB401_6
; %bb.5:
	global_load_b32 v30, v[3:4], off offset:256
.LBB401_6:
	s_or_b32 exec_lo, exec_lo, s0
	v_add_nc_u32_e32 v6, 0x60, v2
	s_delay_alu instid0(VALU_DEP_1) | instskip(NEXT) | instid1(VALU_DEP_1)
	v_cmp_gt_i32_e64 s28, s42, v6
	s_and_b32 s1, s31, s28
	s_delay_alu instid0(SALU_CYCLE_1)
	s_and_saveexec_b32 s0, s1
	s_cbranch_execz .LBB401_8
; %bb.7:
	global_load_b32 v19, v[3:4], off offset:384
.LBB401_8:
	s_or_b32 exec_lo, exec_lo, s0
	v_add_nc_u32_e32 v6, 0x80, v2
	v_dual_mov_b32 v20, 0xff800000 :: v_dual_mov_b32 v31, 0xff800000
	s_delay_alu instid0(VALU_DEP_2) | instskip(NEXT) | instid1(VALU_DEP_1)
	v_cmp_gt_i32_e64 s27, s42, v6
	s_and_b32 s1, s31, s27
	s_delay_alu instid0(SALU_CYCLE_1)
	s_and_saveexec_b32 s0, s1
	s_cbranch_execz .LBB401_10
; %bb.9:
	global_load_b32 v31, v[3:4], off offset:512
.LBB401_10:
	s_or_b32 exec_lo, exec_lo, s0
	v_add_nc_u32_e32 v6, 0xa0, v2
	s_delay_alu instid0(VALU_DEP_1) | instskip(NEXT) | instid1(VALU_DEP_1)
	v_cmp_gt_i32_e64 s26, s42, v6
	s_and_b32 s1, s31, s26
	s_delay_alu instid0(SALU_CYCLE_1)
	s_and_saveexec_b32 s0, s1
	s_cbranch_execz .LBB401_12
; %bb.11:
	global_load_b32 v20, v[3:4], off offset:640
.LBB401_12:
	s_or_b32 exec_lo, exec_lo, s0
	v_add_nc_u32_e32 v6, 0xc0, v2
	v_dual_mov_b32 v21, 0xff800000 :: v_dual_mov_b32 v32, 0xff800000
	;; [unrolled: 23-line block ×9, first 2 shown]
	s_delay_alu instid0(VALU_DEP_2) | instskip(NEXT) | instid1(VALU_DEP_1)
	v_cmp_gt_i32_e64 s11, s42, v6
	s_and_b32 s1, s31, s11
	s_delay_alu instid0(SALU_CYCLE_1)
	s_and_saveexec_b32 s0, s1
	s_cbranch_execz .LBB401_42
; %bb.41:
	global_load_b32 v39, v[3:4], off offset:2560
.LBB401_42:
	s_or_b32 exec_lo, exec_lo, s0
	v_add_nc_u32_e32 v6, 0x2a0, v2
	s_delay_alu instid0(VALU_DEP_1) | instskip(NEXT) | instid1(VALU_DEP_1)
	v_cmp_gt_i32_e64 s10, s42, v6
	s_and_b32 s1, s31, s10
	s_delay_alu instid0(SALU_CYCLE_1)
	s_and_saveexec_b32 s0, s1
	s_cbranch_execz .LBB401_44
; %bb.43:
	global_load_b32 v28, v[3:4], off offset:2688
.LBB401_44:
	s_or_b32 exec_lo, exec_lo, s0
	v_add_nc_u32_e32 v6, 0x2c0, v2
	v_mov_b32_e32 v14, 0xff800000
	v_mov_b32_e32 v40, 0xff800000
	s_delay_alu instid0(VALU_DEP_3) | instskip(NEXT) | instid1(VALU_DEP_1)
	v_cmp_gt_i32_e64 s9, s42, v6
	s_and_b32 s1, s31, s9
	s_delay_alu instid0(SALU_CYCLE_1)
	s_and_saveexec_b32 s0, s1
	s_cbranch_execz .LBB401_46
; %bb.45:
	global_load_b32 v40, v[3:4], off offset:2816
.LBB401_46:
	s_or_b32 exec_lo, exec_lo, s0
	v_add_nc_u32_e32 v6, 0x2e0, v2
	s_delay_alu instid0(VALU_DEP_1) | instskip(NEXT) | instid1(VALU_DEP_1)
	v_cmp_gt_i32_e64 s8, s42, v6
	s_and_b32 s1, s31, s8
	s_delay_alu instid0(SALU_CYCLE_1)
	s_and_saveexec_b32 s0, s1
	s_cbranch_execz .LBB401_48
; %bb.47:
	global_load_b32 v14, v[3:4], off offset:2944
.LBB401_48:
	s_or_b32 exec_lo, exec_lo, s0
	v_add_nc_u32_e32 v6, 0x300, v2
	v_dual_mov_b32 v11, 0xff800000 :: v_dual_mov_b32 v16, 0xff800000
	s_delay_alu instid0(VALU_DEP_2) | instskip(NEXT) | instid1(VALU_DEP_1)
	v_cmp_gt_i32_e64 s7, s42, v6
	s_and_b32 s1, s31, s7
	s_delay_alu instid0(SALU_CYCLE_1)
	s_and_saveexec_b32 s0, s1
	s_cbranch_execz .LBB401_50
; %bb.49:
	global_load_b32 v16, v[3:4], off offset:3072
.LBB401_50:
	s_or_b32 exec_lo, exec_lo, s0
	v_add_nc_u32_e32 v6, 0x320, v2
	s_delay_alu instid0(VALU_DEP_1) | instskip(NEXT) | instid1(VALU_DEP_1)
	v_cmp_gt_i32_e64 s6, s42, v6
	s_and_b32 s1, s31, s6
	s_delay_alu instid0(SALU_CYCLE_1)
	s_and_saveexec_b32 s0, s1
	s_cbranch_execz .LBB401_52
; %bb.51:
	global_load_b32 v11, v[3:4], off offset:3200
.LBB401_52:
	s_or_b32 exec_lo, exec_lo, s0
	v_add_nc_u32_e32 v6, 0x340, v2
	v_mov_b32_e32 v10, 0xff800000
	v_mov_b32_e32 v12, 0xff800000
	s_delay_alu instid0(VALU_DEP_3) | instskip(NEXT) | instid1(VALU_DEP_1)
	v_cmp_gt_i32_e64 s5, s42, v6
	s_and_b32 s1, s31, s5
	s_delay_alu instid0(SALU_CYCLE_1)
	s_and_saveexec_b32 s0, s1
	s_cbranch_execz .LBB401_54
; %bb.53:
	global_load_b32 v12, v[3:4], off offset:3328
.LBB401_54:
	s_or_b32 exec_lo, exec_lo, s0
	v_add_nc_u32_e32 v6, 0x360, v2
	s_delay_alu instid0(VALU_DEP_1) | instskip(NEXT) | instid1(VALU_DEP_1)
	v_cmp_gt_i32_e64 s4, s42, v6
	s_and_b32 s1, s31, s4
	s_delay_alu instid0(SALU_CYCLE_1)
	s_and_saveexec_b32 s0, s1
	s_cbranch_execz .LBB401_56
; %bb.55:
	global_load_b32 v10, v[3:4], off offset:3456
.LBB401_56:
	s_or_b32 exec_lo, exec_lo, s0
	v_add_nc_u32_e32 v6, 0x380, v2
	v_mov_b32_e32 v7, 0xff800000
	v_mov_b32_e32 v9, 0xff800000
	s_delay_alu instid0(VALU_DEP_3) | instskip(NEXT) | instid1(VALU_DEP_1)
	v_cmp_gt_i32_e64 s3, s42, v6
	s_and_b32 s1, s31, s3
	s_delay_alu instid0(SALU_CYCLE_1)
	s_and_saveexec_b32 s0, s1
	s_cbranch_execz .LBB401_58
; %bb.57:
	global_load_b32 v9, v[3:4], off offset:3584
.LBB401_58:
	s_or_b32 exec_lo, exec_lo, s0
	v_add_nc_u32_e32 v6, 0x3a0, v2
	s_delay_alu instid0(VALU_DEP_1) | instskip(NEXT) | instid1(VALU_DEP_1)
	v_cmp_gt_i32_e64 s2, s42, v6
	s_and_b32 s1, s31, s2
	s_delay_alu instid0(SALU_CYCLE_1)
	s_and_saveexec_b32 s0, s1
	s_cbranch_execz .LBB401_60
; %bb.59:
	global_load_b32 v7, v[3:4], off offset:3712
.LBB401_60:
	s_or_b32 exec_lo, exec_lo, s0
	v_add_nc_u32_e32 v6, 0x3c0, v2
	v_mov_b32_e32 v8, 0xff800000
	s_delay_alu instid0(VALU_DEP_2) | instskip(SKIP_1) | instid1(VALU_DEP_2)
	v_cmp_gt_i32_e64 s1, s42, v6
	v_mov_b32_e32 v6, 0xff800000
	s_and_b32 s33, s31, s1
	s_delay_alu instid0(SALU_CYCLE_1)
	s_and_saveexec_b32 s0, s33
	s_cbranch_execz .LBB401_62
; %bb.61:
	global_load_b32 v8, v[3:4], off offset:3840
.LBB401_62:
	s_or_b32 exec_lo, exec_lo, s0
	v_add_nc_u32_e32 v2, 0x3e0, v2
	s_delay_alu instid0(VALU_DEP_1) | instskip(NEXT) | instid1(VALU_DEP_1)
	v_cmp_gt_i32_e64 s0, s42, v2
	s_and_b32 s33, s31, s0
	s_delay_alu instid0(SALU_CYCLE_1)
	s_and_saveexec_b32 s31, s33
	s_cbranch_execz .LBB401_64
; %bb.63:
	global_load_b32 v6, v[3:4], off offset:3968
.LBB401_64:
	s_or_b32 exec_lo, exec_lo, s31
	s_waitcnt vmcnt(0)
	v_cmp_gt_f32_e64 s31, v29, v18
	v_mbcnt_lo_u32_b32 v15, -1, 0
	s_mov_b32 s33, exec_lo
	s_delay_alu instid0(VALU_DEP_2) | instskip(NEXT) | instid1(VALU_DEP_2)
	v_cndmask_b32_e64 v2, v18, v29, s31
	v_xor_b32_e32 v3, 16, v15
	v_xor_b32_e32 v42, 1, v15
	s_delay_alu instid0(VALU_DEP_3) | instskip(NEXT) | instid1(VALU_DEP_1)
	v_cmp_gt_f32_e64 s31, v2, v30
	v_cndmask_b32_e64 v2, v30, v2, s31
	s_delay_alu instid0(VALU_DEP_1) | instskip(NEXT) | instid1(VALU_DEP_1)
	v_cmp_gt_f32_e64 s31, v2, v19
	v_cndmask_b32_e64 v2, v19, v2, s31
	s_delay_alu instid0(VALU_DEP_1) | instskip(NEXT) | instid1(VALU_DEP_1)
	;; [unrolled: 3-line block ×27, first 2 shown]
	v_cmp_gt_f32_e64 s31, v2, v7
	v_cndmask_b32_e64 v2, v7, v2, s31
	v_cmp_gt_i32_e64 s31, 32, v3
	s_delay_alu instid0(VALU_DEP_1) | instskip(NEXT) | instid1(VALU_DEP_3)
	v_cndmask_b32_e64 v3, v15, v3, s31
	v_cmp_gt_f32_e64 s31, v2, v8
	s_delay_alu instid0(VALU_DEP_1) | instskip(NEXT) | instid1(VALU_DEP_3)
	v_cndmask_b32_e64 v4, v8, v2, s31
	v_lshlrev_b32_e32 v2, 2, v3
	v_xor_b32_e32 v3, 8, v15
	s_delay_alu instid0(VALU_DEP_3) | instskip(NEXT) | instid1(VALU_DEP_1)
	v_cmp_gt_f32_e64 s31, v4, v6
	v_cndmask_b32_e64 v4, v6, v4, s31
	s_delay_alu instid0(VALU_DEP_3) | instskip(SKIP_2) | instid1(VALU_DEP_1)
	v_cmp_gt_i32_e64 s31, 32, v3
	ds_bpermute_b32 v13, v2, v4
	v_cndmask_b32_e64 v3, v15, v3, s31
	v_lshlrev_b32_e32 v3, 2, v3
	s_waitcnt lgkmcnt(0)
	v_cmp_lt_f32_e64 s31, v4, v13
	s_delay_alu instid0(VALU_DEP_1) | instskip(SKIP_3) | instid1(VALU_DEP_1)
	v_cndmask_b32_e64 v13, v4, v13, s31
	v_xor_b32_e32 v4, 4, v15
	ds_bpermute_b32 v17, v3, v13
	v_cmp_gt_i32_e64 s31, 32, v4
	v_cndmask_b32_e64 v4, v15, v4, s31
	s_delay_alu instid0(VALU_DEP_1) | instskip(SKIP_2) | instid1(VALU_DEP_1)
	v_lshlrev_b32_e32 v4, 2, v4
	s_waitcnt lgkmcnt(0)
	v_cmp_lt_f32_e64 s31, v13, v17
	v_cndmask_b32_e64 v17, v13, v17, s31
	v_xor_b32_e32 v13, 2, v15
	ds_bpermute_b32 v41, v4, v17
	v_cmp_gt_i32_e64 s31, 32, v13
	s_delay_alu instid0(VALU_DEP_1) | instskip(NEXT) | instid1(VALU_DEP_1)
	v_cndmask_b32_e64 v13, v15, v13, s31
	v_lshlrev_b32_e32 v13, 2, v13
	s_waitcnt lgkmcnt(0)
	v_cmp_lt_f32_e64 s31, v17, v41
	s_delay_alu instid0(VALU_DEP_1) | instskip(SKIP_3) | instid1(VALU_DEP_1)
	v_cndmask_b32_e64 v17, v17, v41, s31
	v_cmp_gt_i32_e64 s31, 32, v42
	ds_bpermute_b32 v41, v13, v17
	v_cndmask_b32_e64 v15, v15, v42, s31
	v_lshlrev_b32_e32 v15, 2, v15
	s_waitcnt lgkmcnt(0)
	v_cmp_lt_f32_e64 s31, v17, v41
	s_delay_alu instid0(VALU_DEP_1) | instskip(SKIP_3) | instid1(VALU_DEP_1)
	v_cndmask_b32_e64 v17, v17, v41, s31
	ds_bpermute_b32 v41, v15, v17
	s_waitcnt lgkmcnt(0)
	v_cmp_lt_f32_e64 s31, v17, v41
	v_cndmask_b32_e64 v17, v17, v41, s31
	s_delay_alu instid0(VALU_DEP_1) | instskip(SKIP_4) | instid1(VALU_DEP_4)
	v_sub_f32_e32 v30, v30, v17
	v_sub_f32_e32 v18, v18, v17
	v_sub_f32_e32 v19, v19, v17
	v_sub_f32_e32 v24, v24, v17
	v_sub_f32_e32 v51, v28, v17
	v_dual_sub_f32 v47, v26, v17 :: v_dual_mul_f32 v26, 0x3fb8aa3b, v18
	v_sub_f32_e32 v29, v29, v17
	v_dual_sub_f32 v31, v31, v17 :: v_dual_mul_f32 v28, 0x3fb8aa3b, v19
	v_sub_f32_e32 v20, v20, v17
	v_sub_f32_e32 v32, v32, v17
	v_dual_sub_f32 v23, v23, v17 :: v_dual_mul_f32 v54, 0x3fb8aa3b, v24
	v_sub_f32_e32 v43, v35, v17
	v_fma_f32 v66, 0x3fb8aa3b, v18, -v26
	v_rndne_f32_e32 v67, v26
	s_delay_alu instid0(VALU_DEP_4)
	v_mul_f32_e32 v52, 0x3fb8aa3b, v23
	v_sub_f32_e32 v22, v22, v17
	v_sub_f32_e32 v41, v33, v17
	v_dual_sub_f32 v42, v34, v17 :: v_dual_mul_f32 v53, 0x3fb8aa3b, v43
	v_dual_sub_f32 v49, v27, v17 :: v_dual_fmac_f32 v66, 0x32a5705f, v18
	v_mul_f32_e32 v27, 0x3fb8aa3b, v30
	v_dual_sub_f32 v21, v21, v17 :: v_dual_mul_f32 v34, 0x3fb8aa3b, v20
	v_mul_f32_e32 v33, 0x3fb8aa3b, v31
	v_dual_mul_f32 v35, 0x3fb8aa3b, v32 :: v_dual_sub_f32 v26, v26, v67
	v_dual_mul_f32 v62, 0x3fb8aa3b, v51 :: v_dual_sub_f32 v45, v25, v17
	v_dual_mul_f32 v58, 0x3fb8aa3b, v47 :: v_dual_mul_f32 v25, 0x3fb8aa3b, v29
	s_delay_alu instid0(VALU_DEP_3)
	v_add_f32_e32 v26, v26, v66
	v_fma_f32 v74, 0x3fb8aa3b, v20, -v34
	v_fma_f32 v76, 0x3fb8aa3b, v32, -v35
	v_rndne_f32_e32 v77, v35
	v_fma_f32 v64, 0x3fb8aa3b, v29, -v25
	v_rndne_f32_e32 v65, v25
	v_rndne_f32_e32 v89, v53
	v_fma_f32 v68, 0x3fb8aa3b, v30, -v27
	v_fma_f32 v88, 0x3fb8aa3b, v43, -v53
	v_dual_fmac_f32 v74, 0x32a5705f, v20 :: v_dual_sub_f32 v35, v35, v77
	s_delay_alu instid0(VALU_DEP_3)
	v_dual_sub_f32 v25, v25, v65 :: v_dual_fmac_f32 v68, 0x32a5705f, v30
	v_dual_fmac_f32 v76, 0x32a5705f, v32 :: v_dual_sub_f32 v53, v53, v89
	v_fmac_f32_e32 v64, 0x32a5705f, v29
	v_sub_f32_e32 v50, v39, v17
	v_sub_f32_e32 v48, v38, v17
	v_rndne_f32_e32 v69, v27
	v_dual_add_f32 v35, v35, v76 :: v_dual_sub_f32 v40, v40, v17
	v_add_f32_e32 v25, v25, v64
	v_sub_f32_e32 v46, v37, v17
	v_mul_f32_e32 v38, 0x3fb8aa3b, v22
	v_mul_f32_e32 v39, 0x3fb8aa3b, v42
	v_mul_f32_e32 v61, 0x3fb8aa3b, v50
	v_mul_f32_e32 v59, 0x3fb8aa3b, v48
	v_fma_f32 v70, 0x3fb8aa3b, v19, -v28
	v_rndne_f32_e32 v71, v28
	v_mul_f32_e32 v37, 0x3fb8aa3b, v41
	v_rndne_f32_e32 v75, v34
	s_delay_alu instid0(VALU_DEP_4) | instskip(SKIP_3) | instid1(VALU_DEP_3)
	v_dual_sub_f32 v27, v27, v69 :: v_dual_fmac_f32 v70, 0x32a5705f, v19
	v_exp_f32_e32 v25, v25
	v_dual_sub_f32 v44, v36, v17 :: v_dual_mul_f32 v57, 0x3fb8aa3b, v46
	v_dual_mul_f32 v36, 0x3fb8aa3b, v21 :: v_dual_mul_f32 v63, 0x3fb8aa3b, v40
	v_dual_mul_f32 v56, 0x3fb8aa3b, v45 :: v_dual_add_f32 v27, v27, v68
	v_fma_f32 v84, 0x3fb8aa3b, v42, -v39
	v_rndne_f32_e32 v85, v39
	v_sub_f32_e32 v28, v28, v71
	v_rndne_f32_e32 v81, v37
	v_sub_f32_e32 v34, v34, v75
	v_fma_f32 v76, 0x3fb8aa3b, v48, -v59
	v_cvt_i32_f32_e32 v65, v65
	v_exp_f32_e32 v26, v26
	v_fma_f32 v78, 0x3fb8aa3b, v21, -v36
	v_fma_f32 v80, 0x3fb8aa3b, v41, -v37
	v_dual_sub_f32 v37, v37, v81 :: v_dual_add_f32 v34, v34, v74
	v_sub_f32_e32 v39, v39, v85
	v_cvt_i32_f32_e32 v67, v67
	v_fmac_f32_e32 v76, 0x32a5705f, v48
	v_fmac_f32_e32 v84, 0x32a5705f, v42
	v_exp_f32_e32 v27, v27
	v_ldexp_f32 v25, v25, v65
	v_cmp_ngt_f32_e64 s31, 0xc2ce8ed0, v29
	s_delay_alu instid0(VALU_DEP_3) | instskip(SKIP_2) | instid1(VALU_DEP_4)
	v_dual_fmac_f32 v78, 0x32a5705f, v21 :: v_dual_add_f32 v39, v39, v84
	v_cvt_i32_f32_e32 v69, v69
	v_ldexp_f32 v26, v26, v67
	v_cndmask_b32_e64 v25, 0, v25, s31
	v_cmp_ngt_f32_e64 s31, 0xc2ce8ed0, v18
	v_exp_f32_e32 v39, v39
	s_delay_alu instid0(TRANS32_DEP_2)
	v_ldexp_f32 v27, v27, v69
	v_mul_f32_e32 v55, 0x3fb8aa3b, v44
	v_rndne_f32_e32 v79, v36
	v_cndmask_b32_e64 v26, 0, v26, s31
	v_cmp_ngt_f32_e64 s31, 0xc2ce8ed0, v30
	v_cvt_i32_f32_e32 v85, v85
	v_fma_f32 v86, 0x3fb8aa3b, v23, -v52
	v_rndne_f32_e32 v87, v52
	v_fma_f32 v92, 0x3fb8aa3b, v44, -v55
	v_cndmask_b32_e64 v27, 0, v27, s31
	v_cmp_nlt_f32_e64 s31, 0x42b17218, v29
	v_rndne_f32_e32 v93, v55
	v_sub_f32_e32 v36, v36, v79
	v_ldexp_f32 v69, v39, v85
	v_fma_f32 v82, 0x3fb8aa3b, v22, -v38
	v_cndmask_b32_e64 v39, 0x7f800000, v25, s31
	v_dual_sub_f32 v55, v55, v93 :: v_dual_fmac_f32 v88, 0x32a5705f, v43
	v_rndne_f32_e32 v83, v38
	v_fma_f32 v68, 0x3fb8aa3b, v46, -v57
	v_fmac_f32_e32 v80, 0x32a5705f, v41
	v_sub_f32_e32 v52, v52, v87
	v_fmac_f32_e32 v92, 0x32a5705f, v44
	v_add_f32_e32 v36, v36, v78
	v_rndne_f32_e32 v78, v59
	v_dual_fmac_f32 v86, 0x32a5705f, v23 :: v_dual_add_f32 v53, v53, v88
	v_dual_add_f32 v28, v28, v70 :: v_dual_add_f32 v37, v37, v80
	v_rndne_f32_e32 v70, v57
	v_sub_f32_e32 v38, v38, v83
	v_fma_f32 v84, 0x3fb8aa3b, v50, -v61
	v_fmac_f32_e32 v68, 0x32a5705f, v46
	v_sub_f32_e32 v59, v59, v78
	v_add_f32_e32 v52, v52, v86
	v_rndne_f32_e32 v86, v61
	v_sub_f32_e32 v57, v57, v70
	v_fmac_f32_e32 v82, 0x32a5705f, v22
	v_fma_f32 v72, 0x3fb8aa3b, v31, -v33
	v_rndne_f32_e32 v73, v33
	v_fmac_f32_e32 v84, 0x32a5705f, v50
	v_sub_f32_e32 v61, v61, v86
	v_dual_add_f32 v57, v57, v68 :: v_dual_add_f32 v38, v38, v82
	s_delay_alu instid0(VALU_DEP_4) | instskip(NEXT) | instid1(VALU_DEP_3)
	v_dual_fmac_f32 v72, 0x32a5705f, v31 :: v_dual_sub_f32 v33, v33, v73
	v_add_f32_e32 v61, v61, v84
	v_exp_f32_e32 v28, v28
	s_delay_alu instid0(VALU_DEP_3) | instskip(NEXT) | instid1(VALU_DEP_2)
	v_exp_f32_e32 v38, v38
	v_dual_mul_f32 v60, 0x3fb8aa3b, v49 :: v_dual_add_f32 v33, v33, v72
	v_cvt_i32_f32_e32 v71, v71
	v_cvt_i32_f32_e32 v83, v83
	v_cmp_nlt_f32_e64 s31, 0x42b17218, v18
	v_exp_f32_e32 v37, v37
	v_exp_f32_e32 v33, v33
	v_cvt_i32_f32_e32 v73, v73
	v_ldexp_f32 v28, v28, v71
	s_delay_alu instid0(TRANS32_DEP_3)
	v_ldexp_f32 v68, v38, v83
	v_cndmask_b32_e64 v38, 0x7f800000, v26, s31
	v_cmp_ngt_f32_e64 s31, 0xc2ce8ed0, v19
	v_cvt_i32_f32_e32 v81, v81
	v_fma_f32 v90, 0x3fb8aa3b, v24, -v54
	v_rndne_f32_e32 v91, v54
	v_add_f32_e32 v55, v55, v92
	v_cndmask_b32_e64 v18, 0, v28, s31
	v_cmp_nlt_f32_e64 s31, 0x42b17218, v30
	v_exp_f32_e32 v34, v34
	v_exp_f32_e32 v36, v36
	v_ldexp_f32 v33, v33, v73
	v_ldexp_f32 v67, v37, v81
	v_cndmask_b32_e64 v37, 0x7f800000, v27, s31
	v_cmp_ngt_f32_e64 s31, 0xc2ce8ed0, v31
	v_fmac_f32_e32 v90, 0x32a5705f, v24
	v_sub_f32_e32 v54, v54, v91
	v_cvt_i32_f32_e32 v75, v75
	v_cvt_i32_f32_e32 v79, v79
	v_cndmask_b32_e64 v26, 0, v33, s31
	v_cmp_nlt_f32_e64 s31, 0x42b17218, v19
	v_fma_f32 v64, 0x3fb8aa3b, v45, -v56
	v_rndne_f32_e32 v66, v56
	v_fma_f32 v88, 0x3fb8aa3b, v51, -v62
	v_add_f32_e32 v54, v54, v90
	v_rndne_f32_e32 v90, v62
	v_exp_f32_e32 v35, v35
	v_ldexp_f32 v34, v34, v75
	v_ldexp_f32 v65, v36, v79
	v_cndmask_b32_e64 v36, 0x7f800000, v18, s31
	v_cmp_ngt_f32_e64 s31, 0xc2ce8ed0, v20
	v_cvt_i32_f32_e32 v77, v77
	v_fmac_f32_e32 v88, 0x32a5705f, v51
	v_sub_f32_e32 v62, v62, v90
	v_fmac_f32_e32 v64, 0x32a5705f, v45
	v_cndmask_b32_e64 v19, 0, v34, s31
	v_cmp_nlt_f32_e64 s31, 0x42b17218, v31
	v_sub_f32_e32 v16, v16, v17
	v_sub_f32_e32 v56, v56, v66
	v_add_f32_e32 v25, v39, v38
	v_exp_f32_e32 v52, v52
	v_cvt_i32_f32_e32 v87, v87
	v_exp_f32_e32 v53, v53
	v_add_f32_e32 v56, v56, v64
	v_ldexp_f32 v64, v35, v77
	v_cndmask_b32_e64 v35, 0x7f800000, v26, s31
	v_cmp_ngt_f32_e64 s31, 0xc2ce8ed0, v32
	v_add_f32_e32 v18, v25, v37
	v_cvt_i32_f32_e32 v89, v89
	v_exp_f32_e32 v54, v54
	v_ldexp_f32 v52, v52, v87
	v_cndmask_b32_e64 v25, 0, v64, s31
	v_cmp_nlt_f32_e64 s31, 0x42b17218, v20
	v_ldexp_f32 v53, v53, v89
	v_cvt_i32_f32_e32 v91, v91
	v_exp_f32_e32 v55, v55
	v_add_f32_e32 v18, v18, v36
	v_cndmask_b32_e64 v34, 0x7f800000, v19, s31
	v_cmp_ngt_f32_e64 s31, 0xc2ce8ed0, v21
	v_ldexp_f32 v54, v54, v91
	v_cvt_i32_f32_e32 v93, v93
	v_add_f32_e32 v18, v18, v35
	v_exp_f32_e32 v56, v56
	v_cndmask_b32_e64 v19, 0, v65, s31
	v_cmp_nlt_f32_e64 s31, 0x42b17218, v32
	v_ldexp_f32 v55, v55, v93
	v_add_f32_e32 v18, v18, v34
	v_fma_f32 v72, 0x3fb8aa3b, v47, -v58
	v_rndne_f32_e32 v74, v58
	v_cndmask_b32_e64 v33, 0x7f800000, v25, s31
	v_cmp_ngt_f32_e64 s31, 0xc2ce8ed0, v41
	v_cvt_i32_f32_e32 v66, v66
	v_sub_f32_e32 v8, v8, v17
	v_fmac_f32_e32 v72, 0x32a5705f, v47
	v_add_f32_e32 v18, v18, v33
	v_cndmask_b32_e64 v20, 0, v67, s31
	v_cmp_nlt_f32_e64 s31, 0x42b17218, v21
	v_sub_f32_e32 v58, v58, v74
	v_exp_f32_e32 v57, v57
	v_ldexp_f32 v56, v56, v66
	v_cvt_i32_f32_e32 v70, v70
	v_cndmask_b32_e64 v32, 0x7f800000, v19, s31
	v_cmp_ngt_f32_e64 s31, 0xc2ce8ed0, v22
	v_add_f32_e32 v58, v58, v72
	v_fma_f32 v80, 0x3fb8aa3b, v49, -v60
	v_rndne_f32_e32 v82, v60
	v_add_f32_e32 v18, v18, v32
	v_cndmask_b32_e64 v19, 0, v68, s31
	v_cmp_nlt_f32_e64 s31, 0x42b17218, v41
	v_exp_f32_e32 v58, v58
	v_ldexp_f32 v57, v57, v70
	v_cvt_i32_f32_e32 v74, v74
	v_add_f32_e32 v59, v59, v76
	v_cndmask_b32_e64 v31, 0x7f800000, v20, s31
	v_cmp_ngt_f32_e64 s31, 0xc2ce8ed0, v42
	v_fmac_f32_e32 v80, 0x32a5705f, v49
	v_sub_f32_e32 v60, v60, v82
	v_exp_f32_e32 v59, v59
	v_add_f32_e32 v18, v18, v31
	v_cndmask_b32_e64 v20, 0, v69, s31
	v_cmp_nlt_f32_e64 s31, 0x42b17218, v22
	v_ldexp_f32 v58, v58, v74
	v_sub_f32_e32 v6, v6, v17
	v_cvt_i32_f32_e32 v78, v78
	v_add_f32_e32 v60, v60, v80
	v_cndmask_b32_e64 v30, 0x7f800000, v19, s31
	v_cmp_ngt_f32_e64 s31, 0xc2ce8ed0, v23
	v_cvt_i32_f32_e32 v82, v82
	v_ldexp_f32 v59, v59, v78
	v_exp_f32_e32 v60, v60
	v_add_f32_e32 v18, v18, v30
	v_cndmask_b32_e64 v19, 0, v52, s31
	v_cmp_nlt_f32_e64 s31, 0x42b17218, v42
	v_exp_f32_e32 v61, v61
	v_cvt_i32_f32_e32 v86, v86
	v_fma_f32 v92, 0x3fb8aa3b, v40, -v63
	v_add_f32_e32 v41, v62, v88
	v_cndmask_b32_e64 v29, 0x7f800000, v20, s31
	v_cmp_ngt_f32_e64 s31, 0xc2ce8ed0, v43
	v_ldexp_f32 v60, v60, v82
	v_fmac_f32_e32 v92, 0x32a5705f, v40
	v_exp_f32_e32 v41, v41
	v_add_f32_e32 v18, v18, v29
	v_cndmask_b32_e64 v20, 0, v53, s31
	v_cmp_nlt_f32_e64 s31, 0x42b17218, v23
	v_ldexp_f32 v42, v61, v86
	s_delay_alu instid0(VALU_DEP_2) | instskip(SKIP_1) | instid1(VALU_DEP_2)
	v_cndmask_b32_e64 v28, 0x7f800000, v19, s31
	v_cmp_ngt_f32_e64 s31, 0xc2ce8ed0, v24
	v_add_f32_e32 v18, v18, v28
	s_delay_alu instid0(VALU_DEP_2) | instskip(SKIP_1) | instid1(VALU_DEP_1)
	v_cndmask_b32_e64 v19, 0, v54, s31
	v_cmp_nlt_f32_e64 s31, 0x42b17218, v43
	v_cndmask_b32_e64 v27, 0x7f800000, v20, s31
	v_cmp_ngt_f32_e64 s31, 0xc2ce8ed0, v44
	s_delay_alu instid0(VALU_DEP_2) | instskip(NEXT) | instid1(VALU_DEP_2)
	v_add_f32_e32 v18, v18, v27
	v_cndmask_b32_e64 v20, 0, v55, s31
	v_cmp_nlt_f32_e64 s31, 0x42b17218, v24
	s_delay_alu instid0(VALU_DEP_1) | instskip(SKIP_1) | instid1(VALU_DEP_2)
	v_cndmask_b32_e64 v26, 0x7f800000, v19, s31
	v_cmp_ngt_f32_e64 s31, 0xc2ce8ed0, v45
	v_add_f32_e32 v18, v18, v26
	s_delay_alu instid0(VALU_DEP_2) | instskip(SKIP_1) | instid1(VALU_DEP_1)
	v_cndmask_b32_e64 v19, 0, v56, s31
	v_cmp_nlt_f32_e64 s31, 0x42b17218, v44
	v_cndmask_b32_e64 v25, 0x7f800000, v20, s31
	v_cmp_ngt_f32_e64 s31, 0xc2ce8ed0, v46
	s_delay_alu instid0(VALU_DEP_2) | instskip(NEXT) | instid1(VALU_DEP_2)
	v_add_f32_e32 v18, v18, v25
	v_cndmask_b32_e64 v20, 0, v57, s31
	v_cmp_nlt_f32_e64 s31, 0x42b17218, v45
	v_sub_f32_e32 v45, v14, v17
	v_cvt_i32_f32_e32 v14, v90
	s_delay_alu instid0(VALU_DEP_3) | instskip(SKIP_1) | instid1(VALU_DEP_3)
	v_cndmask_b32_e64 v24, 0x7f800000, v19, s31
	v_cmp_ngt_f32_e64 s31, 0xc2ce8ed0, v47
	v_ldexp_f32 v14, v41, v14
	s_delay_alu instid0(VALU_DEP_3) | instskip(NEXT) | instid1(VALU_DEP_3)
	v_add_f32_e32 v18, v18, v24
	v_cndmask_b32_e64 v19, 0, v58, s31
	v_cmp_nlt_f32_e64 s31, 0x42b17218, v46
	s_delay_alu instid0(VALU_DEP_1) | instskip(SKIP_1) | instid1(VALU_DEP_2)
	v_cndmask_b32_e64 v22, 0x7f800000, v20, s31
	v_cmp_ngt_f32_e64 s31, 0xc2ce8ed0, v48
	v_add_f32_e32 v18, v18, v22
	s_delay_alu instid0(VALU_DEP_2) | instskip(SKIP_1) | instid1(VALU_DEP_1)
	v_cndmask_b32_e64 v20, 0, v59, s31
	v_cmp_nlt_f32_e64 s31, 0x42b17218, v47
	v_cndmask_b32_e64 v21, 0x7f800000, v19, s31
	v_cmp_ngt_f32_e64 s31, 0xc2ce8ed0, v49
	s_delay_alu instid0(VALU_DEP_2) | instskip(NEXT) | instid1(VALU_DEP_2)
	v_add_f32_e32 v23, v18, v21
	v_cndmask_b32_e64 v19, 0, v60, s31
	v_cmp_nlt_f32_e64 s31, 0x42b17218, v48
	s_delay_alu instid0(VALU_DEP_1) | instskip(SKIP_2) | instid1(VALU_DEP_2)
	v_cndmask_b32_e64 v20, 0x7f800000, v20, s31
	v_cmp_nlt_f32_e64 s31, 0x42b17218, v49
	v_sub_f32_e32 v49, v12, v17
	v_cndmask_b32_e64 v18, 0x7f800000, v19, s31
	s_delay_alu instid0(VALU_DEP_4) | instskip(SKIP_2) | instid1(VALU_DEP_3)
	v_add_f32_e32 v19, v23, v20
	v_rndne_f32_e32 v23, v63
	v_cmp_ngt_f32_e64 s31, 0xc2ce8ed0, v50
	v_add_f32_e32 v43, v19, v18
	s_delay_alu instid0(VALU_DEP_3) | instskip(NEXT) | instid1(VALU_DEP_3)
	v_sub_f32_e32 v44, v63, v23
	v_cndmask_b32_e64 v42, 0, v42, s31
	v_cmp_nlt_f32_e64 s31, 0x42b17218, v50
	v_cvt_i32_f32_e32 v23, v23
	s_delay_alu instid0(VALU_DEP_2) | instskip(SKIP_3) | instid1(VALU_DEP_4)
	v_cndmask_b32_e64 v19, 0x7f800000, v42, s31
	v_add_f32_e32 v42, v44, v92
	v_mul_f32_e32 v44, 0x3fb8aa3b, v45
	v_cmp_ngt_f32_e64 s31, 0xc2ce8ed0, v51
	v_add_f32_e32 v43, v43, v19
	s_delay_alu instid0(VALU_DEP_4) | instskip(NEXT) | instid1(VALU_DEP_3)
	v_exp_f32_e32 v41, v42
	v_fma_f32 v42, 0x3fb8aa3b, v45, -v44
	v_rndne_f32_e32 v46, v44
	v_cndmask_b32_e64 v14, 0, v14, s31
	v_cmp_nlt_f32_e64 s31, 0x42b17218, v51
	s_delay_alu instid0(VALU_DEP_4) | instskip(NEXT) | instid1(VALU_DEP_4)
	v_fmac_f32_e32 v42, 0x32a5705f, v45
	v_sub_f32_e32 v44, v44, v46
	s_delay_alu instid0(VALU_DEP_3) | instskip(NEXT) | instid1(TRANS32_DEP_1)
	v_cndmask_b32_e64 v14, 0x7f800000, v14, s31
	v_ldexp_f32 v23, v41, v23
	v_cmp_ngt_f32_e64 s31, 0xc2ce8ed0, v40
	s_delay_alu instid0(VALU_DEP_4) | instskip(NEXT) | instid1(VALU_DEP_4)
	v_dual_add_f32 v41, v44, v42 :: v_dual_sub_f32 v44, v11, v17
	v_dual_add_f32 v42, v43, v14 :: v_dual_mul_f32 v43, 0x3fb8aa3b, v16
	s_delay_alu instid0(VALU_DEP_3) | instskip(NEXT) | instid1(VALU_DEP_3)
	v_cndmask_b32_e64 v23, 0, v23, s31
	v_exp_f32_e32 v41, v41
	v_cmp_nlt_f32_e64 s31, 0x42b17218, v40
	v_mul_f32_e32 v47, 0x3fb8aa3b, v44
	v_fma_f32 v40, 0x3fb8aa3b, v16, -v43
	s_delay_alu instid0(VALU_DEP_3) | instskip(SKIP_2) | instid1(VALU_DEP_4)
	v_cndmask_b32_e64 v11, 0x7f800000, v23, s31
	v_cvt_i32_f32_e32 v23, v46
	v_rndne_f32_e32 v46, v43
	v_fmac_f32_e32 v40, 0x32a5705f, v16
	v_cmp_ngt_f32_e64 s31, 0xc2ce8ed0, v45
	v_rndne_f32_e32 v48, v47
	v_ldexp_f32 v23, v41, v23
	v_sub_f32_e32 v41, v43, v46
	v_fma_f32 v43, 0x3fb8aa3b, v44, -v47
	v_add_f32_e32 v42, v42, v11
	s_delay_alu instid0(VALU_DEP_4) | instskip(NEXT) | instid1(VALU_DEP_4)
	v_cndmask_b32_e64 v12, 0, v23, s31
	v_add_f32_e32 v23, v41, v40
	s_delay_alu instid0(VALU_DEP_4) | instskip(SKIP_2) | instid1(VALU_DEP_4)
	v_fmac_f32_e32 v43, 0x32a5705f, v44
	v_dual_sub_f32 v40, v47, v48 :: v_dual_mul_f32 v41, 0x3fb8aa3b, v49
	v_cmp_nlt_f32_e64 s31, 0x42b17218, v45
	v_exp_f32_e32 v23, v23
	s_delay_alu instid0(VALU_DEP_2) | instskip(NEXT) | instid1(VALU_DEP_3)
	v_dual_sub_f32 v47, v10, v17 :: v_dual_add_f32 v40, v40, v43
	v_fma_f32 v43, 0x3fb8aa3b, v49, -v41
	v_rndne_f32_e32 v45, v41
	v_cvt_i32_f32_e32 v10, v46
	v_cndmask_b32_e64 v12, 0x7f800000, v12, s31
	v_exp_f32_e32 v40, v40
	v_fmac_f32_e32 v43, 0x32a5705f, v49
	v_dual_sub_f32 v41, v41, v45 :: v_dual_mul_f32 v46, 0x3fb8aa3b, v47
	s_delay_alu instid0(TRANS32_DEP_2) | instskip(SKIP_2) | instid1(VALU_DEP_4)
	v_ldexp_f32 v10, v23, v10
	v_cmp_ngt_f32_e64 s31, 0xc2ce8ed0, v16
	v_cvt_i32_f32_e32 v23, v48
	v_add_f32_e32 v41, v41, v43
	v_fma_f32 v43, 0x3fb8aa3b, v47, -v46
	v_rndne_f32_e32 v48, v46
	v_cndmask_b32_e64 v10, 0, v10, s31
	v_cmp_nlt_f32_e64 s31, 0x42b17218, v16
	v_ldexp_f32 v23, v40, v23
	v_exp_f32_e32 v40, v41
	v_fmac_f32_e32 v43, 0x32a5705f, v47
	v_sub_f32_e32 v41, v46, v48
	v_cndmask_b32_e64 v16, 0x7f800000, v10, s31
	v_cmp_ngt_f32_e64 s31, 0xc2ce8ed0, v44
	v_cvt_i32_f32_e32 v10, v45
	v_sub_f32_e32 v45, v7, v17
	v_add_f32_e32 v41, v41, v43
	v_cvt_i32_f32_e32 v43, v48
	v_cndmask_b32_e64 v23, 0, v23, s31
	v_cmp_nlt_f32_e64 s31, 0x42b17218, v44
	v_ldexp_f32 v40, v40, v10
	v_add_f32_e32 v42, v42, v12
	s_delay_alu instid0(VALU_DEP_3) | instskip(SKIP_2) | instid1(VALU_DEP_3)
	v_cndmask_b32_e64 v10, 0x7f800000, v23, s31
	v_exp_f32_e32 v23, v41
	v_cmp_ngt_f32_e64 s31, 0xc2ce8ed0, v49
	v_dual_sub_f32 v41, v9, v17 :: v_dual_add_f32 v42, v42, v16
	s_delay_alu instid0(VALU_DEP_2) | instskip(SKIP_2) | instid1(VALU_DEP_4)
	v_cndmask_b32_e64 v40, 0, v40, s31
	v_cmp_nlt_f32_e64 s31, 0x42b17218, v49
	v_mul_f32_e32 v49, 0x3fb8aa3b, v6
	v_add_f32_e32 v42, v42, v10
	s_delay_alu instid0(TRANS32_DEP_1) | instskip(NEXT) | instid1(VALU_DEP_4)
	v_ldexp_f32 v23, v23, v43
	v_cndmask_b32_e64 v9, 0x7f800000, v40, s31
	v_mul_f32_e32 v40, 0x3fb8aa3b, v41
	v_cmp_ngt_f32_e64 s31, 0xc2ce8ed0, v47
	v_rndne_f32_e32 v50, v49
	s_delay_alu instid0(VALU_DEP_4) | instskip(NEXT) | instid1(VALU_DEP_4)
	v_add_f32_e32 v42, v42, v9
	v_fma_f32 v43, 0x3fb8aa3b, v41, -v40
	v_rndne_f32_e32 v44, v40
	v_cndmask_b32_e64 v23, 0, v23, s31
	v_cmp_nlt_f32_e64 s31, 0x42b17218, v47
	v_mul_f32_e32 v47, 0x3fb8aa3b, v8
	s_delay_alu instid0(VALU_DEP_4) | instskip(SKIP_1) | instid1(VALU_DEP_4)
	v_dual_fmac_f32 v43, 0x32a5705f, v41 :: v_dual_sub_f32 v40, v40, v44
	v_cvt_i32_f32_e32 v44, v44
	v_cndmask_b32_e64 v7, 0x7f800000, v23, s31
	v_mul_f32_e32 v23, 0x3fb8aa3b, v45
	v_rndne_f32_e32 v48, v47
	v_add_f32_e32 v40, v40, v43
	v_cmp_ngt_f32_e64 s31, 0xc2ce8ed0, v41
	v_add_f32_e32 v42, v42, v7
	v_fma_f32 v43, 0x3fb8aa3b, v45, -v23
	v_rndne_f32_e32 v46, v23
	v_exp_f32_e32 v40, v40
	s_delay_alu instid0(VALU_DEP_2) | instskip(NEXT) | instid1(VALU_DEP_2)
	v_fmac_f32_e32 v43, 0x32a5705f, v45
	v_sub_f32_e32 v17, v23, v46
	v_fma_f32 v23, 0x3fb8aa3b, v8, -v47
	s_delay_alu instid0(VALU_DEP_2) | instskip(NEXT) | instid1(VALU_DEP_2)
	v_add_f32_e32 v17, v17, v43
	v_fmac_f32_e32 v23, 0x32a5705f, v8
	v_sub_f32_e32 v43, v47, v48
	s_delay_alu instid0(TRANS32_DEP_1)
	v_ldexp_f32 v40, v40, v44
	v_fma_f32 v47, 0x3fb8aa3b, v6, -v49
	v_exp_f32_e32 v17, v17
	v_cvt_i32_f32_e32 v44, v46
	v_add_f32_e32 v23, v43, v23
	v_cndmask_b32_e64 v40, 0, v40, s31
	v_cmp_nlt_f32_e64 s31, 0x42b17218, v41
	v_fmac_f32_e32 v47, 0x32a5705f, v6
	v_sub_f32_e32 v43, v49, v50
	v_exp_f32_e32 v46, v23
	s_delay_alu instid0(VALU_DEP_3) | instskip(NEXT) | instid1(TRANS32_DEP_2)
	v_cndmask_b32_e64 v23, 0x7f800000, v40, s31
	v_ldexp_f32 v17, v17, v44
	v_cmp_ngt_f32_e64 s31, 0xc2ce8ed0, v45
	v_add_f32_e32 v43, v43, v47
	v_cvt_i32_f32_e32 v40, v48
	v_add_f32_e32 v42, v42, v23
	s_delay_alu instid0(VALU_DEP_4) | instskip(SKIP_4) | instid1(VALU_DEP_3)
	v_cndmask_b32_e64 v17, 0, v17, s31
	v_cmp_nlt_f32_e64 s31, 0x42b17218, v45
	v_exp_f32_e32 v41, v43
	v_ldexp_f32 v40, v46, v40
	v_cvt_i32_f32_e32 v43, v50
	v_cndmask_b32_e64 v17, 0x7f800000, v17, s31
	v_cmp_ngt_f32_e64 s31, 0xc2ce8ed0, v8
	s_delay_alu instid0(VALU_DEP_2) | instskip(NEXT) | instid1(VALU_DEP_2)
	v_add_f32_e32 v42, v42, v17
	v_cndmask_b32_e64 v40, 0, v40, s31
	v_cmp_nlt_f32_e64 s31, 0x42b17218, v8
	s_delay_alu instid0(TRANS32_DEP_1) | instskip(NEXT) | instid1(VALU_DEP_2)
	v_ldexp_f32 v41, v41, v43
	v_cndmask_b32_e64 v8, 0x7f800000, v40, s31
	v_cmp_ngt_f32_e64 s31, 0xc2ce8ed0, v6
	s_delay_alu instid0(VALU_DEP_1) | instskip(NEXT) | instid1(VALU_DEP_3)
	v_cndmask_b32_e64 v40, 0, v41, s31
	v_add_f32_e32 v41, v42, v8
	v_cmp_nlt_f32_e64 s31, 0x42b17218, v6
	s_delay_alu instid0(VALU_DEP_1) | instskip(NEXT) | instid1(VALU_DEP_1)
	v_cndmask_b32_e64 v6, 0x7f800000, v40, s31
	v_add_f32_e32 v40, v41, v6
	ds_bpermute_b32 v2, v2, v40
	s_waitcnt lgkmcnt(0)
	v_add_f32_e32 v2, v40, v2
	ds_bpermute_b32 v3, v3, v2
	s_waitcnt lgkmcnt(0)
	;; [unrolled: 3-line block ×4, first 2 shown]
	v_add_f32_e32 v2, v2, v3
	ds_bpermute_b32 v3, v15, v2
	v_cmpx_lt_i32_e32 0, v5
	s_cbranch_execz .LBB401_98
; %bb.65:
	s_and_b32 exec_lo, exec_lo, vcc_lo
	s_cbranch_execz .LBB401_98
; %bb.66:
	s_waitcnt lgkmcnt(0)
	v_add_f32_e32 v2, v2, v3
	s_delay_alu instid0(VALU_DEP_1) | instskip(SKIP_1) | instid1(VALU_DEP_2)
	v_div_scale_f32 v3, null, v2, v2, v39
	v_div_scale_f32 v13, vcc_lo, v39, v2, v39
	v_rcp_f32_e32 v4, v3
	s_waitcnt_depctr 0xfff
	v_fma_f32 v5, -v3, v4, 1.0
	s_delay_alu instid0(VALU_DEP_1) | instskip(NEXT) | instid1(VALU_DEP_1)
	v_fmac_f32_e32 v4, v5, v4
	v_mul_f32_e32 v5, v13, v4
	v_cmp_eq_f32_e64 s31, 0, v2
	s_delay_alu instid0(VALU_DEP_2) | instskip(NEXT) | instid1(VALU_DEP_1)
	v_fma_f32 v15, -v3, v5, v13
	v_fmac_f32_e32 v5, v15, v4
	s_delay_alu instid0(VALU_DEP_1) | instskip(NEXT) | instid1(VALU_DEP_1)
	v_fma_f32 v3, -v3, v5, v13
	v_div_fmas_f32 v3, v3, v4, v5
	v_add_co_u32 v0, vcc_lo, s36, v0
	v_add_co_ci_u32_e32 v1, vcc_lo, s37, v1, vcc_lo
	s_delay_alu instid0(VALU_DEP_3) | instskip(NEXT) | instid1(VALU_DEP_1)
	v_div_fixup_f32 v3, v3, v2, v39
	v_cndmask_b32_e64 v3, v3, 0x7fc00000, s31
	global_store_b32 v[0:1], v3, off
	s_and_b32 exec_lo, exec_lo, s30
	s_cbranch_execz .LBB401_98
; %bb.67:
	v_div_scale_f32 v3, null, v2, v2, v38
	s_delay_alu instid0(VALU_DEP_1) | instskip(SKIP_2) | instid1(VALU_DEP_1)
	v_rcp_f32_e32 v4, v3
	s_waitcnt_depctr 0xfff
	v_fma_f32 v5, -v3, v4, 1.0
	v_fmac_f32_e32 v4, v5, v4
	v_div_scale_f32 v5, vcc_lo, v38, v2, v38
	s_delay_alu instid0(VALU_DEP_1) | instskip(NEXT) | instid1(VALU_DEP_1)
	v_mul_f32_e32 v13, v5, v4
	v_fma_f32 v15, -v3, v13, v5
	s_delay_alu instid0(VALU_DEP_1) | instskip(NEXT) | instid1(VALU_DEP_1)
	v_fmac_f32_e32 v13, v15, v4
	v_fma_f32 v3, -v3, v13, v5
	s_delay_alu instid0(VALU_DEP_1) | instskip(NEXT) | instid1(VALU_DEP_1)
	v_div_fmas_f32 v3, v3, v4, v13
	v_div_fixup_f32 v3, v3, v2, v38
	s_delay_alu instid0(VALU_DEP_1)
	v_cndmask_b32_e64 v3, v3, 0x7fc00000, s31
	global_store_b32 v[0:1], v3, off offset:128
	s_and_b32 exec_lo, exec_lo, s29
	s_cbranch_execz .LBB401_98
; %bb.68:
	v_div_scale_f32 v3, null, v2, v2, v37
	s_delay_alu instid0(VALU_DEP_1) | instskip(SKIP_2) | instid1(VALU_DEP_1)
	v_rcp_f32_e32 v4, v3
	s_waitcnt_depctr 0xfff
	v_fma_f32 v5, -v3, v4, 1.0
	v_fmac_f32_e32 v4, v5, v4
	v_div_scale_f32 v5, vcc_lo, v37, v2, v37
	s_delay_alu instid0(VALU_DEP_1) | instskip(NEXT) | instid1(VALU_DEP_1)
	v_mul_f32_e32 v13, v5, v4
	v_fma_f32 v15, -v3, v13, v5
	s_delay_alu instid0(VALU_DEP_1) | instskip(NEXT) | instid1(VALU_DEP_1)
	v_fmac_f32_e32 v13, v15, v4
	v_fma_f32 v3, -v3, v13, v5
	s_delay_alu instid0(VALU_DEP_1) | instskip(NEXT) | instid1(VALU_DEP_1)
	v_div_fmas_f32 v3, v3, v4, v13
	v_div_fixup_f32 v3, v3, v2, v37
	s_delay_alu instid0(VALU_DEP_1)
	v_cndmask_b32_e64 v3, v3, 0x7fc00000, s31
	global_store_b32 v[0:1], v3, off offset:256
	;; [unrolled: 22-line block ×31, first 2 shown]
.LBB401_98:
	s_nop 0
	s_sendmsg sendmsg(MSG_DEALLOC_VGPRS)
	s_endpgm
	.section	.rodata,"a",@progbits
	.p2align	6, 0x0
	.amdhsa_kernel _ZN12_GLOBAL__N_120softmax_warp_forwardIfffLi10ELb0ELb0ELi32EEEvPT0_PKT_iiiPKbib
		.amdhsa_group_segment_fixed_size 0
		.amdhsa_private_segment_fixed_size 0
		.amdhsa_kernarg_size 304
		.amdhsa_user_sgpr_count 15
		.amdhsa_user_sgpr_dispatch_ptr 0
		.amdhsa_user_sgpr_queue_ptr 0
		.amdhsa_user_sgpr_kernarg_segment_ptr 1
		.amdhsa_user_sgpr_dispatch_id 0
		.amdhsa_user_sgpr_private_segment_size 0
		.amdhsa_wavefront_size32 1
		.amdhsa_uses_dynamic_stack 0
		.amdhsa_enable_private_segment 0
		.amdhsa_system_sgpr_workgroup_id_x 1
		.amdhsa_system_sgpr_workgroup_id_y 0
		.amdhsa_system_sgpr_workgroup_id_z 0
		.amdhsa_system_sgpr_workgroup_info 0
		.amdhsa_system_vgpr_workitem_id 1
		.amdhsa_next_free_vgpr 94
		.amdhsa_next_free_sgpr 44
		.amdhsa_reserve_vcc 1
		.amdhsa_float_round_mode_32 0
		.amdhsa_float_round_mode_16_64 0
		.amdhsa_float_denorm_mode_32 3
		.amdhsa_float_denorm_mode_16_64 3
		.amdhsa_dx10_clamp 1
		.amdhsa_ieee_mode 1
		.amdhsa_fp16_overflow 0
		.amdhsa_workgroup_processor_mode 1
		.amdhsa_memory_ordered 1
		.amdhsa_forward_progress 0
		.amdhsa_shared_vgpr_count 0
		.amdhsa_exception_fp_ieee_invalid_op 0
		.amdhsa_exception_fp_denorm_src 0
		.amdhsa_exception_fp_ieee_div_zero 0
		.amdhsa_exception_fp_ieee_overflow 0
		.amdhsa_exception_fp_ieee_underflow 0
		.amdhsa_exception_fp_ieee_inexact 0
		.amdhsa_exception_int_div_zero 0
	.end_amdhsa_kernel
	.section	.text._ZN12_GLOBAL__N_120softmax_warp_forwardIfffLi10ELb0ELb0ELi32EEEvPT0_PKT_iiiPKbib,"axG",@progbits,_ZN12_GLOBAL__N_120softmax_warp_forwardIfffLi10ELb0ELb0ELi32EEEvPT0_PKT_iiiPKbib,comdat
.Lfunc_end401:
	.size	_ZN12_GLOBAL__N_120softmax_warp_forwardIfffLi10ELb0ELb0ELi32EEEvPT0_PKT_iiiPKbib, .Lfunc_end401-_ZN12_GLOBAL__N_120softmax_warp_forwardIfffLi10ELb0ELb0ELi32EEEvPT0_PKT_iiiPKbib
                                        ; -- End function
	.section	.AMDGPU.csdata,"",@progbits
; Kernel info:
; codeLenInByte = 10492
; NumSgprs: 46
; NumVgprs: 94
; ScratchSize: 0
; MemoryBound: 0
; FloatMode: 240
; IeeeMode: 1
; LDSByteSize: 0 bytes/workgroup (compile time only)
; SGPRBlocks: 5
; VGPRBlocks: 11
; NumSGPRsForWavesPerEU: 46
; NumVGPRsForWavesPerEU: 94
; Occupancy: 16
; WaveLimiterHint : 0
; COMPUTE_PGM_RSRC2:SCRATCH_EN: 0
; COMPUTE_PGM_RSRC2:USER_SGPR: 15
; COMPUTE_PGM_RSRC2:TRAP_HANDLER: 0
; COMPUTE_PGM_RSRC2:TGID_X_EN: 1
; COMPUTE_PGM_RSRC2:TGID_Y_EN: 0
; COMPUTE_PGM_RSRC2:TGID_Z_EN: 0
; COMPUTE_PGM_RSRC2:TIDIG_COMP_CNT: 1
	.section	.text._ZN12_GLOBAL__N_120softmax_warp_forwardIfffLi11ELb0ELb0ELi64EEEvPT0_PKT_iiiPKbib,"axG",@progbits,_ZN12_GLOBAL__N_120softmax_warp_forwardIfffLi11ELb0ELb0ELi64EEEvPT0_PKT_iiiPKbib,comdat
	.globl	_ZN12_GLOBAL__N_120softmax_warp_forwardIfffLi11ELb0ELb0ELi64EEEvPT0_PKT_iiiPKbib ; -- Begin function _ZN12_GLOBAL__N_120softmax_warp_forwardIfffLi11ELb0ELb0ELi64EEEvPT0_PKT_iiiPKbib
	.p2align	8
	.type	_ZN12_GLOBAL__N_120softmax_warp_forwardIfffLi11ELb0ELb0ELi64EEEvPT0_PKT_iiiPKbib,@function
_ZN12_GLOBAL__N_120softmax_warp_forwardIfffLi11ELb0ELb0ELi64EEEvPT0_PKT_iiiPKbib: ; @_ZN12_GLOBAL__N_120softmax_warp_forwardIfffLi11ELb0ELb0ELi64EEEvPT0_PKT_iiiPKbib
; %bb.0:
	s_clause 0x1
	s_load_b32 s2, s[0:1], 0x3c
	s_load_b256 s[36:43], s[0:1], 0x0
	v_bfe_u32 v1, v0, 10, 10
	v_mov_b32_e32 v17, 0xff800000
	v_mov_b32_e32 v27, 0xff800000
	s_waitcnt lgkmcnt(0)
	s_lshr_b32 s0, s2, 16
	s_delay_alu instid0(SALU_CYCLE_1) | instskip(SKIP_1) | instid1(VALU_DEP_1)
	v_mad_u64_u32 v[3:4], null, s15, s0, v[1:2]
	v_and_b32_e32 v2, 0x3ff, v0
	v_cmp_gt_i32_e32 vcc_lo, s42, v2
	s_delay_alu instid0(VALU_DEP_3) | instskip(SKIP_1) | instid1(VALU_DEP_1)
	v_mad_u64_u32 v[0:1], null, v3, s41, v[2:3]
	v_sub_nc_u32_e32 v5, s40, v3
	v_cmp_lt_i32_e64 s31, 0, v5
	s_delay_alu instid0(VALU_DEP_3) | instskip(NEXT) | instid1(VALU_DEP_2)
	v_ashrrev_i32_e32 v1, 31, v0
	s_and_b32 s1, s31, vcc_lo
	s_delay_alu instid0(VALU_DEP_1) | instskip(NEXT) | instid1(VALU_DEP_1)
	v_lshlrev_b64 v[0:1], 2, v[0:1]
	v_add_co_u32 v3, s0, s38, v0
	s_delay_alu instid0(VALU_DEP_1)
	v_add_co_ci_u32_e64 v4, s0, s39, v1, s0
	s_and_saveexec_b32 s0, s1
	s_cbranch_execz .LBB402_2
; %bb.1:
	global_load_b32 v27, v[3:4], off
.LBB402_2:
	s_or_b32 exec_lo, exec_lo, s0
	v_add_nc_u32_e32 v6, 64, v2
	s_delay_alu instid0(VALU_DEP_1) | instskip(NEXT) | instid1(VALU_DEP_1)
	v_cmp_gt_i32_e64 s30, s42, v6
	s_and_b32 s1, s31, s30
	s_delay_alu instid0(SALU_CYCLE_1)
	s_and_saveexec_b32 s0, s1
	s_cbranch_execz .LBB402_4
; %bb.3:
	global_load_b32 v17, v[3:4], off offset:256
.LBB402_4:
	s_or_b32 exec_lo, exec_lo, s0
	v_add_nc_u32_e32 v6, 0x80, v2
	v_mov_b32_e32 v18, 0xff800000
	v_mov_b32_e32 v28, 0xff800000
	s_delay_alu instid0(VALU_DEP_3) | instskip(NEXT) | instid1(VALU_DEP_1)
	v_cmp_gt_i32_e64 s29, s42, v6
	s_and_b32 s1, s31, s29
	s_delay_alu instid0(SALU_CYCLE_1)
	s_and_saveexec_b32 s0, s1
	s_cbranch_execz .LBB402_6
; %bb.5:
	global_load_b32 v28, v[3:4], off offset:512
.LBB402_6:
	s_or_b32 exec_lo, exec_lo, s0
	v_add_nc_u32_e32 v6, 0xc0, v2
	s_delay_alu instid0(VALU_DEP_1) | instskip(NEXT) | instid1(VALU_DEP_1)
	v_cmp_gt_i32_e64 s28, s42, v6
	s_and_b32 s1, s31, s28
	s_delay_alu instid0(SALU_CYCLE_1)
	s_and_saveexec_b32 s0, s1
	s_cbranch_execz .LBB402_8
; %bb.7:
	global_load_b32 v18, v[3:4], off offset:768
.LBB402_8:
	s_or_b32 exec_lo, exec_lo, s0
	v_add_nc_u32_e32 v6, 0x100, v2
	v_mov_b32_e32 v19, 0xff800000
	v_mov_b32_e32 v29, 0xff800000
	s_delay_alu instid0(VALU_DEP_3) | instskip(NEXT) | instid1(VALU_DEP_1)
	v_cmp_gt_i32_e64 s27, s42, v6
	s_and_b32 s1, s31, s27
	s_delay_alu instid0(SALU_CYCLE_1)
	s_and_saveexec_b32 s0, s1
	s_cbranch_execz .LBB402_10
; %bb.9:
	global_load_b32 v29, v[3:4], off offset:1024
.LBB402_10:
	;; [unrolled: 24-line block ×7, first 2 shown]
	s_or_b32 exec_lo, exec_lo, s0
	v_add_nc_u32_e32 v6, 0x3c0, v2
	s_delay_alu instid0(VALU_DEP_1) | instskip(NEXT) | instid1(VALU_DEP_1)
	v_cmp_gt_i32_e64 s16, s42, v6
	s_and_b32 s1, s31, s16
	s_delay_alu instid0(SALU_CYCLE_1)
	s_and_saveexec_b32 s0, s1
	s_cbranch_execz .LBB402_32
; %bb.31:
	global_load_b32 v24, v[3:4], off offset:3840
.LBB402_32:
	s_or_b32 exec_lo, exec_lo, s0
	v_or_b32_e32 v6, 0x400, v2
	v_dual_mov_b32 v25, 0xff800000 :: v_dual_mov_b32 v36, 0xff800000
	s_delay_alu instid0(VALU_DEP_2) | instskip(NEXT) | instid1(VALU_DEP_1)
	v_cmp_gt_i32_e64 s15, s42, v6
	s_and_b32 s0, s31, s15
	s_delay_alu instid0(SALU_CYCLE_1)
	s_and_saveexec_b32 s1, s0
	s_cbranch_execz .LBB402_34
; %bb.33:
	v_add_co_u32 v6, s0, 0x1000, v3
	s_delay_alu instid0(VALU_DEP_1)
	v_add_co_ci_u32_e64 v7, s0, 0, v4, s0
	global_load_b32 v36, v[6:7], off
.LBB402_34:
	s_or_b32 exec_lo, exec_lo, s1
	v_add_nc_u32_e32 v6, 0x440, v2
	s_delay_alu instid0(VALU_DEP_1) | instskip(NEXT) | instid1(VALU_DEP_1)
	v_cmp_gt_i32_e64 s14, s42, v6
	s_and_b32 s0, s31, s14
	s_delay_alu instid0(SALU_CYCLE_1)
	s_and_saveexec_b32 s1, s0
	s_cbranch_execz .LBB402_36
; %bb.35:
	v_add_co_u32 v6, s0, 0x1000, v3
	s_delay_alu instid0(VALU_DEP_1)
	v_add_co_ci_u32_e64 v7, s0, 0, v4, s0
	global_load_b32 v25, v[6:7], off offset:256
.LBB402_36:
	s_or_b32 exec_lo, exec_lo, s1
	v_add_nc_u32_e32 v6, 0x480, v2
	v_mov_b32_e32 v26, 0xff800000
	v_mov_b32_e32 v38, 0xff800000
	s_delay_alu instid0(VALU_DEP_3) | instskip(NEXT) | instid1(VALU_DEP_1)
	v_cmp_gt_i32_e64 s13, s42, v6
	s_and_b32 s0, s31, s13
	s_delay_alu instid0(SALU_CYCLE_1)
	s_and_saveexec_b32 s1, s0
	s_cbranch_execz .LBB402_38
; %bb.37:
	v_add_co_u32 v6, s0, 0x1000, v3
	s_delay_alu instid0(VALU_DEP_1)
	v_add_co_ci_u32_e64 v7, s0, 0, v4, s0
	global_load_b32 v38, v[6:7], off offset:512
.LBB402_38:
	s_or_b32 exec_lo, exec_lo, s1
	v_add_nc_u32_e32 v6, 0x4c0, v2
	s_delay_alu instid0(VALU_DEP_1) | instskip(NEXT) | instid1(VALU_DEP_1)
	v_cmp_gt_i32_e64 s12, s42, v6
	s_and_b32 s0, s31, s12
	s_delay_alu instid0(SALU_CYCLE_1)
	s_and_saveexec_b32 s1, s0
	s_cbranch_execz .LBB402_40
; %bb.39:
	v_add_co_u32 v6, s0, 0x1000, v3
	s_delay_alu instid0(VALU_DEP_1)
	v_add_co_ci_u32_e64 v7, s0, 0, v4, s0
	global_load_b32 v26, v[6:7], off offset:768
.LBB402_40:
	s_or_b32 exec_lo, exec_lo, s1
	v_add_nc_u32_e32 v6, 0x500, v2
	v_mov_b32_e32 v35, 0xff800000
	v_mov_b32_e32 v39, 0xff800000
	s_delay_alu instid0(VALU_DEP_3) | instskip(NEXT) | instid1(VALU_DEP_1)
	v_cmp_gt_i32_e64 s11, s42, v6
	s_and_b32 s0, s31, s11
	s_delay_alu instid0(SALU_CYCLE_1)
	s_and_saveexec_b32 s1, s0
	s_cbranch_execz .LBB402_42
; %bb.41:
	v_add_co_u32 v6, s0, 0x1000, v3
	s_delay_alu instid0(VALU_DEP_1)
	v_add_co_ci_u32_e64 v7, s0, 0, v4, s0
	global_load_b32 v39, v[6:7], off offset:1024
.LBB402_42:
	s_or_b32 exec_lo, exec_lo, s1
	v_add_nc_u32_e32 v6, 0x540, v2
	s_delay_alu instid0(VALU_DEP_1) | instskip(NEXT) | instid1(VALU_DEP_1)
	v_cmp_gt_i32_e64 s10, s42, v6
	s_and_b32 s0, s31, s10
	s_delay_alu instid0(SALU_CYCLE_1)
	s_and_saveexec_b32 s1, s0
	s_cbranch_execz .LBB402_44
; %bb.43:
	v_add_co_u32 v6, s0, 0x1000, v3
	s_delay_alu instid0(VALU_DEP_1)
	v_add_co_ci_u32_e64 v7, s0, 0, v4, s0
	global_load_b32 v35, v[6:7], off offset:1280
.LBB402_44:
	s_or_b32 exec_lo, exec_lo, s1
	v_add_nc_u32_e32 v6, 0x580, v2
	v_dual_mov_b32 v37, 0xff800000 :: v_dual_mov_b32 v40, 0xff800000
	s_delay_alu instid0(VALU_DEP_2) | instskip(NEXT) | instid1(VALU_DEP_1)
	v_cmp_gt_i32_e64 s9, s42, v6
	s_and_b32 s0, s31, s9
	s_delay_alu instid0(SALU_CYCLE_1)
	s_and_saveexec_b32 s1, s0
	s_cbranch_execz .LBB402_46
; %bb.45:
	v_add_co_u32 v6, s0, 0x1000, v3
	s_delay_alu instid0(VALU_DEP_1)
	v_add_co_ci_u32_e64 v7, s0, 0, v4, s0
	global_load_b32 v40, v[6:7], off offset:1536
.LBB402_46:
	s_or_b32 exec_lo, exec_lo, s1
	v_add_nc_u32_e32 v6, 0x5c0, v2
	s_delay_alu instid0(VALU_DEP_1) | instskip(NEXT) | instid1(VALU_DEP_1)
	v_cmp_gt_i32_e64 s8, s42, v6
	s_and_b32 s0, s31, s8
	s_delay_alu instid0(SALU_CYCLE_1)
	s_and_saveexec_b32 s1, s0
	s_cbranch_execz .LBB402_48
; %bb.47:
	v_add_co_u32 v6, s0, 0x1000, v3
	s_delay_alu instid0(VALU_DEP_1)
	v_add_co_ci_u32_e64 v7, s0, 0, v4, s0
	global_load_b32 v37, v[6:7], off offset:1792
.LBB402_48:
	s_or_b32 exec_lo, exec_lo, s1
	v_add_nc_u32_e32 v6, 0x600, v2
	v_mov_b32_e32 v11, 0xff800000
	v_mov_b32_e32 v41, 0xff800000
	s_delay_alu instid0(VALU_DEP_3) | instskip(NEXT) | instid1(VALU_DEP_1)
	v_cmp_gt_i32_e64 s7, s42, v6
	s_and_b32 s0, s31, s7
	s_delay_alu instid0(SALU_CYCLE_1)
	s_and_saveexec_b32 s1, s0
	s_cbranch_execz .LBB402_50
; %bb.49:
	v_add_co_u32 v6, s0, 0x1000, v3
	s_delay_alu instid0(VALU_DEP_1)
	v_add_co_ci_u32_e64 v7, s0, 0, v4, s0
	global_load_b32 v41, v[6:7], off offset:2048
.LBB402_50:
	s_or_b32 exec_lo, exec_lo, s1
	v_add_nc_u32_e32 v6, 0x640, v2
	s_delay_alu instid0(VALU_DEP_1) | instskip(NEXT) | instid1(VALU_DEP_1)
	v_cmp_gt_i32_e64 s6, s42, v6
	s_and_b32 s0, s31, s6
	s_delay_alu instid0(SALU_CYCLE_1)
	s_and_saveexec_b32 s1, s0
	s_cbranch_execz .LBB402_52
; %bb.51:
	v_add_co_u32 v6, s0, 0x1000, v3
	s_delay_alu instid0(VALU_DEP_1)
	v_add_co_ci_u32_e64 v7, s0, 0, v4, s0
	global_load_b32 v11, v[6:7], off offset:2304
.LBB402_52:
	s_or_b32 exec_lo, exec_lo, s1
	v_add_nc_u32_e32 v6, 0x680, v2
	v_dual_mov_b32 v9, 0xff800000 :: v_dual_mov_b32 v12, 0xff800000
	s_delay_alu instid0(VALU_DEP_2) | instskip(NEXT) | instid1(VALU_DEP_1)
	v_cmp_gt_i32_e64 s5, s42, v6
	s_and_b32 s0, s31, s5
	s_delay_alu instid0(SALU_CYCLE_1)
	s_and_saveexec_b32 s1, s0
	s_cbranch_execz .LBB402_54
; %bb.53:
	v_add_co_u32 v6, s0, 0x1000, v3
	s_delay_alu instid0(VALU_DEP_1)
	v_add_co_ci_u32_e64 v7, s0, 0, v4, s0
	global_load_b32 v12, v[6:7], off offset:2560
.LBB402_54:
	s_or_b32 exec_lo, exec_lo, s1
	v_add_nc_u32_e32 v6, 0x6c0, v2
	s_delay_alu instid0(VALU_DEP_1) | instskip(NEXT) | instid1(VALU_DEP_1)
	v_cmp_gt_i32_e64 s4, s42, v6
	s_and_b32 s0, s31, s4
	s_delay_alu instid0(SALU_CYCLE_1)
	s_and_saveexec_b32 s1, s0
	s_cbranch_execz .LBB402_56
; %bb.55:
	v_add_co_u32 v6, s0, 0x1000, v3
	s_delay_alu instid0(VALU_DEP_1)
	v_add_co_ci_u32_e64 v7, s0, 0, v4, s0
	global_load_b32 v9, v[6:7], off offset:2816
.LBB402_56:
	s_or_b32 exec_lo, exec_lo, s1
	v_add_nc_u32_e32 v6, 0x700, v2
	v_dual_mov_b32 v7, 0xff800000 :: v_dual_mov_b32 v10, 0xff800000
	s_delay_alu instid0(VALU_DEP_2) | instskip(NEXT) | instid1(VALU_DEP_1)
	v_cmp_gt_i32_e64 s3, s42, v6
	s_and_b32 s0, s31, s3
	s_delay_alu instid0(SALU_CYCLE_1)
	s_and_saveexec_b32 s1, s0
	s_cbranch_execz .LBB402_58
; %bb.57:
	v_add_co_u32 v13, s0, 0x1000, v3
	s_delay_alu instid0(VALU_DEP_1)
	v_add_co_ci_u32_e64 v14, s0, 0, v4, s0
	global_load_b32 v10, v[13:14], off offset:3072
.LBB402_58:
	s_or_b32 exec_lo, exec_lo, s1
	v_add_nc_u32_e32 v6, 0x740, v2
	s_delay_alu instid0(VALU_DEP_1) | instskip(NEXT) | instid1(VALU_DEP_1)
	v_cmp_gt_i32_e64 s2, s42, v6
	s_and_b32 s0, s31, s2
	s_delay_alu instid0(SALU_CYCLE_1)
	s_and_saveexec_b32 s1, s0
	s_cbranch_execz .LBB402_60
; %bb.59:
	v_add_co_u32 v6, s0, 0x1000, v3
	s_delay_alu instid0(VALU_DEP_1)
	v_add_co_ci_u32_e64 v7, s0, 0, v4, s0
	global_load_b32 v7, v[6:7], off offset:3328
.LBB402_60:
	s_or_b32 exec_lo, exec_lo, s1
	v_add_nc_u32_e32 v6, 0x780, v2
	v_mov_b32_e32 v8, 0xff800000
	s_delay_alu instid0(VALU_DEP_2) | instskip(SKIP_1) | instid1(VALU_DEP_2)
	v_cmp_gt_i32_e64 s1, s42, v6
	v_mov_b32_e32 v6, 0xff800000
	s_and_b32 s0, s31, s1
	s_delay_alu instid0(SALU_CYCLE_1)
	s_and_saveexec_b32 s33, s0
	s_cbranch_execz .LBB402_62
; %bb.61:
	v_add_co_u32 v13, s0, 0x1000, v3
	s_delay_alu instid0(VALU_DEP_1)
	v_add_co_ci_u32_e64 v14, s0, 0, v4, s0
	global_load_b32 v8, v[13:14], off offset:3584
.LBB402_62:
	s_or_b32 exec_lo, exec_lo, s33
	v_add_nc_u32_e32 v2, 0x7c0, v2
	s_delay_alu instid0(VALU_DEP_1) | instskip(NEXT) | instid1(VALU_DEP_1)
	v_cmp_gt_i32_e64 s0, s42, v2
	s_and_b32 s31, s31, s0
	s_delay_alu instid0(SALU_CYCLE_1)
	s_and_saveexec_b32 s33, s31
	s_cbranch_execz .LBB402_64
; %bb.63:
	v_add_co_u32 v2, s31, 0x1000, v3
	s_delay_alu instid0(VALU_DEP_1)
	v_add_co_ci_u32_e64 v3, s31, 0, v4, s31
	global_load_b32 v6, v[2:3], off offset:3840
.LBB402_64:
	s_or_b32 exec_lo, exec_lo, s33
	s_waitcnt vmcnt(0)
	v_cmp_gt_f32_e64 s31, v27, v17
	v_mbcnt_lo_u32_b32 v15, -1, 0
	s_mov_b32 s33, exec_lo
	s_delay_alu instid0(VALU_DEP_2) | instskip(NEXT) | instid1(VALU_DEP_2)
	v_cndmask_b32_e64 v2, v17, v27, s31
	v_or_b32_e32 v3, 32, v15
	v_xor_b32_e32 v43, 1, v15
	s_delay_alu instid0(VALU_DEP_3) | instskip(NEXT) | instid1(VALU_DEP_1)
	v_cmp_gt_f32_e64 s31, v2, v28
	v_cndmask_b32_e64 v2, v28, v2, s31
	s_delay_alu instid0(VALU_DEP_1) | instskip(NEXT) | instid1(VALU_DEP_1)
	v_cmp_gt_f32_e64 s31, v2, v18
	v_cndmask_b32_e64 v2, v18, v2, s31
	s_delay_alu instid0(VALU_DEP_1) | instskip(NEXT) | instid1(VALU_DEP_1)
	v_cmp_gt_f32_e64 s31, v2, v29
	v_cndmask_b32_e64 v2, v29, v2, s31
	s_delay_alu instid0(VALU_DEP_1) | instskip(NEXT) | instid1(VALU_DEP_1)
	v_cmp_gt_f32_e64 s31, v2, v19
	v_cndmask_b32_e64 v2, v19, v2, s31
	s_delay_alu instid0(VALU_DEP_1) | instskip(NEXT) | instid1(VALU_DEP_1)
	v_cmp_gt_f32_e64 s31, v2, v30
	v_cndmask_b32_e64 v2, v30, v2, s31
	s_delay_alu instid0(VALU_DEP_1) | instskip(NEXT) | instid1(VALU_DEP_1)
	v_cmp_gt_f32_e64 s31, v2, v20
	v_cndmask_b32_e64 v2, v20, v2, s31
	s_delay_alu instid0(VALU_DEP_1) | instskip(NEXT) | instid1(VALU_DEP_1)
	v_cmp_gt_f32_e64 s31, v2, v31
	v_cndmask_b32_e64 v2, v31, v2, s31
	s_delay_alu instid0(VALU_DEP_1) | instskip(NEXT) | instid1(VALU_DEP_1)
	v_cmp_gt_f32_e64 s31, v2, v21
	v_cndmask_b32_e64 v2, v21, v2, s31
	s_delay_alu instid0(VALU_DEP_1) | instskip(NEXT) | instid1(VALU_DEP_1)
	v_cmp_gt_f32_e64 s31, v2, v32
	v_cndmask_b32_e64 v2, v32, v2, s31
	s_delay_alu instid0(VALU_DEP_1) | instskip(NEXT) | instid1(VALU_DEP_1)
	v_cmp_gt_f32_e64 s31, v2, v22
	v_cndmask_b32_e64 v2, v22, v2, s31
	s_delay_alu instid0(VALU_DEP_1) | instskip(NEXT) | instid1(VALU_DEP_1)
	v_cmp_gt_f32_e64 s31, v2, v33
	v_cndmask_b32_e64 v2, v33, v2, s31
	s_delay_alu instid0(VALU_DEP_1) | instskip(NEXT) | instid1(VALU_DEP_1)
	v_cmp_gt_f32_e64 s31, v2, v23
	v_cndmask_b32_e64 v2, v23, v2, s31
	s_delay_alu instid0(VALU_DEP_1) | instskip(NEXT) | instid1(VALU_DEP_1)
	v_cmp_gt_f32_e64 s31, v2, v34
	v_cndmask_b32_e64 v2, v34, v2, s31
	s_delay_alu instid0(VALU_DEP_1) | instskip(NEXT) | instid1(VALU_DEP_1)
	v_cmp_gt_f32_e64 s31, v2, v24
	v_cndmask_b32_e64 v2, v24, v2, s31
	s_delay_alu instid0(VALU_DEP_1) | instskip(NEXT) | instid1(VALU_DEP_1)
	v_cmp_gt_f32_e64 s31, v2, v36
	v_cndmask_b32_e64 v2, v36, v2, s31
	s_delay_alu instid0(VALU_DEP_1) | instskip(NEXT) | instid1(VALU_DEP_1)
	v_cmp_gt_f32_e64 s31, v2, v25
	v_cndmask_b32_e64 v2, v25, v2, s31
	s_delay_alu instid0(VALU_DEP_1) | instskip(NEXT) | instid1(VALU_DEP_1)
	v_cmp_gt_f32_e64 s31, v2, v38
	v_cndmask_b32_e64 v2, v38, v2, s31
	s_delay_alu instid0(VALU_DEP_1) | instskip(NEXT) | instid1(VALU_DEP_1)
	v_cmp_gt_f32_e64 s31, v2, v26
	v_cndmask_b32_e64 v2, v26, v2, s31
	s_delay_alu instid0(VALU_DEP_1) | instskip(NEXT) | instid1(VALU_DEP_1)
	v_cmp_gt_f32_e64 s31, v2, v39
	v_cndmask_b32_e64 v2, v39, v2, s31
	s_delay_alu instid0(VALU_DEP_1) | instskip(NEXT) | instid1(VALU_DEP_1)
	v_cmp_gt_f32_e64 s31, v2, v35
	v_cndmask_b32_e64 v2, v35, v2, s31
	s_delay_alu instid0(VALU_DEP_1) | instskip(NEXT) | instid1(VALU_DEP_1)
	v_cmp_gt_f32_e64 s31, v2, v40
	v_cndmask_b32_e64 v2, v40, v2, s31
	s_delay_alu instid0(VALU_DEP_1) | instskip(NEXT) | instid1(VALU_DEP_1)
	v_cmp_gt_f32_e64 s31, v2, v37
	v_cndmask_b32_e64 v2, v37, v2, s31
	s_delay_alu instid0(VALU_DEP_1) | instskip(NEXT) | instid1(VALU_DEP_1)
	v_cmp_gt_f32_e64 s31, v2, v41
	v_cndmask_b32_e64 v2, v41, v2, s31
	s_delay_alu instid0(VALU_DEP_1) | instskip(NEXT) | instid1(VALU_DEP_1)
	v_cmp_gt_f32_e64 s31, v2, v11
	v_cndmask_b32_e64 v2, v11, v2, s31
	s_delay_alu instid0(VALU_DEP_1) | instskip(NEXT) | instid1(VALU_DEP_1)
	v_cmp_gt_f32_e64 s31, v2, v12
	v_cndmask_b32_e64 v2, v12, v2, s31
	s_delay_alu instid0(VALU_DEP_1) | instskip(NEXT) | instid1(VALU_DEP_1)
	v_cmp_gt_f32_e64 s31, v2, v9
	v_cndmask_b32_e64 v2, v9, v2, s31
	s_delay_alu instid0(VALU_DEP_1) | instskip(NEXT) | instid1(VALU_DEP_1)
	v_cmp_gt_f32_e64 s31, v2, v10
	v_cndmask_b32_e64 v2, v10, v2, s31
	s_delay_alu instid0(VALU_DEP_1) | instskip(NEXT) | instid1(VALU_DEP_1)
	v_cmp_gt_f32_e64 s31, v2, v7
	v_cndmask_b32_e64 v2, v7, v2, s31
	v_cmp_gt_i32_e64 s31, 64, v3
	s_delay_alu instid0(VALU_DEP_1) | instskip(NEXT) | instid1(VALU_DEP_3)
	v_cndmask_b32_e64 v3, v15, v3, s31
	v_cmp_gt_f32_e64 s31, v2, v8
	s_delay_alu instid0(VALU_DEP_1) | instskip(NEXT) | instid1(VALU_DEP_3)
	v_cndmask_b32_e64 v4, v8, v2, s31
	v_lshlrev_b32_e32 v2, 2, v3
	v_xor_b32_e32 v3, 16, v15
	s_delay_alu instid0(VALU_DEP_3) | instskip(NEXT) | instid1(VALU_DEP_1)
	v_cmp_gt_f32_e64 s31, v4, v6
	v_cndmask_b32_e64 v4, v6, v4, s31
	s_delay_alu instid0(VALU_DEP_3) | instskip(SKIP_2) | instid1(VALU_DEP_1)
	v_cmp_gt_i32_e64 s31, 64, v3
	ds_bpermute_b32 v13, v2, v4
	v_cndmask_b32_e64 v3, v15, v3, s31
	v_lshlrev_b32_e32 v3, 2, v3
	s_waitcnt lgkmcnt(0)
	v_cmp_lt_f32_e64 s31, v4, v13
	s_delay_alu instid0(VALU_DEP_1) | instskip(SKIP_3) | instid1(VALU_DEP_1)
	v_cndmask_b32_e64 v13, v4, v13, s31
	v_xor_b32_e32 v4, 8, v15
	ds_bpermute_b32 v14, v3, v13
	v_cmp_gt_i32_e64 s31, 64, v4
	v_cndmask_b32_e64 v4, v15, v4, s31
	s_delay_alu instid0(VALU_DEP_1) | instskip(SKIP_2) | instid1(VALU_DEP_1)
	v_lshlrev_b32_e32 v4, 2, v4
	s_waitcnt lgkmcnt(0)
	v_cmp_lt_f32_e64 s31, v13, v14
	v_cndmask_b32_e64 v14, v13, v14, s31
	v_xor_b32_e32 v13, 4, v15
	ds_bpermute_b32 v16, v4, v14
	v_cmp_gt_i32_e64 s31, 64, v13
	s_delay_alu instid0(VALU_DEP_1) | instskip(NEXT) | instid1(VALU_DEP_1)
	v_cndmask_b32_e64 v13, v15, v13, s31
	v_lshlrev_b32_e32 v13, 2, v13
	s_waitcnt lgkmcnt(0)
	v_cmp_lt_f32_e64 s31, v14, v16
	s_delay_alu instid0(VALU_DEP_1) | instskip(SKIP_3) | instid1(VALU_DEP_1)
	v_cndmask_b32_e64 v16, v14, v16, s31
	v_xor_b32_e32 v14, 2, v15
	ds_bpermute_b32 v42, v13, v16
	v_cmp_gt_i32_e64 s31, 64, v14
	v_cndmask_b32_e64 v14, v15, v14, s31
	s_delay_alu instid0(VALU_DEP_1) | instskip(SKIP_2) | instid1(VALU_DEP_1)
	v_lshlrev_b32_e32 v14, 2, v14
	s_waitcnt lgkmcnt(0)
	v_cmp_lt_f32_e64 s31, v16, v42
	v_cndmask_b32_e64 v16, v16, v42, s31
	v_cmp_gt_i32_e64 s31, 64, v43
	ds_bpermute_b32 v42, v14, v16
	v_cndmask_b32_e64 v15, v15, v43, s31
	s_delay_alu instid0(VALU_DEP_1) | instskip(SKIP_2) | instid1(VALU_DEP_1)
	v_lshlrev_b32_e32 v15, 2, v15
	s_waitcnt lgkmcnt(0)
	v_cmp_lt_f32_e64 s31, v16, v42
	v_cndmask_b32_e64 v16, v16, v42, s31
	ds_bpermute_b32 v42, v15, v16
	s_waitcnt lgkmcnt(0)
	v_cmp_lt_f32_e64 s31, v16, v42
	s_delay_alu instid0(VALU_DEP_1) | instskip(NEXT) | instid1(VALU_DEP_1)
	v_cndmask_b32_e64 v16, v16, v42, s31
	v_sub_f32_e32 v30, v30, v16
	v_sub_f32_e32 v27, v27, v16
	;; [unrolled: 1-line block ×7, first 2 shown]
	v_mul_f32_e32 v63, 0x3fb8aa3b, v51
	v_dual_sub_f32 v47, v38, v16 :: v_dual_mul_f32 v62, 0x3fb8aa3b, v50
	v_sub_f32_e32 v45, v36, v16
	v_sub_f32_e32 v20, v20, v16
	v_sub_f32_e32 v28, v28, v16
	s_delay_alu instid0(VALU_DEP_4) | instskip(NEXT) | instid1(VALU_DEP_4)
	v_dual_mul_f32 v60, 0x3fb8aa3b, v47 :: v_dual_sub_f32 v23, v23, v16
	v_mul_f32_e32 v58, 0x3fb8aa3b, v45
	v_dual_sub_f32 v46, v25, v16 :: v_dual_mul_f32 v25, 0x3fb8aa3b, v27
	v_dual_sub_f32 v31, v31, v16 :: v_dual_mul_f32 v36, 0x3fb8aa3b, v30
	s_delay_alu instid0(VALU_DEP_4) | instskip(NEXT) | instid1(VALU_DEP_3)
	v_dual_mul_f32 v55, 0x3fb8aa3b, v23 :: v_dual_sub_f32 v48, v26, v16
	v_dual_mul_f32 v59, 0x3fb8aa3b, v46 :: v_dual_mul_f32 v26, 0x3fb8aa3b, v17
	v_sub_f32_e32 v19, v19, v16
	v_sub_f32_e32 v43, v33, v16
	v_mul_f32_e32 v33, 0x3fb8aa3b, v18
	v_fma_f32 v66, 0x3fb8aa3b, v27, -v25
	v_rndne_f32_e32 v67, v25
	v_fma_f32 v68, 0x3fb8aa3b, v17, -v26
	v_sub_f32_e32 v49, v37, v16
	v_rndne_f32_e32 v69, v26
	v_mul_f32_e32 v37, 0x3fb8aa3b, v20
	v_dual_sub_f32 v22, v22, v16 :: v_dual_mul_f32 v39, 0x3fb8aa3b, v31
	v_sub_f32_e32 v44, v34, v16
	v_mul_f32_e32 v34, 0x3fb8aa3b, v29
	v_dual_sub_f32 v42, v32, v16 :: v_dual_mul_f32 v35, 0x3fb8aa3b, v19
	v_dual_mul_f32 v32, 0x3fb8aa3b, v28 :: v_dual_sub_f32 v25, v25, v67
	v_fmac_f32_e32 v66, 0x32a5705f, v27
	v_sub_f32_e32 v26, v26, v69
	v_fma_f32 v80, 0x3fb8aa3b, v20, -v37
	v_fma_f32 v92, 0x3fb8aa3b, v23, -v55
	v_rndne_f32_e32 v93, v55
	v_dual_sub_f32 v24, v24, v16 :: v_dual_mul_f32 v53, 0x3fb8aa3b, v22
	v_fma_f32 v70, 0x3fb8aa3b, v28, -v32
	v_rndne_f32_e32 v71, v32
	v_fma_f32 v76, 0x3fb8aa3b, v19, -v35
	v_rndne_f32_e32 v77, v35
	v_dual_sub_f32 v38, v41, v16 :: v_dual_mul_f32 v41, 0x3fb8aa3b, v42
	v_dual_mul_f32 v56, 0x3fb8aa3b, v44 :: v_dual_add_f32 v25, v25, v66
	v_fma_f32 v82, 0x3fb8aa3b, v31, -v39
	v_rndne_f32_e32 v83, v39
	v_fmac_f32_e32 v68, 0x32a5705f, v17
	v_dual_fmac_f32 v80, 0x32a5705f, v20 :: v_dual_sub_f32 v55, v55, v93
	v_fmac_f32_e32 v92, 0x32a5705f, v23
	v_dual_sub_f32 v52, v40, v16 :: v_dual_mul_f32 v65, 0x3fb8aa3b, v49
	v_dual_mul_f32 v57, 0x3fb8aa3b, v24 :: v_dual_sub_f32 v32, v32, v71
	v_fma_f32 v72, 0x3fb8aa3b, v18, -v33
	v_rndne_f32_e32 v73, v33
	v_fma_f32 v74, 0x3fb8aa3b, v29, -v34
	v_rndne_f32_e32 v75, v34
	v_rndne_f32_e32 v81, v37
	v_add_f32_e32 v26, v26, v68
	v_dual_fmac_f32 v70, 0x32a5705f, v28 :: v_dual_sub_f32 v39, v39, v83
	v_dual_sub_f32 v35, v35, v77 :: v_dual_fmac_f32 v82, 0x32a5705f, v31
	v_dual_add_f32 v55, v55, v92 :: v_dual_fmac_f32 v76, 0x32a5705f, v19
	v_exp_f32_e32 v25, v25
	v_dual_mul_f32 v61, 0x3fb8aa3b, v48 :: v_dual_sub_f32 v34, v34, v75
	v_dual_mul_f32 v64, 0x3fb8aa3b, v52 :: v_dual_sub_f32 v33, v33, v73
	v_fma_f32 v86, 0x3fb8aa3b, v42, -v41
	v_rndne_f32_e32 v87, v41
	v_dual_sub_f32 v37, v37, v81 :: v_dual_add_f32 v32, v32, v70
	v_add_f32_e32 v39, v39, v82
	v_dual_fmac_f32 v72, 0x32a5705f, v18 :: v_dual_add_f32 v35, v35, v76
	v_fmac_f32_e32 v74, 0x32a5705f, v29
	v_cvt_i32_f32_e32 v67, v67
	v_exp_f32_e32 v26, v26
	s_delay_alu instid0(VALU_DEP_3)
	v_add_f32_e32 v33, v33, v72
	v_rndne_f32_e32 v79, v36
	v_dual_add_f32 v34, v34, v74 :: v_dual_sub_f32 v41, v41, v87
	v_add_f32_e32 v37, v37, v80
	v_rndne_f32_e32 v80, v59
	v_fmac_f32_e32 v86, 0x32a5705f, v42
	v_cvt_i32_f32_e32 v69, v69
	v_exp_f32_e32 v32, v32
	v_ldexp_f32 v25, v25, v67
	v_cmp_ngt_f32_e64 s31, 0xc2ce8ed0, v27
	v_dual_sub_f32 v21, v21, v16 :: v_dual_mul_f32 v54, 0x3fb8aa3b, v43
	v_fma_f32 v78, 0x3fb8aa3b, v30, -v36
	v_dual_sub_f32 v36, v36, v79 :: v_dual_add_f32 v41, v41, v86
	v_cvt_i32_f32_e32 v71, v71
	v_ldexp_f32 v26, v26, v69
	v_cndmask_b32_e64 v25, 0, v25, s31
	v_cmp_ngt_f32_e64 s31, 0xc2ce8ed0, v17
	v_mul_f32_e32 v40, 0x3fb8aa3b, v21
	v_exp_f32_e32 v33, v33
	v_exp_f32_e32 v41, v41
	v_ldexp_f32 v32, v32, v71
	v_cndmask_b32_e64 v26, 0, v26, s31
	v_cmp_ngt_f32_e64 s31, 0xc2ce8ed0, v28
	v_fma_f32 v84, 0x3fb8aa3b, v21, -v40
	v_rndne_f32_e32 v85, v40
	v_fma_f32 v88, 0x3fb8aa3b, v22, -v53
	v_rndne_f32_e32 v89, v53
	;; [unrolled: 2-line block ×3, first 2 shown]
	v_fmac_f32_e32 v78, 0x32a5705f, v30
	v_cvt_i32_f32_e32 v73, v73
	v_sub_f32_e32 v53, v53, v89
	v_cvt_i32_f32_e32 v87, v87
	v_cndmask_b32_e64 v32, 0, v32, s31
	v_cmp_nlt_f32_e64 s31, 0x42b17218, v27
	v_dual_fmac_f32 v84, 0x32a5705f, v21 :: v_dual_sub_f32 v57, v57, v72
	v_fmac_f32_e32 v70, 0x32a5705f, v24
	v_sub_f32_e32 v40, v40, v85
	v_ldexp_f32 v33, v33, v73
	v_ldexp_f32 v73, v41, v87
	v_cndmask_b32_e64 v41, 0x7f800000, v25, s31
	v_add_f32_e32 v57, v57, v70
	v_fmac_f32_e32 v88, 0x32a5705f, v22
	v_add_f32_e32 v36, v36, v78
	v_fma_f32 v78, 0x3fb8aa3b, v46, -v59
	v_sub_f32_e32 v59, v59, v80
	v_cvt_i32_f32_e32 v85, v85
	v_cmp_nlt_f32_e64 s31, 0x42b17218, v17
	v_exp_f32_e32 v34, v34
	v_fmac_f32_e32 v78, 0x32a5705f, v46
	v_add_f32_e32 v40, v40, v84
	v_exp_f32_e32 v39, v39
	v_fma_f32 v90, 0x3fb8aa3b, v43, -v54
	v_fma_f32 v86, 0x3fb8aa3b, v48, -v61
	v_add_f32_e32 v59, v59, v78
	v_exp_f32_e32 v40, v40
	v_cvt_i32_f32_e32 v75, v75
	v_cvt_i32_f32_e32 v83, v83
	v_rndne_f32_e32 v91, v54
	v_fma_f32 v66, 0x3fb8aa3b, v44, -v56
	v_rndne_f32_e32 v68, v56
	v_fma_f32 v82, 0x3fb8aa3b, v47, -v60
	v_rndne_f32_e32 v84, v60
	v_fmac_f32_e32 v86, 0x32a5705f, v48
	v_exp_f32_e32 v35, v35
	v_ldexp_f32 v71, v40, v85
	v_cndmask_b32_e64 v40, 0x7f800000, v26, s31
	v_cmp_ngt_f32_e64 s31, 0xc2ce8ed0, v18
	v_exp_f32_e32 v37, v37
	v_ldexp_f32 v34, v34, v75
	v_ldexp_f32 v69, v39, v83
	v_add_f32_e32 v25, v41, v40
	v_add_f32_e32 v53, v53, v88
	v_rndne_f32_e32 v88, v61
	v_cndmask_b32_e64 v17, 0, v33, s31
	v_cmp_nlt_f32_e64 s31, 0x42b17218, v28
	v_fmac_f32_e32 v90, 0x32a5705f, v43
	v_sub_f32_e32 v56, v56, v68
	v_dual_sub_f32 v61, v61, v88 :: v_dual_sub_f32 v54, v54, v91
	s_delay_alu instid0(VALU_DEP_4) | instskip(SKIP_2) | instid1(VALU_DEP_4)
	v_cndmask_b32_e64 v39, 0x7f800000, v32, s31
	v_cmp_ngt_f32_e64 s31, 0xc2ce8ed0, v29
	v_fmac_f32_e32 v82, 0x32a5705f, v47
	v_dual_sub_f32 v60, v60, v84 :: v_dual_add_f32 v61, v61, v86
	v_rndne_f32_e32 v86, v65
	v_fmac_f32_e32 v66, 0x32a5705f, v44
	v_cvt_i32_f32_e32 v77, v77
	v_cvt_i32_f32_e32 v81, v81
	v_cndmask_b32_e64 v26, 0, v34, s31
	v_cmp_nlt_f32_e64 s31, 0x42b17218, v18
	v_rndne_f32_e32 v70, v63
	v_add_f32_e32 v60, v60, v82
	v_fma_f32 v82, 0x3fb8aa3b, v49, -v65
	v_sub_f32_e32 v65, v65, v86
	v_add_f32_e32 v56, v56, v66
	v_fma_f32 v66, 0x3fb8aa3b, v51, -v63
	v_exp_f32_e32 v36, v36
	v_ldexp_f32 v35, v35, v77
	v_ldexp_f32 v67, v37, v81
	v_cndmask_b32_e64 v37, 0x7f800000, v17, s31
	v_cmp_ngt_f32_e64 s31, 0xc2ce8ed0, v19
	v_cvt_i32_f32_e32 v79, v79
	v_dual_fmac_f32 v66, 0x32a5705f, v51 :: v_dual_sub_f32 v63, v63, v70
	v_dual_add_f32 v54, v54, v90 :: v_dual_add_f32 v17, v25, v39
	s_delay_alu instid0(VALU_DEP_4) | instskip(SKIP_1) | instid1(VALU_DEP_4)
	v_cndmask_b32_e64 v18, 0, v35, s31
	v_cmp_nlt_f32_e64 s31, 0x42b17218, v29
	v_add_f32_e32 v63, v63, v66
	v_ldexp_f32 v66, v36, v79
	v_exp_f32_e32 v53, v53
	v_cvt_i32_f32_e32 v89, v89
	v_cndmask_b32_e64 v36, 0x7f800000, v26, s31
	v_cmp_ngt_f32_e64 s31, 0xc2ce8ed0, v30
	v_fma_f32 v74, 0x3fb8aa3b, v45, -v58
	v_exp_f32_e32 v54, v54
	v_add_f32_e32 v17, v17, v37
	v_rndne_f32_e32 v76, v58
	v_cndmask_b32_e64 v25, 0, v66, s31
	v_cmp_nlt_f32_e64 s31, 0x42b17218, v19
	v_ldexp_f32 v53, v53, v89
	v_dual_fmac_f32 v74, 0x32a5705f, v45 :: v_dual_add_f32 v17, v17, v36
	v_cvt_i32_f32_e32 v91, v91
	s_delay_alu instid0(VALU_DEP_4)
	v_cndmask_b32_e64 v35, 0x7f800000, v18, s31
	v_cmp_ngt_f32_e64 s31, 0xc2ce8ed0, v20
	v_sub_f32_e32 v58, v58, v76
	v_exp_f32_e32 v55, v55
	v_ldexp_f32 v54, v54, v91
	v_add_f32_e32 v17, v17, v35
	v_cndmask_b32_e64 v18, 0, v67, s31
	v_cmp_nlt_f32_e64 s31, 0x42b17218, v30
	v_cvt_i32_f32_e32 v93, v93
	v_cvt_i32_f32_e32 v68, v68
	v_exp_f32_e32 v57, v57
	v_cvt_i32_f32_e32 v72, v72
	v_cndmask_b32_e64 v34, 0x7f800000, v25, s31
	v_cmp_ngt_f32_e64 s31, 0xc2ce8ed0, v31
	v_ldexp_f32 v55, v55, v93
	v_cvt_i32_f32_e32 v76, v76
	v_exp_f32_e32 v59, v59
	v_add_f32_e32 v17, v17, v34
	v_cndmask_b32_e64 v19, 0, v69, s31
	v_cmp_nlt_f32_e64 s31, 0x42b17218, v20
	v_ldexp_f32 v57, v57, v72
	v_cvt_i32_f32_e32 v80, v80
	v_cvt_i32_f32_e32 v84, v84
	v_fma_f32 v90, 0x3fb8aa3b, v50, -v62
	v_cndmask_b32_e64 v33, 0x7f800000, v18, s31
	v_cmp_ngt_f32_e64 s31, 0xc2ce8ed0, v21
	v_ldexp_f32 v59, v59, v80
	v_rndne_f32_e32 v92, v62
	v_exp_f32_e32 v61, v61
	v_add_f32_e32 v17, v17, v33
	v_cndmask_b32_e64 v18, 0, v71, s31
	v_cmp_nlt_f32_e64 s31, 0x42b17218, v31
	v_exp_f32_e32 v56, v56
	v_cvt_i32_f32_e32 v88, v88
	v_rndne_f32_e32 v78, v64
	v_exp_f32_e32 v63, v63
	v_cndmask_b32_e64 v32, 0x7f800000, v19, s31
	v_cmp_ngt_f32_e64 s31, 0xc2ce8ed0, v42
	v_add_f32_e32 v58, v58, v74
	v_ldexp_f32 v61, v61, v88
	v_fma_f32 v74, 0x3fb8aa3b, v52, -v64
	v_add_f32_e32 v17, v17, v32
	v_cndmask_b32_e64 v19, 0, v73, s31
	v_cmp_nlt_f32_e64 s31, 0x42b17218, v21
	v_ldexp_f32 v56, v56, v68
	v_exp_f32_e32 v58, v58
	v_cvt_i32_f32_e32 v70, v70
	v_sub_f32_e32 v10, v10, v16
	v_cndmask_b32_e64 v31, 0x7f800000, v18, s31
	v_cmp_ngt_f32_e64 s31, 0xc2ce8ed0, v22
	v_sub_f32_e32 v8, v8, v16
	v_ldexp_f32 v63, v63, v70
	s_delay_alu instid0(VALU_DEP_4) | instskip(NEXT) | instid1(VALU_DEP_4)
	v_dual_sub_f32 v6, v6, v16 :: v_dual_add_f32 v17, v17, v31
	v_cndmask_b32_e64 v18, 0, v53, s31
	v_cmp_nlt_f32_e64 s31, 0x42b17218, v42
	v_ldexp_f32 v58, v58, v76
	s_delay_alu instid0(VALU_DEP_2) | instskip(SKIP_1) | instid1(VALU_DEP_2)
	v_cndmask_b32_e64 v30, 0x7f800000, v19, s31
	v_cmp_ngt_f32_e64 s31, 0xc2ce8ed0, v43
	v_add_f32_e32 v17, v17, v30
	s_delay_alu instid0(VALU_DEP_2) | instskip(SKIP_1) | instid1(VALU_DEP_1)
	v_cndmask_b32_e64 v19, 0, v54, s31
	v_cmp_nlt_f32_e64 s31, 0x42b17218, v22
	v_cndmask_b32_e64 v29, 0x7f800000, v18, s31
	v_cmp_ngt_f32_e64 s31, 0xc2ce8ed0, v23
	s_delay_alu instid0(VALU_DEP_2) | instskip(NEXT) | instid1(VALU_DEP_2)
	v_add_f32_e32 v17, v17, v29
	v_cndmask_b32_e64 v18, 0, v55, s31
	v_cmp_nlt_f32_e64 s31, 0x42b17218, v43
	s_delay_alu instid0(VALU_DEP_1) | instskip(SKIP_1) | instid1(VALU_DEP_2)
	v_cndmask_b32_e64 v28, 0x7f800000, v19, s31
	v_cmp_ngt_f32_e64 s31, 0xc2ce8ed0, v44
	v_add_f32_e32 v17, v17, v28
	s_delay_alu instid0(VALU_DEP_2) | instskip(SKIP_2) | instid1(VALU_DEP_1)
	v_cndmask_b32_e64 v19, 0, v56, s31
	v_cmp_nlt_f32_e64 s31, 0x42b17218, v23
	v_exp_f32_e32 v60, v60
	v_cndmask_b32_e64 v27, 0x7f800000, v18, s31
	v_cmp_ngt_f32_e64 s31, 0xc2ce8ed0, v24
	s_delay_alu instid0(VALU_DEP_2) | instskip(NEXT) | instid1(VALU_DEP_2)
	v_dual_fmac_f32 v90, 0x32a5705f, v50 :: v_dual_add_f32 v17, v17, v27
	v_cndmask_b32_e64 v18, 0, v57, s31
	v_cmp_nlt_f32_e64 s31, 0x42b17218, v44
	s_waitcnt_depctr 0xfff
	v_ldexp_f32 v60, v60, v84
	v_sub_f32_e32 v44, v11, v16
	v_cndmask_b32_e64 v26, 0x7f800000, v19, s31
	v_cmp_ngt_f32_e64 s31, 0xc2ce8ed0, v45
	v_sub_f32_e32 v62, v62, v92
	v_cvt_i32_f32_e32 v92, v92
	s_delay_alu instid0(VALU_DEP_4) | instskip(NEXT) | instid1(VALU_DEP_4)
	v_add_f32_e32 v17, v17, v26
	v_cndmask_b32_e64 v19, 0, v58, s31
	v_cmp_nlt_f32_e64 s31, 0x42b17218, v24
	v_add_f32_e32 v62, v62, v90
	s_delay_alu instid0(VALU_DEP_2) | instskip(SKIP_1) | instid1(VALU_DEP_2)
	v_cndmask_b32_e64 v25, 0x7f800000, v18, s31
	v_cmp_ngt_f32_e64 s31, 0xc2ce8ed0, v46
	v_add_f32_e32 v17, v17, v25
	s_delay_alu instid0(VALU_DEP_2) | instskip(SKIP_1) | instid1(VALU_DEP_1)
	v_cndmask_b32_e64 v18, 0, v59, s31
	v_cmp_nlt_f32_e64 s31, 0x42b17218, v45
	v_cndmask_b32_e64 v24, 0x7f800000, v19, s31
	v_cmp_ngt_f32_e64 s31, 0xc2ce8ed0, v47
	v_sub_f32_e32 v64, v64, v78
	v_cvt_i32_f32_e32 v78, v78
	s_delay_alu instid0(VALU_DEP_4) | instskip(NEXT) | instid1(VALU_DEP_4)
	v_add_f32_e32 v17, v17, v24
	v_cndmask_b32_e64 v19, 0, v60, s31
	v_cmp_nlt_f32_e64 s31, 0x42b17218, v46
	s_delay_alu instid0(VALU_DEP_1) | instskip(SKIP_1) | instid1(VALU_DEP_2)
	v_cndmask_b32_e64 v23, 0x7f800000, v18, s31
	v_cmp_ngt_f32_e64 s31, 0xc2ce8ed0, v48
	v_dual_fmac_f32 v74, 0x32a5705f, v52 :: v_dual_add_f32 v17, v17, v23
	s_delay_alu instid0(VALU_DEP_2) | instskip(SKIP_4) | instid1(VALU_DEP_3)
	v_cndmask_b32_e64 v18, 0, v61, s31
	v_cmp_nlt_f32_e64 s31, 0x42b17218, v47
	v_mul_f32_e32 v47, 0x3fb8aa3b, v44
	v_exp_f32_e32 v62, v62
	v_add_f32_e32 v64, v64, v74
	v_cndmask_b32_e64 v22, 0x7f800000, v19, s31
	v_cmp_ngt_f32_e64 s31, 0xc2ce8ed0, v50
	v_fmac_f32_e32 v82, 0x32a5705f, v49
	s_delay_alu instid0(VALU_DEP_4) | instskip(NEXT) | instid1(VALU_DEP_3)
	v_exp_f32_e32 v64, v64
	v_add_f32_e32 v17, v17, v22
	s_delay_alu instid0(TRANS32_DEP_2) | instskip(NEXT) | instid1(VALU_DEP_3)
	v_ldexp_f32 v62, v62, v92
	v_add_f32_e32 v42, v65, v82
	s_delay_alu instid0(VALU_DEP_2)
	v_cndmask_b32_e64 v19, 0, v62, s31
	v_cmp_nlt_f32_e64 s31, 0x42b17218, v48
	s_waitcnt_depctr 0xfff
	v_ldexp_f32 v43, v64, v78
	v_exp_f32_e32 v42, v42
	v_rndne_f32_e32 v48, v47
	v_cndmask_b32_e64 v21, 0x7f800000, v18, s31
	v_cmp_ngt_f32_e64 s31, 0xc2ce8ed0, v51
	s_delay_alu instid0(VALU_DEP_2) | instskip(NEXT) | instid1(VALU_DEP_2)
	v_add_f32_e32 v20, v17, v21
	v_cndmask_b32_e64 v18, 0, v63, s31
	v_cmp_nlt_f32_e64 s31, 0x42b17218, v50
	v_sub_f32_e32 v50, v12, v16
	s_delay_alu instid0(VALU_DEP_2) | instskip(SKIP_1) | instid1(VALU_DEP_1)
	v_cndmask_b32_e64 v19, 0x7f800000, v19, s31
	v_cmp_nlt_f32_e64 s31, 0x42b17218, v51
	v_cndmask_b32_e64 v17, 0x7f800000, v18, s31
	v_cmp_ngt_f32_e64 s31, 0xc2ce8ed0, v52
	s_delay_alu instid0(VALU_DEP_4) | instskip(SKIP_1) | instid1(VALU_DEP_3)
	v_add_f32_e32 v18, v20, v19
	v_mul_f32_e32 v20, 0x3fb8aa3b, v38
	v_cndmask_b32_e64 v43, 0, v43, s31
	v_cmp_nlt_f32_e64 s31, 0x42b17218, v52
	s_delay_alu instid0(VALU_DEP_1) | instskip(SKIP_2) | instid1(VALU_DEP_2)
	v_cndmask_b32_e64 v11, 0x7f800000, v43, s31
	v_cvt_i32_f32_e32 v43, v86
	v_cmp_ngt_f32_e64 s31, 0xc2ce8ed0, v49
	v_ldexp_f32 v42, v42, v43
	v_fma_f32 v43, 0x3fb8aa3b, v44, -v47
	s_delay_alu instid0(VALU_DEP_2)
	v_cndmask_b32_e64 v12, 0, v42, s31
	v_cmp_nlt_f32_e64 s31, 0x42b17218, v49
	v_sub_f32_e32 v49, v9, v16
	v_fma_f32 v45, 0x3fb8aa3b, v38, -v20
	v_rndne_f32_e32 v46, v20
	v_fmac_f32_e32 v43, 0x32a5705f, v44
	v_sub_f32_e32 v42, v47, v48
	v_cndmask_b32_e64 v12, 0x7f800000, v12, s31
	v_fmac_f32_e32 v45, 0x32a5705f, v38
	v_sub_f32_e32 v20, v20, v46
	v_cvt_i32_f32_e32 v9, v46
	v_add_f32_e32 v42, v42, v43
	v_cmp_ngt_f32_e64 s31, 0xc2ce8ed0, v38
	s_delay_alu instid0(VALU_DEP_4) | instskip(NEXT) | instid1(VALU_DEP_3)
	v_dual_add_f32 v20, v20, v45 :: v_dual_mul_f32 v45, 0x3fb8aa3b, v50
	v_exp_f32_e32 v42, v42
	s_delay_alu instid0(VALU_DEP_1) | instskip(NEXT) | instid1(VALU_DEP_1)
	v_exp_f32_e32 v20, v20
	v_fma_f32 v43, 0x3fb8aa3b, v50, -v45
	v_add_f32_e32 v18, v18, v17
	v_rndne_f32_e32 v47, v45
	s_delay_alu instid0(VALU_DEP_2) | instskip(NEXT) | instid1(VALU_DEP_2)
	v_dual_fmac_f32 v43, 0x32a5705f, v50 :: v_dual_add_f32 v18, v18, v11
	v_sub_f32_e32 v45, v45, v47
	s_waitcnt_depctr 0xfff
	v_ldexp_f32 v9, v20, v9
	v_cvt_i32_f32_e32 v20, v48
	v_dual_add_f32 v18, v18, v12 :: v_dual_add_f32 v43, v45, v43
	s_delay_alu instid0(VALU_DEP_3) | instskip(SKIP_1) | instid1(VALU_DEP_4)
	v_cndmask_b32_e64 v9, 0, v9, s31
	v_cmp_nlt_f32_e64 s31, 0x42b17218, v38
	v_ldexp_f32 v42, v42, v20
	s_delay_alu instid0(VALU_DEP_4) | instskip(NEXT) | instid1(VALU_DEP_2)
	v_exp_f32_e32 v43, v43
	v_cndmask_b32_e64 v20, 0x7f800000, v9, s31
	v_mul_f32_e32 v46, 0x3fb8aa3b, v49
	v_cmp_ngt_f32_e64 s31, 0xc2ce8ed0, v44
	v_cvt_i32_f32_e32 v9, v47
	s_delay_alu instid0(VALU_DEP_3) | instskip(SKIP_1) | instid1(VALU_DEP_4)
	v_fma_f32 v45, 0x3fb8aa3b, v49, -v46
	v_rndne_f32_e32 v48, v46
	v_cndmask_b32_e64 v38, 0, v42, s31
	v_cmp_nlt_f32_e64 s31, 0x42b17218, v44
	s_delay_alu instid0(TRANS32_DEP_1) | instskip(NEXT) | instid1(VALU_DEP_4)
	v_ldexp_f32 v9, v43, v9
	v_dual_fmac_f32 v45, 0x32a5705f, v49 :: v_dual_sub_f32 v46, v46, v48
	v_cvt_i32_f32_e32 v43, v48
	v_mul_f32_e32 v44, 0x3fb8aa3b, v10
	v_mul_f32_e32 v48, 0x3fb8aa3b, v8
	s_delay_alu instid0(VALU_DEP_4)
	v_add_f32_e32 v42, v46, v45
	v_add_f32_e32 v45, v18, v20
	v_cndmask_b32_e64 v18, 0x7f800000, v38, s31
	v_cmp_ngt_f32_e64 s31, 0xc2ce8ed0, v50
	v_sub_f32_e32 v46, v7, v16
	v_exp_f32_e32 v38, v42
	s_delay_alu instid0(VALU_DEP_3) | instskip(NEXT) | instid1(VALU_DEP_3)
	v_add_f32_e32 v42, v45, v18
	v_cndmask_b32_e64 v9, 0, v9, s31
	v_cmp_nlt_f32_e64 s31, 0x42b17218, v50
	v_rndne_f32_e32 v45, v44
	v_mul_f32_e32 v50, 0x3fb8aa3b, v6
	s_delay_alu instid0(VALU_DEP_3) | instskip(NEXT) | instid1(TRANS32_DEP_1)
	v_cndmask_b32_e64 v9, 0x7f800000, v9, s31
	v_ldexp_f32 v38, v38, v43
	v_cmp_ngt_f32_e64 s31, 0xc2ce8ed0, v49
	v_fma_f32 v43, 0x3fb8aa3b, v10, -v44
	v_sub_f32_e32 v44, v44, v45
	v_cvt_i32_f32_e32 v45, v45
	v_rndne_f32_e32 v51, v50
	v_cndmask_b32_e64 v38, 0, v38, s31
	v_cmp_nlt_f32_e64 s31, 0x42b17218, v49
	v_fmac_f32_e32 v43, 0x32a5705f, v10
	v_rndne_f32_e32 v49, v48
	v_add_f32_e32 v42, v42, v9
	s_delay_alu instid0(VALU_DEP_4) | instskip(NEXT) | instid1(VALU_DEP_4)
	v_cndmask_b32_e64 v7, 0x7f800000, v38, s31
	v_dual_mul_f32 v38, 0x3fb8aa3b, v46 :: v_dual_add_f32 v43, v44, v43
	v_cmp_ngt_f32_e64 s31, 0xc2ce8ed0, v10
	s_delay_alu instid0(VALU_DEP_3) | instskip(NEXT) | instid1(VALU_DEP_3)
	v_add_f32_e32 v42, v42, v7
	v_fma_f32 v44, 0x3fb8aa3b, v46, -v38
	v_rndne_f32_e32 v47, v38
	v_exp_f32_e32 v43, v43
	s_delay_alu instid0(VALU_DEP_2) | instskip(NEXT) | instid1(VALU_DEP_2)
	v_fmac_f32_e32 v44, 0x32a5705f, v46
	v_sub_f32_e32 v16, v38, v47
	v_fma_f32 v38, 0x3fb8aa3b, v8, -v48
	s_delay_alu instid0(VALU_DEP_2) | instskip(NEXT) | instid1(VALU_DEP_2)
	v_add_f32_e32 v16, v16, v44
	v_fmac_f32_e32 v38, 0x32a5705f, v8
	v_sub_f32_e32 v44, v48, v49
	v_fma_f32 v48, 0x3fb8aa3b, v6, -v50
	s_delay_alu instid0(TRANS32_DEP_1)
	v_ldexp_f32 v43, v43, v45
	v_exp_f32_e32 v16, v16
	v_cvt_i32_f32_e32 v45, v47
	v_add_f32_e32 v38, v44, v38
	v_fmac_f32_e32 v48, 0x32a5705f, v6
	v_sub_f32_e32 v44, v50, v51
	v_cndmask_b32_e64 v43, 0, v43, s31
	v_cmp_nlt_f32_e64 s31, 0x42b17218, v10
	v_exp_f32_e32 v38, v38
	v_cvt_i32_f32_e32 v10, v49
	v_add_f32_e32 v44, v44, v48
	v_ldexp_f32 v45, v16, v45
	v_cndmask_b32_e64 v16, 0x7f800000, v43, s31
	v_cmp_ngt_f32_e64 s31, 0xc2ce8ed0, v46
	s_delay_alu instid0(VALU_DEP_4) | instskip(NEXT) | instid1(VALU_DEP_2)
	v_exp_f32_e32 v43, v44
	v_add_f32_e32 v42, v42, v16
	s_delay_alu instid0(VALU_DEP_2) | instskip(SKIP_3) | instid1(VALU_DEP_3)
	v_cndmask_b32_e64 v44, 0, v45, s31
	v_cmp_nlt_f32_e64 s31, 0x42b17218, v46
	v_ldexp_f32 v38, v38, v10
	v_cvt_i32_f32_e32 v45, v51
	v_cndmask_b32_e64 v10, 0x7f800000, v44, s31
	v_cmp_ngt_f32_e64 s31, 0xc2ce8ed0, v8
	s_delay_alu instid0(TRANS32_DEP_1) | instid1(VALU_DEP_3)
	v_ldexp_f32 v43, v43, v45
	s_delay_alu instid0(VALU_DEP_3) | instskip(NEXT) | instid1(VALU_DEP_3)
	v_add_f32_e32 v42, v42, v10
	v_cndmask_b32_e64 v38, 0, v38, s31
	v_cmp_nlt_f32_e64 s31, 0x42b17218, v8
	s_delay_alu instid0(VALU_DEP_1) | instskip(SKIP_1) | instid1(VALU_DEP_2)
	v_cndmask_b32_e64 v8, 0x7f800000, v38, s31
	v_cmp_ngt_f32_e64 s31, 0xc2ce8ed0, v6
	v_add_f32_e32 v42, v42, v8
	s_delay_alu instid0(VALU_DEP_2) | instskip(SKIP_1) | instid1(VALU_DEP_1)
	v_cndmask_b32_e64 v38, 0, v43, s31
	v_cmp_nlt_f32_e64 s31, 0x42b17218, v6
	v_cndmask_b32_e64 v6, 0x7f800000, v38, s31
	s_delay_alu instid0(VALU_DEP_1)
	v_add_f32_e32 v38, v42, v6
	ds_bpermute_b32 v2, v2, v38
	s_waitcnt lgkmcnt(0)
	v_add_f32_e32 v2, v38, v2
	ds_bpermute_b32 v3, v3, v2
	s_waitcnt lgkmcnt(0)
	;; [unrolled: 3-line block ×5, first 2 shown]
	v_add_f32_e32 v2, v2, v3
	ds_bpermute_b32 v3, v15, v2
	v_cmpx_lt_i32_e32 0, v5
	s_cbranch_execz .LBB402_98
; %bb.65:
	s_and_b32 exec_lo, exec_lo, vcc_lo
	s_cbranch_execz .LBB402_98
; %bb.66:
	s_waitcnt lgkmcnt(0)
	v_add_f32_e32 v2, v2, v3
	s_delay_alu instid0(VALU_DEP_1) | instskip(SKIP_1) | instid1(VALU_DEP_2)
	v_div_scale_f32 v3, null, v2, v2, v41
	v_div_scale_f32 v13, vcc_lo, v41, v2, v41
	v_rcp_f32_e32 v4, v3
	s_waitcnt_depctr 0xfff
	v_fma_f32 v5, -v3, v4, 1.0
	s_delay_alu instid0(VALU_DEP_1) | instskip(NEXT) | instid1(VALU_DEP_1)
	v_fmac_f32_e32 v4, v5, v4
	v_mul_f32_e32 v5, v13, v4
	v_cmp_eq_f32_e64 s31, 0, v2
	s_delay_alu instid0(VALU_DEP_2) | instskip(NEXT) | instid1(VALU_DEP_1)
	v_fma_f32 v14, -v3, v5, v13
	v_fmac_f32_e32 v5, v14, v4
	s_delay_alu instid0(VALU_DEP_1) | instskip(NEXT) | instid1(VALU_DEP_1)
	v_fma_f32 v3, -v3, v5, v13
	v_div_fmas_f32 v3, v3, v4, v5
	v_add_co_u32 v0, vcc_lo, s36, v0
	v_add_co_ci_u32_e32 v1, vcc_lo, s37, v1, vcc_lo
	s_delay_alu instid0(VALU_DEP_3) | instskip(NEXT) | instid1(VALU_DEP_1)
	v_div_fixup_f32 v3, v3, v2, v41
	v_cndmask_b32_e64 v3, v3, 0x7fc00000, s31
	global_store_b32 v[0:1], v3, off
	s_and_b32 exec_lo, exec_lo, s30
	s_cbranch_execz .LBB402_98
; %bb.67:
	v_div_scale_f32 v3, null, v2, v2, v40
	s_delay_alu instid0(VALU_DEP_1) | instskip(SKIP_2) | instid1(VALU_DEP_1)
	v_rcp_f32_e32 v4, v3
	s_waitcnt_depctr 0xfff
	v_fma_f32 v5, -v3, v4, 1.0
	v_fmac_f32_e32 v4, v5, v4
	v_div_scale_f32 v5, vcc_lo, v40, v2, v40
	s_delay_alu instid0(VALU_DEP_1) | instskip(NEXT) | instid1(VALU_DEP_1)
	v_mul_f32_e32 v13, v5, v4
	v_fma_f32 v14, -v3, v13, v5
	s_delay_alu instid0(VALU_DEP_1) | instskip(NEXT) | instid1(VALU_DEP_1)
	v_fmac_f32_e32 v13, v14, v4
	v_fma_f32 v3, -v3, v13, v5
	s_delay_alu instid0(VALU_DEP_1) | instskip(NEXT) | instid1(VALU_DEP_1)
	v_div_fmas_f32 v3, v3, v4, v13
	v_div_fixup_f32 v3, v3, v2, v40
	s_delay_alu instid0(VALU_DEP_1)
	v_cndmask_b32_e64 v3, v3, 0x7fc00000, s31
	global_store_b32 v[0:1], v3, off offset:256
	s_and_b32 exec_lo, exec_lo, s29
	s_cbranch_execz .LBB402_98
; %bb.68:
	v_div_scale_f32 v3, null, v2, v2, v39
	s_delay_alu instid0(VALU_DEP_1) | instskip(SKIP_2) | instid1(VALU_DEP_1)
	v_rcp_f32_e32 v4, v3
	s_waitcnt_depctr 0xfff
	v_fma_f32 v5, -v3, v4, 1.0
	v_fmac_f32_e32 v4, v5, v4
	v_div_scale_f32 v5, vcc_lo, v39, v2, v39
	s_delay_alu instid0(VALU_DEP_1) | instskip(NEXT) | instid1(VALU_DEP_1)
	v_mul_f32_e32 v13, v5, v4
	v_fma_f32 v14, -v3, v13, v5
	s_delay_alu instid0(VALU_DEP_1) | instskip(NEXT) | instid1(VALU_DEP_1)
	v_fmac_f32_e32 v13, v14, v4
	v_fma_f32 v3, -v3, v13, v5
	s_delay_alu instid0(VALU_DEP_1) | instskip(NEXT) | instid1(VALU_DEP_1)
	v_div_fmas_f32 v3, v3, v4, v13
	v_div_fixup_f32 v3, v3, v2, v39
	s_delay_alu instid0(VALU_DEP_1)
	v_cndmask_b32_e64 v3, v3, 0x7fc00000, s31
	global_store_b32 v[0:1], v3, off offset:512
	;; [unrolled: 22-line block ×15, first 2 shown]
	s_and_b32 exec_lo, exec_lo, s15
	s_cbranch_execz .LBB402_98
; %bb.82:
	v_div_scale_f32 v3, null, v2, v2, v24
	v_div_scale_f32 v13, vcc_lo, v24, v2, v24
	s_delay_alu instid0(VALU_DEP_2) | instskip(SKIP_2) | instid1(VALU_DEP_1)
	v_rcp_f32_e32 v4, v3
	s_waitcnt_depctr 0xfff
	v_fma_f32 v5, -v3, v4, 1.0
	v_fmac_f32_e32 v4, v5, v4
	s_delay_alu instid0(VALU_DEP_1) | instskip(NEXT) | instid1(VALU_DEP_1)
	v_mul_f32_e32 v5, v13, v4
	v_fma_f32 v14, -v3, v5, v13
	s_delay_alu instid0(VALU_DEP_1) | instskip(NEXT) | instid1(VALU_DEP_1)
	v_fmac_f32_e32 v5, v14, v4
	v_fma_f32 v3, -v3, v5, v13
	s_delay_alu instid0(VALU_DEP_1) | instskip(SKIP_2) | instid1(VALU_DEP_3)
	v_div_fmas_f32 v3, v3, v4, v5
	v_add_co_u32 v0, vcc_lo, 0x1000, v0
	v_add_co_ci_u32_e32 v1, vcc_lo, 0, v1, vcc_lo
	v_div_fixup_f32 v3, v3, v2, v24
	s_delay_alu instid0(VALU_DEP_1)
	v_cndmask_b32_e64 v3, v3, 0x7fc00000, s31
	global_store_b32 v[0:1], v3, off
	s_and_b32 exec_lo, exec_lo, s14
	s_cbranch_execz .LBB402_98
; %bb.83:
	v_div_scale_f32 v3, null, v2, v2, v23
	s_delay_alu instid0(VALU_DEP_1) | instskip(SKIP_2) | instid1(VALU_DEP_1)
	v_rcp_f32_e32 v4, v3
	s_waitcnt_depctr 0xfff
	v_fma_f32 v5, -v3, v4, 1.0
	v_fmac_f32_e32 v4, v5, v4
	v_div_scale_f32 v5, vcc_lo, v23, v2, v23
	s_delay_alu instid0(VALU_DEP_1) | instskip(NEXT) | instid1(VALU_DEP_1)
	v_mul_f32_e32 v13, v5, v4
	v_fma_f32 v14, -v3, v13, v5
	s_delay_alu instid0(VALU_DEP_1) | instskip(NEXT) | instid1(VALU_DEP_1)
	v_fmac_f32_e32 v13, v14, v4
	v_fma_f32 v3, -v3, v13, v5
	s_delay_alu instid0(VALU_DEP_1) | instskip(NEXT) | instid1(VALU_DEP_1)
	v_div_fmas_f32 v3, v3, v4, v13
	v_div_fixup_f32 v3, v3, v2, v23
	s_delay_alu instid0(VALU_DEP_1)
	v_cndmask_b32_e64 v3, v3, 0x7fc00000, s31
	global_store_b32 v[0:1], v3, off offset:256
	s_and_b32 exec_lo, exec_lo, s13
	s_cbranch_execz .LBB402_98
; %bb.84:
	v_div_scale_f32 v3, null, v2, v2, v22
	s_delay_alu instid0(VALU_DEP_1) | instskip(SKIP_2) | instid1(VALU_DEP_1)
	v_rcp_f32_e32 v4, v3
	s_waitcnt_depctr 0xfff
	v_fma_f32 v5, -v3, v4, 1.0
	v_fmac_f32_e32 v4, v5, v4
	v_div_scale_f32 v5, vcc_lo, v22, v2, v22
	s_delay_alu instid0(VALU_DEP_1) | instskip(NEXT) | instid1(VALU_DEP_1)
	v_mul_f32_e32 v13, v5, v4
	v_fma_f32 v14, -v3, v13, v5
	s_delay_alu instid0(VALU_DEP_1) | instskip(NEXT) | instid1(VALU_DEP_1)
	v_fmac_f32_e32 v13, v14, v4
	v_fma_f32 v3, -v3, v13, v5
	s_delay_alu instid0(VALU_DEP_1) | instskip(NEXT) | instid1(VALU_DEP_1)
	v_div_fmas_f32 v3, v3, v4, v13
	v_div_fixup_f32 v3, v3, v2, v22
	s_delay_alu instid0(VALU_DEP_1)
	v_cndmask_b32_e64 v3, v3, 0x7fc00000, s31
	global_store_b32 v[0:1], v3, off offset:512
	;; [unrolled: 22-line block ×15, first 2 shown]
.LBB402_98:
	s_nop 0
	s_sendmsg sendmsg(MSG_DEALLOC_VGPRS)
	s_endpgm
	.section	.rodata,"a",@progbits
	.p2align	6, 0x0
	.amdhsa_kernel _ZN12_GLOBAL__N_120softmax_warp_forwardIfffLi11ELb0ELb0ELi64EEEvPT0_PKT_iiiPKbib
		.amdhsa_group_segment_fixed_size 0
		.amdhsa_private_segment_fixed_size 0
		.amdhsa_kernarg_size 304
		.amdhsa_user_sgpr_count 15
		.amdhsa_user_sgpr_dispatch_ptr 0
		.amdhsa_user_sgpr_queue_ptr 0
		.amdhsa_user_sgpr_kernarg_segment_ptr 1
		.amdhsa_user_sgpr_dispatch_id 0
		.amdhsa_user_sgpr_private_segment_size 0
		.amdhsa_wavefront_size32 1
		.amdhsa_uses_dynamic_stack 0
		.amdhsa_enable_private_segment 0
		.amdhsa_system_sgpr_workgroup_id_x 1
		.amdhsa_system_sgpr_workgroup_id_y 0
		.amdhsa_system_sgpr_workgroup_id_z 0
		.amdhsa_system_sgpr_workgroup_info 0
		.amdhsa_system_vgpr_workitem_id 1
		.amdhsa_next_free_vgpr 94
		.amdhsa_next_free_sgpr 44
		.amdhsa_reserve_vcc 1
		.amdhsa_float_round_mode_32 0
		.amdhsa_float_round_mode_16_64 0
		.amdhsa_float_denorm_mode_32 3
		.amdhsa_float_denorm_mode_16_64 3
		.amdhsa_dx10_clamp 1
		.amdhsa_ieee_mode 1
		.amdhsa_fp16_overflow 0
		.amdhsa_workgroup_processor_mode 1
		.amdhsa_memory_ordered 1
		.amdhsa_forward_progress 0
		.amdhsa_shared_vgpr_count 0
		.amdhsa_exception_fp_ieee_invalid_op 0
		.amdhsa_exception_fp_denorm_src 0
		.amdhsa_exception_fp_ieee_div_zero 0
		.amdhsa_exception_fp_ieee_overflow 0
		.amdhsa_exception_fp_ieee_underflow 0
		.amdhsa_exception_fp_ieee_inexact 0
		.amdhsa_exception_int_div_zero 0
	.end_amdhsa_kernel
	.section	.text._ZN12_GLOBAL__N_120softmax_warp_forwardIfffLi11ELb0ELb0ELi64EEEvPT0_PKT_iiiPKbib,"axG",@progbits,_ZN12_GLOBAL__N_120softmax_warp_forwardIfffLi11ELb0ELb0ELi64EEEvPT0_PKT_iiiPKbib,comdat
.Lfunc_end402:
	.size	_ZN12_GLOBAL__N_120softmax_warp_forwardIfffLi11ELb0ELb0ELi64EEEvPT0_PKT_iiiPKbib, .Lfunc_end402-_ZN12_GLOBAL__N_120softmax_warp_forwardIfffLi11ELb0ELb0ELi64EEEvPT0_PKT_iiiPKbib
                                        ; -- End function
	.section	.AMDGPU.csdata,"",@progbits
; Kernel info:
; codeLenInByte = 11016
; NumSgprs: 46
; NumVgprs: 94
; ScratchSize: 0
; MemoryBound: 0
; FloatMode: 240
; IeeeMode: 1
; LDSByteSize: 0 bytes/workgroup (compile time only)
; SGPRBlocks: 5
; VGPRBlocks: 11
; NumSGPRsForWavesPerEU: 46
; NumVGPRsForWavesPerEU: 94
; Occupancy: 16
; WaveLimiterHint : 0
; COMPUTE_PGM_RSRC2:SCRATCH_EN: 0
; COMPUTE_PGM_RSRC2:USER_SGPR: 15
; COMPUTE_PGM_RSRC2:TRAP_HANDLER: 0
; COMPUTE_PGM_RSRC2:TGID_X_EN: 1
; COMPUTE_PGM_RSRC2:TGID_Y_EN: 0
; COMPUTE_PGM_RSRC2:TGID_Z_EN: 0
; COMPUTE_PGM_RSRC2:TIDIG_COMP_CNT: 1
	.section	.text._ZN12_GLOBAL__N_120softmax_warp_forwardIfffLi11ELb0ELb0ELi32EEEvPT0_PKT_iiiPKbib,"axG",@progbits,_ZN12_GLOBAL__N_120softmax_warp_forwardIfffLi11ELb0ELb0ELi32EEEvPT0_PKT_iiiPKbib,comdat
	.globl	_ZN12_GLOBAL__N_120softmax_warp_forwardIfffLi11ELb0ELb0ELi32EEEvPT0_PKT_iiiPKbib ; -- Begin function _ZN12_GLOBAL__N_120softmax_warp_forwardIfffLi11ELb0ELb0ELi32EEEvPT0_PKT_iiiPKbib
	.p2align	8
	.type	_ZN12_GLOBAL__N_120softmax_warp_forwardIfffLi11ELb0ELb0ELi32EEEvPT0_PKT_iiiPKbib,@function
_ZN12_GLOBAL__N_120softmax_warp_forwardIfffLi11ELb0ELb0ELi32EEEvPT0_PKT_iiiPKbib: ; @_ZN12_GLOBAL__N_120softmax_warp_forwardIfffLi11ELb0ELb0ELi32EEEvPT0_PKT_iiiPKbib
; %bb.0:
	s_clause 0x1
	s_load_b32 s2, s[0:1], 0x3c
	s_load_b256 s[68:75], s[0:1], 0x0
	v_bfe_u32 v1, v0, 10, 10
	v_dual_mov_b32 v16, 0xff800000 :: v_dual_mov_b32 v15, 0xff800000
	s_waitcnt lgkmcnt(0)
	s_lshr_b32 s0, s2, 16
	s_delay_alu instid0(VALU_DEP_2) | instid1(SALU_CYCLE_1)
	v_mad_u64_u32 v[3:4], null, s15, s0, v[1:2]
	v_and_b32_e32 v2, 0x3ff, v0
	s_delay_alu instid0(VALU_DEP_1) | instskip(NEXT) | instid1(VALU_DEP_3)
	v_cmp_gt_i32_e32 vcc_lo, s74, v2
	v_mad_u64_u32 v[0:1], null, v3, s73, v[2:3]
	v_sub_nc_u32_e32 v5, s72, v3
	s_delay_alu instid0(VALU_DEP_1) | instskip(NEXT) | instid1(VALU_DEP_3)
	v_cmp_lt_i32_e64 s64, 0, v5
	v_ashrrev_i32_e32 v1, 31, v0
	s_delay_alu instid0(VALU_DEP_2) | instskip(NEXT) | instid1(VALU_DEP_1)
	s_and_b32 s1, s64, vcc_lo
	v_lshlrev_b64 v[0:1], 2, v[0:1]
	s_delay_alu instid0(VALU_DEP_1) | instskip(NEXT) | instid1(VALU_DEP_1)
	v_add_co_u32 v3, s0, s70, v0
	v_add_co_ci_u32_e64 v4, s0, s71, v1, s0
	s_and_saveexec_b32 s0, s1
	s_cbranch_execz .LBB403_2
; %bb.1:
	global_load_b32 v15, v[3:4], off
.LBB403_2:
	s_or_b32 exec_lo, exec_lo, s0
	v_add_nc_u32_e32 v6, 32, v2
	s_delay_alu instid0(VALU_DEP_1) | instskip(NEXT) | instid1(VALU_DEP_1)
	v_cmp_gt_i32_e64 s63, s74, v6
	s_and_b32 s1, s64, s63
	s_delay_alu instid0(SALU_CYCLE_1)
	s_and_saveexec_b32 s0, s1
	s_cbranch_execz .LBB403_4
; %bb.3:
	global_load_b32 v16, v[3:4], off offset:128
.LBB403_4:
	s_or_b32 exec_lo, exec_lo, s0
	v_add_nc_u32_e32 v6, 64, v2
	v_mov_b32_e32 v20, 0xff800000
	v_mov_b32_e32 v18, 0xff800000
	s_delay_alu instid0(VALU_DEP_3) | instskip(NEXT) | instid1(VALU_DEP_1)
	v_cmp_gt_i32_e64 s62, s74, v6
	s_and_b32 s1, s64, s62
	s_delay_alu instid0(SALU_CYCLE_1)
	s_and_saveexec_b32 s0, s1
	s_cbranch_execz .LBB403_6
; %bb.5:
	global_load_b32 v18, v[3:4], off offset:256
.LBB403_6:
	s_or_b32 exec_lo, exec_lo, s0
	v_add_nc_u32_e32 v6, 0x60, v2
	s_delay_alu instid0(VALU_DEP_1) | instskip(NEXT) | instid1(VALU_DEP_1)
	v_cmp_gt_i32_e64 s61, s74, v6
	s_and_b32 s1, s64, s61
	s_delay_alu instid0(SALU_CYCLE_1)
	s_and_saveexec_b32 s0, s1
	s_cbranch_execz .LBB403_8
; %bb.7:
	global_load_b32 v20, v[3:4], off offset:384
.LBB403_8:
	s_or_b32 exec_lo, exec_lo, s0
	v_add_nc_u32_e32 v6, 0x80, v2
	v_dual_mov_b32 v24, 0xff800000 :: v_dual_mov_b32 v23, 0xff800000
	s_delay_alu instid0(VALU_DEP_2) | instskip(NEXT) | instid1(VALU_DEP_1)
	v_cmp_gt_i32_e64 s60, s74, v6
	s_and_b32 s1, s64, s60
	s_delay_alu instid0(SALU_CYCLE_1)
	s_and_saveexec_b32 s0, s1
	s_cbranch_execz .LBB403_10
; %bb.9:
	global_load_b32 v23, v[3:4], off offset:512
.LBB403_10:
	s_or_b32 exec_lo, exec_lo, s0
	v_add_nc_u32_e32 v6, 0xa0, v2
	s_delay_alu instid0(VALU_DEP_1) | instskip(NEXT) | instid1(VALU_DEP_1)
	v_cmp_gt_i32_e64 s59, s74, v6
	s_and_b32 s1, s64, s59
	s_delay_alu instid0(SALU_CYCLE_1)
	s_and_saveexec_b32 s0, s1
	s_cbranch_execz .LBB403_12
; %bb.11:
	global_load_b32 v24, v[3:4], off offset:640
.LBB403_12:
	s_or_b32 exec_lo, exec_lo, s0
	v_add_nc_u32_e32 v6, 0xc0, v2
	v_dual_mov_b32 v26, 0xff800000 :: v_dual_mov_b32 v25, 0xff800000
	s_delay_alu instid0(VALU_DEP_2) | instskip(NEXT) | instid1(VALU_DEP_1)
	;; [unrolled: 23-line block ×10, first 2 shown]
	v_cmp_gt_i32_e64 s42, s74, v6
	s_and_b32 s1, s64, s42
	s_delay_alu instid0(SALU_CYCLE_1)
	s_and_saveexec_b32 s0, s1
	s_cbranch_execz .LBB403_46
; %bb.45:
	global_load_b32 v48, v[3:4], off offset:2816
.LBB403_46:
	s_or_b32 exec_lo, exec_lo, s0
	v_add_nc_u32_e32 v6, 0x2e0, v2
	s_delay_alu instid0(VALU_DEP_1) | instskip(NEXT) | instid1(VALU_DEP_1)
	v_cmp_gt_i32_e64 s41, s74, v6
	s_and_b32 s1, s64, s41
	s_delay_alu instid0(SALU_CYCLE_1)
	s_and_saveexec_b32 s0, s1
	s_cbranch_execz .LBB403_48
; %bb.47:
	global_load_b32 v49, v[3:4], off offset:2944
.LBB403_48:
	s_or_b32 exec_lo, exec_lo, s0
	v_add_nc_u32_e32 v6, 0x300, v2
	v_mov_b32_e32 v53, 0xff800000
	v_mov_b32_e32 v51, 0xff800000
	s_delay_alu instid0(VALU_DEP_3) | instskip(NEXT) | instid1(VALU_DEP_1)
	v_cmp_gt_i32_e64 s40, s74, v6
	s_and_b32 s1, s64, s40
	s_delay_alu instid0(SALU_CYCLE_1)
	s_and_saveexec_b32 s0, s1
	s_cbranch_execz .LBB403_50
; %bb.49:
	global_load_b32 v51, v[3:4], off offset:3072
.LBB403_50:
	s_or_b32 exec_lo, exec_lo, s0
	v_add_nc_u32_e32 v6, 0x320, v2
	s_delay_alu instid0(VALU_DEP_1) | instskip(NEXT) | instid1(VALU_DEP_1)
	v_cmp_gt_i32_e64 s39, s74, v6
	s_and_b32 s1, s64, s39
	s_delay_alu instid0(SALU_CYCLE_1)
	s_and_saveexec_b32 s0, s1
	s_cbranch_execz .LBB403_52
; %bb.51:
	global_load_b32 v53, v[3:4], off offset:3200
.LBB403_52:
	s_or_b32 exec_lo, exec_lo, s0
	v_add_nc_u32_e32 v6, 0x340, v2
	v_dual_mov_b32 v55, 0xff800000 :: v_dual_mov_b32 v54, 0xff800000
	s_delay_alu instid0(VALU_DEP_2) | instskip(NEXT) | instid1(VALU_DEP_1)
	v_cmp_gt_i32_e64 s38, s74, v6
	s_and_b32 s1, s64, s38
	s_delay_alu instid0(SALU_CYCLE_1)
	s_and_saveexec_b32 s0, s1
	s_cbranch_execz .LBB403_54
; %bb.53:
	global_load_b32 v54, v[3:4], off offset:3328
.LBB403_54:
	s_or_b32 exec_lo, exec_lo, s0
	v_add_nc_u32_e32 v6, 0x360, v2
	s_delay_alu instid0(VALU_DEP_1) | instskip(NEXT) | instid1(VALU_DEP_1)
	v_cmp_gt_i32_e64 s37, s74, v6
	s_and_b32 s1, s64, s37
	s_delay_alu instid0(SALU_CYCLE_1)
	s_and_saveexec_b32 s0, s1
	s_cbranch_execz .LBB403_56
; %bb.55:
	global_load_b32 v55, v[3:4], off offset:3456
.LBB403_56:
	s_or_b32 exec_lo, exec_lo, s0
	v_add_nc_u32_e32 v6, 0x380, v2
	v_dual_mov_b32 v63, 0xff800000 :: v_dual_mov_b32 v56, 0xff800000
	s_delay_alu instid0(VALU_DEP_2) | instskip(NEXT) | instid1(VALU_DEP_1)
	;; [unrolled: 23-line block ×3, first 2 shown]
	v_cmp_gt_i32_e64 s34, s74, v6
	s_and_b32 s1, s64, s34
	s_delay_alu instid0(SALU_CYCLE_1)
	s_and_saveexec_b32 s0, s1
	s_cbranch_execz .LBB403_62
; %bb.61:
	global_load_b32 v64, v[3:4], off offset:3840
.LBB403_62:
	s_or_b32 exec_lo, exec_lo, s0
	v_add_nc_u32_e32 v6, 0x3e0, v2
	s_delay_alu instid0(VALU_DEP_1) | instskip(NEXT) | instid1(VALU_DEP_1)
	v_cmp_gt_i32_e64 s33, s74, v6
	s_and_b32 s1, s64, s33
	s_delay_alu instid0(SALU_CYCLE_1)
	s_and_saveexec_b32 s0, s1
	s_cbranch_execz .LBB403_64
; %bb.63:
	global_load_b32 v67, v[3:4], off offset:3968
.LBB403_64:
	s_or_b32 exec_lo, exec_lo, s0
	v_or_b32_e32 v6, 0x400, v2
	v_mov_b32_e32 v70, 0xff800000
	v_mov_b32_e32 v72, 0xff800000
	s_delay_alu instid0(VALU_DEP_3) | instskip(NEXT) | instid1(VALU_DEP_1)
	v_cmp_gt_i32_e64 s31, s74, v6
	s_and_b32 s0, s64, s31
	s_delay_alu instid0(SALU_CYCLE_1)
	s_and_saveexec_b32 s1, s0
	s_cbranch_execz .LBB403_66
; %bb.65:
	v_add_co_u32 v6, s0, 0x1000, v3
	s_delay_alu instid0(VALU_DEP_1)
	v_add_co_ci_u32_e64 v7, s0, 0, v4, s0
	global_load_b32 v72, v[6:7], off
.LBB403_66:
	s_or_b32 exec_lo, exec_lo, s1
	v_add_nc_u32_e32 v6, 0x420, v2
	s_delay_alu instid0(VALU_DEP_1) | instskip(NEXT) | instid1(VALU_DEP_1)
	v_cmp_gt_i32_e64 s30, s74, v6
	s_and_b32 s0, s64, s30
	s_delay_alu instid0(SALU_CYCLE_1)
	s_and_saveexec_b32 s1, s0
	s_cbranch_execz .LBB403_68
; %bb.67:
	v_add_co_u32 v6, s0, 0x1000, v3
	s_delay_alu instid0(VALU_DEP_1)
	v_add_co_ci_u32_e64 v7, s0, 0, v4, s0
	global_load_b32 v70, v[6:7], off offset:128
.LBB403_68:
	s_or_b32 exec_lo, exec_lo, s1
	v_add_nc_u32_e32 v6, 0x440, v2
	v_dual_mov_b32 v68, 0xff800000 :: v_dual_mov_b32 v71, 0xff800000
	s_delay_alu instid0(VALU_DEP_2) | instskip(NEXT) | instid1(VALU_DEP_1)
	v_cmp_gt_i32_e64 s29, s74, v6
	s_and_b32 s0, s64, s29
	s_delay_alu instid0(SALU_CYCLE_1)
	s_and_saveexec_b32 s1, s0
	s_cbranch_execz .LBB403_70
; %bb.69:
	v_add_co_u32 v6, s0, 0x1000, v3
	s_delay_alu instid0(VALU_DEP_1)
	v_add_co_ci_u32_e64 v7, s0, 0, v4, s0
	global_load_b32 v71, v[6:7], off offset:256
.LBB403_70:
	s_or_b32 exec_lo, exec_lo, s1
	v_add_nc_u32_e32 v6, 0x460, v2
	s_delay_alu instid0(VALU_DEP_1) | instskip(NEXT) | instid1(VALU_DEP_1)
	v_cmp_gt_i32_e64 s28, s74, v6
	s_and_b32 s0, s64, s28
	s_delay_alu instid0(SALU_CYCLE_1)
	s_and_saveexec_b32 s1, s0
	s_cbranch_execz .LBB403_72
; %bb.71:
	v_add_co_u32 v6, s0, 0x1000, v3
	s_delay_alu instid0(VALU_DEP_1)
	v_add_co_ci_u32_e64 v7, s0, 0, v4, s0
	global_load_b32 v68, v[6:7], off offset:384
.LBB403_72:
	s_or_b32 exec_lo, exec_lo, s1
	v_add_nc_u32_e32 v6, 0x480, v2
	v_mov_b32_e32 v65, 0xff800000
	v_mov_b32_e32 v69, 0xff800000
	s_delay_alu instid0(VALU_DEP_3) | instskip(NEXT) | instid1(VALU_DEP_1)
	v_cmp_gt_i32_e64 s27, s74, v6
	s_and_b32 s0, s64, s27
	s_delay_alu instid0(SALU_CYCLE_1)
	s_and_saveexec_b32 s1, s0
	s_cbranch_execz .LBB403_74
; %bb.73:
	v_add_co_u32 v6, s0, 0x1000, v3
	s_delay_alu instid0(VALU_DEP_1)
	v_add_co_ci_u32_e64 v7, s0, 0, v4, s0
	global_load_b32 v69, v[6:7], off offset:512
.LBB403_74:
	s_or_b32 exec_lo, exec_lo, s1
	v_add_nc_u32_e32 v6, 0x4a0, v2
	s_delay_alu instid0(VALU_DEP_1) | instskip(NEXT) | instid1(VALU_DEP_1)
	v_cmp_gt_i32_e64 s26, s74, v6
	s_and_b32 s0, s64, s26
	s_delay_alu instid0(SALU_CYCLE_1)
	s_and_saveexec_b32 s1, s0
	s_cbranch_execz .LBB403_76
; %bb.75:
	v_add_co_u32 v6, s0, 0x1000, v3
	s_delay_alu instid0(VALU_DEP_1)
	v_add_co_ci_u32_e64 v7, s0, 0, v4, s0
	global_load_b32 v65, v[6:7], off offset:640
.LBB403_76:
	s_or_b32 exec_lo, exec_lo, s1
	v_add_nc_u32_e32 v6, 0x4c0, v2
	v_dual_mov_b32 v61, 0xff800000 :: v_dual_mov_b32 v66, 0xff800000
	s_delay_alu instid0(VALU_DEP_2) | instskip(NEXT) | instid1(VALU_DEP_1)
	v_cmp_gt_i32_e64 s25, s74, v6
	s_and_b32 s0, s64, s25
	s_delay_alu instid0(SALU_CYCLE_1)
	s_and_saveexec_b32 s1, s0
	s_cbranch_execz .LBB403_78
; %bb.77:
	v_add_co_u32 v6, s0, 0x1000, v3
	s_delay_alu instid0(VALU_DEP_1)
	v_add_co_ci_u32_e64 v7, s0, 0, v4, s0
	global_load_b32 v66, v[6:7], off offset:768
.LBB403_78:
	s_or_b32 exec_lo, exec_lo, s1
	v_add_nc_u32_e32 v6, 0x4e0, v2
	s_delay_alu instid0(VALU_DEP_1) | instskip(NEXT) | instid1(VALU_DEP_1)
	v_cmp_gt_i32_e64 s24, s74, v6
	s_and_b32 s0, s64, s24
	s_delay_alu instid0(SALU_CYCLE_1)
	s_and_saveexec_b32 s1, s0
	s_cbranch_execz .LBB403_80
; %bb.79:
	v_add_co_u32 v6, s0, 0x1000, v3
	s_delay_alu instid0(VALU_DEP_1)
	v_add_co_ci_u32_e64 v7, s0, 0, v4, s0
	global_load_b32 v61, v[6:7], off offset:896
.LBB403_80:
	s_or_b32 exec_lo, exec_lo, s1
	v_add_nc_u32_e32 v6, 0x500, v2
	v_dual_mov_b32 v59, 0xff800000 :: v_dual_mov_b32 v62, 0xff800000
	s_delay_alu instid0(VALU_DEP_2) | instskip(NEXT) | instid1(VALU_DEP_1)
	;; [unrolled: 29-line block ×3, first 2 shown]
	v_cmp_gt_i32_e64 s21, s74, v6
	s_and_b32 s0, s64, s21
	s_delay_alu instid0(SALU_CYCLE_1)
	s_and_saveexec_b32 s1, s0
	s_cbranch_execz .LBB403_86
; %bb.85:
	v_add_co_u32 v6, s0, 0x1000, v3
	s_delay_alu instid0(VALU_DEP_1)
	v_add_co_ci_u32_e64 v7, s0, 0, v4, s0
	global_load_b32 v60, v[6:7], off offset:1280
.LBB403_86:
	s_or_b32 exec_lo, exec_lo, s1
	v_add_nc_u32_e32 v6, 0x560, v2
	s_delay_alu instid0(VALU_DEP_1) | instskip(NEXT) | instid1(VALU_DEP_1)
	v_cmp_gt_i32_e64 s20, s74, v6
	s_and_b32 s0, s64, s20
	s_delay_alu instid0(SALU_CYCLE_1)
	s_and_saveexec_b32 s1, s0
	s_cbranch_execz .LBB403_88
; %bb.87:
	v_add_co_u32 v6, s0, 0x1000, v3
	s_delay_alu instid0(VALU_DEP_1)
	v_add_co_ci_u32_e64 v7, s0, 0, v4, s0
	global_load_b32 v57, v[6:7], off offset:1408
.LBB403_88:
	s_or_b32 exec_lo, exec_lo, s1
	v_add_nc_u32_e32 v6, 0x580, v2
	v_mov_b32_e32 v50, 0xff800000
	v_mov_b32_e32 v58, 0xff800000
	s_delay_alu instid0(VALU_DEP_3) | instskip(NEXT) | instid1(VALU_DEP_1)
	v_cmp_gt_i32_e64 s19, s74, v6
	s_and_b32 s0, s64, s19
	s_delay_alu instid0(SALU_CYCLE_1)
	s_and_saveexec_b32 s1, s0
	s_cbranch_execz .LBB403_90
; %bb.89:
	v_add_co_u32 v6, s0, 0x1000, v3
	s_delay_alu instid0(VALU_DEP_1)
	v_add_co_ci_u32_e64 v7, s0, 0, v4, s0
	global_load_b32 v58, v[6:7], off offset:1536
.LBB403_90:
	s_or_b32 exec_lo, exec_lo, s1
	v_add_nc_u32_e32 v6, 0x5a0, v2
	s_delay_alu instid0(VALU_DEP_1) | instskip(NEXT) | instid1(VALU_DEP_1)
	v_cmp_gt_i32_e64 s18, s74, v6
	s_and_b32 s0, s64, s18
	s_delay_alu instid0(SALU_CYCLE_1)
	s_and_saveexec_b32 s1, s0
	s_cbranch_execz .LBB403_92
; %bb.91:
	v_add_co_u32 v6, s0, 0x1000, v3
	s_delay_alu instid0(VALU_DEP_1)
	v_add_co_ci_u32_e64 v7, s0, 0, v4, s0
	global_load_b32 v50, v[6:7], off offset:1664
.LBB403_92:
	s_or_b32 exec_lo, exec_lo, s1
	v_add_nc_u32_e32 v6, 0x5c0, v2
	v_dual_mov_b32 v33, 0xff800000 :: v_dual_mov_b32 v52, 0xff800000
	s_delay_alu instid0(VALU_DEP_2) | instskip(NEXT) | instid1(VALU_DEP_1)
	v_cmp_gt_i32_e64 s17, s74, v6
	s_and_b32 s0, s64, s17
	s_delay_alu instid0(SALU_CYCLE_1)
	s_and_saveexec_b32 s1, s0
	s_cbranch_execz .LBB403_94
; %bb.93:
	v_add_co_u32 v6, s0, 0x1000, v3
	s_delay_alu instid0(VALU_DEP_1)
	v_add_co_ci_u32_e64 v7, s0, 0, v4, s0
	global_load_b32 v52, v[6:7], off offset:1792
.LBB403_94:
	s_or_b32 exec_lo, exec_lo, s1
	v_add_nc_u32_e32 v6, 0x5e0, v2
	s_delay_alu instid0(VALU_DEP_1) | instskip(NEXT) | instid1(VALU_DEP_1)
	v_cmp_gt_i32_e64 s16, s74, v6
	s_and_b32 s0, s64, s16
	s_delay_alu instid0(SALU_CYCLE_1)
	s_and_saveexec_b32 s1, s0
	s_cbranch_execz .LBB403_96
; %bb.95:
	v_add_co_u32 v6, s0, 0x1000, v3
	s_delay_alu instid0(VALU_DEP_1)
	v_add_co_ci_u32_e64 v7, s0, 0, v4, s0
	global_load_b32 v33, v[6:7], off offset:1920
.LBB403_96:
	s_or_b32 exec_lo, exec_lo, s1
	v_add_nc_u32_e32 v6, 0x600, v2
	v_mov_b32_e32 v31, 0xff800000
	v_mov_b32_e32 v35, 0xff800000
	s_delay_alu instid0(VALU_DEP_3) | instskip(NEXT) | instid1(VALU_DEP_1)
	v_cmp_gt_i32_e64 s15, s74, v6
	s_and_b32 s0, s64, s15
	s_delay_alu instid0(SALU_CYCLE_1)
	s_and_saveexec_b32 s1, s0
	s_cbranch_execz .LBB403_98
; %bb.97:
	v_add_co_u32 v6, s0, 0x1000, v3
	s_delay_alu instid0(VALU_DEP_1)
	v_add_co_ci_u32_e64 v7, s0, 0, v4, s0
	global_load_b32 v35, v[6:7], off offset:2048
.LBB403_98:
	s_or_b32 exec_lo, exec_lo, s1
	v_add_nc_u32_e32 v6, 0x620, v2
	s_delay_alu instid0(VALU_DEP_1) | instskip(NEXT) | instid1(VALU_DEP_1)
	v_cmp_gt_i32_e64 s14, s74, v6
	s_and_b32 s0, s64, s14
	s_delay_alu instid0(SALU_CYCLE_1)
	s_and_saveexec_b32 s1, s0
	s_cbranch_execz .LBB403_100
; %bb.99:
	v_add_co_u32 v6, s0, 0x1000, v3
	s_delay_alu instid0(VALU_DEP_1)
	v_add_co_ci_u32_e64 v7, s0, 0, v4, s0
	global_load_b32 v31, v[6:7], off offset:2176
.LBB403_100:
	s_or_b32 exec_lo, exec_lo, s1
	v_add_nc_u32_e32 v6, 0x640, v2
	v_dual_mov_b32 v27, 0xff800000 :: v_dual_mov_b32 v32, 0xff800000
	s_delay_alu instid0(VALU_DEP_2) | instskip(NEXT) | instid1(VALU_DEP_1)
	v_cmp_gt_i32_e64 s13, s74, v6
	s_and_b32 s0, s64, s13
	s_delay_alu instid0(SALU_CYCLE_1)
	s_and_saveexec_b32 s1, s0
	s_cbranch_execz .LBB403_102
; %bb.101:
	v_add_co_u32 v6, s0, 0x1000, v3
	s_delay_alu instid0(VALU_DEP_1)
	v_add_co_ci_u32_e64 v7, s0, 0, v4, s0
	global_load_b32 v32, v[6:7], off offset:2304
.LBB403_102:
	s_or_b32 exec_lo, exec_lo, s1
	v_add_nc_u32_e32 v6, 0x660, v2
	s_delay_alu instid0(VALU_DEP_1) | instskip(NEXT) | instid1(VALU_DEP_1)
	v_cmp_gt_i32_e64 s12, s74, v6
	s_and_b32 s0, s64, s12
	s_delay_alu instid0(SALU_CYCLE_1)
	s_and_saveexec_b32 s1, s0
	s_cbranch_execz .LBB403_104
; %bb.103:
	v_add_co_u32 v6, s0, 0x1000, v3
	s_delay_alu instid0(VALU_DEP_1)
	v_add_co_ci_u32_e64 v7, s0, 0, v4, s0
	global_load_b32 v27, v[6:7], off offset:2432
.LBB403_104:
	s_or_b32 exec_lo, exec_lo, s1
	v_add_nc_u32_e32 v6, 0x680, v2
	v_dual_mov_b32 v21, 0xff800000 :: v_dual_mov_b32 v28, 0xff800000
	s_delay_alu instid0(VALU_DEP_2) | instskip(NEXT) | instid1(VALU_DEP_1)
	;; [unrolled: 29-line block ×4, first 2 shown]
	v_cmp_gt_i32_e64 s7, s74, v6
	s_and_b32 s0, s64, s7
	s_delay_alu instid0(SALU_CYCLE_1)
	s_and_saveexec_b32 s1, s0
	s_cbranch_execz .LBB403_114
; %bb.113:
	v_add_co_u32 v6, s0, 0x1000, v3
	s_delay_alu instid0(VALU_DEP_1)
	v_add_co_ci_u32_e64 v7, s0, 0, v4, s0
	global_load_b32 v14, v[6:7], off offset:3072
.LBB403_114:
	s_or_b32 exec_lo, exec_lo, s1
	v_add_nc_u32_e32 v6, 0x720, v2
	s_delay_alu instid0(VALU_DEP_1) | instskip(NEXT) | instid1(VALU_DEP_1)
	v_cmp_gt_i32_e64 s6, s74, v6
	s_and_b32 s0, s64, s6
	s_delay_alu instid0(SALU_CYCLE_1)
	s_and_saveexec_b32 s1, s0
	s_cbranch_execz .LBB403_116
; %bb.115:
	v_add_co_u32 v6, s0, 0x1000, v3
	s_delay_alu instid0(VALU_DEP_1)
	v_add_co_ci_u32_e64 v7, s0, 0, v4, s0
	global_load_b32 v11, v[6:7], off offset:3200
.LBB403_116:
	s_or_b32 exec_lo, exec_lo, s1
	v_add_nc_u32_e32 v6, 0x740, v2
	v_mov_b32_e32 v10, 0xff800000
	v_mov_b32_e32 v12, 0xff800000
	s_delay_alu instid0(VALU_DEP_3) | instskip(NEXT) | instid1(VALU_DEP_1)
	v_cmp_gt_i32_e64 s5, s74, v6
	s_and_b32 s0, s64, s5
	s_delay_alu instid0(SALU_CYCLE_1)
	s_and_saveexec_b32 s1, s0
	s_cbranch_execz .LBB403_118
; %bb.117:
	v_add_co_u32 v6, s0, 0x1000, v3
	s_delay_alu instid0(VALU_DEP_1)
	v_add_co_ci_u32_e64 v7, s0, 0, v4, s0
	global_load_b32 v12, v[6:7], off offset:3328
.LBB403_118:
	s_or_b32 exec_lo, exec_lo, s1
	v_add_nc_u32_e32 v6, 0x760, v2
	s_delay_alu instid0(VALU_DEP_1) | instskip(NEXT) | instid1(VALU_DEP_1)
	v_cmp_gt_i32_e64 s4, s74, v6
	s_and_b32 s0, s64, s4
	s_delay_alu instid0(SALU_CYCLE_1)
	s_and_saveexec_b32 s1, s0
	s_cbranch_execz .LBB403_120
; %bb.119:
	v_add_co_u32 v6, s0, 0x1000, v3
	s_delay_alu instid0(VALU_DEP_1)
	v_add_co_ci_u32_e64 v7, s0, 0, v4, s0
	global_load_b32 v10, v[6:7], off offset:3456
.LBB403_120:
	s_or_b32 exec_lo, exec_lo, s1
	v_add_nc_u32_e32 v6, 0x780, v2
	v_mov_b32_e32 v7, 0xff800000
	v_mov_b32_e32 v9, 0xff800000
	s_delay_alu instid0(VALU_DEP_3) | instskip(NEXT) | instid1(VALU_DEP_1)
	v_cmp_gt_i32_e64 s3, s74, v6
	s_and_b32 s0, s64, s3
	s_delay_alu instid0(SALU_CYCLE_1)
	s_and_saveexec_b32 s1, s0
	s_cbranch_execz .LBB403_122
; %bb.121:
	v_add_co_u32 v8, s0, 0x1000, v3
	s_delay_alu instid0(VALU_DEP_1)
	v_add_co_ci_u32_e64 v9, s0, 0, v4, s0
	global_load_b32 v9, v[8:9], off offset:3584
.LBB403_122:
	s_or_b32 exec_lo, exec_lo, s1
	v_add_nc_u32_e32 v6, 0x7a0, v2
	s_delay_alu instid0(VALU_DEP_1) | instskip(NEXT) | instid1(VALU_DEP_1)
	v_cmp_gt_i32_e64 s2, s74, v6
	s_and_b32 s0, s64, s2
	s_delay_alu instid0(SALU_CYCLE_1)
	s_and_saveexec_b32 s1, s0
	s_cbranch_execz .LBB403_124
; %bb.123:
	v_add_co_u32 v6, s0, 0x1000, v3
	s_delay_alu instid0(VALU_DEP_1)
	v_add_co_ci_u32_e64 v7, s0, 0, v4, s0
	global_load_b32 v7, v[6:7], off offset:3712
.LBB403_124:
	s_or_b32 exec_lo, exec_lo, s1
	v_add_nc_u32_e32 v6, 0x7c0, v2
	v_mov_b32_e32 v8, 0xff800000
	s_delay_alu instid0(VALU_DEP_2) | instskip(SKIP_1) | instid1(VALU_DEP_2)
	v_cmp_gt_i32_e64 s1, s74, v6
	v_mov_b32_e32 v6, 0xff800000
	s_and_b32 s0, s64, s1
	s_delay_alu instid0(SALU_CYCLE_1)
	s_and_saveexec_b32 s65, s0
	s_cbranch_execz .LBB403_126
; %bb.125:
	v_add_co_u32 v73, s0, 0x1000, v3
	s_delay_alu instid0(VALU_DEP_1)
	v_add_co_ci_u32_e64 v74, s0, 0, v4, s0
	global_load_b32 v8, v[73:74], off offset:3840
.LBB403_126:
	s_or_b32 exec_lo, exec_lo, s65
	v_add_nc_u32_e32 v2, 0x7e0, v2
	s_delay_alu instid0(VALU_DEP_1) | instskip(NEXT) | instid1(VALU_DEP_1)
	v_cmp_gt_i32_e64 s0, s74, v2
	s_and_b32 s64, s64, s0
	s_delay_alu instid0(SALU_CYCLE_1)
	s_and_saveexec_b32 s65, s64
	s_cbranch_execz .LBB403_128
; %bb.127:
	v_add_co_u32 v2, s64, 0x1000, v3
	s_delay_alu instid0(VALU_DEP_1)
	v_add_co_ci_u32_e64 v3, s64, 0, v4, s64
	global_load_b32 v6, v[2:3], off offset:3968
.LBB403_128:
	s_or_b32 exec_lo, exec_lo, s65
	s_waitcnt vmcnt(0)
	v_cmp_gt_f32_e64 s64, v15, v16
	v_mbcnt_lo_u32_b32 v19, -1, 0
	s_mov_b32 s65, exec_lo
	s_delay_alu instid0(VALU_DEP_2) | instskip(NEXT) | instid1(VALU_DEP_1)
	v_cndmask_b32_e64 v2, v16, v15, s64
	v_cmp_gt_f32_e64 s64, v2, v18
	s_delay_alu instid0(VALU_DEP_1) | instskip(NEXT) | instid1(VALU_DEP_1)
	v_cndmask_b32_e64 v2, v18, v2, s64
	v_cmp_gt_f32_e64 s64, v2, v20
	s_delay_alu instid0(VALU_DEP_1) | instskip(NEXT) | instid1(VALU_DEP_1)
	v_cndmask_b32_e64 v2, v20, v2, s64
	v_cmp_gt_f32_e64 s64, v2, v23
	s_delay_alu instid0(VALU_DEP_1) | instskip(NEXT) | instid1(VALU_DEP_1)
	v_cndmask_b32_e64 v2, v23, v2, s64
	v_cmp_gt_f32_e64 s64, v2, v24
	s_delay_alu instid0(VALU_DEP_1) | instskip(NEXT) | instid1(VALU_DEP_1)
	v_cndmask_b32_e64 v2, v24, v2, s64
	v_cmp_gt_f32_e64 s64, v2, v25
	s_delay_alu instid0(VALU_DEP_1) | instskip(NEXT) | instid1(VALU_DEP_1)
	v_cndmask_b32_e64 v2, v25, v2, s64
	v_cmp_gt_f32_e64 s64, v2, v26
	s_delay_alu instid0(VALU_DEP_1) | instskip(NEXT) | instid1(VALU_DEP_1)
	v_cndmask_b32_e64 v2, v26, v2, s64
	v_cmp_gt_f32_e64 s64, v2, v29
	s_delay_alu instid0(VALU_DEP_1) | instskip(NEXT) | instid1(VALU_DEP_1)
	v_cndmask_b32_e64 v2, v29, v2, s64
	v_cmp_gt_f32_e64 s64, v2, v34
	s_delay_alu instid0(VALU_DEP_1) | instskip(NEXT) | instid1(VALU_DEP_1)
	v_cndmask_b32_e64 v2, v34, v2, s64
	v_cmp_gt_f32_e64 s64, v2, v36
	s_delay_alu instid0(VALU_DEP_1) | instskip(NEXT) | instid1(VALU_DEP_1)
	v_cndmask_b32_e64 v2, v36, v2, s64
	v_cmp_gt_f32_e64 s64, v2, v37
	s_delay_alu instid0(VALU_DEP_1) | instskip(NEXT) | instid1(VALU_DEP_1)
	v_cndmask_b32_e64 v2, v37, v2, s64
	v_cmp_gt_f32_e64 s64, v2, v38
	s_delay_alu instid0(VALU_DEP_1) | instskip(NEXT) | instid1(VALU_DEP_1)
	v_cndmask_b32_e64 v2, v38, v2, s64
	v_cmp_gt_f32_e64 s64, v2, v39
	s_delay_alu instid0(VALU_DEP_1) | instskip(NEXT) | instid1(VALU_DEP_1)
	v_cndmask_b32_e64 v2, v39, v2, s64
	v_cmp_gt_f32_e64 s64, v2, v40
	s_delay_alu instid0(VALU_DEP_1) | instskip(NEXT) | instid1(VALU_DEP_1)
	v_cndmask_b32_e64 v2, v40, v2, s64
	v_cmp_gt_f32_e64 s64, v2, v41
	s_delay_alu instid0(VALU_DEP_1) | instskip(NEXT) | instid1(VALU_DEP_1)
	v_cndmask_b32_e64 v2, v41, v2, s64
	v_cmp_gt_f32_e64 s64, v2, v42
	s_delay_alu instid0(VALU_DEP_1) | instskip(NEXT) | instid1(VALU_DEP_1)
	v_cndmask_b32_e64 v2, v42, v2, s64
	v_cmp_gt_f32_e64 s64, v2, v43
	s_delay_alu instid0(VALU_DEP_1) | instskip(NEXT) | instid1(VALU_DEP_1)
	v_cndmask_b32_e64 v2, v43, v2, s64
	v_cmp_gt_f32_e64 s64, v2, v44
	s_delay_alu instid0(VALU_DEP_1) | instskip(NEXT) | instid1(VALU_DEP_1)
	v_cndmask_b32_e64 v2, v44, v2, s64
	v_cmp_gt_f32_e64 s64, v2, v45
	s_delay_alu instid0(VALU_DEP_1) | instskip(NEXT) | instid1(VALU_DEP_1)
	v_cndmask_b32_e64 v2, v45, v2, s64
	v_cmp_gt_f32_e64 s64, v2, v46
	s_delay_alu instid0(VALU_DEP_1) | instskip(NEXT) | instid1(VALU_DEP_1)
	v_cndmask_b32_e64 v2, v46, v2, s64
	v_cmp_gt_f32_e64 s64, v2, v47
	s_delay_alu instid0(VALU_DEP_1) | instskip(NEXT) | instid1(VALU_DEP_1)
	v_cndmask_b32_e64 v2, v47, v2, s64
	v_cmp_gt_f32_e64 s64, v2, v48
	s_delay_alu instid0(VALU_DEP_1) | instskip(NEXT) | instid1(VALU_DEP_1)
	v_cndmask_b32_e64 v2, v48, v2, s64
	v_cmp_gt_f32_e64 s64, v2, v49
	s_delay_alu instid0(VALU_DEP_1) | instskip(NEXT) | instid1(VALU_DEP_1)
	v_cndmask_b32_e64 v2, v49, v2, s64
	v_cmp_gt_f32_e64 s64, v2, v51
	s_delay_alu instid0(VALU_DEP_1) | instskip(NEXT) | instid1(VALU_DEP_1)
	v_cndmask_b32_e64 v2, v51, v2, s64
	v_cmp_gt_f32_e64 s64, v2, v53
	s_delay_alu instid0(VALU_DEP_1) | instskip(NEXT) | instid1(VALU_DEP_1)
	v_cndmask_b32_e64 v2, v53, v2, s64
	v_cmp_gt_f32_e64 s64, v2, v54
	s_delay_alu instid0(VALU_DEP_1) | instskip(NEXT) | instid1(VALU_DEP_1)
	v_cndmask_b32_e64 v2, v54, v2, s64
	v_cmp_gt_f32_e64 s64, v2, v55
	s_delay_alu instid0(VALU_DEP_1) | instskip(NEXT) | instid1(VALU_DEP_1)
	v_cndmask_b32_e64 v2, v55, v2, s64
	v_cmp_gt_f32_e64 s64, v2, v56
	s_delay_alu instid0(VALU_DEP_1) | instskip(NEXT) | instid1(VALU_DEP_1)
	v_cndmask_b32_e64 v2, v56, v2, s64
	v_cmp_gt_f32_e64 s64, v2, v63
	s_delay_alu instid0(VALU_DEP_1) | instskip(NEXT) | instid1(VALU_DEP_1)
	v_cndmask_b32_e64 v2, v63, v2, s64
	v_cmp_gt_f32_e64 s64, v2, v64
	s_delay_alu instid0(VALU_DEP_1) | instskip(NEXT) | instid1(VALU_DEP_1)
	v_cndmask_b32_e64 v2, v64, v2, s64
	v_cmp_gt_f32_e64 s64, v2, v67
	s_delay_alu instid0(VALU_DEP_1) | instskip(NEXT) | instid1(VALU_DEP_1)
	v_cndmask_b32_e64 v2, v67, v2, s64
	v_cmp_gt_f32_e64 s64, v2, v72
	s_delay_alu instid0(VALU_DEP_1) | instskip(NEXT) | instid1(VALU_DEP_1)
	v_cndmask_b32_e64 v2, v72, v2, s64
	v_cmp_gt_f32_e64 s64, v2, v70
	s_delay_alu instid0(VALU_DEP_1) | instskip(NEXT) | instid1(VALU_DEP_1)
	v_cndmask_b32_e64 v2, v70, v2, s64
	v_cmp_gt_f32_e64 s64, v2, v71
	s_delay_alu instid0(VALU_DEP_1) | instskip(NEXT) | instid1(VALU_DEP_1)
	v_cndmask_b32_e64 v2, v71, v2, s64
	v_cmp_gt_f32_e64 s64, v2, v68
	s_delay_alu instid0(VALU_DEP_1) | instskip(NEXT) | instid1(VALU_DEP_1)
	v_cndmask_b32_e64 v2, v68, v2, s64
	v_cmp_gt_f32_e64 s64, v2, v69
	s_delay_alu instid0(VALU_DEP_1) | instskip(NEXT) | instid1(VALU_DEP_1)
	v_cndmask_b32_e64 v2, v69, v2, s64
	v_cmp_gt_f32_e64 s64, v2, v65
	s_delay_alu instid0(VALU_DEP_1) | instskip(NEXT) | instid1(VALU_DEP_1)
	v_cndmask_b32_e64 v2, v65, v2, s64
	v_cmp_gt_f32_e64 s64, v2, v66
	s_delay_alu instid0(VALU_DEP_1) | instskip(NEXT) | instid1(VALU_DEP_1)
	v_cndmask_b32_e64 v2, v66, v2, s64
	v_cmp_gt_f32_e64 s64, v2, v61
	s_delay_alu instid0(VALU_DEP_1) | instskip(NEXT) | instid1(VALU_DEP_1)
	v_cndmask_b32_e64 v2, v61, v2, s64
	v_cmp_gt_f32_e64 s64, v2, v62
	s_delay_alu instid0(VALU_DEP_1) | instskip(NEXT) | instid1(VALU_DEP_1)
	v_cndmask_b32_e64 v2, v62, v2, s64
	v_cmp_gt_f32_e64 s64, v2, v59
	s_delay_alu instid0(VALU_DEP_1) | instskip(NEXT) | instid1(VALU_DEP_1)
	v_cndmask_b32_e64 v2, v59, v2, s64
	v_cmp_gt_f32_e64 s64, v2, v60
	s_delay_alu instid0(VALU_DEP_1) | instskip(NEXT) | instid1(VALU_DEP_1)
	v_cndmask_b32_e64 v2, v60, v2, s64
	v_cmp_gt_f32_e64 s64, v2, v57
	s_delay_alu instid0(VALU_DEP_1) | instskip(NEXT) | instid1(VALU_DEP_1)
	v_cndmask_b32_e64 v2, v57, v2, s64
	v_cmp_gt_f32_e64 s64, v2, v58
	s_delay_alu instid0(VALU_DEP_1) | instskip(NEXT) | instid1(VALU_DEP_1)
	v_cndmask_b32_e64 v2, v58, v2, s64
	v_cmp_gt_f32_e64 s64, v2, v50
	s_delay_alu instid0(VALU_DEP_1) | instskip(NEXT) | instid1(VALU_DEP_1)
	v_cndmask_b32_e64 v2, v50, v2, s64
	v_cmp_gt_f32_e64 s64, v2, v52
	s_delay_alu instid0(VALU_DEP_1) | instskip(NEXT) | instid1(VALU_DEP_1)
	v_cndmask_b32_e64 v2, v52, v2, s64
	v_cmp_gt_f32_e64 s64, v2, v33
	s_delay_alu instid0(VALU_DEP_1) | instskip(NEXT) | instid1(VALU_DEP_1)
	v_cndmask_b32_e64 v2, v33, v2, s64
	v_cmp_gt_f32_e64 s64, v2, v35
	s_delay_alu instid0(VALU_DEP_1) | instskip(NEXT) | instid1(VALU_DEP_1)
	v_cndmask_b32_e64 v2, v35, v2, s64
	v_cmp_gt_f32_e64 s64, v2, v31
	s_delay_alu instid0(VALU_DEP_1) | instskip(NEXT) | instid1(VALU_DEP_1)
	v_cndmask_b32_e64 v2, v31, v2, s64
	v_cmp_gt_f32_e64 s64, v2, v32
	s_delay_alu instid0(VALU_DEP_1) | instskip(NEXT) | instid1(VALU_DEP_1)
	v_cndmask_b32_e64 v2, v32, v2, s64
	v_cmp_gt_f32_e64 s64, v2, v27
	s_delay_alu instid0(VALU_DEP_1) | instskip(NEXT) | instid1(VALU_DEP_1)
	v_cndmask_b32_e64 v2, v27, v2, s64
	v_cmp_gt_f32_e64 s64, v2, v28
	s_delay_alu instid0(VALU_DEP_1) | instskip(NEXT) | instid1(VALU_DEP_1)
	v_cndmask_b32_e64 v2, v28, v2, s64
	v_cmp_gt_f32_e64 s64, v2, v21
	s_delay_alu instid0(VALU_DEP_1) | instskip(NEXT) | instid1(VALU_DEP_1)
	v_cndmask_b32_e64 v2, v21, v2, s64
	v_cmp_gt_f32_e64 s64, v2, v22
	s_delay_alu instid0(VALU_DEP_1) | instskip(NEXT) | instid1(VALU_DEP_1)
	v_cndmask_b32_e64 v2, v22, v2, s64
	v_cmp_gt_f32_e64 s64, v2, v13
	s_delay_alu instid0(VALU_DEP_1) | instskip(NEXT) | instid1(VALU_DEP_1)
	v_cndmask_b32_e64 v2, v13, v2, s64
	v_cmp_gt_f32_e64 s64, v2, v14
	s_delay_alu instid0(VALU_DEP_1) | instskip(NEXT) | instid1(VALU_DEP_1)
	v_cndmask_b32_e64 v2, v14, v2, s64
	v_cmp_gt_f32_e64 s64, v2, v11
	s_delay_alu instid0(VALU_DEP_1) | instskip(NEXT) | instid1(VALU_DEP_1)
	v_cndmask_b32_e64 v2, v11, v2, s64
	v_cmp_gt_f32_e64 s64, v2, v12
	s_delay_alu instid0(VALU_DEP_1) | instskip(NEXT) | instid1(VALU_DEP_1)
	v_cndmask_b32_e64 v2, v12, v2, s64
	v_cmp_gt_f32_e64 s64, v2, v10
	s_delay_alu instid0(VALU_DEP_1) | instskip(NEXT) | instid1(VALU_DEP_1)
	v_cndmask_b32_e64 v2, v10, v2, s64
	v_cmp_gt_f32_e64 s64, v2, v9
	s_delay_alu instid0(VALU_DEP_1) | instskip(NEXT) | instid1(VALU_DEP_1)
	v_cndmask_b32_e64 v2, v9, v2, s64
	v_cmp_gt_f32_e64 s64, v2, v7
	s_delay_alu instid0(VALU_DEP_1) | instskip(NEXT) | instid1(VALU_DEP_1)
	v_cndmask_b32_e64 v2, v7, v2, s64
	v_cmp_gt_f32_e64 s64, v2, v8
	s_delay_alu instid0(VALU_DEP_1) | instskip(NEXT) | instid1(VALU_DEP_1)
	v_cndmask_b32_e64 v2, v8, v2, s64
	v_cmp_gt_f32_e64 s64, v2, v6
	s_delay_alu instid0(VALU_DEP_1) | instskip(SKIP_1) | instid1(VALU_DEP_1)
	v_cndmask_b32_e64 v3, v6, v2, s64
	v_xor_b32_e32 v2, 16, v19
	v_cmp_gt_i32_e64 s64, 32, v2
	s_delay_alu instid0(VALU_DEP_1) | instskip(NEXT) | instid1(VALU_DEP_1)
	v_cndmask_b32_e64 v2, v19, v2, s64
	v_lshlrev_b32_e32 v2, 2, v2
	ds_bpermute_b32 v4, v2, v3
	s_waitcnt lgkmcnt(0)
	v_cmp_lt_f32_e64 s64, v3, v4
	s_delay_alu instid0(VALU_DEP_1) | instskip(SKIP_1) | instid1(VALU_DEP_1)
	v_cndmask_b32_e64 v4, v3, v4, s64
	v_xor_b32_e32 v3, 8, v19
	v_cmp_gt_i32_e64 s64, 32, v3
	s_delay_alu instid0(VALU_DEP_1) | instskip(NEXT) | instid1(VALU_DEP_1)
	v_cndmask_b32_e64 v3, v19, v3, s64
	v_lshlrev_b32_e32 v3, 2, v3
	ds_bpermute_b32 v17, v3, v4
	s_waitcnt lgkmcnt(0)
	v_cmp_lt_f32_e64 s64, v4, v17
	;; [unrolled: 10-line block ×5, first 2 shown]
	s_delay_alu instid0(VALU_DEP_1) | instskip(NEXT) | instid1(VALU_DEP_1)
	v_cndmask_b32_e64 v30, v30, v73, s64
	v_sub_f32_e32 v15, v15, v30
	v_sub_f32_e32 v16, v16, v30
	;; [unrolled: 1-line block ×4, first 2 shown]
	s_delay_alu instid0(VALU_DEP_4)
	v_dual_sub_f32 v38, v38, v30 :: v_dual_mul_f32 v73, 0x3fb8aa3b, v15
	v_cmp_ngt_f32_e64 s64, 0xc2ce8ed0, v15
	v_sub_f32_e32 v40, v40, v30
	v_sub_f32_e32 v47, v47, v30
	;; [unrolled: 1-line block ×3, first 2 shown]
	v_fma_f32 v74, 0x3fb8aa3b, v15, -v73
	v_rndne_f32_e32 v75, v73
	v_sub_f32_e32 v18, v18, v30
	v_sub_f32_e32 v44, v44, v30
	;; [unrolled: 1-line block ×3, first 2 shown]
	v_fmac_f32_e32 v74, 0x32a5705f, v15
	v_dual_sub_f32 v73, v73, v75 :: v_dual_sub_f32 v48, v48, v30
	v_sub_f32_e32 v71, v71, v30
	v_sub_f32_e32 v54, v54, v30
	v_sub_f32_e32 v56, v56, v30
	s_delay_alu instid0(VALU_DEP_4)
	v_add_f32_e32 v73, v73, v74
	v_cvt_i32_f32_e32 v74, v75
	v_sub_f32_e32 v64, v64, v30
	v_sub_f32_e32 v72, v72, v30
	v_sub_f32_e32 v70, v70, v30
	v_exp_f32_e32 v73, v73
	v_sub_f32_e32 v52, v52, v30
	v_sub_f32_e32 v68, v68, v30
	;; [unrolled: 1-line block ×9, first 2 shown]
	v_ldexp_f32 v73, v73, v74
	v_sub_f32_e32 v50, v50, v30
	v_sub_f32_e32 v32, v32, v30
	;; [unrolled: 1-line block ×4, first 2 shown]
	v_cndmask_b32_e64 v73, 0, v73, s64
	v_cmp_nlt_f32_e64 s64, 0x42b17218, v15
	v_sub_f32_e32 v14, v14, v30
	v_sub_f32_e32 v12, v12, v30
	;; [unrolled: 1-line block ×4, first 2 shown]
	v_cndmask_b32_e64 v15, 0x7f800000, v73, s64
	v_mul_f32_e32 v73, 0x3fb8aa3b, v16
	v_cmp_ngt_f32_e64 s64, 0xc2ce8ed0, v16
	v_sub_f32_e32 v20, v20, v30
	v_sub_f32_e32 v6, v6, v30
	;; [unrolled: 1-line block ×3, first 2 shown]
	v_fma_f32 v74, 0x3fb8aa3b, v16, -v73
	v_rndne_f32_e32 v75, v73
	v_sub_f32_e32 v24, v24, v30
	v_sub_f32_e32 v25, v25, v30
	;; [unrolled: 1-line block ×3, first 2 shown]
	s_delay_alu instid0(VALU_DEP_4)
	v_dual_fmac_f32 v74, 0x32a5705f, v16 :: v_dual_sub_f32 v73, v73, v75
	v_sub_f32_e32 v29, v29, v30
	v_sub_f32_e32 v37, v37, v30
	;; [unrolled: 1-line block ×4, first 2 shown]
	v_add_f32_e32 v73, v73, v74
	v_cvt_i32_f32_e32 v74, v75
	v_sub_f32_e32 v43, v43, v30
	v_sub_f32_e32 v45, v45, v30
	;; [unrolled: 1-line block ×3, first 2 shown]
	v_exp_f32_e32 v73, v73
	v_sub_f32_e32 v51, v51, v30
	v_sub_f32_e32 v53, v53, v30
	;; [unrolled: 1-line block ×9, first 2 shown]
	v_ldexp_f32 v73, v73, v74
	v_mul_f32_e32 v74, 0x3fb8aa3b, v18
	v_sub_f32_e32 v57, v57, v30
	v_sub_f32_e32 v33, v33, v30
	;; [unrolled: 1-line block ×3, first 2 shown]
	v_cndmask_b32_e64 v73, 0, v73, s64
	v_fma_f32 v75, 0x3fb8aa3b, v18, -v74
	v_rndne_f32_e32 v76, v74
	v_cmp_nlt_f32_e64 s64, 0x42b17218, v16
	v_sub_f32_e32 v31, v31, v30
	v_sub_f32_e32 v27, v27, v30
	s_delay_alu instid0(VALU_DEP_4) | instskip(NEXT) | instid1(VALU_DEP_4)
	v_dual_fmac_f32 v75, 0x32a5705f, v18 :: v_dual_sub_f32 v74, v74, v76
	v_cndmask_b32_e64 v16, 0x7f800000, v73, s64
	v_cmp_ngt_f32_e64 s64, 0xc2ce8ed0, v18
	v_sub_f32_e32 v13, v13, v30
	s_delay_alu instid0(VALU_DEP_4) | instskip(SKIP_2) | instid1(VALU_DEP_3)
	v_dual_sub_f32 v7, v7, v30 :: v_dual_add_f32 v74, v74, v75
	v_cvt_i32_f32_e32 v75, v76
	v_mul_f32_e32 v30, 0x3fb8aa3b, v6
	v_exp_f32_e32 v74, v74
	s_waitcnt_depctr 0xfff
	v_ldexp_f32 v74, v74, v75
	s_delay_alu instid0(VALU_DEP_1) | instskip(SKIP_1) | instid1(VALU_DEP_1)
	v_cndmask_b32_e64 v74, 0, v74, s64
	v_cmp_nlt_f32_e64 s64, 0x42b17218, v18
	v_cndmask_b32_e64 v18, 0x7f800000, v74, s64
	v_mul_f32_e32 v74, 0x3fb8aa3b, v20
	v_cmp_ngt_f32_e64 s64, 0xc2ce8ed0, v20
	s_delay_alu instid0(VALU_DEP_2) | instskip(SKIP_1) | instid1(VALU_DEP_2)
	v_fma_f32 v75, 0x3fb8aa3b, v20, -v74
	v_rndne_f32_e32 v76, v74
	v_fmac_f32_e32 v75, 0x32a5705f, v20
	s_delay_alu instid0(VALU_DEP_2) | instskip(NEXT) | instid1(VALU_DEP_1)
	v_sub_f32_e32 v74, v74, v76
	v_dual_add_f32 v73, v15, v16 :: v_dual_add_f32 v74, v74, v75
	v_cvt_i32_f32_e32 v75, v76
	s_delay_alu instid0(VALU_DEP_2) | instskip(NEXT) | instid1(VALU_DEP_3)
	v_add_f32_e32 v73, v73, v18
	v_exp_f32_e32 v74, v74
	s_waitcnt_depctr 0xfff
	v_ldexp_f32 v74, v74, v75
	s_delay_alu instid0(VALU_DEP_1) | instskip(SKIP_1) | instid1(VALU_DEP_1)
	v_cndmask_b32_e64 v74, 0, v74, s64
	v_cmp_nlt_f32_e64 s64, 0x42b17218, v20
	v_cndmask_b32_e64 v20, 0x7f800000, v74, s64
	v_mul_f32_e32 v74, 0x3fb8aa3b, v23
	v_cmp_ngt_f32_e64 s64, 0xc2ce8ed0, v23
	s_delay_alu instid0(VALU_DEP_2) | instskip(SKIP_1) | instid1(VALU_DEP_1)
	v_fma_f32 v75, 0x3fb8aa3b, v23, -v74
	v_rndne_f32_e32 v76, v74
	v_dual_fmac_f32 v75, 0x32a5705f, v23 :: v_dual_sub_f32 v74, v74, v76
	s_delay_alu instid0(VALU_DEP_1) | instskip(SKIP_1) | instid1(VALU_DEP_2)
	v_dual_add_f32 v73, v73, v20 :: v_dual_add_f32 v74, v74, v75
	v_cvt_i32_f32_e32 v75, v76
	v_exp_f32_e32 v74, v74
	s_waitcnt_depctr 0xfff
	v_ldexp_f32 v74, v74, v75
	s_delay_alu instid0(VALU_DEP_1) | instskip(SKIP_1) | instid1(VALU_DEP_1)
	v_cndmask_b32_e64 v74, 0, v74, s64
	v_cmp_nlt_f32_e64 s64, 0x42b17218, v23
	v_cndmask_b32_e64 v23, 0x7f800000, v74, s64
	v_mul_f32_e32 v74, 0x3fb8aa3b, v24
	v_cmp_ngt_f32_e64 s64, 0xc2ce8ed0, v24
	s_delay_alu instid0(VALU_DEP_3) | instskip(NEXT) | instid1(VALU_DEP_3)
	v_add_f32_e32 v73, v73, v23
	v_fma_f32 v75, 0x3fb8aa3b, v24, -v74
	v_rndne_f32_e32 v76, v74
	s_delay_alu instid0(VALU_DEP_2) | instskip(NEXT) | instid1(VALU_DEP_2)
	v_fmac_f32_e32 v75, 0x32a5705f, v24
	v_sub_f32_e32 v74, v74, v76
	s_delay_alu instid0(VALU_DEP_1) | instskip(SKIP_1) | instid1(VALU_DEP_2)
	v_add_f32_e32 v74, v74, v75
	v_cvt_i32_f32_e32 v75, v76
	v_exp_f32_e32 v74, v74
	s_waitcnt_depctr 0xfff
	v_ldexp_f32 v74, v74, v75
	s_delay_alu instid0(VALU_DEP_1) | instskip(SKIP_1) | instid1(VALU_DEP_1)
	v_cndmask_b32_e64 v74, 0, v74, s64
	v_cmp_nlt_f32_e64 s64, 0x42b17218, v24
	v_cndmask_b32_e64 v24, 0x7f800000, v74, s64
	v_mul_f32_e32 v74, 0x3fb8aa3b, v25
	v_cmp_ngt_f32_e64 s64, 0xc2ce8ed0, v25
	s_delay_alu instid0(VALU_DEP_3) | instskip(NEXT) | instid1(VALU_DEP_3)
	v_add_f32_e32 v73, v73, v24
	v_fma_f32 v75, 0x3fb8aa3b, v25, -v74
	v_rndne_f32_e32 v76, v74
	s_delay_alu instid0(VALU_DEP_1) | instskip(NEXT) | instid1(VALU_DEP_1)
	v_dual_fmac_f32 v75, 0x32a5705f, v25 :: v_dual_sub_f32 v74, v74, v76
	v_add_f32_e32 v74, v74, v75
	v_cvt_i32_f32_e32 v75, v76
	s_delay_alu instid0(VALU_DEP_2) | instskip(SKIP_2) | instid1(VALU_DEP_1)
	v_exp_f32_e32 v74, v74
	s_waitcnt_depctr 0xfff
	v_ldexp_f32 v74, v74, v75
	v_cndmask_b32_e64 v74, 0, v74, s64
	v_cmp_nlt_f32_e64 s64, 0x42b17218, v25
	s_delay_alu instid0(VALU_DEP_1) | instskip(SKIP_2) | instid1(VALU_DEP_3)
	v_cndmask_b32_e64 v25, 0x7f800000, v74, s64
	v_mul_f32_e32 v74, 0x3fb8aa3b, v26
	v_cmp_ngt_f32_e64 s64, 0xc2ce8ed0, v26
	v_add_f32_e32 v73, v73, v25
	s_delay_alu instid0(VALU_DEP_3) | instskip(SKIP_1) | instid1(VALU_DEP_1)
	v_fma_f32 v75, 0x3fb8aa3b, v26, -v74
	v_rndne_f32_e32 v76, v74
	v_dual_fmac_f32 v75, 0x32a5705f, v26 :: v_dual_sub_f32 v74, v74, v76
	s_delay_alu instid0(VALU_DEP_1) | instskip(SKIP_1) | instid1(VALU_DEP_2)
	v_add_f32_e32 v74, v74, v75
	v_cvt_i32_f32_e32 v75, v76
	v_exp_f32_e32 v74, v74
	s_waitcnt_depctr 0xfff
	v_ldexp_f32 v74, v74, v75
	s_delay_alu instid0(VALU_DEP_1) | instskip(SKIP_1) | instid1(VALU_DEP_1)
	v_cndmask_b32_e64 v74, 0, v74, s64
	v_cmp_nlt_f32_e64 s64, 0x42b17218, v26
	v_cndmask_b32_e64 v26, 0x7f800000, v74, s64
	v_mul_f32_e32 v74, 0x3fb8aa3b, v29
	v_cmp_ngt_f32_e64 s64, 0xc2ce8ed0, v29
	s_delay_alu instid0(VALU_DEP_3) | instskip(NEXT) | instid1(VALU_DEP_3)
	v_add_f32_e32 v73, v73, v26
	v_fma_f32 v75, 0x3fb8aa3b, v29, -v74
	v_rndne_f32_e32 v76, v74
	s_delay_alu instid0(VALU_DEP_1) | instskip(NEXT) | instid1(VALU_DEP_1)
	v_dual_fmac_f32 v75, 0x32a5705f, v29 :: v_dual_sub_f32 v74, v74, v76
	v_add_f32_e32 v74, v74, v75
	v_cvt_i32_f32_e32 v75, v76
	s_delay_alu instid0(VALU_DEP_2) | instskip(SKIP_2) | instid1(VALU_DEP_1)
	v_exp_f32_e32 v74, v74
	s_waitcnt_depctr 0xfff
	v_ldexp_f32 v74, v74, v75
	v_cndmask_b32_e64 v74, 0, v74, s64
	v_cmp_nlt_f32_e64 s64, 0x42b17218, v29
	s_delay_alu instid0(VALU_DEP_1) | instskip(SKIP_2) | instid1(VALU_DEP_3)
	v_cndmask_b32_e64 v29, 0x7f800000, v74, s64
	v_mul_f32_e32 v74, 0x3fb8aa3b, v34
	v_cmp_ngt_f32_e64 s64, 0xc2ce8ed0, v34
	v_add_f32_e32 v73, v73, v29
	s_delay_alu instid0(VALU_DEP_3) | instskip(SKIP_1) | instid1(VALU_DEP_1)
	v_fma_f32 v75, 0x3fb8aa3b, v34, -v74
	v_rndne_f32_e32 v76, v74
	v_dual_fmac_f32 v75, 0x32a5705f, v34 :: v_dual_sub_f32 v74, v74, v76
	s_delay_alu instid0(VALU_DEP_1) | instskip(SKIP_1) | instid1(VALU_DEP_2)
	v_add_f32_e32 v74, v74, v75
	v_cvt_i32_f32_e32 v75, v76
	v_exp_f32_e32 v74, v74
	s_waitcnt_depctr 0xfff
	v_ldexp_f32 v74, v74, v75
	s_delay_alu instid0(VALU_DEP_1) | instskip(SKIP_1) | instid1(VALU_DEP_1)
	v_cndmask_b32_e64 v74, 0, v74, s64
	v_cmp_nlt_f32_e64 s64, 0x42b17218, v34
	v_cndmask_b32_e64 v34, 0x7f800000, v74, s64
	v_mul_f32_e32 v74, 0x3fb8aa3b, v36
	v_cmp_ngt_f32_e64 s64, 0xc2ce8ed0, v36
	s_delay_alu instid0(VALU_DEP_3) | instskip(NEXT) | instid1(VALU_DEP_3)
	v_add_f32_e32 v73, v73, v34
	v_fma_f32 v75, 0x3fb8aa3b, v36, -v74
	v_rndne_f32_e32 v76, v74
	s_delay_alu instid0(VALU_DEP_2) | instskip(NEXT) | instid1(VALU_DEP_2)
	v_fmac_f32_e32 v75, 0x32a5705f, v36
	v_sub_f32_e32 v74, v74, v76
	s_delay_alu instid0(VALU_DEP_1) | instskip(SKIP_1) | instid1(VALU_DEP_2)
	v_add_f32_e32 v74, v74, v75
	v_cvt_i32_f32_e32 v75, v76
	v_exp_f32_e32 v74, v74
	s_waitcnt_depctr 0xfff
	v_ldexp_f32 v74, v74, v75
	s_delay_alu instid0(VALU_DEP_1) | instskip(SKIP_1) | instid1(VALU_DEP_1)
	v_cndmask_b32_e64 v74, 0, v74, s64
	v_cmp_nlt_f32_e64 s64, 0x42b17218, v36
	v_cndmask_b32_e64 v36, 0x7f800000, v74, s64
	v_mul_f32_e32 v74, 0x3fb8aa3b, v37
	v_cmp_ngt_f32_e64 s64, 0xc2ce8ed0, v37
	s_delay_alu instid0(VALU_DEP_3) | instskip(NEXT) | instid1(VALU_DEP_3)
	v_add_f32_e32 v73, v73, v36
	v_fma_f32 v75, 0x3fb8aa3b, v37, -v74
	v_rndne_f32_e32 v76, v74
	s_delay_alu instid0(VALU_DEP_1) | instskip(NEXT) | instid1(VALU_DEP_1)
	v_dual_fmac_f32 v75, 0x32a5705f, v37 :: v_dual_sub_f32 v74, v74, v76
	v_add_f32_e32 v74, v74, v75
	v_cvt_i32_f32_e32 v75, v76
	s_delay_alu instid0(VALU_DEP_2) | instskip(SKIP_2) | instid1(VALU_DEP_1)
	v_exp_f32_e32 v74, v74
	s_waitcnt_depctr 0xfff
	v_ldexp_f32 v74, v74, v75
	v_cndmask_b32_e64 v74, 0, v74, s64
	v_cmp_nlt_f32_e64 s64, 0x42b17218, v37
	s_delay_alu instid0(VALU_DEP_1) | instskip(SKIP_2) | instid1(VALU_DEP_3)
	v_cndmask_b32_e64 v37, 0x7f800000, v74, s64
	v_mul_f32_e32 v74, 0x3fb8aa3b, v38
	v_cmp_ngt_f32_e64 s64, 0xc2ce8ed0, v38
	v_add_f32_e32 v73, v73, v37
	s_delay_alu instid0(VALU_DEP_3) | instskip(SKIP_1) | instid1(VALU_DEP_1)
	v_fma_f32 v75, 0x3fb8aa3b, v38, -v74
	v_rndne_f32_e32 v76, v74
	v_dual_fmac_f32 v75, 0x32a5705f, v38 :: v_dual_sub_f32 v74, v74, v76
	s_delay_alu instid0(VALU_DEP_1) | instskip(SKIP_1) | instid1(VALU_DEP_2)
	v_add_f32_e32 v74, v74, v75
	v_cvt_i32_f32_e32 v75, v76
	v_exp_f32_e32 v74, v74
	s_waitcnt_depctr 0xfff
	v_ldexp_f32 v74, v74, v75
	s_delay_alu instid0(VALU_DEP_1) | instskip(SKIP_1) | instid1(VALU_DEP_1)
	v_cndmask_b32_e64 v74, 0, v74, s64
	v_cmp_nlt_f32_e64 s64, 0x42b17218, v38
	v_cndmask_b32_e64 v38, 0x7f800000, v74, s64
	v_mul_f32_e32 v74, 0x3fb8aa3b, v39
	v_cmp_ngt_f32_e64 s64, 0xc2ce8ed0, v39
	s_delay_alu instid0(VALU_DEP_3) | instskip(NEXT) | instid1(VALU_DEP_3)
	v_add_f32_e32 v73, v73, v38
	v_fma_f32 v75, 0x3fb8aa3b, v39, -v74
	v_rndne_f32_e32 v76, v74
	s_delay_alu instid0(VALU_DEP_1) | instskip(NEXT) | instid1(VALU_DEP_1)
	v_dual_fmac_f32 v75, 0x32a5705f, v39 :: v_dual_sub_f32 v74, v74, v76
	v_add_f32_e32 v74, v74, v75
	v_cvt_i32_f32_e32 v75, v76
	s_delay_alu instid0(VALU_DEP_2) | instskip(SKIP_2) | instid1(VALU_DEP_1)
	v_exp_f32_e32 v74, v74
	s_waitcnt_depctr 0xfff
	v_ldexp_f32 v74, v74, v75
	v_cndmask_b32_e64 v74, 0, v74, s64
	v_cmp_nlt_f32_e64 s64, 0x42b17218, v39
	s_delay_alu instid0(VALU_DEP_1) | instskip(SKIP_2) | instid1(VALU_DEP_3)
	v_cndmask_b32_e64 v39, 0x7f800000, v74, s64
	v_mul_f32_e32 v74, 0x3fb8aa3b, v40
	v_cmp_ngt_f32_e64 s64, 0xc2ce8ed0, v40
	v_add_f32_e32 v73, v73, v39
	s_delay_alu instid0(VALU_DEP_3) | instskip(SKIP_1) | instid1(VALU_DEP_2)
	v_fma_f32 v75, 0x3fb8aa3b, v40, -v74
	v_rndne_f32_e32 v76, v74
	v_fmac_f32_e32 v75, 0x32a5705f, v40
	s_delay_alu instid0(VALU_DEP_2) | instskip(NEXT) | instid1(VALU_DEP_1)
	v_sub_f32_e32 v74, v74, v76
	v_add_f32_e32 v74, v74, v75
	v_cvt_i32_f32_e32 v75, v76
	s_delay_alu instid0(VALU_DEP_2) | instskip(SKIP_2) | instid1(VALU_DEP_1)
	v_exp_f32_e32 v74, v74
	s_waitcnt_depctr 0xfff
	v_ldexp_f32 v74, v74, v75
	v_cndmask_b32_e64 v74, 0, v74, s64
	v_cmp_nlt_f32_e64 s64, 0x42b17218, v40
	s_delay_alu instid0(VALU_DEP_1) | instskip(SKIP_2) | instid1(VALU_DEP_3)
	v_cndmask_b32_e64 v40, 0x7f800000, v74, s64
	v_mul_f32_e32 v74, 0x3fb8aa3b, v41
	v_cmp_ngt_f32_e64 s64, 0xc2ce8ed0, v41
	v_add_f32_e32 v73, v73, v40
	s_delay_alu instid0(VALU_DEP_3) | instskip(SKIP_1) | instid1(VALU_DEP_1)
	v_fma_f32 v75, 0x3fb8aa3b, v41, -v74
	v_rndne_f32_e32 v76, v74
	v_dual_fmac_f32 v75, 0x32a5705f, v41 :: v_dual_sub_f32 v74, v74, v76
	s_delay_alu instid0(VALU_DEP_1) | instskip(SKIP_1) | instid1(VALU_DEP_2)
	v_add_f32_e32 v74, v74, v75
	v_cvt_i32_f32_e32 v75, v76
	v_exp_f32_e32 v74, v74
	s_waitcnt_depctr 0xfff
	v_ldexp_f32 v74, v74, v75
	s_delay_alu instid0(VALU_DEP_1) | instskip(SKIP_1) | instid1(VALU_DEP_1)
	v_cndmask_b32_e64 v74, 0, v74, s64
	v_cmp_nlt_f32_e64 s64, 0x42b17218, v41
	v_cndmask_b32_e64 v41, 0x7f800000, v74, s64
	v_mul_f32_e32 v74, 0x3fb8aa3b, v42
	v_cmp_ngt_f32_e64 s64, 0xc2ce8ed0, v42
	s_delay_alu instid0(VALU_DEP_3) | instskip(NEXT) | instid1(VALU_DEP_3)
	v_add_f32_e32 v73, v73, v41
	v_fma_f32 v75, 0x3fb8aa3b, v42, -v74
	v_rndne_f32_e32 v76, v74
	s_delay_alu instid0(VALU_DEP_1) | instskip(NEXT) | instid1(VALU_DEP_1)
	v_dual_fmac_f32 v75, 0x32a5705f, v42 :: v_dual_sub_f32 v74, v74, v76
	v_add_f32_e32 v74, v74, v75
	v_cvt_i32_f32_e32 v75, v76
	s_delay_alu instid0(VALU_DEP_2) | instskip(SKIP_2) | instid1(VALU_DEP_1)
	v_exp_f32_e32 v74, v74
	s_waitcnt_depctr 0xfff
	v_ldexp_f32 v74, v74, v75
	v_cndmask_b32_e64 v74, 0, v74, s64
	v_cmp_nlt_f32_e64 s64, 0x42b17218, v42
	s_delay_alu instid0(VALU_DEP_1) | instskip(SKIP_2) | instid1(VALU_DEP_3)
	v_cndmask_b32_e64 v42, 0x7f800000, v74, s64
	v_mul_f32_e32 v74, 0x3fb8aa3b, v43
	v_cmp_ngt_f32_e64 s64, 0xc2ce8ed0, v43
	v_add_f32_e32 v73, v73, v42
	s_delay_alu instid0(VALU_DEP_3) | instskip(SKIP_1) | instid1(VALU_DEP_1)
	v_fma_f32 v75, 0x3fb8aa3b, v43, -v74
	v_rndne_f32_e32 v76, v74
	v_dual_fmac_f32 v75, 0x32a5705f, v43 :: v_dual_sub_f32 v74, v74, v76
	s_delay_alu instid0(VALU_DEP_1) | instskip(SKIP_1) | instid1(VALU_DEP_2)
	v_add_f32_e32 v74, v74, v75
	v_cvt_i32_f32_e32 v75, v76
	v_exp_f32_e32 v74, v74
	s_waitcnt_depctr 0xfff
	v_ldexp_f32 v74, v74, v75
	s_delay_alu instid0(VALU_DEP_1) | instskip(SKIP_1) | instid1(VALU_DEP_1)
	v_cndmask_b32_e64 v74, 0, v74, s64
	v_cmp_nlt_f32_e64 s64, 0x42b17218, v43
	v_cndmask_b32_e64 v43, 0x7f800000, v74, s64
	v_mul_f32_e32 v74, 0x3fb8aa3b, v44
	v_cmp_ngt_f32_e64 s64, 0xc2ce8ed0, v44
	s_delay_alu instid0(VALU_DEP_3) | instskip(NEXT) | instid1(VALU_DEP_3)
	v_add_f32_e32 v73, v73, v43
	v_fma_f32 v75, 0x3fb8aa3b, v44, -v74
	v_rndne_f32_e32 v76, v74
	s_delay_alu instid0(VALU_DEP_2) | instskip(NEXT) | instid1(VALU_DEP_2)
	v_fmac_f32_e32 v75, 0x32a5705f, v44
	v_sub_f32_e32 v74, v74, v76
	s_delay_alu instid0(VALU_DEP_1) | instskip(SKIP_1) | instid1(VALU_DEP_2)
	v_add_f32_e32 v74, v74, v75
	v_cvt_i32_f32_e32 v75, v76
	v_exp_f32_e32 v74, v74
	s_waitcnt_depctr 0xfff
	v_ldexp_f32 v74, v74, v75
	s_delay_alu instid0(VALU_DEP_1) | instskip(SKIP_1) | instid1(VALU_DEP_1)
	v_cndmask_b32_e64 v74, 0, v74, s64
	v_cmp_nlt_f32_e64 s64, 0x42b17218, v44
	v_cndmask_b32_e64 v44, 0x7f800000, v74, s64
	v_mul_f32_e32 v74, 0x3fb8aa3b, v45
	v_cmp_ngt_f32_e64 s64, 0xc2ce8ed0, v45
	s_delay_alu instid0(VALU_DEP_3) | instskip(NEXT) | instid1(VALU_DEP_3)
	v_add_f32_e32 v73, v73, v44
	v_fma_f32 v75, 0x3fb8aa3b, v45, -v74
	v_rndne_f32_e32 v76, v74
	s_delay_alu instid0(VALU_DEP_1) | instskip(NEXT) | instid1(VALU_DEP_1)
	v_dual_fmac_f32 v75, 0x32a5705f, v45 :: v_dual_sub_f32 v74, v74, v76
	v_add_f32_e32 v74, v74, v75
	v_cvt_i32_f32_e32 v75, v76
	s_delay_alu instid0(VALU_DEP_2) | instskip(SKIP_2) | instid1(VALU_DEP_1)
	v_exp_f32_e32 v74, v74
	s_waitcnt_depctr 0xfff
	v_ldexp_f32 v74, v74, v75
	v_cndmask_b32_e64 v74, 0, v74, s64
	v_cmp_nlt_f32_e64 s64, 0x42b17218, v45
	s_delay_alu instid0(VALU_DEP_1) | instskip(SKIP_2) | instid1(VALU_DEP_3)
	v_cndmask_b32_e64 v45, 0x7f800000, v74, s64
	v_mul_f32_e32 v74, 0x3fb8aa3b, v46
	v_cmp_ngt_f32_e64 s64, 0xc2ce8ed0, v46
	v_add_f32_e32 v73, v73, v45
	s_delay_alu instid0(VALU_DEP_3) | instskip(SKIP_1) | instid1(VALU_DEP_1)
	v_fma_f32 v75, 0x3fb8aa3b, v46, -v74
	v_rndne_f32_e32 v76, v74
	v_dual_fmac_f32 v75, 0x32a5705f, v46 :: v_dual_sub_f32 v74, v74, v76
	s_delay_alu instid0(VALU_DEP_1) | instskip(SKIP_1) | instid1(VALU_DEP_2)
	v_add_f32_e32 v74, v74, v75
	v_cvt_i32_f32_e32 v75, v76
	v_exp_f32_e32 v74, v74
	s_waitcnt_depctr 0xfff
	v_ldexp_f32 v74, v74, v75
	s_delay_alu instid0(VALU_DEP_1) | instskip(SKIP_1) | instid1(VALU_DEP_1)
	v_cndmask_b32_e64 v74, 0, v74, s64
	v_cmp_nlt_f32_e64 s64, 0x42b17218, v46
	v_cndmask_b32_e64 v46, 0x7f800000, v74, s64
	s_delay_alu instid0(VALU_DEP_1) | instskip(NEXT) | instid1(VALU_DEP_1)
	v_dual_mul_f32 v74, 0x3fb8aa3b, v47 :: v_dual_add_f32 v73, v73, v46
	v_fma_f32 v75, 0x3fb8aa3b, v47, -v74
	v_rndne_f32_e32 v76, v74
	s_delay_alu instid0(VALU_DEP_1) | instskip(SKIP_1) | instid1(VALU_DEP_2)
	v_dual_sub_f32 v74, v74, v76 :: v_dual_fmac_f32 v75, 0x32a5705f, v47
	v_cmp_ngt_f32_e64 s64, 0xc2ce8ed0, v47
	v_add_f32_e32 v74, v74, v75
	v_cvt_i32_f32_e32 v75, v76
	s_delay_alu instid0(VALU_DEP_2) | instskip(SKIP_2) | instid1(VALU_DEP_1)
	v_exp_f32_e32 v74, v74
	s_waitcnt_depctr 0xfff
	v_ldexp_f32 v74, v74, v75
	v_cndmask_b32_e64 v74, 0, v74, s64
	v_cmp_nlt_f32_e64 s64, 0x42b17218, v47
	s_delay_alu instid0(VALU_DEP_1) | instskip(SKIP_2) | instid1(VALU_DEP_3)
	v_cndmask_b32_e64 v47, 0x7f800000, v74, s64
	v_mul_f32_e32 v74, 0x3fb8aa3b, v48
	v_cmp_ngt_f32_e64 s64, 0xc2ce8ed0, v48
	v_add_f32_e32 v73, v73, v47
	s_delay_alu instid0(VALU_DEP_3) | instskip(SKIP_1) | instid1(VALU_DEP_2)
	v_fma_f32 v75, 0x3fb8aa3b, v48, -v74
	v_rndne_f32_e32 v76, v74
	v_fmac_f32_e32 v75, 0x32a5705f, v48
	s_delay_alu instid0(VALU_DEP_2) | instskip(NEXT) | instid1(VALU_DEP_1)
	v_sub_f32_e32 v74, v74, v76
	v_add_f32_e32 v74, v74, v75
	v_cvt_i32_f32_e32 v75, v76
	s_delay_alu instid0(VALU_DEP_2) | instskip(SKIP_2) | instid1(VALU_DEP_1)
	v_exp_f32_e32 v74, v74
	s_waitcnt_depctr 0xfff
	v_ldexp_f32 v74, v74, v75
	v_cndmask_b32_e64 v74, 0, v74, s64
	v_cmp_nlt_f32_e64 s64, 0x42b17218, v48
	s_delay_alu instid0(VALU_DEP_1) | instskip(SKIP_2) | instid1(VALU_DEP_3)
	v_cndmask_b32_e64 v48, 0x7f800000, v74, s64
	v_mul_f32_e32 v74, 0x3fb8aa3b, v49
	v_cmp_ngt_f32_e64 s64, 0xc2ce8ed0, v49
	v_add_f32_e32 v73, v73, v48
	s_delay_alu instid0(VALU_DEP_3) | instskip(SKIP_1) | instid1(VALU_DEP_1)
	v_fma_f32 v75, 0x3fb8aa3b, v49, -v74
	v_rndne_f32_e32 v76, v74
	v_dual_fmac_f32 v75, 0x32a5705f, v49 :: v_dual_sub_f32 v74, v74, v76
	s_delay_alu instid0(VALU_DEP_1) | instskip(SKIP_1) | instid1(VALU_DEP_2)
	v_add_f32_e32 v74, v74, v75
	v_cvt_i32_f32_e32 v75, v76
	v_exp_f32_e32 v74, v74
	s_waitcnt_depctr 0xfff
	v_ldexp_f32 v74, v74, v75
	s_delay_alu instid0(VALU_DEP_1) | instskip(SKIP_1) | instid1(VALU_DEP_1)
	v_cndmask_b32_e64 v74, 0, v74, s64
	v_cmp_nlt_f32_e64 s64, 0x42b17218, v49
	v_cndmask_b32_e64 v49, 0x7f800000, v74, s64
	v_mul_f32_e32 v74, 0x3fb8aa3b, v51
	v_cmp_ngt_f32_e64 s64, 0xc2ce8ed0, v51
	s_delay_alu instid0(VALU_DEP_3) | instskip(NEXT) | instid1(VALU_DEP_3)
	v_add_f32_e32 v73, v73, v49
	v_fma_f32 v75, 0x3fb8aa3b, v51, -v74
	v_rndne_f32_e32 v76, v74
	s_delay_alu instid0(VALU_DEP_1) | instskip(NEXT) | instid1(VALU_DEP_1)
	v_dual_fmac_f32 v75, 0x32a5705f, v51 :: v_dual_sub_f32 v74, v74, v76
	v_add_f32_e32 v74, v74, v75
	v_cvt_i32_f32_e32 v75, v76
	s_delay_alu instid0(VALU_DEP_2) | instskip(SKIP_2) | instid1(VALU_DEP_1)
	v_exp_f32_e32 v74, v74
	s_waitcnt_depctr 0xfff
	v_ldexp_f32 v74, v74, v75
	v_cndmask_b32_e64 v74, 0, v74, s64
	v_cmp_nlt_f32_e64 s64, 0x42b17218, v51
	s_delay_alu instid0(VALU_DEP_1) | instskip(SKIP_2) | instid1(VALU_DEP_3)
	v_cndmask_b32_e64 v51, 0x7f800000, v74, s64
	v_mul_f32_e32 v74, 0x3fb8aa3b, v53
	v_cmp_ngt_f32_e64 s64, 0xc2ce8ed0, v53
	v_add_f32_e32 v73, v73, v51
	s_delay_alu instid0(VALU_DEP_3) | instskip(SKIP_1) | instid1(VALU_DEP_1)
	v_fma_f32 v75, 0x3fb8aa3b, v53, -v74
	v_rndne_f32_e32 v76, v74
	v_dual_fmac_f32 v75, 0x32a5705f, v53 :: v_dual_sub_f32 v74, v74, v76
	s_delay_alu instid0(VALU_DEP_1) | instskip(SKIP_1) | instid1(VALU_DEP_2)
	v_add_f32_e32 v74, v74, v75
	v_cvt_i32_f32_e32 v75, v76
	v_exp_f32_e32 v74, v74
	s_waitcnt_depctr 0xfff
	v_ldexp_f32 v74, v74, v75
	s_delay_alu instid0(VALU_DEP_1) | instskip(SKIP_1) | instid1(VALU_DEP_1)
	v_cndmask_b32_e64 v74, 0, v74, s64
	v_cmp_nlt_f32_e64 s64, 0x42b17218, v53
	v_cndmask_b32_e64 v53, 0x7f800000, v74, s64
	v_mul_f32_e32 v74, 0x3fb8aa3b, v54
	v_cmp_ngt_f32_e64 s64, 0xc2ce8ed0, v54
	s_delay_alu instid0(VALU_DEP_3) | instskip(NEXT) | instid1(VALU_DEP_3)
	v_add_f32_e32 v73, v73, v53
	v_fma_f32 v75, 0x3fb8aa3b, v54, -v74
	v_rndne_f32_e32 v76, v74
	s_delay_alu instid0(VALU_DEP_1) | instskip(NEXT) | instid1(VALU_DEP_1)
	v_dual_fmac_f32 v75, 0x32a5705f, v54 :: v_dual_sub_f32 v74, v74, v76
	v_add_f32_e32 v74, v74, v75
	v_cvt_i32_f32_e32 v75, v76
	s_delay_alu instid0(VALU_DEP_2) | instskip(SKIP_2) | instid1(VALU_DEP_1)
	v_exp_f32_e32 v74, v74
	s_waitcnt_depctr 0xfff
	v_ldexp_f32 v74, v74, v75
	v_cndmask_b32_e64 v74, 0, v74, s64
	v_cmp_nlt_f32_e64 s64, 0x42b17218, v54
	s_delay_alu instid0(VALU_DEP_1) | instskip(SKIP_2) | instid1(VALU_DEP_3)
	v_cndmask_b32_e64 v54, 0x7f800000, v74, s64
	v_mul_f32_e32 v74, 0x3fb8aa3b, v55
	v_cmp_ngt_f32_e64 s64, 0xc2ce8ed0, v55
	v_add_f32_e32 v73, v73, v54
	s_delay_alu instid0(VALU_DEP_3) | instskip(SKIP_1) | instid1(VALU_DEP_1)
	v_fma_f32 v75, 0x3fb8aa3b, v55, -v74
	v_rndne_f32_e32 v76, v74
	v_dual_fmac_f32 v75, 0x32a5705f, v55 :: v_dual_sub_f32 v74, v74, v76
	s_delay_alu instid0(VALU_DEP_1) | instskip(SKIP_1) | instid1(VALU_DEP_2)
	v_add_f32_e32 v74, v74, v75
	v_cvt_i32_f32_e32 v75, v76
	v_exp_f32_e32 v74, v74
	s_waitcnt_depctr 0xfff
	v_ldexp_f32 v74, v74, v75
	s_delay_alu instid0(VALU_DEP_1) | instskip(SKIP_1) | instid1(VALU_DEP_1)
	v_cndmask_b32_e64 v74, 0, v74, s64
	v_cmp_nlt_f32_e64 s64, 0x42b17218, v55
	v_cndmask_b32_e64 v55, 0x7f800000, v74, s64
	v_mul_f32_e32 v74, 0x3fb8aa3b, v56
	v_cmp_ngt_f32_e64 s64, 0xc2ce8ed0, v56
	s_delay_alu instid0(VALU_DEP_3) | instskip(NEXT) | instid1(VALU_DEP_3)
	v_add_f32_e32 v73, v73, v55
	v_fma_f32 v75, 0x3fb8aa3b, v56, -v74
	v_rndne_f32_e32 v76, v74
	s_delay_alu instid0(VALU_DEP_2) | instskip(NEXT) | instid1(VALU_DEP_2)
	v_fmac_f32_e32 v75, 0x32a5705f, v56
	v_sub_f32_e32 v74, v74, v76
	s_delay_alu instid0(VALU_DEP_1) | instskip(SKIP_1) | instid1(VALU_DEP_2)
	v_add_f32_e32 v74, v74, v75
	v_cvt_i32_f32_e32 v75, v76
	v_exp_f32_e32 v74, v74
	s_waitcnt_depctr 0xfff
	v_ldexp_f32 v74, v74, v75
	s_delay_alu instid0(VALU_DEP_1) | instskip(SKIP_1) | instid1(VALU_DEP_1)
	v_cndmask_b32_e64 v74, 0, v74, s64
	v_cmp_nlt_f32_e64 s64, 0x42b17218, v56
	v_cndmask_b32_e64 v56, 0x7f800000, v74, s64
	v_mul_f32_e32 v74, 0x3fb8aa3b, v63
	v_cmp_ngt_f32_e64 s64, 0xc2ce8ed0, v63
	s_delay_alu instid0(VALU_DEP_3) | instskip(NEXT) | instid1(VALU_DEP_3)
	v_add_f32_e32 v73, v73, v56
	v_fma_f32 v75, 0x3fb8aa3b, v63, -v74
	v_rndne_f32_e32 v76, v74
	s_delay_alu instid0(VALU_DEP_1) | instskip(NEXT) | instid1(VALU_DEP_1)
	v_dual_fmac_f32 v75, 0x32a5705f, v63 :: v_dual_sub_f32 v74, v74, v76
	v_add_f32_e32 v74, v74, v75
	v_cvt_i32_f32_e32 v75, v76
	s_delay_alu instid0(VALU_DEP_2) | instskip(SKIP_2) | instid1(VALU_DEP_1)
	v_exp_f32_e32 v74, v74
	s_waitcnt_depctr 0xfff
	v_ldexp_f32 v74, v74, v75
	v_cndmask_b32_e64 v74, 0, v74, s64
	v_cmp_nlt_f32_e64 s64, 0x42b17218, v63
	s_delay_alu instid0(VALU_DEP_1) | instskip(SKIP_2) | instid1(VALU_DEP_3)
	v_cndmask_b32_e64 v63, 0x7f800000, v74, s64
	v_mul_f32_e32 v74, 0x3fb8aa3b, v64
	v_cmp_ngt_f32_e64 s64, 0xc2ce8ed0, v64
	v_add_f32_e32 v73, v73, v63
	s_delay_alu instid0(VALU_DEP_3) | instskip(SKIP_1) | instid1(VALU_DEP_2)
	v_fma_f32 v75, 0x3fb8aa3b, v64, -v74
	v_rndne_f32_e32 v76, v74
	v_fmac_f32_e32 v75, 0x32a5705f, v64
	s_delay_alu instid0(VALU_DEP_2) | instskip(NEXT) | instid1(VALU_DEP_1)
	v_sub_f32_e32 v74, v74, v76
	v_add_f32_e32 v74, v74, v75
	v_cvt_i32_f32_e32 v75, v76
	s_delay_alu instid0(VALU_DEP_2) | instskip(SKIP_2) | instid1(VALU_DEP_1)
	v_exp_f32_e32 v74, v74
	s_waitcnt_depctr 0xfff
	v_ldexp_f32 v74, v74, v75
	v_cndmask_b32_e64 v74, 0, v74, s64
	v_cmp_nlt_f32_e64 s64, 0x42b17218, v64
	s_delay_alu instid0(VALU_DEP_1) | instskip(SKIP_2) | instid1(VALU_DEP_3)
	v_cndmask_b32_e64 v64, 0x7f800000, v74, s64
	v_mul_f32_e32 v74, 0x3fb8aa3b, v67
	v_cmp_ngt_f32_e64 s64, 0xc2ce8ed0, v67
	v_add_f32_e32 v73, v73, v64
	s_delay_alu instid0(VALU_DEP_3) | instskip(SKIP_1) | instid1(VALU_DEP_1)
	v_fma_f32 v75, 0x3fb8aa3b, v67, -v74
	v_rndne_f32_e32 v76, v74
	v_dual_fmac_f32 v75, 0x32a5705f, v67 :: v_dual_sub_f32 v74, v74, v76
	s_delay_alu instid0(VALU_DEP_1) | instskip(SKIP_1) | instid1(VALU_DEP_2)
	v_add_f32_e32 v74, v74, v75
	v_cvt_i32_f32_e32 v75, v76
	v_exp_f32_e32 v74, v74
	s_waitcnt_depctr 0xfff
	v_ldexp_f32 v74, v74, v75
	s_delay_alu instid0(VALU_DEP_1) | instskip(SKIP_1) | instid1(VALU_DEP_1)
	v_cndmask_b32_e64 v74, 0, v74, s64
	v_cmp_nlt_f32_e64 s64, 0x42b17218, v67
	v_cndmask_b32_e64 v67, 0x7f800000, v74, s64
	v_mul_f32_e32 v74, 0x3fb8aa3b, v72
	v_cmp_ngt_f32_e64 s64, 0xc2ce8ed0, v72
	s_delay_alu instid0(VALU_DEP_3) | instskip(NEXT) | instid1(VALU_DEP_3)
	v_add_f32_e32 v73, v73, v67
	v_fma_f32 v75, 0x3fb8aa3b, v72, -v74
	v_rndne_f32_e32 v76, v74
	s_delay_alu instid0(VALU_DEP_2) | instskip(NEXT) | instid1(VALU_DEP_2)
	v_fmac_f32_e32 v75, 0x32a5705f, v72
	v_sub_f32_e32 v74, v74, v76
	s_delay_alu instid0(VALU_DEP_1) | instskip(SKIP_1) | instid1(VALU_DEP_2)
	v_add_f32_e32 v74, v74, v75
	v_cvt_i32_f32_e32 v75, v76
	v_exp_f32_e32 v74, v74
	s_waitcnt_depctr 0xfff
	v_ldexp_f32 v74, v74, v75
	s_delay_alu instid0(VALU_DEP_1) | instskip(SKIP_1) | instid1(VALU_DEP_1)
	v_cndmask_b32_e64 v74, 0, v74, s64
	v_cmp_nlt_f32_e64 s64, 0x42b17218, v72
	v_cndmask_b32_e64 v72, 0x7f800000, v74, s64
	v_mul_f32_e32 v74, 0x3fb8aa3b, v70
	v_cmp_ngt_f32_e64 s64, 0xc2ce8ed0, v70
	s_delay_alu instid0(VALU_DEP_3) | instskip(NEXT) | instid1(VALU_DEP_3)
	v_add_f32_e32 v73, v73, v72
	v_fma_f32 v75, 0x3fb8aa3b, v70, -v74
	v_rndne_f32_e32 v76, v74
	s_delay_alu instid0(VALU_DEP_1) | instskip(NEXT) | instid1(VALU_DEP_1)
	v_dual_fmac_f32 v75, 0x32a5705f, v70 :: v_dual_sub_f32 v74, v74, v76
	v_add_f32_e32 v74, v74, v75
	v_cvt_i32_f32_e32 v75, v76
	s_delay_alu instid0(VALU_DEP_2) | instskip(SKIP_2) | instid1(VALU_DEP_1)
	v_exp_f32_e32 v74, v74
	s_waitcnt_depctr 0xfff
	v_ldexp_f32 v74, v74, v75
	v_cndmask_b32_e64 v74, 0, v74, s64
	v_cmp_nlt_f32_e64 s64, 0x42b17218, v70
	s_delay_alu instid0(VALU_DEP_1) | instskip(NEXT) | instid1(VALU_DEP_1)
	v_cndmask_b32_e64 v70, 0x7f800000, v74, s64
	v_dual_mul_f32 v74, 0x3fb8aa3b, v71 :: v_dual_add_f32 v73, v73, v70
	s_delay_alu instid0(VALU_DEP_1) | instskip(SKIP_1) | instid1(VALU_DEP_1)
	v_fma_f32 v75, 0x3fb8aa3b, v71, -v74
	v_rndne_f32_e32 v76, v74
	v_dual_sub_f32 v74, v74, v76 :: v_dual_fmac_f32 v75, 0x32a5705f, v71
	v_cmp_ngt_f32_e64 s64, 0xc2ce8ed0, v71
	s_delay_alu instid0(VALU_DEP_2) | instskip(SKIP_1) | instid1(VALU_DEP_2)
	v_add_f32_e32 v74, v74, v75
	v_cvt_i32_f32_e32 v75, v76
	v_exp_f32_e32 v74, v74
	s_waitcnt_depctr 0xfff
	v_ldexp_f32 v74, v74, v75
	s_delay_alu instid0(VALU_DEP_1) | instskip(SKIP_1) | instid1(VALU_DEP_1)
	v_cndmask_b32_e64 v74, 0, v74, s64
	v_cmp_nlt_f32_e64 s64, 0x42b17218, v71
	v_cndmask_b32_e64 v71, 0x7f800000, v74, s64
	v_mul_f32_e32 v74, 0x3fb8aa3b, v68
	v_cmp_ngt_f32_e64 s64, 0xc2ce8ed0, v68
	s_delay_alu instid0(VALU_DEP_3) | instskip(NEXT) | instid1(VALU_DEP_3)
	v_add_f32_e32 v73, v73, v71
	v_fma_f32 v75, 0x3fb8aa3b, v68, -v74
	v_rndne_f32_e32 v76, v74
	s_delay_alu instid0(VALU_DEP_2) | instskip(NEXT) | instid1(VALU_DEP_2)
	v_fmac_f32_e32 v75, 0x32a5705f, v68
	v_sub_f32_e32 v74, v74, v76
	s_delay_alu instid0(VALU_DEP_1) | instskip(SKIP_1) | instid1(VALU_DEP_2)
	v_add_f32_e32 v74, v74, v75
	v_cvt_i32_f32_e32 v75, v76
	v_exp_f32_e32 v74, v74
	s_waitcnt_depctr 0xfff
	v_ldexp_f32 v74, v74, v75
	s_delay_alu instid0(VALU_DEP_1) | instskip(SKIP_1) | instid1(VALU_DEP_1)
	v_cndmask_b32_e64 v74, 0, v74, s64
	v_cmp_nlt_f32_e64 s64, 0x42b17218, v68
	v_cndmask_b32_e64 v68, 0x7f800000, v74, s64
	v_mul_f32_e32 v74, 0x3fb8aa3b, v69
	v_cmp_ngt_f32_e64 s64, 0xc2ce8ed0, v69
	s_delay_alu instid0(VALU_DEP_3) | instskip(NEXT) | instid1(VALU_DEP_3)
	v_add_f32_e32 v73, v73, v68
	v_fma_f32 v75, 0x3fb8aa3b, v69, -v74
	v_rndne_f32_e32 v76, v74
	s_delay_alu instid0(VALU_DEP_1) | instskip(NEXT) | instid1(VALU_DEP_1)
	v_dual_fmac_f32 v75, 0x32a5705f, v69 :: v_dual_sub_f32 v74, v74, v76
	v_add_f32_e32 v74, v74, v75
	v_cvt_i32_f32_e32 v75, v76
	s_delay_alu instid0(VALU_DEP_2) | instskip(SKIP_2) | instid1(VALU_DEP_1)
	v_exp_f32_e32 v74, v74
	s_waitcnt_depctr 0xfff
	v_ldexp_f32 v74, v74, v75
	v_cndmask_b32_e64 v74, 0, v74, s64
	v_cmp_nlt_f32_e64 s64, 0x42b17218, v69
	s_delay_alu instid0(VALU_DEP_1) | instskip(SKIP_2) | instid1(VALU_DEP_3)
	v_cndmask_b32_e64 v69, 0x7f800000, v74, s64
	v_mul_f32_e32 v74, 0x3fb8aa3b, v65
	v_cmp_ngt_f32_e64 s64, 0xc2ce8ed0, v65
	v_add_f32_e32 v73, v73, v69
	s_delay_alu instid0(VALU_DEP_3) | instskip(SKIP_1) | instid1(VALU_DEP_1)
	v_fma_f32 v75, 0x3fb8aa3b, v65, -v74
	v_rndne_f32_e32 v76, v74
	v_dual_fmac_f32 v75, 0x32a5705f, v65 :: v_dual_sub_f32 v74, v74, v76
	s_delay_alu instid0(VALU_DEP_1) | instskip(SKIP_1) | instid1(VALU_DEP_2)
	v_add_f32_e32 v74, v74, v75
	v_cvt_i32_f32_e32 v75, v76
	v_exp_f32_e32 v74, v74
	s_waitcnt_depctr 0xfff
	v_ldexp_f32 v74, v74, v75
	s_delay_alu instid0(VALU_DEP_1) | instskip(SKIP_1) | instid1(VALU_DEP_1)
	v_cndmask_b32_e64 v74, 0, v74, s64
	v_cmp_nlt_f32_e64 s64, 0x42b17218, v65
	v_cndmask_b32_e64 v65, 0x7f800000, v74, s64
	v_mul_f32_e32 v74, 0x3fb8aa3b, v66
	v_cmp_ngt_f32_e64 s64, 0xc2ce8ed0, v66
	s_delay_alu instid0(VALU_DEP_3) | instskip(NEXT) | instid1(VALU_DEP_3)
	v_add_f32_e32 v73, v73, v65
	v_fma_f32 v75, 0x3fb8aa3b, v66, -v74
	v_rndne_f32_e32 v76, v74
	s_delay_alu instid0(VALU_DEP_1) | instskip(NEXT) | instid1(VALU_DEP_1)
	v_dual_fmac_f32 v75, 0x32a5705f, v66 :: v_dual_sub_f32 v74, v74, v76
	v_add_f32_e32 v74, v74, v75
	v_cvt_i32_f32_e32 v75, v76
	s_delay_alu instid0(VALU_DEP_2) | instskip(SKIP_2) | instid1(VALU_DEP_1)
	v_exp_f32_e32 v74, v74
	s_waitcnt_depctr 0xfff
	v_ldexp_f32 v74, v74, v75
	v_cndmask_b32_e64 v74, 0, v74, s64
	v_cmp_nlt_f32_e64 s64, 0x42b17218, v66
	s_delay_alu instid0(VALU_DEP_1) | instskip(SKIP_2) | instid1(VALU_DEP_3)
	v_cndmask_b32_e64 v66, 0x7f800000, v74, s64
	v_mul_f32_e32 v74, 0x3fb8aa3b, v61
	v_cmp_ngt_f32_e64 s64, 0xc2ce8ed0, v61
	v_add_f32_e32 v73, v73, v66
	s_delay_alu instid0(VALU_DEP_3) | instskip(SKIP_1) | instid1(VALU_DEP_1)
	v_fma_f32 v75, 0x3fb8aa3b, v61, -v74
	v_rndne_f32_e32 v76, v74
	v_dual_fmac_f32 v75, 0x32a5705f, v61 :: v_dual_sub_f32 v74, v74, v76
	;; [unrolled: 35-line block ×3, first 2 shown]
	s_delay_alu instid0(VALU_DEP_1) | instskip(SKIP_1) | instid1(VALU_DEP_2)
	v_add_f32_e32 v74, v74, v75
	v_cvt_i32_f32_e32 v75, v76
	v_exp_f32_e32 v74, v74
	s_waitcnt_depctr 0xfff
	v_ldexp_f32 v74, v74, v75
	s_delay_alu instid0(VALU_DEP_1) | instskip(SKIP_1) | instid1(VALU_DEP_1)
	v_cndmask_b32_e64 v74, 0, v74, s64
	v_cmp_nlt_f32_e64 s64, 0x42b17218, v59
	v_cndmask_b32_e64 v59, 0x7f800000, v74, s64
	v_mul_f32_e32 v74, 0x3fb8aa3b, v60
	v_cmp_ngt_f32_e64 s64, 0xc2ce8ed0, v60
	s_delay_alu instid0(VALU_DEP_3) | instskip(NEXT) | instid1(VALU_DEP_3)
	v_add_f32_e32 v73, v73, v59
	v_fma_f32 v75, 0x3fb8aa3b, v60, -v74
	v_rndne_f32_e32 v76, v74
	s_delay_alu instid0(VALU_DEP_2) | instskip(NEXT) | instid1(VALU_DEP_2)
	v_fmac_f32_e32 v75, 0x32a5705f, v60
	v_sub_f32_e32 v74, v74, v76
	s_delay_alu instid0(VALU_DEP_1) | instskip(SKIP_1) | instid1(VALU_DEP_2)
	v_add_f32_e32 v74, v74, v75
	v_cvt_i32_f32_e32 v75, v76
	v_exp_f32_e32 v74, v74
	s_waitcnt_depctr 0xfff
	v_ldexp_f32 v74, v74, v75
	s_delay_alu instid0(VALU_DEP_1) | instskip(SKIP_1) | instid1(VALU_DEP_1)
	v_cndmask_b32_e64 v74, 0, v74, s64
	v_cmp_nlt_f32_e64 s64, 0x42b17218, v60
	v_cndmask_b32_e64 v60, 0x7f800000, v74, s64
	v_mul_f32_e32 v74, 0x3fb8aa3b, v57
	v_cmp_ngt_f32_e64 s64, 0xc2ce8ed0, v57
	s_delay_alu instid0(VALU_DEP_3) | instskip(NEXT) | instid1(VALU_DEP_3)
	v_add_f32_e32 v73, v73, v60
	v_fma_f32 v75, 0x3fb8aa3b, v57, -v74
	v_rndne_f32_e32 v76, v74
	s_delay_alu instid0(VALU_DEP_1) | instskip(NEXT) | instid1(VALU_DEP_1)
	v_dual_fmac_f32 v75, 0x32a5705f, v57 :: v_dual_sub_f32 v74, v74, v76
	v_add_f32_e32 v74, v74, v75
	v_cvt_i32_f32_e32 v75, v76
	s_delay_alu instid0(VALU_DEP_2) | instskip(SKIP_2) | instid1(VALU_DEP_1)
	v_exp_f32_e32 v74, v74
	s_waitcnt_depctr 0xfff
	v_ldexp_f32 v74, v74, v75
	v_cndmask_b32_e64 v74, 0, v74, s64
	v_cmp_nlt_f32_e64 s64, 0x42b17218, v57
	s_delay_alu instid0(VALU_DEP_1) | instskip(SKIP_2) | instid1(VALU_DEP_3)
	v_cndmask_b32_e64 v57, 0x7f800000, v74, s64
	v_mul_f32_e32 v74, 0x3fb8aa3b, v58
	v_cmp_ngt_f32_e64 s64, 0xc2ce8ed0, v58
	v_add_f32_e32 v73, v73, v57
	s_delay_alu instid0(VALU_DEP_3) | instskip(SKIP_1) | instid1(VALU_DEP_1)
	v_fma_f32 v75, 0x3fb8aa3b, v58, -v74
	v_rndne_f32_e32 v76, v74
	v_dual_fmac_f32 v75, 0x32a5705f, v58 :: v_dual_sub_f32 v74, v74, v76
	s_delay_alu instid0(VALU_DEP_1) | instskip(SKIP_1) | instid1(VALU_DEP_2)
	v_add_f32_e32 v74, v74, v75
	v_cvt_i32_f32_e32 v75, v76
	v_exp_f32_e32 v74, v74
	s_waitcnt_depctr 0xfff
	v_ldexp_f32 v74, v74, v75
	s_delay_alu instid0(VALU_DEP_1) | instskip(SKIP_1) | instid1(VALU_DEP_1)
	v_cndmask_b32_e64 v74, 0, v74, s64
	v_cmp_nlt_f32_e64 s64, 0x42b17218, v58
	v_cndmask_b32_e64 v58, 0x7f800000, v74, s64
	v_mul_f32_e32 v74, 0x3fb8aa3b, v50
	v_cmp_ngt_f32_e64 s64, 0xc2ce8ed0, v50
	s_delay_alu instid0(VALU_DEP_3) | instskip(NEXT) | instid1(VALU_DEP_3)
	v_add_f32_e32 v73, v73, v58
	v_fma_f32 v75, 0x3fb8aa3b, v50, -v74
	v_rndne_f32_e32 v76, v74
	s_delay_alu instid0(VALU_DEP_1) | instskip(NEXT) | instid1(VALU_DEP_1)
	v_dual_fmac_f32 v75, 0x32a5705f, v50 :: v_dual_sub_f32 v74, v74, v76
	v_add_f32_e32 v74, v74, v75
	v_cvt_i32_f32_e32 v75, v76
	s_delay_alu instid0(VALU_DEP_2) | instskip(SKIP_2) | instid1(VALU_DEP_1)
	v_exp_f32_e32 v74, v74
	s_waitcnt_depctr 0xfff
	v_ldexp_f32 v74, v74, v75
	v_cndmask_b32_e64 v74, 0, v74, s64
	v_cmp_nlt_f32_e64 s64, 0x42b17218, v50
	s_delay_alu instid0(VALU_DEP_1) | instskip(SKIP_2) | instid1(VALU_DEP_3)
	v_cndmask_b32_e64 v50, 0x7f800000, v74, s64
	v_mul_f32_e32 v74, 0x3fb8aa3b, v52
	v_cmp_ngt_f32_e64 s64, 0xc2ce8ed0, v52
	v_add_f32_e32 v73, v73, v50
	s_delay_alu instid0(VALU_DEP_3) | instskip(SKIP_1) | instid1(VALU_DEP_2)
	v_fma_f32 v75, 0x3fb8aa3b, v52, -v74
	v_rndne_f32_e32 v76, v74
	v_fmac_f32_e32 v75, 0x32a5705f, v52
	s_delay_alu instid0(VALU_DEP_2) | instskip(NEXT) | instid1(VALU_DEP_1)
	v_sub_f32_e32 v74, v74, v76
	v_add_f32_e32 v74, v74, v75
	v_cvt_i32_f32_e32 v75, v76
	s_delay_alu instid0(VALU_DEP_2) | instskip(SKIP_2) | instid1(VALU_DEP_1)
	v_exp_f32_e32 v74, v74
	s_waitcnt_depctr 0xfff
	v_ldexp_f32 v74, v74, v75
	v_cndmask_b32_e64 v74, 0, v74, s64
	v_cmp_nlt_f32_e64 s64, 0x42b17218, v52
	s_delay_alu instid0(VALU_DEP_1) | instskip(SKIP_2) | instid1(VALU_DEP_3)
	v_cndmask_b32_e64 v52, 0x7f800000, v74, s64
	v_mul_f32_e32 v74, 0x3fb8aa3b, v33
	v_cmp_ngt_f32_e64 s64, 0xc2ce8ed0, v33
	v_add_f32_e32 v73, v73, v52
	s_delay_alu instid0(VALU_DEP_3) | instskip(SKIP_1) | instid1(VALU_DEP_1)
	v_fma_f32 v75, 0x3fb8aa3b, v33, -v74
	v_rndne_f32_e32 v76, v74
	v_dual_fmac_f32 v75, 0x32a5705f, v33 :: v_dual_sub_f32 v74, v74, v76
	s_delay_alu instid0(VALU_DEP_1) | instskip(SKIP_1) | instid1(VALU_DEP_2)
	v_add_f32_e32 v74, v74, v75
	v_cvt_i32_f32_e32 v75, v76
	v_exp_f32_e32 v74, v74
	s_waitcnt_depctr 0xfff
	v_ldexp_f32 v74, v74, v75
	s_delay_alu instid0(VALU_DEP_1) | instskip(SKIP_1) | instid1(VALU_DEP_1)
	v_cndmask_b32_e64 v74, 0, v74, s64
	v_cmp_nlt_f32_e64 s64, 0x42b17218, v33
	v_cndmask_b32_e64 v33, 0x7f800000, v74, s64
	v_mul_f32_e32 v74, 0x3fb8aa3b, v35
	v_cmp_ngt_f32_e64 s64, 0xc2ce8ed0, v35
	s_delay_alu instid0(VALU_DEP_3) | instskip(NEXT) | instid1(VALU_DEP_3)
	v_add_f32_e32 v73, v73, v33
	v_fma_f32 v75, 0x3fb8aa3b, v35, -v74
	v_rndne_f32_e32 v76, v74
	s_delay_alu instid0(VALU_DEP_1) | instskip(NEXT) | instid1(VALU_DEP_1)
	v_dual_fmac_f32 v75, 0x32a5705f, v35 :: v_dual_sub_f32 v74, v74, v76
	v_add_f32_e32 v74, v74, v75
	v_cvt_i32_f32_e32 v75, v76
	s_delay_alu instid0(VALU_DEP_2) | instskip(SKIP_2) | instid1(VALU_DEP_1)
	v_exp_f32_e32 v74, v74
	s_waitcnt_depctr 0xfff
	v_ldexp_f32 v74, v74, v75
	v_cndmask_b32_e64 v74, 0, v74, s64
	v_cmp_nlt_f32_e64 s64, 0x42b17218, v35
	s_delay_alu instid0(VALU_DEP_1) | instskip(SKIP_2) | instid1(VALU_DEP_3)
	v_cndmask_b32_e64 v35, 0x7f800000, v74, s64
	v_mul_f32_e32 v74, 0x3fb8aa3b, v31
	v_cmp_ngt_f32_e64 s64, 0xc2ce8ed0, v31
	v_add_f32_e32 v73, v73, v35
	s_delay_alu instid0(VALU_DEP_3) | instskip(SKIP_1) | instid1(VALU_DEP_1)
	v_fma_f32 v75, 0x3fb8aa3b, v31, -v74
	v_rndne_f32_e32 v76, v74
	v_dual_fmac_f32 v75, 0x32a5705f, v31 :: v_dual_sub_f32 v74, v74, v76
	s_delay_alu instid0(VALU_DEP_1) | instskip(SKIP_1) | instid1(VALU_DEP_2)
	v_add_f32_e32 v74, v74, v75
	v_cvt_i32_f32_e32 v75, v76
	v_exp_f32_e32 v74, v74
	s_waitcnt_depctr 0xfff
	v_ldexp_f32 v74, v74, v75
	s_delay_alu instid0(VALU_DEP_1) | instskip(SKIP_1) | instid1(VALU_DEP_1)
	v_cndmask_b32_e64 v74, 0, v74, s64
	v_cmp_nlt_f32_e64 s64, 0x42b17218, v31
	v_cndmask_b32_e64 v31, 0x7f800000, v74, s64
	v_mul_f32_e32 v74, 0x3fb8aa3b, v32
	v_cmp_ngt_f32_e64 s64, 0xc2ce8ed0, v32
	s_delay_alu instid0(VALU_DEP_3) | instskip(NEXT) | instid1(VALU_DEP_3)
	v_add_f32_e32 v73, v73, v31
	v_fma_f32 v75, 0x3fb8aa3b, v32, -v74
	v_rndne_f32_e32 v76, v74
	s_delay_alu instid0(VALU_DEP_2) | instskip(NEXT) | instid1(VALU_DEP_2)
	v_fmac_f32_e32 v75, 0x32a5705f, v32
	v_sub_f32_e32 v74, v74, v76
	s_delay_alu instid0(VALU_DEP_1) | instskip(SKIP_1) | instid1(VALU_DEP_2)
	v_add_f32_e32 v74, v74, v75
	v_cvt_i32_f32_e32 v75, v76
	v_exp_f32_e32 v74, v74
	s_waitcnt_depctr 0xfff
	v_ldexp_f32 v74, v74, v75
	s_delay_alu instid0(VALU_DEP_1) | instskip(SKIP_1) | instid1(VALU_DEP_1)
	v_cndmask_b32_e64 v74, 0, v74, s64
	v_cmp_nlt_f32_e64 s64, 0x42b17218, v32
	v_cndmask_b32_e64 v32, 0x7f800000, v74, s64
	v_mul_f32_e32 v74, 0x3fb8aa3b, v27
	v_cmp_ngt_f32_e64 s64, 0xc2ce8ed0, v27
	s_delay_alu instid0(VALU_DEP_3) | instskip(NEXT) | instid1(VALU_DEP_3)
	v_add_f32_e32 v73, v73, v32
	v_fma_f32 v75, 0x3fb8aa3b, v27, -v74
	v_rndne_f32_e32 v76, v74
	s_delay_alu instid0(VALU_DEP_1) | instskip(NEXT) | instid1(VALU_DEP_1)
	v_dual_fmac_f32 v75, 0x32a5705f, v27 :: v_dual_sub_f32 v74, v74, v76
	v_add_f32_e32 v74, v74, v75
	v_cvt_i32_f32_e32 v75, v76
	s_delay_alu instid0(VALU_DEP_2) | instskip(SKIP_2) | instid1(VALU_DEP_1)
	v_exp_f32_e32 v74, v74
	s_waitcnt_depctr 0xfff
	v_ldexp_f32 v74, v74, v75
	v_cndmask_b32_e64 v74, 0, v74, s64
	v_cmp_nlt_f32_e64 s64, 0x42b17218, v27
	s_delay_alu instid0(VALU_DEP_1) | instskip(SKIP_2) | instid1(VALU_DEP_3)
	v_cndmask_b32_e64 v27, 0x7f800000, v74, s64
	v_mul_f32_e32 v74, 0x3fb8aa3b, v28
	v_cmp_ngt_f32_e64 s64, 0xc2ce8ed0, v28
	v_add_f32_e32 v73, v73, v27
	s_delay_alu instid0(VALU_DEP_3) | instskip(SKIP_1) | instid1(VALU_DEP_2)
	v_fma_f32 v75, 0x3fb8aa3b, v28, -v74
	v_rndne_f32_e32 v76, v74
	v_fmac_f32_e32 v75, 0x32a5705f, v28
	s_delay_alu instid0(VALU_DEP_2) | instskip(NEXT) | instid1(VALU_DEP_1)
	v_sub_f32_e32 v74, v74, v76
	v_add_f32_e32 v74, v74, v75
	v_cvt_i32_f32_e32 v75, v76
	s_delay_alu instid0(VALU_DEP_2) | instskip(SKIP_2) | instid1(VALU_DEP_1)
	v_exp_f32_e32 v74, v74
	s_waitcnt_depctr 0xfff
	v_ldexp_f32 v74, v74, v75
	v_cndmask_b32_e64 v74, 0, v74, s64
	v_cmp_nlt_f32_e64 s64, 0x42b17218, v28
	s_delay_alu instid0(VALU_DEP_1) | instskip(NEXT) | instid1(VALU_DEP_1)
	v_cndmask_b32_e64 v28, 0x7f800000, v74, s64
	v_dual_mul_f32 v74, 0x3fb8aa3b, v21 :: v_dual_add_f32 v73, v73, v28
	s_delay_alu instid0(VALU_DEP_1) | instskip(SKIP_1) | instid1(VALU_DEP_1)
	v_fma_f32 v75, 0x3fb8aa3b, v21, -v74
	v_rndne_f32_e32 v76, v74
	v_dual_sub_f32 v74, v74, v76 :: v_dual_fmac_f32 v75, 0x32a5705f, v21
	v_cmp_ngt_f32_e64 s64, 0xc2ce8ed0, v21
	s_delay_alu instid0(VALU_DEP_2) | instskip(SKIP_1) | instid1(VALU_DEP_2)
	v_add_f32_e32 v74, v74, v75
	v_cvt_i32_f32_e32 v75, v76
	v_exp_f32_e32 v74, v74
	s_waitcnt_depctr 0xfff
	v_ldexp_f32 v74, v74, v75
	s_delay_alu instid0(VALU_DEP_1) | instskip(SKIP_1) | instid1(VALU_DEP_1)
	v_cndmask_b32_e64 v74, 0, v74, s64
	v_cmp_nlt_f32_e64 s64, 0x42b17218, v21
	v_cndmask_b32_e64 v21, 0x7f800000, v74, s64
	v_mul_f32_e32 v74, 0x3fb8aa3b, v22
	v_cmp_ngt_f32_e64 s64, 0xc2ce8ed0, v22
	s_delay_alu instid0(VALU_DEP_3) | instskip(NEXT) | instid1(VALU_DEP_3)
	v_add_f32_e32 v73, v73, v21
	v_fma_f32 v75, 0x3fb8aa3b, v22, -v74
	v_rndne_f32_e32 v76, v74
	s_delay_alu instid0(VALU_DEP_1) | instskip(NEXT) | instid1(VALU_DEP_1)
	v_dual_fmac_f32 v75, 0x32a5705f, v22 :: v_dual_sub_f32 v74, v74, v76
	v_add_f32_e32 v74, v74, v75
	v_cvt_i32_f32_e32 v75, v76
	s_delay_alu instid0(VALU_DEP_2) | instskip(SKIP_2) | instid1(VALU_DEP_1)
	v_exp_f32_e32 v74, v74
	s_waitcnt_depctr 0xfff
	v_ldexp_f32 v74, v74, v75
	v_cndmask_b32_e64 v74, 0, v74, s64
	v_cmp_nlt_f32_e64 s64, 0x42b17218, v22
	s_delay_alu instid0(VALU_DEP_1) | instskip(SKIP_2) | instid1(VALU_DEP_3)
	v_cndmask_b32_e64 v22, 0x7f800000, v74, s64
	v_mul_f32_e32 v74, 0x3fb8aa3b, v13
	v_cmp_ngt_f32_e64 s64, 0xc2ce8ed0, v13
	v_add_f32_e32 v73, v73, v22
	s_delay_alu instid0(VALU_DEP_3) | instskip(SKIP_1) | instid1(VALU_DEP_1)
	v_fma_f32 v75, 0x3fb8aa3b, v13, -v74
	v_rndne_f32_e32 v76, v74
	v_dual_fmac_f32 v75, 0x32a5705f, v13 :: v_dual_sub_f32 v74, v74, v76
	s_delay_alu instid0(VALU_DEP_1) | instskip(SKIP_1) | instid1(VALU_DEP_2)
	v_add_f32_e32 v74, v74, v75
	v_cvt_i32_f32_e32 v75, v76
	v_exp_f32_e32 v74, v74
	s_waitcnt_depctr 0xfff
	v_ldexp_f32 v74, v74, v75
	s_delay_alu instid0(VALU_DEP_1) | instskip(SKIP_1) | instid1(VALU_DEP_1)
	v_cndmask_b32_e64 v74, 0, v74, s64
	v_cmp_nlt_f32_e64 s64, 0x42b17218, v13
	v_cndmask_b32_e64 v13, 0x7f800000, v74, s64
	v_mul_f32_e32 v74, 0x3fb8aa3b, v14
	v_cmp_ngt_f32_e64 s64, 0xc2ce8ed0, v14
	s_delay_alu instid0(VALU_DEP_3) | instskip(NEXT) | instid1(VALU_DEP_3)
	v_add_f32_e32 v73, v73, v13
	v_fma_f32 v75, 0x3fb8aa3b, v14, -v74
	v_rndne_f32_e32 v76, v74
	s_delay_alu instid0(VALU_DEP_1) | instskip(NEXT) | instid1(VALU_DEP_1)
	v_dual_fmac_f32 v75, 0x32a5705f, v14 :: v_dual_sub_f32 v74, v74, v76
	v_add_f32_e32 v74, v74, v75
	v_cvt_i32_f32_e32 v75, v76
	s_delay_alu instid0(VALU_DEP_2) | instskip(SKIP_2) | instid1(VALU_DEP_1)
	v_exp_f32_e32 v74, v74
	s_waitcnt_depctr 0xfff
	v_ldexp_f32 v74, v74, v75
	v_cndmask_b32_e64 v74, 0, v74, s64
	v_cmp_nlt_f32_e64 s64, 0x42b17218, v14
	s_delay_alu instid0(VALU_DEP_1) | instskip(NEXT) | instid1(VALU_DEP_1)
	v_cndmask_b32_e64 v14, 0x7f800000, v74, s64
	v_dual_mul_f32 v74, 0x3fb8aa3b, v11 :: v_dual_add_f32 v73, v73, v14
	s_delay_alu instid0(VALU_DEP_1) | instskip(SKIP_1) | instid1(VALU_DEP_1)
	v_fma_f32 v75, 0x3fb8aa3b, v11, -v74
	v_rndne_f32_e32 v76, v74
	v_dual_sub_f32 v74, v74, v76 :: v_dual_fmac_f32 v75, 0x32a5705f, v11
	v_cmp_ngt_f32_e64 s64, 0xc2ce8ed0, v11
	s_delay_alu instid0(VALU_DEP_2) | instskip(SKIP_1) | instid1(VALU_DEP_2)
	v_add_f32_e32 v74, v74, v75
	v_cvt_i32_f32_e32 v75, v76
	v_exp_f32_e32 v74, v74
	s_waitcnt_depctr 0xfff
	v_ldexp_f32 v74, v74, v75
	s_delay_alu instid0(VALU_DEP_1) | instskip(SKIP_1) | instid1(VALU_DEP_1)
	v_cndmask_b32_e64 v74, 0, v74, s64
	v_cmp_nlt_f32_e64 s64, 0x42b17218, v11
	v_cndmask_b32_e64 v11, 0x7f800000, v74, s64
	v_mul_f32_e32 v74, 0x3fb8aa3b, v12
	v_cmp_ngt_f32_e64 s64, 0xc2ce8ed0, v12
	s_delay_alu instid0(VALU_DEP_3) | instskip(NEXT) | instid1(VALU_DEP_3)
	v_add_f32_e32 v73, v73, v11
	v_fma_f32 v75, 0x3fb8aa3b, v12, -v74
	v_rndne_f32_e32 v76, v74
	s_delay_alu instid0(VALU_DEP_2) | instskip(NEXT) | instid1(VALU_DEP_2)
	v_fmac_f32_e32 v75, 0x32a5705f, v12
	v_sub_f32_e32 v74, v74, v76
	s_delay_alu instid0(VALU_DEP_1) | instskip(SKIP_1) | instid1(VALU_DEP_2)
	v_add_f32_e32 v74, v74, v75
	v_cvt_i32_f32_e32 v75, v76
	v_exp_f32_e32 v74, v74
	s_waitcnt_depctr 0xfff
	v_ldexp_f32 v74, v74, v75
	s_delay_alu instid0(VALU_DEP_1) | instskip(SKIP_1) | instid1(VALU_DEP_1)
	v_cndmask_b32_e64 v74, 0, v74, s64
	v_cmp_nlt_f32_e64 s64, 0x42b17218, v12
	v_cndmask_b32_e64 v12, 0x7f800000, v74, s64
	v_mul_f32_e32 v74, 0x3fb8aa3b, v10
	v_cmp_ngt_f32_e64 s64, 0xc2ce8ed0, v10
	s_delay_alu instid0(VALU_DEP_3) | instskip(NEXT) | instid1(VALU_DEP_3)
	v_add_f32_e32 v73, v73, v12
	v_fma_f32 v75, 0x3fb8aa3b, v10, -v74
	v_rndne_f32_e32 v76, v74
	s_delay_alu instid0(VALU_DEP_1) | instskip(NEXT) | instid1(VALU_DEP_1)
	v_dual_fmac_f32 v75, 0x32a5705f, v10 :: v_dual_sub_f32 v74, v74, v76
	v_add_f32_e32 v74, v74, v75
	v_cvt_i32_f32_e32 v75, v76
	s_delay_alu instid0(VALU_DEP_2) | instskip(SKIP_2) | instid1(VALU_DEP_1)
	v_exp_f32_e32 v74, v74
	s_waitcnt_depctr 0xfff
	v_ldexp_f32 v74, v74, v75
	v_cndmask_b32_e64 v74, 0, v74, s64
	v_cmp_nlt_f32_e64 s64, 0x42b17218, v10
	s_delay_alu instid0(VALU_DEP_1) | instskip(NEXT) | instid1(VALU_DEP_1)
	v_cndmask_b32_e64 v10, 0x7f800000, v74, s64
	v_dual_mul_f32 v74, 0x3fb8aa3b, v9 :: v_dual_add_f32 v73, v73, v10
	s_delay_alu instid0(VALU_DEP_1) | instskip(SKIP_1) | instid1(VALU_DEP_1)
	v_fma_f32 v75, 0x3fb8aa3b, v9, -v74
	v_rndne_f32_e32 v76, v74
	v_dual_sub_f32 v74, v74, v76 :: v_dual_fmac_f32 v75, 0x32a5705f, v9
	v_cmp_ngt_f32_e64 s64, 0xc2ce8ed0, v9
	s_delay_alu instid0(VALU_DEP_2) | instskip(SKIP_1) | instid1(VALU_DEP_2)
	v_add_f32_e32 v74, v74, v75
	v_cvt_i32_f32_e32 v75, v76
	v_exp_f32_e32 v74, v74
	s_waitcnt_depctr 0xfff
	v_ldexp_f32 v74, v74, v75
	s_delay_alu instid0(VALU_DEP_1) | instskip(SKIP_1) | instid1(VALU_DEP_1)
	v_cndmask_b32_e64 v74, 0, v74, s64
	v_cmp_nlt_f32_e64 s64, 0x42b17218, v9
	v_cndmask_b32_e64 v9, 0x7f800000, v74, s64
	v_mul_f32_e32 v74, 0x3fb8aa3b, v7
	v_cmp_ngt_f32_e64 s64, 0xc2ce8ed0, v7
	s_delay_alu instid0(VALU_DEP_3) | instskip(NEXT) | instid1(VALU_DEP_3)
	v_add_f32_e32 v73, v73, v9
	v_fma_f32 v75, 0x3fb8aa3b, v7, -v74
	v_rndne_f32_e32 v76, v74
	s_delay_alu instid0(VALU_DEP_1) | instskip(NEXT) | instid1(VALU_DEP_1)
	v_dual_fmac_f32 v75, 0x32a5705f, v7 :: v_dual_sub_f32 v74, v74, v76
	v_add_f32_e32 v74, v74, v75
	v_cvt_i32_f32_e32 v75, v76
	s_delay_alu instid0(VALU_DEP_2) | instskip(SKIP_2) | instid1(VALU_DEP_1)
	v_exp_f32_e32 v74, v74
	s_waitcnt_depctr 0xfff
	v_ldexp_f32 v74, v74, v75
	v_cndmask_b32_e64 v74, 0, v74, s64
	v_cmp_nlt_f32_e64 s64, 0x42b17218, v7
	s_delay_alu instid0(VALU_DEP_1) | instskip(SKIP_2) | instid1(VALU_DEP_3)
	v_cndmask_b32_e64 v7, 0x7f800000, v74, s64
	v_mul_f32_e32 v74, 0x3fb8aa3b, v8
	v_cmp_ngt_f32_e64 s64, 0xc2ce8ed0, v8
	v_add_f32_e32 v73, v73, v7
	s_delay_alu instid0(VALU_DEP_3) | instskip(SKIP_1) | instid1(VALU_DEP_2)
	v_fma_f32 v75, 0x3fb8aa3b, v8, -v74
	v_rndne_f32_e32 v76, v74
	v_fmac_f32_e32 v75, 0x32a5705f, v8
	s_delay_alu instid0(VALU_DEP_2) | instskip(NEXT) | instid1(VALU_DEP_1)
	v_sub_f32_e32 v74, v74, v76
	v_add_f32_e32 v74, v74, v75
	v_cvt_i32_f32_e32 v75, v76
	s_delay_alu instid0(VALU_DEP_2) | instskip(SKIP_3) | instid1(VALU_DEP_2)
	v_exp_f32_e32 v74, v74
	s_waitcnt_depctr 0xfff
	v_ldexp_f32 v74, v74, v75
	v_rndne_f32_e32 v75, v30
	v_cndmask_b32_e64 v74, 0, v74, s64
	v_cmp_nlt_f32_e64 s64, 0x42b17218, v8
	s_delay_alu instid0(VALU_DEP_1) | instskip(SKIP_3) | instid1(VALU_DEP_3)
	v_cndmask_b32_e64 v8, 0x7f800000, v74, s64
	v_fma_f32 v74, 0x3fb8aa3b, v6, -v30
	v_sub_f32_e32 v30, v30, v75
	v_cmp_ngt_f32_e64 s64, 0xc2ce8ed0, v6
	v_dual_add_f32 v73, v73, v8 :: v_dual_fmac_f32 v74, 0x32a5705f, v6
	s_delay_alu instid0(VALU_DEP_1) | instskip(SKIP_1) | instid1(VALU_DEP_2)
	v_add_f32_e32 v30, v30, v74
	v_cvt_i32_f32_e32 v74, v75
	v_exp_f32_e32 v30, v30
	s_waitcnt_depctr 0xfff
	v_ldexp_f32 v30, v30, v74
	s_delay_alu instid0(VALU_DEP_1) | instskip(SKIP_1) | instid1(VALU_DEP_1)
	v_cndmask_b32_e64 v30, 0, v30, s64
	v_cmp_nlt_f32_e64 s64, 0x42b17218, v6
	v_cndmask_b32_e64 v6, 0x7f800000, v30, s64
	s_delay_alu instid0(VALU_DEP_1)
	v_add_f32_e32 v30, v73, v6
	ds_bpermute_b32 v2, v2, v30
	s_waitcnt lgkmcnt(0)
	v_add_f32_e32 v2, v30, v2
	ds_bpermute_b32 v3, v3, v2
	s_waitcnt lgkmcnt(0)
	;; [unrolled: 3-line block ×4, first 2 shown]
	v_add_f32_e32 v2, v2, v3
	ds_bpermute_b32 v3, v19, v2
	v_cmpx_lt_i32_e32 0, v5
	s_cbranch_execz .LBB403_194
; %bb.129:
	s_and_b32 exec_lo, exec_lo, vcc_lo
	s_cbranch_execz .LBB403_194
; %bb.130:
	s_waitcnt lgkmcnt(0)
	v_add_f32_e32 v2, v2, v3
	s_delay_alu instid0(VALU_DEP_1) | instskip(SKIP_1) | instid1(VALU_DEP_2)
	v_div_scale_f32 v3, null, v2, v2, v15
	v_div_scale_f32 v17, vcc_lo, v15, v2, v15
	v_rcp_f32_e32 v4, v3
	s_waitcnt_depctr 0xfff
	v_fma_f32 v5, -v3, v4, 1.0
	s_delay_alu instid0(VALU_DEP_1) | instskip(NEXT) | instid1(VALU_DEP_1)
	v_fmac_f32_e32 v4, v5, v4
	v_mul_f32_e32 v5, v17, v4
	v_cmp_eq_f32_e64 s64, 0, v2
	s_delay_alu instid0(VALU_DEP_2) | instskip(NEXT) | instid1(VALU_DEP_1)
	v_fma_f32 v19, -v3, v5, v17
	v_fmac_f32_e32 v5, v19, v4
	s_delay_alu instid0(VALU_DEP_1) | instskip(NEXT) | instid1(VALU_DEP_1)
	v_fma_f32 v3, -v3, v5, v17
	v_div_fmas_f32 v3, v3, v4, v5
	v_add_co_u32 v0, vcc_lo, s68, v0
	v_add_co_ci_u32_e32 v1, vcc_lo, s69, v1, vcc_lo
	s_delay_alu instid0(VALU_DEP_3) | instskip(NEXT) | instid1(VALU_DEP_1)
	v_div_fixup_f32 v3, v3, v2, v15
	v_cndmask_b32_e64 v3, v3, 0x7fc00000, s64
	global_store_b32 v[0:1], v3, off
	s_and_b32 exec_lo, exec_lo, s63
	s_cbranch_execz .LBB403_194
; %bb.131:
	v_div_scale_f32 v3, null, v2, v2, v16
	s_delay_alu instid0(VALU_DEP_1) | instskip(SKIP_2) | instid1(VALU_DEP_1)
	v_rcp_f32_e32 v4, v3
	s_waitcnt_depctr 0xfff
	v_fma_f32 v5, -v3, v4, 1.0
	v_fmac_f32_e32 v4, v5, v4
	v_div_scale_f32 v5, vcc_lo, v16, v2, v16
	s_delay_alu instid0(VALU_DEP_1) | instskip(NEXT) | instid1(VALU_DEP_1)
	v_mul_f32_e32 v15, v5, v4
	v_fma_f32 v17, -v3, v15, v5
	s_delay_alu instid0(VALU_DEP_1) | instskip(NEXT) | instid1(VALU_DEP_1)
	v_fmac_f32_e32 v15, v17, v4
	v_fma_f32 v3, -v3, v15, v5
	s_delay_alu instid0(VALU_DEP_1) | instskip(NEXT) | instid1(VALU_DEP_1)
	v_div_fmas_f32 v3, v3, v4, v15
	v_div_fixup_f32 v3, v3, v2, v16
	s_delay_alu instid0(VALU_DEP_1)
	v_cndmask_b32_e64 v3, v3, 0x7fc00000, s64
	global_store_b32 v[0:1], v3, off offset:128
	s_and_b32 exec_lo, exec_lo, s62
	s_cbranch_execz .LBB403_194
; %bb.132:
	v_div_scale_f32 v3, null, v2, v2, v18
	s_delay_alu instid0(VALU_DEP_1) | instskip(SKIP_2) | instid1(VALU_DEP_1)
	v_rcp_f32_e32 v4, v3
	s_waitcnt_depctr 0xfff
	v_fma_f32 v5, -v3, v4, 1.0
	v_fmac_f32_e32 v4, v5, v4
	v_div_scale_f32 v5, vcc_lo, v18, v2, v18
	s_delay_alu instid0(VALU_DEP_1) | instskip(NEXT) | instid1(VALU_DEP_1)
	v_mul_f32_e32 v15, v5, v4
	v_fma_f32 v16, -v3, v15, v5
	s_delay_alu instid0(VALU_DEP_1) | instskip(NEXT) | instid1(VALU_DEP_1)
	v_fmac_f32_e32 v15, v16, v4
	v_fma_f32 v3, -v3, v15, v5
	s_delay_alu instid0(VALU_DEP_1) | instskip(NEXT) | instid1(VALU_DEP_1)
	v_div_fmas_f32 v3, v3, v4, v15
	v_div_fixup_f32 v3, v3, v2, v18
	s_delay_alu instid0(VALU_DEP_1)
	v_cndmask_b32_e64 v3, v3, 0x7fc00000, s64
	global_store_b32 v[0:1], v3, off offset:256
	;; [unrolled: 22-line block ×31, first 2 shown]
	s_and_b32 exec_lo, exec_lo, s31
	s_cbranch_execz .LBB403_194
; %bb.162:
	v_div_scale_f32 v3, null, v2, v2, v72
	v_div_scale_f32 v15, vcc_lo, v72, v2, v72
	s_delay_alu instid0(VALU_DEP_2) | instskip(SKIP_2) | instid1(VALU_DEP_1)
	v_rcp_f32_e32 v4, v3
	s_waitcnt_depctr 0xfff
	v_fma_f32 v5, -v3, v4, 1.0
	v_fmac_f32_e32 v4, v5, v4
	s_delay_alu instid0(VALU_DEP_1) | instskip(NEXT) | instid1(VALU_DEP_1)
	v_mul_f32_e32 v5, v15, v4
	v_fma_f32 v16, -v3, v5, v15
	s_delay_alu instid0(VALU_DEP_1) | instskip(NEXT) | instid1(VALU_DEP_1)
	v_fmac_f32_e32 v5, v16, v4
	v_fma_f32 v3, -v3, v5, v15
	s_delay_alu instid0(VALU_DEP_1) | instskip(SKIP_2) | instid1(VALU_DEP_3)
	v_div_fmas_f32 v3, v3, v4, v5
	v_add_co_u32 v0, vcc_lo, 0x1000, v0
	v_add_co_ci_u32_e32 v1, vcc_lo, 0, v1, vcc_lo
	v_div_fixup_f32 v3, v3, v2, v72
	s_delay_alu instid0(VALU_DEP_1)
	v_cndmask_b32_e64 v3, v3, 0x7fc00000, s64
	global_store_b32 v[0:1], v3, off
	s_and_b32 exec_lo, exec_lo, s30
	s_cbranch_execz .LBB403_194
; %bb.163:
	v_div_scale_f32 v3, null, v2, v2, v70
	s_delay_alu instid0(VALU_DEP_1) | instskip(SKIP_2) | instid1(VALU_DEP_1)
	v_rcp_f32_e32 v4, v3
	s_waitcnt_depctr 0xfff
	v_fma_f32 v5, -v3, v4, 1.0
	v_fmac_f32_e32 v4, v5, v4
	v_div_scale_f32 v5, vcc_lo, v70, v2, v70
	s_delay_alu instid0(VALU_DEP_1) | instskip(NEXT) | instid1(VALU_DEP_1)
	v_mul_f32_e32 v15, v5, v4
	v_fma_f32 v16, -v3, v15, v5
	s_delay_alu instid0(VALU_DEP_1) | instskip(NEXT) | instid1(VALU_DEP_1)
	v_fmac_f32_e32 v15, v16, v4
	v_fma_f32 v3, -v3, v15, v5
	s_delay_alu instid0(VALU_DEP_1) | instskip(NEXT) | instid1(VALU_DEP_1)
	v_div_fmas_f32 v3, v3, v4, v15
	v_div_fixup_f32 v3, v3, v2, v70
	s_delay_alu instid0(VALU_DEP_1)
	v_cndmask_b32_e64 v3, v3, 0x7fc00000, s64
	global_store_b32 v[0:1], v3, off offset:128
	s_and_b32 exec_lo, exec_lo, s29
	s_cbranch_execz .LBB403_194
; %bb.164:
	v_div_scale_f32 v3, null, v2, v2, v71
	s_delay_alu instid0(VALU_DEP_1) | instskip(SKIP_2) | instid1(VALU_DEP_1)
	v_rcp_f32_e32 v4, v3
	s_waitcnt_depctr 0xfff
	v_fma_f32 v5, -v3, v4, 1.0
	v_fmac_f32_e32 v4, v5, v4
	v_div_scale_f32 v5, vcc_lo, v71, v2, v71
	s_delay_alu instid0(VALU_DEP_1) | instskip(NEXT) | instid1(VALU_DEP_1)
	v_mul_f32_e32 v15, v5, v4
	v_fma_f32 v16, -v3, v15, v5
	s_delay_alu instid0(VALU_DEP_1) | instskip(NEXT) | instid1(VALU_DEP_1)
	v_fmac_f32_e32 v15, v16, v4
	v_fma_f32 v3, -v3, v15, v5
	s_delay_alu instid0(VALU_DEP_1) | instskip(NEXT) | instid1(VALU_DEP_1)
	v_div_fmas_f32 v3, v3, v4, v15
	v_div_fixup_f32 v3, v3, v2, v71
	s_delay_alu instid0(VALU_DEP_1)
	v_cndmask_b32_e64 v3, v3, 0x7fc00000, s64
	global_store_b32 v[0:1], v3, off offset:256
	;; [unrolled: 22-line block ×31, first 2 shown]
.LBB403_194:
	s_nop 0
	s_sendmsg sendmsg(MSG_DEALLOC_VGPRS)
	s_endpgm
	.section	.rodata,"a",@progbits
	.p2align	6, 0x0
	.amdhsa_kernel _ZN12_GLOBAL__N_120softmax_warp_forwardIfffLi11ELb0ELb0ELi32EEEvPT0_PKT_iiiPKbib
		.amdhsa_group_segment_fixed_size 0
		.amdhsa_private_segment_fixed_size 0
		.amdhsa_kernarg_size 304
		.amdhsa_user_sgpr_count 15
		.amdhsa_user_sgpr_dispatch_ptr 0
		.amdhsa_user_sgpr_queue_ptr 0
		.amdhsa_user_sgpr_kernarg_segment_ptr 1
		.amdhsa_user_sgpr_dispatch_id 0
		.amdhsa_user_sgpr_private_segment_size 0
		.amdhsa_wavefront_size32 1
		.amdhsa_uses_dynamic_stack 0
		.amdhsa_enable_private_segment 0
		.amdhsa_system_sgpr_workgroup_id_x 1
		.amdhsa_system_sgpr_workgroup_id_y 0
		.amdhsa_system_sgpr_workgroup_id_z 0
		.amdhsa_system_sgpr_workgroup_info 0
		.amdhsa_system_vgpr_workitem_id 1
		.amdhsa_next_free_vgpr 77
		.amdhsa_next_free_sgpr 76
		.amdhsa_reserve_vcc 1
		.amdhsa_float_round_mode_32 0
		.amdhsa_float_round_mode_16_64 0
		.amdhsa_float_denorm_mode_32 3
		.amdhsa_float_denorm_mode_16_64 3
		.amdhsa_dx10_clamp 1
		.amdhsa_ieee_mode 1
		.amdhsa_fp16_overflow 0
		.amdhsa_workgroup_processor_mode 1
		.amdhsa_memory_ordered 1
		.amdhsa_forward_progress 0
		.amdhsa_shared_vgpr_count 0
		.amdhsa_exception_fp_ieee_invalid_op 0
		.amdhsa_exception_fp_denorm_src 0
		.amdhsa_exception_fp_ieee_div_zero 0
		.amdhsa_exception_fp_ieee_overflow 0
		.amdhsa_exception_fp_ieee_underflow 0
		.amdhsa_exception_fp_ieee_inexact 0
		.amdhsa_exception_int_div_zero 0
	.end_amdhsa_kernel
	.section	.text._ZN12_GLOBAL__N_120softmax_warp_forwardIfffLi11ELb0ELb0ELi32EEEvPT0_PKT_iiiPKbib,"axG",@progbits,_ZN12_GLOBAL__N_120softmax_warp_forwardIfffLi11ELb0ELb0ELi32EEEvPT0_PKT_iiiPKbib,comdat
.Lfunc_end403:
	.size	_ZN12_GLOBAL__N_120softmax_warp_forwardIfffLi11ELb0ELb0ELi32EEEvPT0_PKT_iiiPKbib, .Lfunc_end403-_ZN12_GLOBAL__N_120softmax_warp_forwardIfffLi11ELb0ELb0ELi32EEEvPT0_PKT_iiiPKbib
                                        ; -- End function
	.section	.AMDGPU.csdata,"",@progbits
; Kernel info:
; codeLenInByte = 22064
; NumSgprs: 78
; NumVgprs: 77
; ScratchSize: 0
; MemoryBound: 0
; FloatMode: 240
; IeeeMode: 1
; LDSByteSize: 0 bytes/workgroup (compile time only)
; SGPRBlocks: 9
; VGPRBlocks: 9
; NumSGPRsForWavesPerEU: 78
; NumVGPRsForWavesPerEU: 77
; Occupancy: 16
; WaveLimiterHint : 0
; COMPUTE_PGM_RSRC2:SCRATCH_EN: 0
; COMPUTE_PGM_RSRC2:USER_SGPR: 15
; COMPUTE_PGM_RSRC2:TRAP_HANDLER: 0
; COMPUTE_PGM_RSRC2:TGID_X_EN: 1
; COMPUTE_PGM_RSRC2:TGID_Y_EN: 0
; COMPUTE_PGM_RSRC2:TGID_Z_EN: 0
; COMPUTE_PGM_RSRC2:TIDIG_COMP_CNT: 1
	.section	.text._ZN2at6native12_GLOBAL__N_123cunn_SoftMaxForwardGmemILi4EfffNS1_29SoftMaxForwardWithMulEpilogueElEEvPT2_PKT0_T4_,"axG",@progbits,_ZN2at6native12_GLOBAL__N_123cunn_SoftMaxForwardGmemILi4EfffNS1_29SoftMaxForwardWithMulEpilogueElEEvPT2_PKT0_T4_,comdat
	.globl	_ZN2at6native12_GLOBAL__N_123cunn_SoftMaxForwardGmemILi4EfffNS1_29SoftMaxForwardWithMulEpilogueElEEvPT2_PKT0_T4_ ; -- Begin function _ZN2at6native12_GLOBAL__N_123cunn_SoftMaxForwardGmemILi4EfffNS1_29SoftMaxForwardWithMulEpilogueElEEvPT2_PKT0_T4_
	.p2align	8
	.type	_ZN2at6native12_GLOBAL__N_123cunn_SoftMaxForwardGmemILi4EfffNS1_29SoftMaxForwardWithMulEpilogueElEEvPT2_PKT0_T4_,@function
_ZN2at6native12_GLOBAL__N_123cunn_SoftMaxForwardGmemILi4EfffNS1_29SoftMaxForwardWithMulEpilogueElEEvPT2_PKT0_T4_: ; @_ZN2at6native12_GLOBAL__N_123cunn_SoftMaxForwardGmemILi4EfffNS1_29SoftMaxForwardWithMulEpilogueElEEvPT2_PKT0_T4_
; %bb.0:
	s_clause 0x1
	s_load_b64 s[6:7], s[0:1], 0x10
	s_load_b128 s[8:11], s[0:1], 0x0
	v_dual_mov_b32 v1, 0 :: v_dual_lshlrev_b32 v2, 2, v0
	v_mov_b32_e32 v7, 0xff7fffff
	s_mov_b32 s4, 0
	s_delay_alu instid0(VALU_DEP_2) | instskip(SKIP_1) | instid1(VALU_DEP_1)
	v_dual_mov_b32 v3, v1 :: v_dual_lshlrev_b32 v6, 4, v0
	s_waitcnt lgkmcnt(0)
	v_cmp_gt_i64_e64 s2, s[6:7], v[2:3]
	s_mul_i32 s14, s7, s15
	s_mul_hi_u32 s16, s6, s15
	s_mul_i32 s12, s6, s15
	s_delay_alu instid0(VALU_DEP_1)
	s_and_saveexec_b32 s5, s2
	s_cbranch_execz .LBB404_4
; %bb.1:
	s_load_b32 s3, s[0:1], 0x24
	s_add_i32 s13, s16, s14
	v_mov_b32_e32 v5, v1
	s_lshl_b64 s[18:19], s[12:13], 2
	v_dual_mov_b32 v7, 0xff7fffff :: v_dual_mov_b32 v4, v0
	s_waitcnt lgkmcnt(0)
	s_and_b32 s13, s3, 0xffff
	s_add_u32 s3, s10, s18
	s_addc_u32 s15, s11, s19
	v_add_co_u32 v2, s3, s3, v6
	s_delay_alu instid0(VALU_DEP_1) | instskip(SKIP_1) | instid1(VALU_DEP_2)
	v_add_co_ci_u32_e64 v3, null, s15, 0, s3
	s_lshl_b32 s15, s13, 4
	v_add_co_u32 v2, vcc_lo, v2, 8
	s_delay_alu instid0(VALU_DEP_2)
	v_add_co_ci_u32_e32 v3, vcc_lo, 0, v3, vcc_lo
	.p2align	6
.LBB404_2:                              ; =>This Inner Loop Header: Depth=1
	global_load_b128 v[8:11], v[2:3], off offset:-8
	v_add_co_u32 v4, vcc_lo, v4, s13
	v_add_co_ci_u32_e32 v5, vcc_lo, 0, v5, vcc_lo
	v_add_co_u32 v2, s3, v2, s15
	s_delay_alu instid0(VALU_DEP_1) | instskip(NEXT) | instid1(VALU_DEP_3)
	v_add_co_ci_u32_e64 v3, s3, 0, v3, s3
	v_lshlrev_b64 v[12:13], 2, v[4:5]
	s_delay_alu instid0(VALU_DEP_1) | instskip(SKIP_3) | instid1(VALU_DEP_1)
	v_cmp_le_i64_e32 vcc_lo, s[6:7], v[12:13]
	s_or_b32 s4, vcc_lo, s4
	s_waitcnt vmcnt(0)
	v_max3_f32 v7, v7, v8, v9
	v_max3_f32 v7, v7, v10, v11
	s_and_not1_b32 exec_lo, exec_lo, s4
	s_cbranch_execnz .LBB404_2
; %bb.3:
	s_or_b32 exec_lo, exec_lo, s4
.LBB404_4:
	s_delay_alu instid0(SALU_CYCLE_1)
	s_or_b32 exec_lo, exec_lo, s5
	v_mbcnt_lo_u32_b32 v2, -1, 0
	v_lshrrev_b32_e32 v13, 3, v0
	s_barrier
	buffer_gl0_inv
	v_cmp_gt_u32_e32 vcc_lo, 16, v2
	v_cndmask_b32_e64 v3, 0, 1, vcc_lo
	v_cmp_gt_u32_e32 vcc_lo, 24, v2
	s_delay_alu instid0(VALU_DEP_2) | instskip(SKIP_1) | instid1(VALU_DEP_2)
	v_lshlrev_b32_e32 v3, 4, v3
	v_cndmask_b32_e64 v4, 0, 1, vcc_lo
	v_add_lshl_u32 v8, v3, v2, 2
	ds_bpermute_b32 v3, v8, v7
	s_waitcnt lgkmcnt(0)
	v_cmp_lt_f32_e32 vcc_lo, v7, v3
	v_dual_cndmask_b32 v3, v7, v3 :: v_dual_lshlrev_b32 v4, 3, v4
	s_delay_alu instid0(VALU_DEP_1) | instskip(SKIP_3) | instid1(VALU_DEP_1)
	v_add_lshl_u32 v9, v4, v2, 2
	v_cmp_gt_u32_e32 vcc_lo, 28, v2
	ds_bpermute_b32 v4, v9, v3
	v_cndmask_b32_e64 v5, 0, 1, vcc_lo
	v_lshlrev_b32_e32 v5, 2, v5
	s_delay_alu instid0(VALU_DEP_1)
	v_add_lshl_u32 v10, v5, v2, 2
	s_waitcnt lgkmcnt(0)
	v_cmp_lt_f32_e32 vcc_lo, v3, v4
	v_cndmask_b32_e32 v3, v3, v4, vcc_lo
	v_cmp_gt_u32_e32 vcc_lo, 30, v2
	ds_bpermute_b32 v4, v10, v3
	v_cndmask_b32_e64 v5, 0, 1, vcc_lo
	s_delay_alu instid0(VALU_DEP_1) | instskip(NEXT) | instid1(VALU_DEP_1)
	v_lshlrev_b32_e32 v5, 1, v5
	v_add_lshl_u32 v11, v5, v2, 2
	s_waitcnt lgkmcnt(0)
	v_cmp_lt_f32_e32 vcc_lo, v3, v4
	v_cndmask_b32_e32 v3, v3, v4, vcc_lo
	v_cmp_ne_u32_e32 vcc_lo, 31, v2
	ds_bpermute_b32 v4, v11, v3
	v_add_co_ci_u32_e32 v5, vcc_lo, 0, v2, vcc_lo
	s_delay_alu instid0(VALU_DEP_1)
	v_lshlrev_b32_e32 v12, 2, v5
	s_waitcnt lgkmcnt(0)
	v_cmp_lt_f32_e32 vcc_lo, v3, v4
	v_cndmask_b32_e32 v2, v3, v4, vcc_lo
	v_and_b32_e32 v3, 31, v0
	ds_bpermute_b32 v4, v12, v2
	v_cmp_eq_u32_e32 vcc_lo, 0, v3
	s_and_saveexec_b32 s4, vcc_lo
	s_cbranch_execz .LBB404_6
; %bb.5:
	s_waitcnt lgkmcnt(0)
	v_cmp_lt_f32_e64 s3, v2, v4
	v_add_nc_u32_e32 v5, 0, v13
	s_delay_alu instid0(VALU_DEP_2)
	v_cndmask_b32_e64 v2, v2, v4, s3
	ds_store_b32 v5, v2
.LBB404_6:
	s_or_b32 exec_lo, exec_lo, s4
	s_waitcnt lgkmcnt(0)
	s_barrier
	buffer_gl0_inv
	s_load_b32 s15, s[0:1], 0x24
	v_mov_b32_e32 v2, 0xff7fffff
	v_lshl_add_u32 v14, v3, 2, 0
	s_waitcnt lgkmcnt(0)
	s_bfe_u32 s0, s15, 0xb0005
	s_delay_alu instid0(SALU_CYCLE_1) | instskip(NEXT) | instid1(VALU_DEP_1)
	v_cmp_gt_u32_e64 s0, s0, v0
	s_and_saveexec_b32 s1, s0
	s_cbranch_execnz .LBB404_24
; %bb.7:
	s_or_b32 exec_lo, exec_lo, s1
	v_cmp_gt_u32_e64 s1, 32, v0
	s_delay_alu instid0(VALU_DEP_1)
	s_and_saveexec_b32 s4, s1
	s_cbranch_execnz .LBB404_25
.LBB404_8:
	s_or_b32 exec_lo, exec_lo, s4
	v_cmp_eq_u32_e64 s3, 0, v0
	s_delay_alu instid0(VALU_DEP_1)
	s_and_saveexec_b32 s4, s3
	s_cbranch_execz .LBB404_10
.LBB404_9:
	v_mov_b32_e32 v3, 0
	s_waitcnt lgkmcnt(0)
	ds_store_b32 v3, v2
.LBB404_10:
	s_or_b32 exec_lo, exec_lo, s4
	v_mov_b32_e32 v15, 0
	s_waitcnt lgkmcnt(0)
	s_barrier
	buffer_gl0_inv
	s_mov_b32 s18, 0
	ds_load_b32 v7, v15
	s_and_saveexec_b32 s17, s2
	s_cbranch_execz .LBB404_14
; %bb.11:
	s_add_i32 s13, s16, s14
	v_mov_b32_e32 v5, v1
	s_lshl_b64 s[4:5], s[12:13], 2
	s_and_b32 s13, s15, 0xffff
	s_add_u32 s4, s10, s4
	s_addc_u32 s5, s11, s5
	v_add_co_u32 v2, s4, s4, v6
	s_delay_alu instid0(VALU_DEP_1) | instskip(SKIP_1) | instid1(VALU_DEP_3)
	v_add_co_ci_u32_e64 v3, null, s5, 0, s4
	v_dual_mov_b32 v15, 0 :: v_dual_mov_b32 v4, v0
	v_add_co_u32 v2, s4, v2, 8
	s_delay_alu instid0(VALU_DEP_1)
	v_add_co_ci_u32_e64 v3, s4, 0, v3, s4
	s_lshl_b32 s19, s13, 4
	s_set_inst_prefetch_distance 0x1
	.p2align	6
.LBB404_12:                             ; =>This Inner Loop Header: Depth=1
	global_load_b128 v[16:19], v[2:3], off offset:-8
	v_add_co_u32 v4, s4, v4, s13
	s_delay_alu instid0(VALU_DEP_1) | instskip(SKIP_1) | instid1(VALU_DEP_1)
	v_add_co_ci_u32_e64 v5, s4, 0, v5, s4
	v_add_co_u32 v2, s5, v2, s19
	v_add_co_ci_u32_e64 v3, s5, 0, v3, s5
	s_waitcnt vmcnt(0) lgkmcnt(0)
	v_sub_f32_e32 v17, v17, v7
	s_delay_alu instid0(VALU_DEP_1) | instskip(NEXT) | instid1(VALU_DEP_1)
	v_dual_sub_f32 v16, v16, v7 :: v_dual_mul_f32 v17, 0x3fb8aa3b, v17
	v_mul_f32_e32 v16, 0x3fb8aa3b, v16
	s_delay_alu instid0(VALU_DEP_2) | instskip(NEXT) | instid1(VALU_DEP_1)
	v_exp_f32_e32 v17, v17
	v_exp_f32_e32 v16, v16
	s_waitcnt_depctr 0xfff
	v_add_f32_e32 v20, v15, v16
	v_sub_f32_e32 v18, v18, v7
	v_lshlrev_b64 v[15:16], 2, v[4:5]
	s_delay_alu instid0(VALU_DEP_3) | instskip(NEXT) | instid1(VALU_DEP_3)
	v_add_f32_e32 v17, v20, v17
	v_dual_sub_f32 v19, v19, v7 :: v_dual_mul_f32 v18, 0x3fb8aa3b, v18
	s_delay_alu instid0(VALU_DEP_3) | instskip(NEXT) | instid1(VALU_DEP_2)
	v_cmp_le_i64_e64 s4, s[6:7], v[15:16]
	v_mul_f32_e32 v19, 0x3fb8aa3b, v19
	s_delay_alu instid0(VALU_DEP_3) | instskip(NEXT) | instid1(VALU_DEP_2)
	v_exp_f32_e32 v18, v18
	s_or_b32 s18, s4, s18
	s_delay_alu instid0(VALU_DEP_1) | instskip(SKIP_2) | instid1(VALU_DEP_1)
	v_exp_f32_e32 v19, v19
	s_waitcnt_depctr 0xfff
	v_add_f32_e32 v15, v17, v18
	v_add_f32_e32 v15, v15, v19
	s_and_not1_b32 exec_lo, exec_lo, s18
	s_cbranch_execnz .LBB404_12
; %bb.13:
	s_set_inst_prefetch_distance 0x2
	s_or_b32 exec_lo, exec_lo, s18
.LBB404_14:
	s_delay_alu instid0(SALU_CYCLE_1)
	s_or_b32 exec_lo, exec_lo, s17
	ds_bpermute_b32 v2, v8, v15
	s_waitcnt lgkmcnt(0)
	s_barrier
	buffer_gl0_inv
	v_add_f32_e32 v2, v15, v2
	ds_bpermute_b32 v3, v9, v2
	s_waitcnt lgkmcnt(0)
	v_add_f32_e32 v2, v2, v3
	ds_bpermute_b32 v3, v10, v2
	s_waitcnt lgkmcnt(0)
	;; [unrolled: 3-line block ×3, first 2 shown]
	v_add_f32_e32 v2, v2, v3
	ds_bpermute_b32 v3, v12, v2
	s_and_saveexec_b32 s4, vcc_lo
	s_cbranch_execz .LBB404_16
; %bb.15:
	v_add_nc_u32_e32 v4, 0, v13
	s_waitcnt lgkmcnt(0)
	v_add_f32_e32 v2, v2, v3
	ds_store_b32 v4, v2
.LBB404_16:
	s_or_b32 exec_lo, exec_lo, s4
	v_mov_b32_e32 v2, 0
	s_waitcnt lgkmcnt(0)
	s_barrier
	buffer_gl0_inv
	s_and_saveexec_b32 s4, s0
	s_cbranch_execnz .LBB404_26
; %bb.17:
	s_or_b32 exec_lo, exec_lo, s4
	s_and_saveexec_b32 s0, s1
	s_cbranch_execnz .LBB404_27
.LBB404_18:
	s_or_b32 exec_lo, exec_lo, s0
	s_and_saveexec_b32 s0, s3
	s_cbranch_execz .LBB404_20
.LBB404_19:
	s_waitcnt lgkmcnt(0)
	v_div_scale_f32 v3, null, v2, v2, 1.0
	v_div_scale_f32 v8, vcc_lo, 1.0, v2, 1.0
	s_delay_alu instid0(VALU_DEP_2) | instskip(SKIP_2) | instid1(VALU_DEP_1)
	v_rcp_f32_e32 v4, v3
	s_waitcnt_depctr 0xfff
	v_fma_f32 v5, -v3, v4, 1.0
	v_fmac_f32_e32 v4, v5, v4
	s_delay_alu instid0(VALU_DEP_1) | instskip(NEXT) | instid1(VALU_DEP_1)
	v_mul_f32_e32 v5, v8, v4
	v_fma_f32 v9, -v3, v5, v8
	s_delay_alu instid0(VALU_DEP_1) | instskip(NEXT) | instid1(VALU_DEP_1)
	v_fmac_f32_e32 v5, v9, v4
	v_fma_f32 v3, -v3, v5, v8
	s_delay_alu instid0(VALU_DEP_1) | instskip(NEXT) | instid1(VALU_DEP_1)
	v_div_fmas_f32 v3, v3, v4, v5
	v_div_fixup_f32 v2, v3, v2, 1.0
	v_mov_b32_e32 v3, 0
	ds_store_b32 v3, v2
.LBB404_20:
	s_or_b32 exec_lo, exec_lo, s0
	s_waitcnt lgkmcnt(0)
	s_barrier
	buffer_gl0_inv
	s_and_saveexec_b32 s0, s2
	s_cbranch_execz .LBB404_23
; %bb.21:
	v_mov_b32_e32 v2, 0
	s_add_i32 s13, s16, s14
	s_mov_b32 s2, 0
	s_lshl_b64 s[0:1], s[12:13], 2
	s_delay_alu instid0(SALU_CYCLE_1) | instskip(SKIP_3) | instid1(SALU_CYCLE_1)
	v_add_co_u32 v3, s0, s0, v6
	ds_load_b32 v2, v2
	v_add_co_ci_u32_e64 v4, null, s1, 0, s0
	s_and_b32 s1, s15, 0xffff
	s_lshl_b32 s3, s1, 4
	s_set_inst_prefetch_distance 0x1
	.p2align	6
.LBB404_22:                             ; =>This Inner Loop Header: Depth=1
	v_add_co_u32 v5, vcc_lo, s10, v3
	v_add_co_ci_u32_e32 v6, vcc_lo, s11, v4, vcc_lo
	v_add_co_u32 v0, vcc_lo, v0, s1
	v_add_co_ci_u32_e32 v1, vcc_lo, 0, v1, vcc_lo
	global_load_b128 v[8:11], v[5:6], off
	v_add_co_u32 v5, vcc_lo, s8, v3
	v_lshlrev_b64 v[12:13], 2, v[0:1]
	s_delay_alu instid0(VALU_DEP_1) | instskip(NEXT) | instid1(VALU_DEP_1)
	v_cmp_le_i64_e64 s0, s[6:7], v[12:13]
	s_or_b32 s2, s0, s2
	s_waitcnt vmcnt(0)
	v_sub_f32_e32 v6, v8, v7
	v_sub_f32_e32 v8, v9, v7
	;; [unrolled: 1-line block ×4, first 2 shown]
	s_delay_alu instid0(VALU_DEP_2) | instskip(SKIP_1) | instid1(VALU_DEP_3)
	v_dual_mul_f32 v8, 0x3fb8aa3b, v8 :: v_dual_mul_f32 v9, 0x3fb8aa3b, v9
	v_mul_f32_e32 v6, 0x3fb8aa3b, v6
	v_mul_f32_e32 v10, 0x3fb8aa3b, v10
	s_delay_alu instid0(VALU_DEP_3) | instskip(NEXT) | instid1(VALU_DEP_3)
	v_exp_f32_e32 v14, v8
	v_exp_f32_e32 v15, v9
	s_delay_alu instid0(VALU_DEP_2) | instskip(NEXT) | instid1(VALU_DEP_1)
	v_exp_f32_e32 v11, v6
	v_exp_f32_e32 v16, v10
	v_add_co_ci_u32_e32 v6, vcc_lo, s9, v4, vcc_lo
	v_add_co_u32 v3, vcc_lo, v3, s3
	v_add_co_ci_u32_e32 v4, vcc_lo, 0, v4, vcc_lo
	s_waitcnt lgkmcnt(0)
	v_mul_f32_e32 v9, v2, v14
	s_delay_alu instid0(TRANS32_DEP_3) | instskip(NEXT) | instid1(TRANS32_DEP_2)
	v_mul_f32_e32 v10, v2, v15
	v_mul_f32_e32 v8, v2, v11
	s_delay_alu instid0(TRANS32_DEP_1)
	v_mul_f32_e32 v11, v2, v16
	global_store_b128 v[5:6], v[8:11], off
	s_and_not1_b32 exec_lo, exec_lo, s2
	s_cbranch_execnz .LBB404_22
.LBB404_23:
	s_set_inst_prefetch_distance 0x2
	s_nop 0
	s_sendmsg sendmsg(MSG_DEALLOC_VGPRS)
	s_endpgm
.LBB404_24:
	ds_load_b32 v2, v14
	s_or_b32 exec_lo, exec_lo, s1
	v_cmp_gt_u32_e64 s1, 32, v0
	s_delay_alu instid0(VALU_DEP_1)
	s_and_saveexec_b32 s4, s1
	s_cbranch_execz .LBB404_8
.LBB404_25:
	s_waitcnt lgkmcnt(0)
	ds_bpermute_b32 v3, v8, v2
	s_waitcnt lgkmcnt(0)
	v_cmp_lt_f32_e64 s3, v2, v3
	s_delay_alu instid0(VALU_DEP_1) | instskip(SKIP_3) | instid1(VALU_DEP_1)
	v_cndmask_b32_e64 v2, v2, v3, s3
	ds_bpermute_b32 v3, v9, v2
	s_waitcnt lgkmcnt(0)
	v_cmp_lt_f32_e64 s3, v2, v3
	v_cndmask_b32_e64 v2, v2, v3, s3
	ds_bpermute_b32 v3, v10, v2
	s_waitcnt lgkmcnt(0)
	v_cmp_lt_f32_e64 s3, v2, v3
	s_delay_alu instid0(VALU_DEP_1) | instskip(SKIP_3) | instid1(VALU_DEP_1)
	v_cndmask_b32_e64 v2, v2, v3, s3
	ds_bpermute_b32 v3, v11, v2
	s_waitcnt lgkmcnt(0)
	v_cmp_lt_f32_e64 s3, v2, v3
	v_cndmask_b32_e64 v2, v2, v3, s3
	ds_bpermute_b32 v3, v12, v2
	s_waitcnt lgkmcnt(0)
	v_cmp_lt_f32_e64 s3, v2, v3
	s_delay_alu instid0(VALU_DEP_1) | instskip(SKIP_2) | instid1(VALU_DEP_1)
	v_cndmask_b32_e64 v2, v2, v3, s3
	s_or_b32 exec_lo, exec_lo, s4
	v_cmp_eq_u32_e64 s3, 0, v0
	s_and_saveexec_b32 s4, s3
	s_cbranch_execnz .LBB404_9
	s_branch .LBB404_10
.LBB404_26:
	ds_load_b32 v2, v14
	s_or_b32 exec_lo, exec_lo, s4
	s_and_saveexec_b32 s0, s1
	s_cbranch_execz .LBB404_18
.LBB404_27:
	s_waitcnt lgkmcnt(0)
	ds_bpermute_b32 v3, v8, v2
	s_waitcnt lgkmcnt(0)
	v_add_f32_e32 v2, v2, v3
	ds_bpermute_b32 v3, v9, v2
	s_waitcnt lgkmcnt(0)
	v_add_f32_e32 v2, v2, v3
	;; [unrolled: 3-line block ×5, first 2 shown]
	s_or_b32 exec_lo, exec_lo, s0
	s_and_saveexec_b32 s0, s3
	s_cbranch_execnz .LBB404_19
	s_branch .LBB404_20
	.section	.rodata,"a",@progbits
	.p2align	6, 0x0
	.amdhsa_kernel _ZN2at6native12_GLOBAL__N_123cunn_SoftMaxForwardGmemILi4EfffNS1_29SoftMaxForwardWithMulEpilogueElEEvPT2_PKT0_T4_
		.amdhsa_group_segment_fixed_size 0
		.amdhsa_private_segment_fixed_size 0
		.amdhsa_kernarg_size 280
		.amdhsa_user_sgpr_count 15
		.amdhsa_user_sgpr_dispatch_ptr 0
		.amdhsa_user_sgpr_queue_ptr 0
		.amdhsa_user_sgpr_kernarg_segment_ptr 1
		.amdhsa_user_sgpr_dispatch_id 0
		.amdhsa_user_sgpr_private_segment_size 0
		.amdhsa_wavefront_size32 1
		.amdhsa_uses_dynamic_stack 0
		.amdhsa_enable_private_segment 0
		.amdhsa_system_sgpr_workgroup_id_x 1
		.amdhsa_system_sgpr_workgroup_id_y 0
		.amdhsa_system_sgpr_workgroup_id_z 0
		.amdhsa_system_sgpr_workgroup_info 0
		.amdhsa_system_vgpr_workitem_id 0
		.amdhsa_next_free_vgpr 21
		.amdhsa_next_free_sgpr 20
		.amdhsa_reserve_vcc 1
		.amdhsa_float_round_mode_32 0
		.amdhsa_float_round_mode_16_64 0
		.amdhsa_float_denorm_mode_32 3
		.amdhsa_float_denorm_mode_16_64 3
		.amdhsa_dx10_clamp 1
		.amdhsa_ieee_mode 1
		.amdhsa_fp16_overflow 0
		.amdhsa_workgroup_processor_mode 1
		.amdhsa_memory_ordered 1
		.amdhsa_forward_progress 0
		.amdhsa_shared_vgpr_count 0
		.amdhsa_exception_fp_ieee_invalid_op 0
		.amdhsa_exception_fp_denorm_src 0
		.amdhsa_exception_fp_ieee_div_zero 0
		.amdhsa_exception_fp_ieee_overflow 0
		.amdhsa_exception_fp_ieee_underflow 0
		.amdhsa_exception_fp_ieee_inexact 0
		.amdhsa_exception_int_div_zero 0
	.end_amdhsa_kernel
	.section	.text._ZN2at6native12_GLOBAL__N_123cunn_SoftMaxForwardGmemILi4EfffNS1_29SoftMaxForwardWithMulEpilogueElEEvPT2_PKT0_T4_,"axG",@progbits,_ZN2at6native12_GLOBAL__N_123cunn_SoftMaxForwardGmemILi4EfffNS1_29SoftMaxForwardWithMulEpilogueElEEvPT2_PKT0_T4_,comdat
.Lfunc_end404:
	.size	_ZN2at6native12_GLOBAL__N_123cunn_SoftMaxForwardGmemILi4EfffNS1_29SoftMaxForwardWithMulEpilogueElEEvPT2_PKT0_T4_, .Lfunc_end404-_ZN2at6native12_GLOBAL__N_123cunn_SoftMaxForwardGmemILi4EfffNS1_29SoftMaxForwardWithMulEpilogueElEEvPT2_PKT0_T4_
                                        ; -- End function
	.section	.AMDGPU.csdata,"",@progbits
; Kernel info:
; codeLenInByte = 1956
; NumSgprs: 22
; NumVgprs: 21
; ScratchSize: 0
; MemoryBound: 0
; FloatMode: 240
; IeeeMode: 1
; LDSByteSize: 0 bytes/workgroup (compile time only)
; SGPRBlocks: 2
; VGPRBlocks: 2
; NumSGPRsForWavesPerEU: 22
; NumVGPRsForWavesPerEU: 21
; Occupancy: 16
; WaveLimiterHint : 0
; COMPUTE_PGM_RSRC2:SCRATCH_EN: 0
; COMPUTE_PGM_RSRC2:USER_SGPR: 15
; COMPUTE_PGM_RSRC2:TRAP_HANDLER: 0
; COMPUTE_PGM_RSRC2:TGID_X_EN: 1
; COMPUTE_PGM_RSRC2:TGID_Y_EN: 0
; COMPUTE_PGM_RSRC2:TGID_Z_EN: 0
; COMPUTE_PGM_RSRC2:TIDIG_COMP_CNT: 0
	.section	.text._ZN2at6native12_GLOBAL__N_123cunn_SoftMaxForwardFastILi4EfffNS1_29SoftMaxForwardWithMulEpilogueEEEvPT2_PKT0_i,"axG",@progbits,_ZN2at6native12_GLOBAL__N_123cunn_SoftMaxForwardFastILi4EfffNS1_29SoftMaxForwardWithMulEpilogueEEEvPT2_PKT0_i,comdat
	.globl	_ZN2at6native12_GLOBAL__N_123cunn_SoftMaxForwardFastILi4EfffNS1_29SoftMaxForwardWithMulEpilogueEEEvPT2_PKT0_i ; -- Begin function _ZN2at6native12_GLOBAL__N_123cunn_SoftMaxForwardFastILi4EfffNS1_29SoftMaxForwardWithMulEpilogueEEEvPT2_PKT0_i
	.p2align	8
	.type	_ZN2at6native12_GLOBAL__N_123cunn_SoftMaxForwardFastILi4EfffNS1_29SoftMaxForwardWithMulEpilogueEEEvPT2_PKT0_i,@function
_ZN2at6native12_GLOBAL__N_123cunn_SoftMaxForwardFastILi4EfffNS1_29SoftMaxForwardWithMulEpilogueEEEvPT2_PKT0_i: ; @_ZN2at6native12_GLOBAL__N_123cunn_SoftMaxForwardFastILi4EfffNS1_29SoftMaxForwardWithMulEpilogueEEEvPT2_PKT0_i
; %bb.0:
	s_clause 0x1
	s_load_b32 s14, s[0:1], 0x10
	s_load_b128 s[8:11], s[0:1], 0x0
	s_mov_b32 s5, 0
	s_waitcnt lgkmcnt(0)
	s_ashr_i32 s2, s14, 31
	s_mul_hi_u32 s3, s14, s15
	s_mul_i32 s4, s2, s15
	s_mul_i32 s2, s14, s15
	s_add_i32 s3, s3, s4
	s_delay_alu instid0(SALU_CYCLE_1) | instskip(NEXT) | instid1(SALU_CYCLE_1)
	s_lshl_b64 s[12:13], s[2:3], 2
	s_add_u32 s6, s10, s12
	s_addc_u32 s7, s11, s13
	s_bfe_u32 s4, s6, 0x20002
	s_delay_alu instid0(SALU_CYCLE_1) | instskip(SKIP_2) | instid1(SALU_CYCLE_1)
	s_cmp_lg_u32 s4, 0
	v_cmp_le_u32_e64 s2, s4, v0
	s_cselect_b32 s18, -1, 0
	s_and_b32 vcc_lo, exec_lo, s18
	s_cbranch_vccz .LBB405_25
; %bb.1:
	s_lshl_b64 s[10:11], s[4:5], 2
	v_mov_b32_e32 v5, 0xff7fffff
	s_sub_u32 s16, s6, s10
	s_subb_u32 s17, s7, s11
	s_add_i32 s3, s4, s14
	s_delay_alu instid0(SALU_CYCLE_1) | instskip(SKIP_1) | instid1(SALU_CYCLE_1)
	v_cmp_gt_i32_e32 vcc_lo, s3, v0
	s_and_b32 s5, s2, vcc_lo
	s_and_saveexec_b32 s2, s5
	s_cbranch_execz .LBB405_3
; %bb.2:
	v_lshlrev_b32_e32 v1, 2, v0
	global_load_b32 v1, v1, s[16:17]
	s_waitcnt vmcnt(0)
	v_max_f32_e32 v1, v1, v1
	s_delay_alu instid0(VALU_DEP_1)
	v_max_f32_e32 v5, 0xff7fffff, v1
.LBB405_3:
	s_or_b32 exec_lo, exec_lo, s2
	s_load_b32 s2, s[0:1], 0x24
	s_add_u32 s10, s0, 24
	s_addc_u32 s11, s1, 0
	s_waitcnt lgkmcnt(0)
	s_and_b32 s2, s2, 0xffff
	s_delay_alu instid0(SALU_CYCLE_1) | instskip(SKIP_1) | instid1(SALU_CYCLE_1)
	v_sub_nc_u32_e64 v1, s3, s2 clamp
	s_lshl_b32 s2, s2, 2
	s_add_u32 s2, s16, s2
	s_addc_u32 s3, s17, 0
	s_delay_alu instid0(VALU_DEP_1)
	v_readfirstlane_b32 s5, v1
	s_branch .LBB405_5
.LBB405_4:
	v_mov_b32_e32 v5, 0xff7fffff
	s_add_u32 s10, s0, 24
	s_addc_u32 s11, s1, 0
	s_mov_b32 s5, s14
	s_mov_b64 s[2:3], s[6:7]
.LBB405_5:
	s_load_b32 s16, s[10:11], 0x0
	v_mov_b32_e32 v1, 0
	v_lshlrev_b32_e32 v9, 2, v0
	s_waitcnt lgkmcnt(0)
	s_cmp_lt_u32 s15, s16
	s_cselect_b32 s16, 12, 18
	s_delay_alu instid0(SALU_CYCLE_1) | instskip(SKIP_4) | instid1(VALU_DEP_1)
	s_add_u32 s10, s10, s16
	s_addc_u32 s11, s11, 0
	global_load_u16 v3, v1, s[10:11]
	s_waitcnt vmcnt(0)
	v_readfirstlane_b32 s10, v3
	s_lshl_b32 s10, s10, 2
	s_delay_alu instid0(SALU_CYCLE_1) | instskip(SKIP_1) | instid1(VALU_DEP_1)
	v_cvt_f32_u32_e32 v1, s10
	s_sub_i32 s16, 0, s10
	v_rcp_iflag_f32_e32 v1, v1
	s_waitcnt_depctr 0xfff
	v_mul_f32_e32 v1, 0x4f7ffffe, v1
	s_delay_alu instid0(VALU_DEP_1) | instskip(NEXT) | instid1(VALU_DEP_1)
	v_cvt_u32_f32_e32 v1, v1
	v_readfirstlane_b32 s11, v1
	s_delay_alu instid0(VALU_DEP_1) | instskip(NEXT) | instid1(SALU_CYCLE_1)
	s_mul_i32 s16, s16, s11
	s_mul_hi_u32 s16, s11, s16
	s_delay_alu instid0(SALU_CYCLE_1) | instskip(NEXT) | instid1(SALU_CYCLE_1)
	s_add_i32 s11, s11, s16
	s_mul_hi_u32 s11, s5, s11
	s_delay_alu instid0(SALU_CYCLE_1) | instskip(NEXT) | instid1(SALU_CYCLE_1)
	s_mul_i32 s11, s11, s10
	s_sub_i32 s11, s5, s11
	s_delay_alu instid0(SALU_CYCLE_1) | instskip(SKIP_2) | instid1(SALU_CYCLE_1)
	s_sub_i32 s16, s11, s10
	s_cmp_ge_u32 s11, s10
	s_cselect_b32 s11, s16, s11
	s_sub_i32 s16, s11, s10
	s_cmp_ge_u32 s11, s10
	s_cselect_b32 s10, s16, s11
	s_mov_b32 s16, 0
	s_sub_i32 s10, s5, s10
	s_mov_b32 s11, exec_lo
	v_cmpx_gt_i32_e64 s10, v9
	s_cbranch_execz .LBB405_9
; %bb.6:
	v_mov_b32_e32 v1, v0
	.p2align	6
.LBB405_7:                              ; =>This Inner Loop Header: Depth=1
	s_delay_alu instid0(VALU_DEP_1) | instskip(NEXT) | instid1(VALU_DEP_1)
	v_ashrrev_i32_e32 v2, 31, v1
	v_lshlrev_b64 v[6:7], 4, v[1:2]
	v_add_nc_u32_e32 v1, v1, v3
	s_delay_alu instid0(VALU_DEP_1) | instskip(NEXT) | instid1(VALU_DEP_3)
	v_lshlrev_b32_e32 v2, 2, v1
	v_add_co_u32 v6, vcc_lo, s2, v6
	s_delay_alu instid0(VALU_DEP_4) | instskip(NEXT) | instid1(VALU_DEP_3)
	v_add_co_ci_u32_e32 v7, vcc_lo, s3, v7, vcc_lo
	v_cmp_le_i32_e32 vcc_lo, s10, v2
	global_load_b128 v[10:13], v[6:7], off
	s_or_b32 s16, vcc_lo, s16
	s_waitcnt vmcnt(0)
	v_max3_f32 v4, v5, v10, v11
	s_delay_alu instid0(VALU_DEP_1)
	v_max3_f32 v5, v4, v12, v13
	s_and_not1_b32 exec_lo, exec_lo, s16
	s_cbranch_execnz .LBB405_7
; %bb.8:
	s_or_b32 exec_lo, exec_lo, s16
.LBB405_9:
	s_delay_alu instid0(SALU_CYCLE_1) | instskip(SKIP_2) | instid1(VALU_DEP_1)
	s_or_b32 exec_lo, exec_lo, s11
	v_add_nc_u32_e32 v1, s10, v0
	s_mov_b32 s10, exec_lo
	v_cmpx_gt_i32_e64 s5, v1
	s_cbranch_execz .LBB405_13
; %bb.10:
	s_mov_b32 s11, 0
.LBB405_11:                             ; =>This Inner Loop Header: Depth=1
	v_ashrrev_i32_e32 v2, 31, v1
	v_max_f32_e32 v4, v5, v5
	s_delay_alu instid0(VALU_DEP_2) | instskip(NEXT) | instid1(VALU_DEP_1)
	v_lshlrev_b64 v[6:7], 2, v[1:2]
	v_add_co_u32 v6, vcc_lo, s2, v6
	s_delay_alu instid0(VALU_DEP_2) | instskip(SKIP_3) | instid1(VALU_DEP_1)
	v_add_co_ci_u32_e32 v7, vcc_lo, s3, v7, vcc_lo
	global_load_b32 v2, v[6:7], off
	s_waitcnt vmcnt(0)
	v_dual_max_f32 v2, v2, v2 :: v_dual_add_nc_u32 v1, v1, v3
	v_cmp_le_i32_e32 vcc_lo, s5, v1
	s_delay_alu instid0(VALU_DEP_2) | instskip(SKIP_1) | instid1(SALU_CYCLE_1)
	v_max_f32_e32 v5, v4, v2
	s_or_b32 s11, vcc_lo, s11
	s_and_not1_b32 exec_lo, exec_lo, s11
	s_cbranch_execnz .LBB405_11
; %bb.12:
	s_or_b32 exec_lo, exec_lo, s11
.LBB405_13:
	s_delay_alu instid0(SALU_CYCLE_1)
	s_or_b32 exec_lo, exec_lo, s10
	v_mbcnt_lo_u32_b32 v1, -1, 0
	v_lshrrev_b32_e32 v10, 3, v0
	s_barrier
	buffer_gl0_inv
	v_cmp_gt_u32_e32 vcc_lo, 16, v1
	v_cndmask_b32_e64 v2, 0, 1, vcc_lo
	v_cmp_gt_u32_e32 vcc_lo, 24, v1
	s_delay_alu instid0(VALU_DEP_2) | instskip(SKIP_1) | instid1(VALU_DEP_2)
	v_lshlrev_b32_e32 v2, 4, v2
	v_cndmask_b32_e64 v4, 0, 1, vcc_lo
	v_add_lshl_u32 v3, v2, v1, 2
	s_delay_alu instid0(VALU_DEP_2)
	v_lshlrev_b32_e32 v4, 3, v4
	ds_bpermute_b32 v2, v3, v5
	v_add_lshl_u32 v4, v4, v1, 2
	s_waitcnt lgkmcnt(0)
	v_cmp_lt_f32_e32 vcc_lo, v5, v2
	v_cndmask_b32_e32 v2, v5, v2, vcc_lo
	v_cmp_gt_u32_e32 vcc_lo, 28, v1
	v_cndmask_b32_e64 v5, 0, 1, vcc_lo
	s_delay_alu instid0(VALU_DEP_1)
	v_lshlrev_b32_e32 v5, 2, v5
	ds_bpermute_b32 v6, v4, v2
	v_add_lshl_u32 v5, v5, v1, 2
	s_waitcnt lgkmcnt(0)
	v_cmp_lt_f32_e32 vcc_lo, v2, v6
	v_cndmask_b32_e32 v2, v2, v6, vcc_lo
	v_cmp_gt_u32_e32 vcc_lo, 30, v1
	ds_bpermute_b32 v7, v5, v2
	v_cndmask_b32_e64 v6, 0, 1, vcc_lo
	s_delay_alu instid0(VALU_DEP_1) | instskip(NEXT) | instid1(VALU_DEP_1)
	v_lshlrev_b32_e32 v6, 1, v6
	v_add_lshl_u32 v6, v6, v1, 2
	s_waitcnt lgkmcnt(0)
	v_cmp_lt_f32_e32 vcc_lo, v2, v7
	v_cndmask_b32_e32 v2, v2, v7, vcc_lo
	v_cmp_ne_u32_e32 vcc_lo, 31, v1
	ds_bpermute_b32 v7, v6, v2
	v_add_co_ci_u32_e32 v8, vcc_lo, 0, v1, vcc_lo
	s_waitcnt lgkmcnt(0)
	v_cmp_lt_f32_e32 vcc_lo, v2, v7
	v_cndmask_b32_e32 v1, v2, v7, vcc_lo
	s_delay_alu instid0(VALU_DEP_3) | instskip(SKIP_3) | instid1(VALU_DEP_1)
	v_lshlrev_b32_e32 v7, 2, v8
	v_and_b32_e32 v2, 31, v0
	ds_bpermute_b32 v8, v7, v1
	v_cmp_eq_u32_e64 s2, 0, v2
	s_and_saveexec_b32 s3, s2
	s_cbranch_execz .LBB405_15
; %bb.14:
	s_waitcnt lgkmcnt(0)
	v_cmp_lt_f32_e32 vcc_lo, v1, v8
	v_add_nc_u32_e32 v11, 0, v10
	v_cndmask_b32_e32 v1, v1, v8, vcc_lo
	ds_store_b32 v11, v1
.LBB405_15:
	s_or_b32 exec_lo, exec_lo, s3
	s_waitcnt lgkmcnt(0)
	s_barrier
	buffer_gl0_inv
	s_load_b32 s5, s[0:1], 0x24
	s_add_u32 s10, s0, 24
	s_addc_u32 s11, s1, 0
	v_mov_b32_e32 v1, 0xff7fffff
	v_lshl_add_u32 v11, v2, 2, 0
	s_waitcnt lgkmcnt(0)
	s_bfe_u32 s0, s5, 0xb0005
	s_delay_alu instid0(SALU_CYCLE_1) | instskip(NEXT) | instid1(VALU_DEP_1)
	v_cmp_gt_u32_e64 s0, s0, v0
	s_and_saveexec_b32 s1, s0
	s_cbranch_execnz .LBB405_23
; %bb.16:
	s_or_b32 exec_lo, exec_lo, s1
	v_cmp_gt_u32_e64 s1, 32, v0
	s_delay_alu instid0(VALU_DEP_1)
	s_and_saveexec_b32 s3, s1
	s_cbranch_execnz .LBB405_24
.LBB405_17:
	s_or_b32 exec_lo, exec_lo, s3
	v_cmp_eq_u32_e64 s3, 0, v0
	s_delay_alu instid0(VALU_DEP_1)
	s_and_saveexec_b32 s16, s3
	s_cbranch_execz .LBB405_19
.LBB405_18:
	v_mov_b32_e32 v2, 0
	s_waitcnt lgkmcnt(0)
	ds_store_b32 v2, v1
.LBB405_19:
	s_or_b32 exec_lo, exec_lo, s16
	v_mov_b32_e32 v12, 0
	s_waitcnt lgkmcnt(0)
	s_barrier
	buffer_gl0_inv
	s_and_b32 s19, s5, 0xffff
	ds_load_b32 v8, v12
	s_and_not1_b32 vcc_lo, exec_lo, s18
	s_mov_b32 s5, 0
	s_cbranch_vccnz .LBB405_26
; %bb.20:
	s_lshl_b64 s[16:17], s[4:5], 2
	v_cmp_le_u32_e32 vcc_lo, s4, v0
	s_sub_u32 s16, s6, s16
	s_subb_u32 s17, s7, s17
	s_add_i32 s5, s4, s14
	v_mov_b32_e32 v12, 0
	v_cmp_gt_i32_e64 s4, s5, v0
	s_delay_alu instid0(VALU_DEP_1) | instskip(NEXT) | instid1(SALU_CYCLE_1)
	s_and_b32 s18, vcc_lo, s4
	s_and_saveexec_b32 s4, s18
	s_cbranch_execz .LBB405_22
; %bb.21:
	global_load_b32 v1, v9, s[16:17]
	s_waitcnt vmcnt(0) lgkmcnt(0)
	v_sub_f32_e32 v1, v1, v8
	s_delay_alu instid0(VALU_DEP_1) | instskip(NEXT) | instid1(VALU_DEP_1)
	v_mul_f32_e32 v1, 0x3fb8aa3b, v1
	v_exp_f32_e32 v1, v1
	s_waitcnt_depctr 0xfff
	v_add_f32_e32 v12, 0, v1
.LBB405_22:
	s_or_b32 exec_lo, exec_lo, s4
	v_sub_nc_u32_e64 v1, s5, s19 clamp
	s_lshl_b32 s4, s19, 2
	s_delay_alu instid0(SALU_CYCLE_1) | instskip(SKIP_1) | instid1(VALU_DEP_1)
	s_add_u32 s4, s16, s4
	s_addc_u32 s5, s17, 0
	v_readfirstlane_b32 s18, v1
	s_branch .LBB405_27
.LBB405_23:
	ds_load_b32 v1, v11
	s_or_b32 exec_lo, exec_lo, s1
	v_cmp_gt_u32_e64 s1, 32, v0
	s_delay_alu instid0(VALU_DEP_1)
	s_and_saveexec_b32 s3, s1
	s_cbranch_execz .LBB405_17
.LBB405_24:
	s_waitcnt lgkmcnt(0)
	ds_bpermute_b32 v2, v3, v1
	s_waitcnt lgkmcnt(0)
	v_cmp_lt_f32_e32 vcc_lo, v1, v2
	v_cndmask_b32_e32 v1, v1, v2, vcc_lo
	ds_bpermute_b32 v2, v4, v1
	s_waitcnt lgkmcnt(0)
	v_cmp_lt_f32_e32 vcc_lo, v1, v2
	v_cndmask_b32_e32 v1, v1, v2, vcc_lo
	;; [unrolled: 4-line block ×5, first 2 shown]
	s_or_b32 exec_lo, exec_lo, s3
	v_cmp_eq_u32_e64 s3, 0, v0
	s_delay_alu instid0(VALU_DEP_1)
	s_and_saveexec_b32 s16, s3
	s_cbranch_execnz .LBB405_18
	s_branch .LBB405_19
.LBB405_25:
                                        ; implicit-def: $sgpr2_sgpr3
                                        ; implicit-def: $sgpr5
                                        ; implicit-def: $vgpr5
                                        ; implicit-def: $sgpr10_sgpr11
	s_cbranch_execnz .LBB405_4
	s_branch .LBB405_5
.LBB405_26:
	s_mov_b64 s[4:5], s[6:7]
	s_mov_b32 s18, s14
.LBB405_27:
	s_load_b32 s16, s[10:11], 0x0
	v_mov_b32_e32 v1, 0
	s_waitcnt lgkmcnt(0)
	s_cmp_lt_u32 s15, s16
	s_cselect_b32 s15, 12, 18
	s_delay_alu instid0(SALU_CYCLE_1) | instskip(SKIP_4) | instid1(VALU_DEP_1)
	s_add_u32 s10, s10, s15
	s_addc_u32 s11, s11, 0
	global_load_u16 v13, v1, s[10:11]
	s_waitcnt vmcnt(0)
	v_readfirstlane_b32 s10, v13
	s_lshl_b32 s10, s10, 2
	s_delay_alu instid0(SALU_CYCLE_1) | instskip(SKIP_1) | instid1(VALU_DEP_1)
	v_cvt_f32_u32_e32 v1, s10
	s_sub_i32 s15, 0, s10
	v_rcp_iflag_f32_e32 v1, v1
	s_waitcnt_depctr 0xfff
	v_mul_f32_e32 v1, 0x4f7ffffe, v1
	s_delay_alu instid0(VALU_DEP_1) | instskip(NEXT) | instid1(VALU_DEP_1)
	v_cvt_u32_f32_e32 v1, v1
	v_readfirstlane_b32 s11, v1
	s_delay_alu instid0(VALU_DEP_1) | instskip(NEXT) | instid1(SALU_CYCLE_1)
	s_mul_i32 s15, s15, s11
	s_mul_hi_u32 s15, s11, s15
	s_delay_alu instid0(SALU_CYCLE_1) | instskip(NEXT) | instid1(SALU_CYCLE_1)
	s_add_i32 s11, s11, s15
	s_mul_hi_u32 s11, s18, s11
	s_delay_alu instid0(SALU_CYCLE_1) | instskip(NEXT) | instid1(SALU_CYCLE_1)
	s_mul_i32 s11, s11, s10
	s_sub_i32 s11, s18, s11
	s_delay_alu instid0(SALU_CYCLE_1) | instskip(SKIP_2) | instid1(SALU_CYCLE_1)
	s_sub_i32 s15, s11, s10
	s_cmp_ge_u32 s11, s10
	s_cselect_b32 s11, s15, s11
	s_sub_i32 s15, s11, s10
	s_cmp_ge_u32 s11, s10
	s_cselect_b32 s10, s15, s11
	s_mov_b32 s15, 0
	s_sub_i32 s10, s18, s10
	s_mov_b32 s11, exec_lo
	v_cmpx_gt_i32_e64 s10, v9
	s_cbranch_execz .LBB405_31
; %bb.28:
	v_mov_b32_e32 v1, v0
	s_set_inst_prefetch_distance 0x1
	.p2align	6
.LBB405_29:                             ; =>This Inner Loop Header: Depth=1
	s_delay_alu instid0(VALU_DEP_1) | instskip(NEXT) | instid1(VALU_DEP_1)
	v_ashrrev_i32_e32 v2, 31, v1
	v_lshlrev_b64 v[14:15], 4, v[1:2]
	v_add_nc_u32_e32 v1, v1, v13
	s_delay_alu instid0(VALU_DEP_2) | instskip(NEXT) | instid1(VALU_DEP_3)
	v_add_co_u32 v14, vcc_lo, s4, v14
	v_add_co_ci_u32_e32 v15, vcc_lo, s5, v15, vcc_lo
	global_load_b128 v[14:17], v[14:15], off
	s_waitcnt vmcnt(0)
	v_sub_f32_e32 v9, v15, v8
	v_sub_f32_e32 v2, v14, v8
	;; [unrolled: 1-line block ×3, first 2 shown]
	s_delay_alu instid0(VALU_DEP_3) | instskip(NEXT) | instid1(VALU_DEP_2)
	v_dual_sub_f32 v14, v16, v8 :: v_dual_mul_f32 v9, 0x3fb8aa3b, v9
	v_dual_mul_f32 v2, 0x3fb8aa3b, v2 :: v_dual_mul_f32 v15, 0x3fb8aa3b, v15
	s_delay_alu instid0(VALU_DEP_2) | instskip(NEXT) | instid1(VALU_DEP_3)
	v_mul_f32_e32 v14, 0x3fb8aa3b, v14
	v_exp_f32_e32 v9, v9
	s_delay_alu instid0(VALU_DEP_2) | instskip(NEXT) | instid1(VALU_DEP_1)
	v_exp_f32_e32 v2, v2
	v_exp_f32_e32 v14, v14
	s_waitcnt_depctr 0xfff
	v_add_f32_e32 v2, v12, v2
	v_exp_f32_e32 v12, v15
	s_delay_alu instid0(VALU_DEP_1) | instskip(NEXT) | instid1(VALU_DEP_1)
	v_add_f32_e32 v2, v2, v9
	v_dual_add_f32 v2, v2, v14 :: v_dual_lshlrev_b32 v9, 2, v1
	s_delay_alu instid0(VALU_DEP_1) | instskip(SKIP_3) | instid1(SALU_CYCLE_1)
	v_cmp_le_i32_e32 vcc_lo, s10, v9
	s_waitcnt_depctr 0xfff
	v_add_f32_e32 v12, v2, v12
	s_or_b32 s15, vcc_lo, s15
	s_and_not1_b32 exec_lo, exec_lo, s15
	s_cbranch_execnz .LBB405_29
; %bb.30:
	s_set_inst_prefetch_distance 0x2
	s_or_b32 exec_lo, exec_lo, s15
.LBB405_31:
	s_delay_alu instid0(SALU_CYCLE_1) | instskip(SKIP_2) | instid1(VALU_DEP_1)
	s_or_b32 exec_lo, exec_lo, s11
	v_add_nc_u32_e32 v1, s10, v0
	s_mov_b32 s10, exec_lo
	v_cmpx_gt_i32_e64 s18, v1
	s_cbranch_execz .LBB405_35
; %bb.32:
	s_mov_b32 s11, 0
	.p2align	6
.LBB405_33:                             ; =>This Inner Loop Header: Depth=1
	v_ashrrev_i32_e32 v2, 31, v1
	s_waitcnt_depctr 0xfff
	v_lshlrev_b64 v[14:15], 2, v[1:2]
	v_add_nc_u32_e32 v1, v1, v13
	s_delay_alu instid0(VALU_DEP_2) | instskip(NEXT) | instid1(VALU_DEP_3)
	v_add_co_u32 v14, vcc_lo, s4, v14
	v_add_co_ci_u32_e32 v15, vcc_lo, s5, v15, vcc_lo
	s_delay_alu instid0(VALU_DEP_3) | instskip(SKIP_4) | instid1(VALU_DEP_1)
	v_cmp_le_i32_e32 vcc_lo, s18, v1
	global_load_b32 v2, v[14:15], off
	s_or_b32 s11, vcc_lo, s11
	s_waitcnt vmcnt(0)
	v_sub_f32_e32 v2, v2, v8
	v_mul_f32_e32 v2, 0x3fb8aa3b, v2
	s_delay_alu instid0(VALU_DEP_1)
	v_exp_f32_e32 v2, v2
	s_waitcnt_depctr 0xfff
	v_add_f32_e32 v12, v12, v2
	s_and_not1_b32 exec_lo, exec_lo, s11
	s_cbranch_execnz .LBB405_33
; %bb.34:
	s_or_b32 exec_lo, exec_lo, s11
.LBB405_35:
	s_delay_alu instid0(SALU_CYCLE_1)
	s_or_b32 exec_lo, exec_lo, s10
	ds_bpermute_b32 v1, v3, v12
	s_waitcnt lgkmcnt(0)
	s_barrier
	buffer_gl0_inv
	v_add_f32_e32 v1, v12, v1
	ds_bpermute_b32 v2, v4, v1
	s_waitcnt lgkmcnt(0)
	v_add_f32_e32 v1, v1, v2
	ds_bpermute_b32 v2, v5, v1
	s_waitcnt lgkmcnt(0)
	v_add_f32_e32 v1, v1, v2
	ds_bpermute_b32 v2, v6, v1
	s_waitcnt lgkmcnt(0)
	v_add_f32_e32 v1, v1, v2
	ds_bpermute_b32 v2, v7, v1
	s_and_saveexec_b32 s4, s2
	s_cbranch_execz .LBB405_37
; %bb.36:
	v_add_nc_u32_e32 v9, 0, v10
	s_waitcnt lgkmcnt(0)
	v_add_f32_e32 v1, v1, v2
	ds_store_b32 v9, v1
.LBB405_37:
	s_or_b32 exec_lo, exec_lo, s4
	v_mov_b32_e32 v1, 0
	s_waitcnt lgkmcnt(0)
	s_barrier
	buffer_gl0_inv
	s_and_saveexec_b32 s2, s0
	s_cbranch_execnz .LBB405_45
; %bb.38:
	s_or_b32 exec_lo, exec_lo, s2
	s_and_saveexec_b32 s0, s1
	s_cbranch_execnz .LBB405_46
.LBB405_39:
	s_or_b32 exec_lo, exec_lo, s0
	s_and_saveexec_b32 s0, s3
	s_cbranch_execz .LBB405_41
.LBB405_40:
	s_waitcnt lgkmcnt(0)
	v_div_scale_f32 v2, null, v1, v1, 1.0
	v_div_scale_f32 v5, vcc_lo, 1.0, v1, 1.0
	s_delay_alu instid0(VALU_DEP_2) | instskip(SKIP_2) | instid1(VALU_DEP_1)
	v_rcp_f32_e32 v3, v2
	s_waitcnt_depctr 0xfff
	v_fma_f32 v4, -v2, v3, 1.0
	v_fmac_f32_e32 v3, v4, v3
	s_delay_alu instid0(VALU_DEP_1) | instskip(NEXT) | instid1(VALU_DEP_1)
	v_mul_f32_e32 v4, v5, v3
	v_fma_f32 v6, -v2, v4, v5
	s_delay_alu instid0(VALU_DEP_1) | instskip(NEXT) | instid1(VALU_DEP_1)
	v_fmac_f32_e32 v4, v6, v3
	v_fma_f32 v2, -v2, v4, v5
	s_delay_alu instid0(VALU_DEP_1) | instskip(NEXT) | instid1(VALU_DEP_1)
	v_div_fmas_f32 v2, v2, v3, v4
	v_div_fixup_f32 v1, v2, v1, 1.0
	v_mov_b32_e32 v2, 0
	ds_store_b32 v2, v1
.LBB405_41:
	s_or_b32 exec_lo, exec_lo, s0
	s_waitcnt lgkmcnt(0)
	s_barrier
	buffer_gl0_inv
	s_mov_b32 s0, exec_lo
	v_cmpx_gt_i32_e64 s14, v0
	s_cbranch_execz .LBB405_44
; %bb.42:
	v_mov_b32_e32 v1, 0
	s_add_u32 s2, s8, s12
	s_mov_b32 s1, 0
	s_addc_u32 s3, s9, s13
	ds_load_b32 v2, v1
	.p2align	6
.LBB405_43:                             ; =>This Inner Loop Header: Depth=1
	v_ashrrev_i32_e32 v1, 31, v0
	s_delay_alu instid0(VALU_DEP_1) | instskip(SKIP_1) | instid1(VALU_DEP_2)
	v_lshlrev_b64 v[3:4], 2, v[0:1]
	v_add_nc_u32_e32 v0, s19, v0
	v_add_co_u32 v5, vcc_lo, s6, v3
	s_delay_alu instid0(VALU_DEP_3) | instskip(SKIP_1) | instid1(VALU_DEP_1)
	v_add_co_ci_u32_e32 v6, vcc_lo, s7, v4, vcc_lo
	v_add_co_u32 v3, s0, s2, v3
	v_add_co_ci_u32_e64 v4, s0, s3, v4, s0
	global_load_b32 v1, v[5:6], off
	v_cmp_le_i32_e32 vcc_lo, s14, v0
	s_or_b32 s1, vcc_lo, s1
	s_waitcnt vmcnt(0)
	v_sub_f32_e32 v1, v1, v8
	s_delay_alu instid0(VALU_DEP_1) | instskip(NEXT) | instid1(VALU_DEP_1)
	v_mul_f32_e32 v1, 0x3fb8aa3b, v1
	v_exp_f32_e32 v1, v1
	s_waitcnt lgkmcnt(0)
	s_waitcnt_depctr 0xfff
	v_mul_f32_e32 v1, v2, v1
	global_store_b32 v[3:4], v1, off
	s_and_not1_b32 exec_lo, exec_lo, s1
	s_cbranch_execnz .LBB405_43
.LBB405_44:
	s_nop 0
	s_sendmsg sendmsg(MSG_DEALLOC_VGPRS)
	s_endpgm
.LBB405_45:
	ds_load_b32 v1, v11
	s_or_b32 exec_lo, exec_lo, s2
	s_and_saveexec_b32 s0, s1
	s_cbranch_execz .LBB405_39
.LBB405_46:
	s_waitcnt lgkmcnt(0)
	ds_bpermute_b32 v2, v3, v1
	s_waitcnt lgkmcnt(0)
	v_add_f32_e32 v1, v1, v2
	ds_bpermute_b32 v2, v4, v1
	s_waitcnt lgkmcnt(0)
	v_add_f32_e32 v1, v1, v2
	;; [unrolled: 3-line block ×5, first 2 shown]
	s_or_b32 exec_lo, exec_lo, s0
	s_and_saveexec_b32 s0, s3
	s_cbranch_execnz .LBB405_40
	s_branch .LBB405_41
	.section	.rodata,"a",@progbits
	.p2align	6, 0x0
	.amdhsa_kernel _ZN2at6native12_GLOBAL__N_123cunn_SoftMaxForwardFastILi4EfffNS1_29SoftMaxForwardWithMulEpilogueEEEvPT2_PKT0_i
		.amdhsa_group_segment_fixed_size 0
		.amdhsa_private_segment_fixed_size 0
		.amdhsa_kernarg_size 280
		.amdhsa_user_sgpr_count 15
		.amdhsa_user_sgpr_dispatch_ptr 0
		.amdhsa_user_sgpr_queue_ptr 0
		.amdhsa_user_sgpr_kernarg_segment_ptr 1
		.amdhsa_user_sgpr_dispatch_id 0
		.amdhsa_user_sgpr_private_segment_size 0
		.amdhsa_wavefront_size32 1
		.amdhsa_uses_dynamic_stack 0
		.amdhsa_enable_private_segment 0
		.amdhsa_system_sgpr_workgroup_id_x 1
		.amdhsa_system_sgpr_workgroup_id_y 0
		.amdhsa_system_sgpr_workgroup_id_z 0
		.amdhsa_system_sgpr_workgroup_info 0
		.amdhsa_system_vgpr_workitem_id 0
		.amdhsa_next_free_vgpr 18
		.amdhsa_next_free_sgpr 20
		.amdhsa_reserve_vcc 1
		.amdhsa_float_round_mode_32 0
		.amdhsa_float_round_mode_16_64 0
		.amdhsa_float_denorm_mode_32 3
		.amdhsa_float_denorm_mode_16_64 3
		.amdhsa_dx10_clamp 1
		.amdhsa_ieee_mode 1
		.amdhsa_fp16_overflow 0
		.amdhsa_workgroup_processor_mode 1
		.amdhsa_memory_ordered 1
		.amdhsa_forward_progress 0
		.amdhsa_shared_vgpr_count 0
		.amdhsa_exception_fp_ieee_invalid_op 0
		.amdhsa_exception_fp_denorm_src 0
		.amdhsa_exception_fp_ieee_div_zero 0
		.amdhsa_exception_fp_ieee_overflow 0
		.amdhsa_exception_fp_ieee_underflow 0
		.amdhsa_exception_fp_ieee_inexact 0
		.amdhsa_exception_int_div_zero 0
	.end_amdhsa_kernel
	.section	.text._ZN2at6native12_GLOBAL__N_123cunn_SoftMaxForwardFastILi4EfffNS1_29SoftMaxForwardWithMulEpilogueEEEvPT2_PKT0_i,"axG",@progbits,_ZN2at6native12_GLOBAL__N_123cunn_SoftMaxForwardFastILi4EfffNS1_29SoftMaxForwardWithMulEpilogueEEEvPT2_PKT0_i,comdat
.Lfunc_end405:
	.size	_ZN2at6native12_GLOBAL__N_123cunn_SoftMaxForwardFastILi4EfffNS1_29SoftMaxForwardWithMulEpilogueEEEvPT2_PKT0_i, .Lfunc_end405-_ZN2at6native12_GLOBAL__N_123cunn_SoftMaxForwardFastILi4EfffNS1_29SoftMaxForwardWithMulEpilogueEEEvPT2_PKT0_i
                                        ; -- End function
	.section	.AMDGPU.csdata,"",@progbits
; Kernel info:
; codeLenInByte = 2568
; NumSgprs: 22
; NumVgprs: 18
; ScratchSize: 0
; MemoryBound: 0
; FloatMode: 240
; IeeeMode: 1
; LDSByteSize: 0 bytes/workgroup (compile time only)
; SGPRBlocks: 2
; VGPRBlocks: 2
; NumSGPRsForWavesPerEU: 22
; NumVGPRsForWavesPerEU: 18
; Occupancy: 16
; WaveLimiterHint : 0
; COMPUTE_PGM_RSRC2:SCRATCH_EN: 0
; COMPUTE_PGM_RSRC2:USER_SGPR: 15
; COMPUTE_PGM_RSRC2:TRAP_HANDLER: 0
; COMPUTE_PGM_RSRC2:TGID_X_EN: 1
; COMPUTE_PGM_RSRC2:TGID_Y_EN: 0
; COMPUTE_PGM_RSRC2:TGID_Z_EN: 0
; COMPUTE_PGM_RSRC2:TIDIG_COMP_CNT: 0
	.section	.text._ZN12_GLOBAL__N_120softmax_warp_forwardIN3c104HalfES2_fLi0ELb0ELb0ELi64EEEvPT0_PKT_iiiPKbib,"axG",@progbits,_ZN12_GLOBAL__N_120softmax_warp_forwardIN3c104HalfES2_fLi0ELb0ELb0ELi64EEEvPT0_PKT_iiiPKbib,comdat
	.globl	_ZN12_GLOBAL__N_120softmax_warp_forwardIN3c104HalfES2_fLi0ELb0ELb0ELi64EEEvPT0_PKT_iiiPKbib ; -- Begin function _ZN12_GLOBAL__N_120softmax_warp_forwardIN3c104HalfES2_fLi0ELb0ELb0ELi64EEEvPT0_PKT_iiiPKbib
	.p2align	8
	.type	_ZN12_GLOBAL__N_120softmax_warp_forwardIN3c104HalfES2_fLi0ELb0ELb0ELi64EEEvPT0_PKT_iiiPKbib,@function
_ZN12_GLOBAL__N_120softmax_warp_forwardIN3c104HalfES2_fLi0ELb0ELb0ELi64EEEvPT0_PKT_iiiPKbib: ; @_ZN12_GLOBAL__N_120softmax_warp_forwardIN3c104HalfES2_fLi0ELb0ELb0ELi64EEEvPT0_PKT_iiiPKbib
; %bb.0:
	s_clause 0x1
	s_load_b32 s2, s[0:1], 0x3c
	s_load_b256 s[4:11], s[0:1], 0x0
	v_bfe_u32 v1, v0, 10, 10
	v_and_b32_e32 v2, 0x3ff, v0
	v_dual_mov_b32 v5, 0xff800000 :: v_dual_mov_b32 v6, 0xff800000
	s_waitcnt lgkmcnt(0)
	s_lshr_b32 s0, s2, 16
	s_delay_alu instid0(SALU_CYCLE_1) | instskip(SKIP_2) | instid1(VALU_DEP_1)
	s_mul_i32 s15, s15, s0
	v_cmp_gt_i32_e64 s0, s10, v2
	v_add_lshl_u32 v3, s15, v1, 1
	v_mad_u64_u32 v[0:1], null, v3, s9, v[2:3]
	v_sub_nc_u32_e32 v4, s8, v3
	s_delay_alu instid0(VALU_DEP_1) | instskip(NEXT) | instid1(VALU_DEP_3)
	v_cmp_lt_i32_e32 vcc_lo, 0, v4
	v_ashrrev_i32_e32 v1, 31, v0
	s_and_b32 s2, s0, vcc_lo
	s_delay_alu instid0(VALU_DEP_1) | instskip(NEXT) | instid1(VALU_DEP_1)
	v_lshlrev_b64 v[0:1], 1, v[0:1]
	v_add_co_u32 v2, s1, s6, v0
	s_delay_alu instid0(VALU_DEP_1)
	v_add_co_ci_u32_e64 v3, s1, s7, v1, s1
	s_and_saveexec_b32 s1, s2
	s_cbranch_execz .LBB406_2
; %bb.1:
	global_load_u16 v6, v[2:3], off
	s_waitcnt vmcnt(0)
	v_cvt_f32_f16_e32 v6, v6
.LBB406_2:
	s_or_b32 exec_lo, exec_lo, s1
	v_cmp_lt_i32_e64 s1, 1, v4
	s_delay_alu instid0(VALU_DEP_1) | instskip(NEXT) | instid1(SALU_CYCLE_1)
	s_and_b32 s1, s0, s1
	s_and_saveexec_b32 s2, s1
	s_cbranch_execz .LBB406_4
; %bb.3:
	s_mov_b32 s11, 0
	s_delay_alu instid0(SALU_CYCLE_1) | instskip(NEXT) | instid1(SALU_CYCLE_1)
	s_lshl_b64 s[6:7], s[10:11], 1
	v_add_co_u32 v2, s1, v2, s6
	s_delay_alu instid0(VALU_DEP_1)
	v_add_co_ci_u32_e64 v3, s1, s7, v3, s1
	global_load_u16 v2, v[2:3], off
	s_waitcnt vmcnt(0)
	v_cvt_f32_f16_e32 v5, v2
.LBB406_4:
	s_or_b32 exec_lo, exec_lo, s2
	s_and_saveexec_b32 s1, vcc_lo
	s_cbranch_execz .LBB406_16
; %bb.5:
	v_add_co_u32 v0, vcc_lo, s4, v0
	v_add_co_ci_u32_e32 v1, vcc_lo, s5, v1, vcc_lo
	s_and_saveexec_b32 s1, s0
	s_cbranch_execz .LBB406_10
; %bb.6:
	v_sub_f32_e32 v2, v6, v6
	s_mov_b32 s2, exec_lo
	s_delay_alu instid0(VALU_DEP_1) | instskip(NEXT) | instid1(VALU_DEP_1)
	v_mul_f32_e32 v3, 0x3fb8aa3b, v2
	v_rndne_f32_e32 v6, v3
	v_fma_f32 v7, 0x3fb8aa3b, v2, -v3
	s_delay_alu instid0(VALU_DEP_2) | instskip(NEXT) | instid1(VALU_DEP_2)
	v_sub_f32_e32 v3, v3, v6
	v_fmamk_f32 v7, v2, 0x32a5705f, v7
	v_cvt_i32_f32_e32 v6, v6
	s_delay_alu instid0(VALU_DEP_2) | instskip(SKIP_1) | instid1(VALU_DEP_2)
	v_add_f32_e32 v3, v3, v7
	v_cmp_ngt_f32_e32 vcc_lo, 0xc2ce8ed0, v2
	v_exp_f32_e32 v3, v3
	s_waitcnt_depctr 0xfff
	v_ldexp_f32 v3, v3, v6
	s_delay_alu instid0(VALU_DEP_1) | instskip(SKIP_1) | instid1(VALU_DEP_2)
	v_cndmask_b32_e32 v3, 0, v3, vcc_lo
	v_cmp_nlt_f32_e32 vcc_lo, 0x42b17218, v2
	v_cndmask_b32_e32 v2, 0x7f800000, v3, vcc_lo
	s_delay_alu instid0(VALU_DEP_1)
	v_cmpx_neq_f32_e32 0, v2
	s_xor_b32 s2, exec_lo, s2
	s_cbranch_execz .LBB406_8
; %bb.7:
	v_div_scale_f32 v3, vcc_lo, v2, v2, v2
	s_delay_alu instid0(VALU_DEP_1) | instskip(SKIP_2) | instid1(VALU_DEP_1)
	v_rcp_f32_e32 v6, v3
	s_waitcnt_depctr 0xfff
	v_fma_f32 v7, -v3, v6, 1.0
	v_fmac_f32_e32 v6, v7, v6
	s_delay_alu instid0(VALU_DEP_1) | instskip(NEXT) | instid1(VALU_DEP_1)
	v_mul_f32_e32 v7, v3, v6
	v_fma_f32 v8, -v3, v7, v3
	s_delay_alu instid0(VALU_DEP_1) | instskip(NEXT) | instid1(VALU_DEP_1)
	v_fmac_f32_e32 v7, v8, v6
	v_fma_f32 v3, -v3, v7, v3
	s_delay_alu instid0(VALU_DEP_1) | instskip(NEXT) | instid1(VALU_DEP_1)
	v_div_fmas_f32 v3, v3, v6, v7
	v_div_fixup_f32 v2, v3, v2, v2
	s_delay_alu instid0(VALU_DEP_1)
	v_cvt_f16_f32_e32 v2, v2
	global_store_b16 v[0:1], v2, off
.LBB406_8:
	s_and_not1_saveexec_b32 s2, s2
	s_cbranch_execz .LBB406_10
; %bb.9:
	v_mov_b32_e32 v2, 0x7e00
	global_store_b16 v[0:1], v2, off
.LBB406_10:
	s_or_b32 exec_lo, exec_lo, s1
	v_cmp_ne_u32_e32 vcc_lo, 1, v4
	s_and_b32 exec_lo, exec_lo, vcc_lo
	s_cbranch_execz .LBB406_16
; %bb.11:
	s_and_b32 exec_lo, exec_lo, s0
	s_cbranch_execz .LBB406_16
; %bb.12:
	v_sub_f32_e32 v2, v5, v5
	s_mov_b32 s11, 0
	s_delay_alu instid0(SALU_CYCLE_1) | instskip(NEXT) | instid1(SALU_CYCLE_1)
	s_lshl_b64 s[0:1], s[10:11], 1
	v_add_co_u32 v0, s0, v0, s0
	s_delay_alu instid0(VALU_DEP_2) | instskip(SKIP_2) | instid1(VALU_DEP_2)
	v_mul_f32_e32 v3, 0x3fb8aa3b, v2
	v_add_co_ci_u32_e64 v1, s0, s1, v1, s0
	s_mov_b32 s0, exec_lo
	v_rndne_f32_e32 v4, v3
	v_fma_f32 v5, 0x3fb8aa3b, v2, -v3
	s_delay_alu instid0(VALU_DEP_2) | instskip(NEXT) | instid1(VALU_DEP_2)
	v_sub_f32_e32 v3, v3, v4
	v_fmamk_f32 v5, v2, 0x32a5705f, v5
	v_cvt_i32_f32_e32 v4, v4
	v_cmp_ngt_f32_e32 vcc_lo, 0xc2ce8ed0, v2
	s_delay_alu instid0(VALU_DEP_3) | instskip(NEXT) | instid1(VALU_DEP_1)
	v_add_f32_e32 v3, v3, v5
	v_exp_f32_e32 v3, v3
	s_waitcnt_depctr 0xfff
	v_ldexp_f32 v3, v3, v4
	s_delay_alu instid0(VALU_DEP_1) | instskip(SKIP_1) | instid1(VALU_DEP_2)
	v_cndmask_b32_e32 v3, 0, v3, vcc_lo
	v_cmp_nlt_f32_e32 vcc_lo, 0x42b17218, v2
	v_cndmask_b32_e32 v2, 0x7f800000, v3, vcc_lo
	s_delay_alu instid0(VALU_DEP_1)
	v_cmpx_neq_f32_e32 0, v2
	s_xor_b32 s0, exec_lo, s0
	s_cbranch_execz .LBB406_14
; %bb.13:
	v_div_scale_f32 v3, vcc_lo, v2, v2, v2
	s_delay_alu instid0(VALU_DEP_1) | instskip(SKIP_2) | instid1(VALU_DEP_1)
	v_rcp_f32_e32 v4, v3
	s_waitcnt_depctr 0xfff
	v_fma_f32 v5, -v3, v4, 1.0
	v_fmac_f32_e32 v4, v5, v4
	s_delay_alu instid0(VALU_DEP_1) | instskip(NEXT) | instid1(VALU_DEP_1)
	v_mul_f32_e32 v5, v3, v4
	v_fma_f32 v6, -v3, v5, v3
	s_delay_alu instid0(VALU_DEP_1) | instskip(NEXT) | instid1(VALU_DEP_1)
	v_fmac_f32_e32 v5, v6, v4
	v_fma_f32 v3, -v3, v5, v3
	s_delay_alu instid0(VALU_DEP_1) | instskip(NEXT) | instid1(VALU_DEP_1)
	v_div_fmas_f32 v3, v3, v4, v5
	v_div_fixup_f32 v2, v3, v2, v2
	s_delay_alu instid0(VALU_DEP_1)
	v_cvt_f16_f32_e32 v2, v2
	global_store_b16 v[0:1], v2, off
                                        ; implicit-def: $vgpr0_vgpr1
.LBB406_14:
	s_and_not1_saveexec_b32 s0, s0
	s_cbranch_execz .LBB406_16
; %bb.15:
	v_mov_b32_e32 v2, 0x7e00
	global_store_b16 v[0:1], v2, off
.LBB406_16:
	s_nop 0
	s_sendmsg sendmsg(MSG_DEALLOC_VGPRS)
	s_endpgm
	.section	.rodata,"a",@progbits
	.p2align	6, 0x0
	.amdhsa_kernel _ZN12_GLOBAL__N_120softmax_warp_forwardIN3c104HalfES2_fLi0ELb0ELb0ELi64EEEvPT0_PKT_iiiPKbib
		.amdhsa_group_segment_fixed_size 0
		.amdhsa_private_segment_fixed_size 0
		.amdhsa_kernarg_size 304
		.amdhsa_user_sgpr_count 15
		.amdhsa_user_sgpr_dispatch_ptr 0
		.amdhsa_user_sgpr_queue_ptr 0
		.amdhsa_user_sgpr_kernarg_segment_ptr 1
		.amdhsa_user_sgpr_dispatch_id 0
		.amdhsa_user_sgpr_private_segment_size 0
		.amdhsa_wavefront_size32 1
		.amdhsa_uses_dynamic_stack 0
		.amdhsa_enable_private_segment 0
		.amdhsa_system_sgpr_workgroup_id_x 1
		.amdhsa_system_sgpr_workgroup_id_y 0
		.amdhsa_system_sgpr_workgroup_id_z 0
		.amdhsa_system_sgpr_workgroup_info 0
		.amdhsa_system_vgpr_workitem_id 1
		.amdhsa_next_free_vgpr 9
		.amdhsa_next_free_sgpr 16
		.amdhsa_reserve_vcc 1
		.amdhsa_float_round_mode_32 0
		.amdhsa_float_round_mode_16_64 0
		.amdhsa_float_denorm_mode_32 3
		.amdhsa_float_denorm_mode_16_64 3
		.amdhsa_dx10_clamp 1
		.amdhsa_ieee_mode 1
		.amdhsa_fp16_overflow 0
		.amdhsa_workgroup_processor_mode 1
		.amdhsa_memory_ordered 1
		.amdhsa_forward_progress 0
		.amdhsa_shared_vgpr_count 0
		.amdhsa_exception_fp_ieee_invalid_op 0
		.amdhsa_exception_fp_denorm_src 0
		.amdhsa_exception_fp_ieee_div_zero 0
		.amdhsa_exception_fp_ieee_overflow 0
		.amdhsa_exception_fp_ieee_underflow 0
		.amdhsa_exception_fp_ieee_inexact 0
		.amdhsa_exception_int_div_zero 0
	.end_amdhsa_kernel
	.section	.text._ZN12_GLOBAL__N_120softmax_warp_forwardIN3c104HalfES2_fLi0ELb0ELb0ELi64EEEvPT0_PKT_iiiPKbib,"axG",@progbits,_ZN12_GLOBAL__N_120softmax_warp_forwardIN3c104HalfES2_fLi0ELb0ELb0ELi64EEEvPT0_PKT_iiiPKbib,comdat
.Lfunc_end406:
	.size	_ZN12_GLOBAL__N_120softmax_warp_forwardIN3c104HalfES2_fLi0ELb0ELb0ELi64EEEvPT0_PKT_iiiPKbib, .Lfunc_end406-_ZN12_GLOBAL__N_120softmax_warp_forwardIN3c104HalfES2_fLi0ELb0ELb0ELi64EEEvPT0_PKT_iiiPKbib
                                        ; -- End function
	.section	.AMDGPU.csdata,"",@progbits
; Kernel info:
; codeLenInByte = 840
; NumSgprs: 18
; NumVgprs: 9
; ScratchSize: 0
; MemoryBound: 0
; FloatMode: 240
; IeeeMode: 1
; LDSByteSize: 0 bytes/workgroup (compile time only)
; SGPRBlocks: 2
; VGPRBlocks: 1
; NumSGPRsForWavesPerEU: 18
; NumVGPRsForWavesPerEU: 9
; Occupancy: 16
; WaveLimiterHint : 0
; COMPUTE_PGM_RSRC2:SCRATCH_EN: 0
; COMPUTE_PGM_RSRC2:USER_SGPR: 15
; COMPUTE_PGM_RSRC2:TRAP_HANDLER: 0
; COMPUTE_PGM_RSRC2:TGID_X_EN: 1
; COMPUTE_PGM_RSRC2:TGID_Y_EN: 0
; COMPUTE_PGM_RSRC2:TGID_Z_EN: 0
; COMPUTE_PGM_RSRC2:TIDIG_COMP_CNT: 1
	.section	.text._ZN12_GLOBAL__N_120softmax_warp_forwardIN3c104HalfES2_fLi0ELb0ELb0ELi32EEEvPT0_PKT_iiiPKbib,"axG",@progbits,_ZN12_GLOBAL__N_120softmax_warp_forwardIN3c104HalfES2_fLi0ELb0ELb0ELi32EEEvPT0_PKT_iiiPKbib,comdat
	.globl	_ZN12_GLOBAL__N_120softmax_warp_forwardIN3c104HalfES2_fLi0ELb0ELb0ELi32EEEvPT0_PKT_iiiPKbib ; -- Begin function _ZN12_GLOBAL__N_120softmax_warp_forwardIN3c104HalfES2_fLi0ELb0ELb0ELi32EEEvPT0_PKT_iiiPKbib
	.p2align	8
	.type	_ZN12_GLOBAL__N_120softmax_warp_forwardIN3c104HalfES2_fLi0ELb0ELb0ELi32EEEvPT0_PKT_iiiPKbib,@function
_ZN12_GLOBAL__N_120softmax_warp_forwardIN3c104HalfES2_fLi0ELb0ELb0ELi32EEEvPT0_PKT_iiiPKbib: ; @_ZN12_GLOBAL__N_120softmax_warp_forwardIN3c104HalfES2_fLi0ELb0ELb0ELi32EEEvPT0_PKT_iiiPKbib
; %bb.0:
	s_clause 0x1
	s_load_b32 s2, s[0:1], 0x3c
	s_load_b256 s[4:11], s[0:1], 0x0
	v_bfe_u32 v1, v0, 10, 10
	v_and_b32_e32 v2, 0x3ff, v0
	v_dual_mov_b32 v5, 0xff800000 :: v_dual_mov_b32 v6, 0xff800000
	s_waitcnt lgkmcnt(0)
	s_lshr_b32 s0, s2, 16
	s_delay_alu instid0(SALU_CYCLE_1) | instskip(SKIP_2) | instid1(VALU_DEP_1)
	s_mul_i32 s15, s15, s0
	v_cmp_gt_i32_e64 s0, s10, v2
	v_add_lshl_u32 v3, s15, v1, 1
	v_mad_u64_u32 v[0:1], null, v3, s9, v[2:3]
	v_sub_nc_u32_e32 v4, s8, v3
	s_delay_alu instid0(VALU_DEP_1) | instskip(NEXT) | instid1(VALU_DEP_3)
	v_cmp_lt_i32_e32 vcc_lo, 0, v4
	v_ashrrev_i32_e32 v1, 31, v0
	s_and_b32 s2, s0, vcc_lo
	s_delay_alu instid0(VALU_DEP_1) | instskip(NEXT) | instid1(VALU_DEP_1)
	v_lshlrev_b64 v[0:1], 1, v[0:1]
	v_add_co_u32 v2, s1, s6, v0
	s_delay_alu instid0(VALU_DEP_1)
	v_add_co_ci_u32_e64 v3, s1, s7, v1, s1
	s_and_saveexec_b32 s1, s2
	s_cbranch_execz .LBB407_2
; %bb.1:
	global_load_u16 v6, v[2:3], off
	s_waitcnt vmcnt(0)
	v_cvt_f32_f16_e32 v6, v6
.LBB407_2:
	s_or_b32 exec_lo, exec_lo, s1
	v_cmp_lt_i32_e64 s1, 1, v4
	s_delay_alu instid0(VALU_DEP_1) | instskip(NEXT) | instid1(SALU_CYCLE_1)
	s_and_b32 s1, s0, s1
	s_and_saveexec_b32 s2, s1
	s_cbranch_execz .LBB407_4
; %bb.3:
	s_mov_b32 s11, 0
	s_delay_alu instid0(SALU_CYCLE_1) | instskip(NEXT) | instid1(SALU_CYCLE_1)
	s_lshl_b64 s[6:7], s[10:11], 1
	v_add_co_u32 v2, s1, v2, s6
	s_delay_alu instid0(VALU_DEP_1)
	v_add_co_ci_u32_e64 v3, s1, s7, v3, s1
	global_load_u16 v2, v[2:3], off
	s_waitcnt vmcnt(0)
	v_cvt_f32_f16_e32 v5, v2
.LBB407_4:
	s_or_b32 exec_lo, exec_lo, s2
	s_and_saveexec_b32 s1, vcc_lo
	s_cbranch_execz .LBB407_16
; %bb.5:
	v_add_co_u32 v0, vcc_lo, s4, v0
	v_add_co_ci_u32_e32 v1, vcc_lo, s5, v1, vcc_lo
	s_and_saveexec_b32 s1, s0
	s_cbranch_execz .LBB407_10
; %bb.6:
	v_sub_f32_e32 v2, v6, v6
	s_mov_b32 s2, exec_lo
	s_delay_alu instid0(VALU_DEP_1) | instskip(NEXT) | instid1(VALU_DEP_1)
	v_mul_f32_e32 v3, 0x3fb8aa3b, v2
	v_rndne_f32_e32 v6, v3
	v_fma_f32 v7, 0x3fb8aa3b, v2, -v3
	s_delay_alu instid0(VALU_DEP_2) | instskip(NEXT) | instid1(VALU_DEP_2)
	v_sub_f32_e32 v3, v3, v6
	v_fmamk_f32 v7, v2, 0x32a5705f, v7
	v_cvt_i32_f32_e32 v6, v6
	s_delay_alu instid0(VALU_DEP_2) | instskip(SKIP_1) | instid1(VALU_DEP_2)
	v_add_f32_e32 v3, v3, v7
	v_cmp_ngt_f32_e32 vcc_lo, 0xc2ce8ed0, v2
	v_exp_f32_e32 v3, v3
	s_waitcnt_depctr 0xfff
	v_ldexp_f32 v3, v3, v6
	s_delay_alu instid0(VALU_DEP_1) | instskip(SKIP_1) | instid1(VALU_DEP_2)
	v_cndmask_b32_e32 v3, 0, v3, vcc_lo
	v_cmp_nlt_f32_e32 vcc_lo, 0x42b17218, v2
	v_cndmask_b32_e32 v2, 0x7f800000, v3, vcc_lo
	s_delay_alu instid0(VALU_DEP_1)
	v_cmpx_neq_f32_e32 0, v2
	s_xor_b32 s2, exec_lo, s2
	s_cbranch_execz .LBB407_8
; %bb.7:
	v_div_scale_f32 v3, vcc_lo, v2, v2, v2
	s_delay_alu instid0(VALU_DEP_1) | instskip(SKIP_2) | instid1(VALU_DEP_1)
	v_rcp_f32_e32 v6, v3
	s_waitcnt_depctr 0xfff
	v_fma_f32 v7, -v3, v6, 1.0
	v_fmac_f32_e32 v6, v7, v6
	s_delay_alu instid0(VALU_DEP_1) | instskip(NEXT) | instid1(VALU_DEP_1)
	v_mul_f32_e32 v7, v3, v6
	v_fma_f32 v8, -v3, v7, v3
	s_delay_alu instid0(VALU_DEP_1) | instskip(NEXT) | instid1(VALU_DEP_1)
	v_fmac_f32_e32 v7, v8, v6
	v_fma_f32 v3, -v3, v7, v3
	s_delay_alu instid0(VALU_DEP_1) | instskip(NEXT) | instid1(VALU_DEP_1)
	v_div_fmas_f32 v3, v3, v6, v7
	v_div_fixup_f32 v2, v3, v2, v2
	s_delay_alu instid0(VALU_DEP_1)
	v_cvt_f16_f32_e32 v2, v2
	global_store_b16 v[0:1], v2, off
.LBB407_8:
	s_and_not1_saveexec_b32 s2, s2
	s_cbranch_execz .LBB407_10
; %bb.9:
	v_mov_b32_e32 v2, 0x7e00
	global_store_b16 v[0:1], v2, off
.LBB407_10:
	s_or_b32 exec_lo, exec_lo, s1
	v_cmp_ne_u32_e32 vcc_lo, 1, v4
	s_and_b32 exec_lo, exec_lo, vcc_lo
	s_cbranch_execz .LBB407_16
; %bb.11:
	s_and_b32 exec_lo, exec_lo, s0
	s_cbranch_execz .LBB407_16
; %bb.12:
	v_sub_f32_e32 v2, v5, v5
	s_mov_b32 s11, 0
	s_delay_alu instid0(SALU_CYCLE_1) | instskip(NEXT) | instid1(SALU_CYCLE_1)
	s_lshl_b64 s[0:1], s[10:11], 1
	v_add_co_u32 v0, s0, v0, s0
	s_delay_alu instid0(VALU_DEP_2) | instskip(SKIP_2) | instid1(VALU_DEP_2)
	v_mul_f32_e32 v3, 0x3fb8aa3b, v2
	v_add_co_ci_u32_e64 v1, s0, s1, v1, s0
	s_mov_b32 s0, exec_lo
	v_rndne_f32_e32 v4, v3
	v_fma_f32 v5, 0x3fb8aa3b, v2, -v3
	s_delay_alu instid0(VALU_DEP_2) | instskip(NEXT) | instid1(VALU_DEP_2)
	v_sub_f32_e32 v3, v3, v4
	v_fmamk_f32 v5, v2, 0x32a5705f, v5
	v_cvt_i32_f32_e32 v4, v4
	v_cmp_ngt_f32_e32 vcc_lo, 0xc2ce8ed0, v2
	s_delay_alu instid0(VALU_DEP_3) | instskip(NEXT) | instid1(VALU_DEP_1)
	v_add_f32_e32 v3, v3, v5
	v_exp_f32_e32 v3, v3
	s_waitcnt_depctr 0xfff
	v_ldexp_f32 v3, v3, v4
	s_delay_alu instid0(VALU_DEP_1) | instskip(SKIP_1) | instid1(VALU_DEP_2)
	v_cndmask_b32_e32 v3, 0, v3, vcc_lo
	v_cmp_nlt_f32_e32 vcc_lo, 0x42b17218, v2
	v_cndmask_b32_e32 v2, 0x7f800000, v3, vcc_lo
	s_delay_alu instid0(VALU_DEP_1)
	v_cmpx_neq_f32_e32 0, v2
	s_xor_b32 s0, exec_lo, s0
	s_cbranch_execz .LBB407_14
; %bb.13:
	v_div_scale_f32 v3, vcc_lo, v2, v2, v2
	s_delay_alu instid0(VALU_DEP_1) | instskip(SKIP_2) | instid1(VALU_DEP_1)
	v_rcp_f32_e32 v4, v3
	s_waitcnt_depctr 0xfff
	v_fma_f32 v5, -v3, v4, 1.0
	v_fmac_f32_e32 v4, v5, v4
	s_delay_alu instid0(VALU_DEP_1) | instskip(NEXT) | instid1(VALU_DEP_1)
	v_mul_f32_e32 v5, v3, v4
	v_fma_f32 v6, -v3, v5, v3
	s_delay_alu instid0(VALU_DEP_1) | instskip(NEXT) | instid1(VALU_DEP_1)
	v_fmac_f32_e32 v5, v6, v4
	v_fma_f32 v3, -v3, v5, v3
	s_delay_alu instid0(VALU_DEP_1) | instskip(NEXT) | instid1(VALU_DEP_1)
	v_div_fmas_f32 v3, v3, v4, v5
	v_div_fixup_f32 v2, v3, v2, v2
	s_delay_alu instid0(VALU_DEP_1)
	v_cvt_f16_f32_e32 v2, v2
	global_store_b16 v[0:1], v2, off
                                        ; implicit-def: $vgpr0_vgpr1
.LBB407_14:
	s_and_not1_saveexec_b32 s0, s0
	s_cbranch_execz .LBB407_16
; %bb.15:
	v_mov_b32_e32 v2, 0x7e00
	global_store_b16 v[0:1], v2, off
.LBB407_16:
	s_nop 0
	s_sendmsg sendmsg(MSG_DEALLOC_VGPRS)
	s_endpgm
	.section	.rodata,"a",@progbits
	.p2align	6, 0x0
	.amdhsa_kernel _ZN12_GLOBAL__N_120softmax_warp_forwardIN3c104HalfES2_fLi0ELb0ELb0ELi32EEEvPT0_PKT_iiiPKbib
		.amdhsa_group_segment_fixed_size 0
		.amdhsa_private_segment_fixed_size 0
		.amdhsa_kernarg_size 304
		.amdhsa_user_sgpr_count 15
		.amdhsa_user_sgpr_dispatch_ptr 0
		.amdhsa_user_sgpr_queue_ptr 0
		.amdhsa_user_sgpr_kernarg_segment_ptr 1
		.amdhsa_user_sgpr_dispatch_id 0
		.amdhsa_user_sgpr_private_segment_size 0
		.amdhsa_wavefront_size32 1
		.amdhsa_uses_dynamic_stack 0
		.amdhsa_enable_private_segment 0
		.amdhsa_system_sgpr_workgroup_id_x 1
		.amdhsa_system_sgpr_workgroup_id_y 0
		.amdhsa_system_sgpr_workgroup_id_z 0
		.amdhsa_system_sgpr_workgroup_info 0
		.amdhsa_system_vgpr_workitem_id 1
		.amdhsa_next_free_vgpr 9
		.amdhsa_next_free_sgpr 16
		.amdhsa_reserve_vcc 1
		.amdhsa_float_round_mode_32 0
		.amdhsa_float_round_mode_16_64 0
		.amdhsa_float_denorm_mode_32 3
		.amdhsa_float_denorm_mode_16_64 3
		.amdhsa_dx10_clamp 1
		.amdhsa_ieee_mode 1
		.amdhsa_fp16_overflow 0
		.amdhsa_workgroup_processor_mode 1
		.amdhsa_memory_ordered 1
		.amdhsa_forward_progress 0
		.amdhsa_shared_vgpr_count 0
		.amdhsa_exception_fp_ieee_invalid_op 0
		.amdhsa_exception_fp_denorm_src 0
		.amdhsa_exception_fp_ieee_div_zero 0
		.amdhsa_exception_fp_ieee_overflow 0
		.amdhsa_exception_fp_ieee_underflow 0
		.amdhsa_exception_fp_ieee_inexact 0
		.amdhsa_exception_int_div_zero 0
	.end_amdhsa_kernel
	.section	.text._ZN12_GLOBAL__N_120softmax_warp_forwardIN3c104HalfES2_fLi0ELb0ELb0ELi32EEEvPT0_PKT_iiiPKbib,"axG",@progbits,_ZN12_GLOBAL__N_120softmax_warp_forwardIN3c104HalfES2_fLi0ELb0ELb0ELi32EEEvPT0_PKT_iiiPKbib,comdat
.Lfunc_end407:
	.size	_ZN12_GLOBAL__N_120softmax_warp_forwardIN3c104HalfES2_fLi0ELb0ELb0ELi32EEEvPT0_PKT_iiiPKbib, .Lfunc_end407-_ZN12_GLOBAL__N_120softmax_warp_forwardIN3c104HalfES2_fLi0ELb0ELb0ELi32EEEvPT0_PKT_iiiPKbib
                                        ; -- End function
	.section	.AMDGPU.csdata,"",@progbits
; Kernel info:
; codeLenInByte = 840
; NumSgprs: 18
; NumVgprs: 9
; ScratchSize: 0
; MemoryBound: 0
; FloatMode: 240
; IeeeMode: 1
; LDSByteSize: 0 bytes/workgroup (compile time only)
; SGPRBlocks: 2
; VGPRBlocks: 1
; NumSGPRsForWavesPerEU: 18
; NumVGPRsForWavesPerEU: 9
; Occupancy: 16
; WaveLimiterHint : 0
; COMPUTE_PGM_RSRC2:SCRATCH_EN: 0
; COMPUTE_PGM_RSRC2:USER_SGPR: 15
; COMPUTE_PGM_RSRC2:TRAP_HANDLER: 0
; COMPUTE_PGM_RSRC2:TGID_X_EN: 1
; COMPUTE_PGM_RSRC2:TGID_Y_EN: 0
; COMPUTE_PGM_RSRC2:TGID_Z_EN: 0
; COMPUTE_PGM_RSRC2:TIDIG_COMP_CNT: 1
	.section	.text._ZN12_GLOBAL__N_120softmax_warp_forwardIN3c104HalfES2_fLi1ELb0ELb0ELi64EEEvPT0_PKT_iiiPKbib,"axG",@progbits,_ZN12_GLOBAL__N_120softmax_warp_forwardIN3c104HalfES2_fLi1ELb0ELb0ELi64EEEvPT0_PKT_iiiPKbib,comdat
	.globl	_ZN12_GLOBAL__N_120softmax_warp_forwardIN3c104HalfES2_fLi1ELb0ELb0ELi64EEEvPT0_PKT_iiiPKbib ; -- Begin function _ZN12_GLOBAL__N_120softmax_warp_forwardIN3c104HalfES2_fLi1ELb0ELb0ELi64EEEvPT0_PKT_iiiPKbib
	.p2align	8
	.type	_ZN12_GLOBAL__N_120softmax_warp_forwardIN3c104HalfES2_fLi1ELb0ELb0ELi64EEEvPT0_PKT_iiiPKbib,@function
_ZN12_GLOBAL__N_120softmax_warp_forwardIN3c104HalfES2_fLi1ELb0ELb0ELi64EEEvPT0_PKT_iiiPKbib: ; @_ZN12_GLOBAL__N_120softmax_warp_forwardIN3c104HalfES2_fLi1ELb0ELb0ELi64EEEvPT0_PKT_iiiPKbib
; %bb.0:
	s_clause 0x1
	s_load_b32 s2, s[0:1], 0x3c
	s_load_b256 s[4:11], s[0:1], 0x0
	v_bfe_u32 v1, v0, 10, 10
	v_and_b32_e32 v2, 0x3ff, v0
	v_dual_mov_b32 v5, 0xff800000 :: v_dual_mov_b32 v6, 0xff800000
	s_waitcnt lgkmcnt(0)
	s_lshr_b32 s0, s2, 16
	s_delay_alu instid0(SALU_CYCLE_1) | instskip(SKIP_2) | instid1(VALU_DEP_1)
	s_mul_i32 s15, s15, s0
	v_cmp_gt_i32_e64 s0, s10, v2
	v_add_lshl_u32 v3, s15, v1, 1
	v_mad_u64_u32 v[0:1], null, v3, s9, v[2:3]
	v_sub_nc_u32_e32 v4, s8, v3
	s_delay_alu instid0(VALU_DEP_1) | instskip(NEXT) | instid1(VALU_DEP_3)
	v_cmp_lt_i32_e32 vcc_lo, 0, v4
	v_ashrrev_i32_e32 v1, 31, v0
	s_and_b32 s2, s0, vcc_lo
	s_delay_alu instid0(VALU_DEP_1) | instskip(NEXT) | instid1(VALU_DEP_1)
	v_lshlrev_b64 v[0:1], 1, v[0:1]
	v_add_co_u32 v2, s1, s6, v0
	s_delay_alu instid0(VALU_DEP_1)
	v_add_co_ci_u32_e64 v3, s1, s7, v1, s1
	s_and_saveexec_b32 s1, s2
	s_cbranch_execz .LBB408_2
; %bb.1:
	global_load_u16 v6, v[2:3], off
	s_waitcnt vmcnt(0)
	v_cvt_f32_f16_e32 v6, v6
.LBB408_2:
	s_or_b32 exec_lo, exec_lo, s1
	v_cmp_lt_i32_e64 s1, 1, v4
	s_delay_alu instid0(VALU_DEP_1) | instskip(NEXT) | instid1(SALU_CYCLE_1)
	s_and_b32 s1, s0, s1
	s_and_saveexec_b32 s2, s1
	s_cbranch_execz .LBB408_4
; %bb.3:
	s_mov_b32 s11, 0
	s_delay_alu instid0(SALU_CYCLE_1) | instskip(NEXT) | instid1(SALU_CYCLE_1)
	s_lshl_b64 s[6:7], s[10:11], 1
	v_add_co_u32 v2, s1, v2, s6
	s_delay_alu instid0(VALU_DEP_1)
	v_add_co_ci_u32_e64 v3, s1, s7, v3, s1
	global_load_u16 v2, v[2:3], off
	s_waitcnt vmcnt(0)
	v_cvt_f32_f16_e32 v5, v2
.LBB408_4:
	s_or_b32 exec_lo, exec_lo, s2
	v_mbcnt_lo_u32_b32 v2, -1, 0
	s_delay_alu instid0(VALU_DEP_1) | instskip(SKIP_1) | instid1(VALU_DEP_2)
	v_and_b32_e32 v3, 30, v2
	v_xor_b32_e32 v7, 1, v2
	v_add_nc_u32_e32 v3, 2, v3
	s_delay_alu instid0(VALU_DEP_1) | instskip(NEXT) | instid1(VALU_DEP_1)
	v_cmp_lt_i32_e64 s1, v7, v3
	v_cndmask_b32_e64 v2, v2, v7, s1
	s_delay_alu instid0(VALU_DEP_1) | instskip(SKIP_4) | instid1(VALU_DEP_1)
	v_lshlrev_b32_e32 v3, 2, v2
	ds_bpermute_b32 v2, v3, v6
	ds_bpermute_b32 v7, v3, v5
	s_waitcnt lgkmcnt(1)
	v_cmp_lt_f32_e64 s1, v6, v2
	v_cndmask_b32_e64 v2, v6, v2, s1
	s_waitcnt lgkmcnt(0)
	v_cmp_lt_f32_e64 s1, v5, v7
	s_delay_alu instid0(VALU_DEP_2) | instskip(NEXT) | instid1(VALU_DEP_2)
	v_sub_f32_e32 v2, v6, v2
	v_cndmask_b32_e64 v7, v5, v7, s1
	s_delay_alu instid0(VALU_DEP_2) | instskip(NEXT) | instid1(VALU_DEP_2)
	v_cmp_ngt_f32_e64 s1, 0xc2ce8ed0, v2
	v_dual_sub_f32 v6, v5, v7 :: v_dual_mul_f32 v5, 0x3fb8aa3b, v2
	s_delay_alu instid0(VALU_DEP_1) | instskip(NEXT) | instid1(VALU_DEP_2)
	v_mul_f32_e32 v7, 0x3fb8aa3b, v6
	v_fma_f32 v8, 0x3fb8aa3b, v2, -v5
	v_rndne_f32_e32 v9, v5
	s_delay_alu instid0(VALU_DEP_3) | instskip(SKIP_1) | instid1(VALU_DEP_3)
	v_fma_f32 v10, 0x3fb8aa3b, v6, -v7
	v_rndne_f32_e32 v11, v7
	v_dual_fmac_f32 v8, 0x32a5705f, v2 :: v_dual_sub_f32 v5, v5, v9
	s_delay_alu instid0(VALU_DEP_2) | instskip(NEXT) | instid1(VALU_DEP_2)
	v_dual_fmac_f32 v10, 0x32a5705f, v6 :: v_dual_sub_f32 v7, v7, v11
	v_add_f32_e32 v5, v5, v8
	v_cvt_i32_f32_e32 v8, v9
	v_cvt_i32_f32_e32 v9, v11
	s_delay_alu instid0(VALU_DEP_4) | instskip(NEXT) | instid1(VALU_DEP_4)
	v_add_f32_e32 v7, v7, v10
	v_exp_f32_e32 v5, v5
	s_delay_alu instid0(VALU_DEP_1) | instskip(SKIP_3) | instid1(VALU_DEP_2)
	v_exp_f32_e32 v7, v7
	s_waitcnt_depctr 0xfff
	v_ldexp_f32 v5, v5, v8
	v_ldexp_f32 v7, v7, v9
	v_cndmask_b32_e64 v5, 0, v5, s1
	v_cmp_ngt_f32_e64 s1, 0xc2ce8ed0, v6
	s_delay_alu instid0(VALU_DEP_1) | instskip(SKIP_1) | instid1(VALU_DEP_1)
	v_cndmask_b32_e64 v7, 0, v7, s1
	v_cmp_nlt_f32_e64 s1, 0x42b17218, v2
	v_cndmask_b32_e64 v5, 0x7f800000, v5, s1
	v_cmp_nlt_f32_e64 s1, 0x42b17218, v6
	ds_bpermute_b32 v6, v3, v5
	v_cndmask_b32_e64 v2, 0x7f800000, v7, s1
	ds_bpermute_b32 v3, v3, v2
	s_and_saveexec_b32 s1, vcc_lo
	s_cbranch_execz .LBB408_16
; %bb.5:
	v_add_co_u32 v0, vcc_lo, s4, v0
	v_add_co_ci_u32_e32 v1, vcc_lo, s5, v1, vcc_lo
	s_and_saveexec_b32 s1, s0
	s_cbranch_execz .LBB408_10
; %bb.6:
	s_waitcnt lgkmcnt(1)
	v_add_f32_e32 v6, v5, v6
	s_mov_b32 s2, exec_lo
	s_delay_alu instid0(VALU_DEP_1)
	v_cmpx_neq_f32_e32 0, v6
	s_xor_b32 s2, exec_lo, s2
	s_cbranch_execz .LBB408_8
; %bb.7:
	v_div_scale_f32 v7, null, v6, v6, v5
	s_delay_alu instid0(VALU_DEP_1) | instskip(SKIP_2) | instid1(VALU_DEP_1)
	v_rcp_f32_e32 v8, v7
	s_waitcnt_depctr 0xfff
	v_fma_f32 v9, -v7, v8, 1.0
	v_fmac_f32_e32 v8, v9, v8
	v_div_scale_f32 v9, vcc_lo, v5, v6, v5
	s_delay_alu instid0(VALU_DEP_1) | instskip(NEXT) | instid1(VALU_DEP_1)
	v_mul_f32_e32 v10, v9, v8
	v_fma_f32 v11, -v7, v10, v9
	s_delay_alu instid0(VALU_DEP_1) | instskip(NEXT) | instid1(VALU_DEP_1)
	v_fmac_f32_e32 v10, v11, v8
	v_fma_f32 v7, -v7, v10, v9
	s_delay_alu instid0(VALU_DEP_1) | instskip(NEXT) | instid1(VALU_DEP_1)
	v_div_fmas_f32 v7, v7, v8, v10
	v_div_fixup_f32 v5, v7, v6, v5
	s_delay_alu instid0(VALU_DEP_1)
	v_cvt_f16_f32_e32 v5, v5
	global_store_b16 v[0:1], v5, off
.LBB408_8:
	s_and_not1_saveexec_b32 s2, s2
	s_cbranch_execz .LBB408_10
; %bb.9:
	v_mov_b32_e32 v5, 0x7e00
	global_store_b16 v[0:1], v5, off
.LBB408_10:
	s_or_b32 exec_lo, exec_lo, s1
	v_cmp_ne_u32_e32 vcc_lo, 1, v4
	s_and_b32 exec_lo, exec_lo, vcc_lo
	s_cbranch_execz .LBB408_16
; %bb.11:
	s_and_b32 exec_lo, exec_lo, s0
	s_cbranch_execz .LBB408_16
; %bb.12:
	s_mov_b32 s11, 0
	s_waitcnt lgkmcnt(0)
	v_add_f32_e32 v3, v2, v3
	s_lshl_b64 s[0:1], s[10:11], 1
	s_delay_alu instid0(SALU_CYCLE_1) | instskip(NEXT) | instid1(VALU_DEP_1)
	v_add_co_u32 v0, s0, v0, s0
	v_add_co_ci_u32_e64 v1, s0, s1, v1, s0
	s_mov_b32 s0, exec_lo
	v_cmpx_neq_f32_e32 0, v3
	s_xor_b32 s0, exec_lo, s0
	s_cbranch_execz .LBB408_14
; %bb.13:
	v_div_scale_f32 v4, null, v3, v3, v2
	s_delay_alu instid0(VALU_DEP_1) | instskip(SKIP_2) | instid1(VALU_DEP_1)
	v_rcp_f32_e32 v5, v4
	s_waitcnt_depctr 0xfff
	v_fma_f32 v6, -v4, v5, 1.0
	v_fmac_f32_e32 v5, v6, v5
	v_div_scale_f32 v6, vcc_lo, v2, v3, v2
	s_delay_alu instid0(VALU_DEP_1) | instskip(NEXT) | instid1(VALU_DEP_1)
	v_mul_f32_e32 v7, v6, v5
	v_fma_f32 v8, -v4, v7, v6
	s_delay_alu instid0(VALU_DEP_1) | instskip(NEXT) | instid1(VALU_DEP_1)
	v_fmac_f32_e32 v7, v8, v5
	v_fma_f32 v4, -v4, v7, v6
	s_delay_alu instid0(VALU_DEP_1) | instskip(NEXT) | instid1(VALU_DEP_1)
	v_div_fmas_f32 v4, v4, v5, v7
	v_div_fixup_f32 v2, v4, v3, v2
	s_delay_alu instid0(VALU_DEP_1)
	v_cvt_f16_f32_e32 v2, v2
	global_store_b16 v[0:1], v2, off
                                        ; implicit-def: $vgpr0_vgpr1
.LBB408_14:
	s_and_not1_saveexec_b32 s0, s0
	s_cbranch_execz .LBB408_16
; %bb.15:
	v_mov_b32_e32 v2, 0x7e00
	global_store_b16 v[0:1], v2, off
.LBB408_16:
	s_nop 0
	s_sendmsg sendmsg(MSG_DEALLOC_VGPRS)
	s_endpgm
	.section	.rodata,"a",@progbits
	.p2align	6, 0x0
	.amdhsa_kernel _ZN12_GLOBAL__N_120softmax_warp_forwardIN3c104HalfES2_fLi1ELb0ELb0ELi64EEEvPT0_PKT_iiiPKbib
		.amdhsa_group_segment_fixed_size 0
		.amdhsa_private_segment_fixed_size 0
		.amdhsa_kernarg_size 304
		.amdhsa_user_sgpr_count 15
		.amdhsa_user_sgpr_dispatch_ptr 0
		.amdhsa_user_sgpr_queue_ptr 0
		.amdhsa_user_sgpr_kernarg_segment_ptr 1
		.amdhsa_user_sgpr_dispatch_id 0
		.amdhsa_user_sgpr_private_segment_size 0
		.amdhsa_wavefront_size32 1
		.amdhsa_uses_dynamic_stack 0
		.amdhsa_enable_private_segment 0
		.amdhsa_system_sgpr_workgroup_id_x 1
		.amdhsa_system_sgpr_workgroup_id_y 0
		.amdhsa_system_sgpr_workgroup_id_z 0
		.amdhsa_system_sgpr_workgroup_info 0
		.amdhsa_system_vgpr_workitem_id 1
		.amdhsa_next_free_vgpr 12
		.amdhsa_next_free_sgpr 16
		.amdhsa_reserve_vcc 1
		.amdhsa_float_round_mode_32 0
		.amdhsa_float_round_mode_16_64 0
		.amdhsa_float_denorm_mode_32 3
		.amdhsa_float_denorm_mode_16_64 3
		.amdhsa_dx10_clamp 1
		.amdhsa_ieee_mode 1
		.amdhsa_fp16_overflow 0
		.amdhsa_workgroup_processor_mode 1
		.amdhsa_memory_ordered 1
		.amdhsa_forward_progress 0
		.amdhsa_shared_vgpr_count 0
		.amdhsa_exception_fp_ieee_invalid_op 0
		.amdhsa_exception_fp_denorm_src 0
		.amdhsa_exception_fp_ieee_div_zero 0
		.amdhsa_exception_fp_ieee_overflow 0
		.amdhsa_exception_fp_ieee_underflow 0
		.amdhsa_exception_fp_ieee_inexact 0
		.amdhsa_exception_int_div_zero 0
	.end_amdhsa_kernel
	.section	.text._ZN12_GLOBAL__N_120softmax_warp_forwardIN3c104HalfES2_fLi1ELb0ELb0ELi64EEEvPT0_PKT_iiiPKbib,"axG",@progbits,_ZN12_GLOBAL__N_120softmax_warp_forwardIN3c104HalfES2_fLi1ELb0ELb0ELi64EEEvPT0_PKT_iiiPKbib,comdat
.Lfunc_end408:
	.size	_ZN12_GLOBAL__N_120softmax_warp_forwardIN3c104HalfES2_fLi1ELb0ELb0ELi64EEEvPT0_PKT_iiiPKbib, .Lfunc_end408-_ZN12_GLOBAL__N_120softmax_warp_forwardIN3c104HalfES2_fLi1ELb0ELb0ELi64EEEvPT0_PKT_iiiPKbib
                                        ; -- End function
	.section	.AMDGPU.csdata,"",@progbits
; Kernel info:
; codeLenInByte = 1020
; NumSgprs: 18
; NumVgprs: 12
; ScratchSize: 0
; MemoryBound: 0
; FloatMode: 240
; IeeeMode: 1
; LDSByteSize: 0 bytes/workgroup (compile time only)
; SGPRBlocks: 2
; VGPRBlocks: 1
; NumSGPRsForWavesPerEU: 18
; NumVGPRsForWavesPerEU: 12
; Occupancy: 16
; WaveLimiterHint : 0
; COMPUTE_PGM_RSRC2:SCRATCH_EN: 0
; COMPUTE_PGM_RSRC2:USER_SGPR: 15
; COMPUTE_PGM_RSRC2:TRAP_HANDLER: 0
; COMPUTE_PGM_RSRC2:TGID_X_EN: 1
; COMPUTE_PGM_RSRC2:TGID_Y_EN: 0
; COMPUTE_PGM_RSRC2:TGID_Z_EN: 0
; COMPUTE_PGM_RSRC2:TIDIG_COMP_CNT: 1
	.section	.text._ZN12_GLOBAL__N_120softmax_warp_forwardIN3c104HalfES2_fLi1ELb0ELb0ELi32EEEvPT0_PKT_iiiPKbib,"axG",@progbits,_ZN12_GLOBAL__N_120softmax_warp_forwardIN3c104HalfES2_fLi1ELb0ELb0ELi32EEEvPT0_PKT_iiiPKbib,comdat
	.globl	_ZN12_GLOBAL__N_120softmax_warp_forwardIN3c104HalfES2_fLi1ELb0ELb0ELi32EEEvPT0_PKT_iiiPKbib ; -- Begin function _ZN12_GLOBAL__N_120softmax_warp_forwardIN3c104HalfES2_fLi1ELb0ELb0ELi32EEEvPT0_PKT_iiiPKbib
	.p2align	8
	.type	_ZN12_GLOBAL__N_120softmax_warp_forwardIN3c104HalfES2_fLi1ELb0ELb0ELi32EEEvPT0_PKT_iiiPKbib,@function
_ZN12_GLOBAL__N_120softmax_warp_forwardIN3c104HalfES2_fLi1ELb0ELb0ELi32EEEvPT0_PKT_iiiPKbib: ; @_ZN12_GLOBAL__N_120softmax_warp_forwardIN3c104HalfES2_fLi1ELb0ELb0ELi32EEEvPT0_PKT_iiiPKbib
; %bb.0:
	s_clause 0x1
	s_load_b32 s2, s[0:1], 0x3c
	s_load_b256 s[4:11], s[0:1], 0x0
	v_bfe_u32 v1, v0, 10, 10
	v_and_b32_e32 v2, 0x3ff, v0
	v_dual_mov_b32 v5, 0xff800000 :: v_dual_mov_b32 v6, 0xff800000
	s_waitcnt lgkmcnt(0)
	s_lshr_b32 s0, s2, 16
	s_delay_alu instid0(SALU_CYCLE_1) | instskip(SKIP_2) | instid1(VALU_DEP_1)
	s_mul_i32 s15, s15, s0
	v_cmp_gt_i32_e64 s0, s10, v2
	v_add_lshl_u32 v3, s15, v1, 1
	v_mad_u64_u32 v[0:1], null, v3, s9, v[2:3]
	v_sub_nc_u32_e32 v4, s8, v3
	s_delay_alu instid0(VALU_DEP_1) | instskip(NEXT) | instid1(VALU_DEP_3)
	v_cmp_lt_i32_e32 vcc_lo, 0, v4
	v_ashrrev_i32_e32 v1, 31, v0
	s_and_b32 s2, s0, vcc_lo
	s_delay_alu instid0(VALU_DEP_1) | instskip(NEXT) | instid1(VALU_DEP_1)
	v_lshlrev_b64 v[0:1], 1, v[0:1]
	v_add_co_u32 v2, s1, s6, v0
	s_delay_alu instid0(VALU_DEP_1)
	v_add_co_ci_u32_e64 v3, s1, s7, v1, s1
	s_and_saveexec_b32 s1, s2
	s_cbranch_execz .LBB409_2
; %bb.1:
	global_load_u16 v6, v[2:3], off
	s_waitcnt vmcnt(0)
	v_cvt_f32_f16_e32 v6, v6
.LBB409_2:
	s_or_b32 exec_lo, exec_lo, s1
	v_cmp_lt_i32_e64 s1, 1, v4
	s_delay_alu instid0(VALU_DEP_1) | instskip(NEXT) | instid1(SALU_CYCLE_1)
	s_and_b32 s1, s0, s1
	s_and_saveexec_b32 s2, s1
	s_cbranch_execz .LBB409_4
; %bb.3:
	s_mov_b32 s11, 0
	s_delay_alu instid0(SALU_CYCLE_1) | instskip(NEXT) | instid1(SALU_CYCLE_1)
	s_lshl_b64 s[6:7], s[10:11], 1
	v_add_co_u32 v2, s1, v2, s6
	s_delay_alu instid0(VALU_DEP_1)
	v_add_co_ci_u32_e64 v3, s1, s7, v3, s1
	global_load_u16 v2, v[2:3], off
	s_waitcnt vmcnt(0)
	v_cvt_f32_f16_e32 v5, v2
.LBB409_4:
	s_or_b32 exec_lo, exec_lo, s2
	v_mbcnt_lo_u32_b32 v2, -1, 0
	s_delay_alu instid0(VALU_DEP_1) | instskip(SKIP_1) | instid1(VALU_DEP_2)
	v_and_b32_e32 v3, 30, v2
	v_xor_b32_e32 v7, 1, v2
	v_add_nc_u32_e32 v3, 2, v3
	s_delay_alu instid0(VALU_DEP_1) | instskip(NEXT) | instid1(VALU_DEP_1)
	v_cmp_lt_i32_e64 s1, v7, v3
	v_cndmask_b32_e64 v2, v2, v7, s1
	s_delay_alu instid0(VALU_DEP_1) | instskip(SKIP_4) | instid1(VALU_DEP_1)
	v_lshlrev_b32_e32 v3, 2, v2
	ds_bpermute_b32 v2, v3, v6
	ds_bpermute_b32 v7, v3, v5
	s_waitcnt lgkmcnt(1)
	v_cmp_lt_f32_e64 s1, v6, v2
	v_cndmask_b32_e64 v2, v6, v2, s1
	s_waitcnt lgkmcnt(0)
	v_cmp_lt_f32_e64 s1, v5, v7
	s_delay_alu instid0(VALU_DEP_2) | instskip(NEXT) | instid1(VALU_DEP_2)
	v_sub_f32_e32 v2, v6, v2
	v_cndmask_b32_e64 v7, v5, v7, s1
	s_delay_alu instid0(VALU_DEP_2) | instskip(NEXT) | instid1(VALU_DEP_2)
	v_cmp_ngt_f32_e64 s1, 0xc2ce8ed0, v2
	v_dual_sub_f32 v6, v5, v7 :: v_dual_mul_f32 v5, 0x3fb8aa3b, v2
	s_delay_alu instid0(VALU_DEP_1) | instskip(NEXT) | instid1(VALU_DEP_2)
	v_mul_f32_e32 v7, 0x3fb8aa3b, v6
	v_fma_f32 v8, 0x3fb8aa3b, v2, -v5
	v_rndne_f32_e32 v9, v5
	s_delay_alu instid0(VALU_DEP_3) | instskip(SKIP_1) | instid1(VALU_DEP_3)
	v_fma_f32 v10, 0x3fb8aa3b, v6, -v7
	v_rndne_f32_e32 v11, v7
	v_dual_fmac_f32 v8, 0x32a5705f, v2 :: v_dual_sub_f32 v5, v5, v9
	s_delay_alu instid0(VALU_DEP_2) | instskip(NEXT) | instid1(VALU_DEP_2)
	v_dual_fmac_f32 v10, 0x32a5705f, v6 :: v_dual_sub_f32 v7, v7, v11
	v_add_f32_e32 v5, v5, v8
	v_cvt_i32_f32_e32 v8, v9
	v_cvt_i32_f32_e32 v9, v11
	s_delay_alu instid0(VALU_DEP_4) | instskip(NEXT) | instid1(VALU_DEP_4)
	v_add_f32_e32 v7, v7, v10
	v_exp_f32_e32 v5, v5
	s_delay_alu instid0(VALU_DEP_1) | instskip(SKIP_3) | instid1(VALU_DEP_2)
	v_exp_f32_e32 v7, v7
	s_waitcnt_depctr 0xfff
	v_ldexp_f32 v5, v5, v8
	v_ldexp_f32 v7, v7, v9
	v_cndmask_b32_e64 v5, 0, v5, s1
	v_cmp_ngt_f32_e64 s1, 0xc2ce8ed0, v6
	s_delay_alu instid0(VALU_DEP_1) | instskip(SKIP_1) | instid1(VALU_DEP_1)
	v_cndmask_b32_e64 v7, 0, v7, s1
	v_cmp_nlt_f32_e64 s1, 0x42b17218, v2
	v_cndmask_b32_e64 v5, 0x7f800000, v5, s1
	v_cmp_nlt_f32_e64 s1, 0x42b17218, v6
	ds_bpermute_b32 v6, v3, v5
	v_cndmask_b32_e64 v2, 0x7f800000, v7, s1
	ds_bpermute_b32 v3, v3, v2
	s_and_saveexec_b32 s1, vcc_lo
	s_cbranch_execz .LBB409_16
; %bb.5:
	v_add_co_u32 v0, vcc_lo, s4, v0
	v_add_co_ci_u32_e32 v1, vcc_lo, s5, v1, vcc_lo
	s_and_saveexec_b32 s1, s0
	s_cbranch_execz .LBB409_10
; %bb.6:
	s_waitcnt lgkmcnt(1)
	v_add_f32_e32 v6, v5, v6
	s_mov_b32 s2, exec_lo
	s_delay_alu instid0(VALU_DEP_1)
	v_cmpx_neq_f32_e32 0, v6
	s_xor_b32 s2, exec_lo, s2
	s_cbranch_execz .LBB409_8
; %bb.7:
	v_div_scale_f32 v7, null, v6, v6, v5
	s_delay_alu instid0(VALU_DEP_1) | instskip(SKIP_2) | instid1(VALU_DEP_1)
	v_rcp_f32_e32 v8, v7
	s_waitcnt_depctr 0xfff
	v_fma_f32 v9, -v7, v8, 1.0
	v_fmac_f32_e32 v8, v9, v8
	v_div_scale_f32 v9, vcc_lo, v5, v6, v5
	s_delay_alu instid0(VALU_DEP_1) | instskip(NEXT) | instid1(VALU_DEP_1)
	v_mul_f32_e32 v10, v9, v8
	v_fma_f32 v11, -v7, v10, v9
	s_delay_alu instid0(VALU_DEP_1) | instskip(NEXT) | instid1(VALU_DEP_1)
	v_fmac_f32_e32 v10, v11, v8
	v_fma_f32 v7, -v7, v10, v9
	s_delay_alu instid0(VALU_DEP_1) | instskip(NEXT) | instid1(VALU_DEP_1)
	v_div_fmas_f32 v7, v7, v8, v10
	v_div_fixup_f32 v5, v7, v6, v5
	s_delay_alu instid0(VALU_DEP_1)
	v_cvt_f16_f32_e32 v5, v5
	global_store_b16 v[0:1], v5, off
.LBB409_8:
	s_and_not1_saveexec_b32 s2, s2
	s_cbranch_execz .LBB409_10
; %bb.9:
	v_mov_b32_e32 v5, 0x7e00
	global_store_b16 v[0:1], v5, off
.LBB409_10:
	s_or_b32 exec_lo, exec_lo, s1
	v_cmp_ne_u32_e32 vcc_lo, 1, v4
	s_and_b32 exec_lo, exec_lo, vcc_lo
	s_cbranch_execz .LBB409_16
; %bb.11:
	s_and_b32 exec_lo, exec_lo, s0
	s_cbranch_execz .LBB409_16
; %bb.12:
	s_mov_b32 s11, 0
	s_waitcnt lgkmcnt(0)
	v_add_f32_e32 v3, v2, v3
	s_lshl_b64 s[0:1], s[10:11], 1
	s_delay_alu instid0(SALU_CYCLE_1) | instskip(NEXT) | instid1(VALU_DEP_1)
	v_add_co_u32 v0, s0, v0, s0
	v_add_co_ci_u32_e64 v1, s0, s1, v1, s0
	s_mov_b32 s0, exec_lo
	v_cmpx_neq_f32_e32 0, v3
	s_xor_b32 s0, exec_lo, s0
	s_cbranch_execz .LBB409_14
; %bb.13:
	v_div_scale_f32 v4, null, v3, v3, v2
	s_delay_alu instid0(VALU_DEP_1) | instskip(SKIP_2) | instid1(VALU_DEP_1)
	v_rcp_f32_e32 v5, v4
	s_waitcnt_depctr 0xfff
	v_fma_f32 v6, -v4, v5, 1.0
	v_fmac_f32_e32 v5, v6, v5
	v_div_scale_f32 v6, vcc_lo, v2, v3, v2
	s_delay_alu instid0(VALU_DEP_1) | instskip(NEXT) | instid1(VALU_DEP_1)
	v_mul_f32_e32 v7, v6, v5
	v_fma_f32 v8, -v4, v7, v6
	s_delay_alu instid0(VALU_DEP_1) | instskip(NEXT) | instid1(VALU_DEP_1)
	v_fmac_f32_e32 v7, v8, v5
	v_fma_f32 v4, -v4, v7, v6
	s_delay_alu instid0(VALU_DEP_1) | instskip(NEXT) | instid1(VALU_DEP_1)
	v_div_fmas_f32 v4, v4, v5, v7
	v_div_fixup_f32 v2, v4, v3, v2
	s_delay_alu instid0(VALU_DEP_1)
	v_cvt_f16_f32_e32 v2, v2
	global_store_b16 v[0:1], v2, off
                                        ; implicit-def: $vgpr0_vgpr1
.LBB409_14:
	s_and_not1_saveexec_b32 s0, s0
	s_cbranch_execz .LBB409_16
; %bb.15:
	v_mov_b32_e32 v2, 0x7e00
	global_store_b16 v[0:1], v2, off
.LBB409_16:
	s_nop 0
	s_sendmsg sendmsg(MSG_DEALLOC_VGPRS)
	s_endpgm
	.section	.rodata,"a",@progbits
	.p2align	6, 0x0
	.amdhsa_kernel _ZN12_GLOBAL__N_120softmax_warp_forwardIN3c104HalfES2_fLi1ELb0ELb0ELi32EEEvPT0_PKT_iiiPKbib
		.amdhsa_group_segment_fixed_size 0
		.amdhsa_private_segment_fixed_size 0
		.amdhsa_kernarg_size 304
		.amdhsa_user_sgpr_count 15
		.amdhsa_user_sgpr_dispatch_ptr 0
		.amdhsa_user_sgpr_queue_ptr 0
		.amdhsa_user_sgpr_kernarg_segment_ptr 1
		.amdhsa_user_sgpr_dispatch_id 0
		.amdhsa_user_sgpr_private_segment_size 0
		.amdhsa_wavefront_size32 1
		.amdhsa_uses_dynamic_stack 0
		.amdhsa_enable_private_segment 0
		.amdhsa_system_sgpr_workgroup_id_x 1
		.amdhsa_system_sgpr_workgroup_id_y 0
		.amdhsa_system_sgpr_workgroup_id_z 0
		.amdhsa_system_sgpr_workgroup_info 0
		.amdhsa_system_vgpr_workitem_id 1
		.amdhsa_next_free_vgpr 12
		.amdhsa_next_free_sgpr 16
		.amdhsa_reserve_vcc 1
		.amdhsa_float_round_mode_32 0
		.amdhsa_float_round_mode_16_64 0
		.amdhsa_float_denorm_mode_32 3
		.amdhsa_float_denorm_mode_16_64 3
		.amdhsa_dx10_clamp 1
		.amdhsa_ieee_mode 1
		.amdhsa_fp16_overflow 0
		.amdhsa_workgroup_processor_mode 1
		.amdhsa_memory_ordered 1
		.amdhsa_forward_progress 0
		.amdhsa_shared_vgpr_count 0
		.amdhsa_exception_fp_ieee_invalid_op 0
		.amdhsa_exception_fp_denorm_src 0
		.amdhsa_exception_fp_ieee_div_zero 0
		.amdhsa_exception_fp_ieee_overflow 0
		.amdhsa_exception_fp_ieee_underflow 0
		.amdhsa_exception_fp_ieee_inexact 0
		.amdhsa_exception_int_div_zero 0
	.end_amdhsa_kernel
	.section	.text._ZN12_GLOBAL__N_120softmax_warp_forwardIN3c104HalfES2_fLi1ELb0ELb0ELi32EEEvPT0_PKT_iiiPKbib,"axG",@progbits,_ZN12_GLOBAL__N_120softmax_warp_forwardIN3c104HalfES2_fLi1ELb0ELb0ELi32EEEvPT0_PKT_iiiPKbib,comdat
.Lfunc_end409:
	.size	_ZN12_GLOBAL__N_120softmax_warp_forwardIN3c104HalfES2_fLi1ELb0ELb0ELi32EEEvPT0_PKT_iiiPKbib, .Lfunc_end409-_ZN12_GLOBAL__N_120softmax_warp_forwardIN3c104HalfES2_fLi1ELb0ELb0ELi32EEEvPT0_PKT_iiiPKbib
                                        ; -- End function
	.section	.AMDGPU.csdata,"",@progbits
; Kernel info:
; codeLenInByte = 1020
; NumSgprs: 18
; NumVgprs: 12
; ScratchSize: 0
; MemoryBound: 0
; FloatMode: 240
; IeeeMode: 1
; LDSByteSize: 0 bytes/workgroup (compile time only)
; SGPRBlocks: 2
; VGPRBlocks: 1
; NumSGPRsForWavesPerEU: 18
; NumVGPRsForWavesPerEU: 12
; Occupancy: 16
; WaveLimiterHint : 0
; COMPUTE_PGM_RSRC2:SCRATCH_EN: 0
; COMPUTE_PGM_RSRC2:USER_SGPR: 15
; COMPUTE_PGM_RSRC2:TRAP_HANDLER: 0
; COMPUTE_PGM_RSRC2:TGID_X_EN: 1
; COMPUTE_PGM_RSRC2:TGID_Y_EN: 0
; COMPUTE_PGM_RSRC2:TGID_Z_EN: 0
; COMPUTE_PGM_RSRC2:TIDIG_COMP_CNT: 1
	.section	.text._ZN12_GLOBAL__N_120softmax_warp_forwardIN3c104HalfES2_fLi2ELb0ELb0ELi64EEEvPT0_PKT_iiiPKbib,"axG",@progbits,_ZN12_GLOBAL__N_120softmax_warp_forwardIN3c104HalfES2_fLi2ELb0ELb0ELi64EEEvPT0_PKT_iiiPKbib,comdat
	.globl	_ZN12_GLOBAL__N_120softmax_warp_forwardIN3c104HalfES2_fLi2ELb0ELb0ELi64EEEvPT0_PKT_iiiPKbib ; -- Begin function _ZN12_GLOBAL__N_120softmax_warp_forwardIN3c104HalfES2_fLi2ELb0ELb0ELi64EEEvPT0_PKT_iiiPKbib
	.p2align	8
	.type	_ZN12_GLOBAL__N_120softmax_warp_forwardIN3c104HalfES2_fLi2ELb0ELb0ELi64EEEvPT0_PKT_iiiPKbib,@function
_ZN12_GLOBAL__N_120softmax_warp_forwardIN3c104HalfES2_fLi2ELb0ELb0ELi64EEEvPT0_PKT_iiiPKbib: ; @_ZN12_GLOBAL__N_120softmax_warp_forwardIN3c104HalfES2_fLi2ELb0ELb0ELi64EEEvPT0_PKT_iiiPKbib
; %bb.0:
	s_clause 0x1
	s_load_b32 s2, s[0:1], 0x3c
	s_load_b256 s[4:11], s[0:1], 0x0
	v_bfe_u32 v1, v0, 10, 10
	v_and_b32_e32 v2, 0x3ff, v0
	v_dual_mov_b32 v5, 0xff800000 :: v_dual_mov_b32 v6, 0xff800000
	s_waitcnt lgkmcnt(0)
	s_lshr_b32 s0, s2, 16
	s_delay_alu instid0(SALU_CYCLE_1) | instskip(SKIP_2) | instid1(VALU_DEP_1)
	s_mul_i32 s15, s15, s0
	v_cmp_gt_i32_e64 s0, s10, v2
	v_add_lshl_u32 v3, s15, v1, 1
	v_mad_u64_u32 v[0:1], null, v3, s9, v[2:3]
	v_sub_nc_u32_e32 v4, s8, v3
	s_delay_alu instid0(VALU_DEP_1) | instskip(NEXT) | instid1(VALU_DEP_3)
	v_cmp_lt_i32_e32 vcc_lo, 0, v4
	v_ashrrev_i32_e32 v1, 31, v0
	s_and_b32 s2, s0, vcc_lo
	s_delay_alu instid0(VALU_DEP_1) | instskip(NEXT) | instid1(VALU_DEP_1)
	v_lshlrev_b64 v[0:1], 1, v[0:1]
	v_add_co_u32 v2, s1, s6, v0
	s_delay_alu instid0(VALU_DEP_1)
	v_add_co_ci_u32_e64 v3, s1, s7, v1, s1
	s_and_saveexec_b32 s1, s2
	s_cbranch_execz .LBB410_2
; %bb.1:
	global_load_u16 v6, v[2:3], off
	s_waitcnt vmcnt(0)
	v_cvt_f32_f16_e32 v6, v6
.LBB410_2:
	s_or_b32 exec_lo, exec_lo, s1
	v_cmp_lt_i32_e64 s1, 1, v4
	s_delay_alu instid0(VALU_DEP_1) | instskip(NEXT) | instid1(SALU_CYCLE_1)
	s_and_b32 s1, s0, s1
	s_and_saveexec_b32 s2, s1
	s_cbranch_execz .LBB410_4
; %bb.3:
	s_mov_b32 s11, 0
	s_delay_alu instid0(SALU_CYCLE_1) | instskip(NEXT) | instid1(SALU_CYCLE_1)
	s_lshl_b64 s[6:7], s[10:11], 1
	v_add_co_u32 v2, s1, v2, s6
	s_delay_alu instid0(VALU_DEP_1)
	v_add_co_ci_u32_e64 v3, s1, s7, v3, s1
	global_load_u16 v2, v[2:3], off
	s_waitcnt vmcnt(0)
	v_cvt_f32_f16_e32 v5, v2
.LBB410_4:
	s_or_b32 exec_lo, exec_lo, s2
	v_mbcnt_lo_u32_b32 v2, -1, 0
	s_delay_alu instid0(VALU_DEP_1) | instskip(SKIP_2) | instid1(VALU_DEP_3)
	v_and_b32_e32 v3, 28, v2
	v_xor_b32_e32 v7, 2, v2
	v_xor_b32_e32 v10, 1, v2
	v_add_nc_u32_e32 v3, 4, v3
	s_delay_alu instid0(VALU_DEP_1) | instskip(NEXT) | instid1(VALU_DEP_1)
	v_cmp_lt_i32_e64 s1, v7, v3
	v_cndmask_b32_e64 v7, v2, v7, s1
	s_delay_alu instid0(VALU_DEP_4) | instskip(NEXT) | instid1(VALU_DEP_2)
	v_cmp_lt_i32_e64 s1, v10, v3
	v_lshlrev_b32_e32 v7, 2, v7
	s_delay_alu instid0(VALU_DEP_2)
	v_cndmask_b32_e64 v2, v2, v10, s1
	ds_bpermute_b32 v8, v7, v6
	ds_bpermute_b32 v9, v7, v5
	v_lshlrev_b32_e32 v10, 2, v2
	s_waitcnt lgkmcnt(1)
	v_cmp_lt_f32_e64 s1, v6, v8
	s_delay_alu instid0(VALU_DEP_1)
	v_cndmask_b32_e64 v2, v6, v8, s1
	s_waitcnt lgkmcnt(0)
	v_cmp_lt_f32_e64 s1, v5, v9
	ds_bpermute_b32 v8, v10, v2
	v_cndmask_b32_e64 v3, v5, v9, s1
	ds_bpermute_b32 v9, v10, v3
	s_waitcnt lgkmcnt(1)
	v_cmp_lt_f32_e64 s1, v2, v8
	s_delay_alu instid0(VALU_DEP_1) | instskip(SKIP_2) | instid1(VALU_DEP_2)
	v_cndmask_b32_e64 v2, v2, v8, s1
	s_waitcnt lgkmcnt(0)
	v_cmp_lt_f32_e64 s1, v3, v9
	v_sub_f32_e32 v2, v6, v2
	s_delay_alu instid0(VALU_DEP_2) | instskip(NEXT) | instid1(VALU_DEP_2)
	v_cndmask_b32_e64 v3, v3, v9, s1
	v_cmp_ngt_f32_e64 s1, 0xc2ce8ed0, v2
	s_delay_alu instid0(VALU_DEP_2) | instskip(NEXT) | instid1(VALU_DEP_1)
	v_sub_f32_e32 v3, v5, v3
	v_dual_mul_f32 v5, 0x3fb8aa3b, v2 :: v_dual_mul_f32 v6, 0x3fb8aa3b, v3
	s_delay_alu instid0(VALU_DEP_1) | instskip(SKIP_1) | instid1(VALU_DEP_3)
	v_fma_f32 v8, 0x3fb8aa3b, v2, -v5
	v_rndne_f32_e32 v9, v5
	v_fma_f32 v11, 0x3fb8aa3b, v3, -v6
	v_rndne_f32_e32 v12, v6
	s_delay_alu instid0(VALU_DEP_2) | instskip(NEXT) | instid1(VALU_DEP_2)
	v_dual_fmac_f32 v8, 0x32a5705f, v2 :: v_dual_fmac_f32 v11, 0x32a5705f, v3
	v_dual_sub_f32 v6, v6, v12 :: v_dual_sub_f32 v5, v5, v9
	s_delay_alu instid0(VALU_DEP_1) | instskip(SKIP_2) | instid1(VALU_DEP_3)
	v_dual_add_f32 v6, v6, v11 :: v_dual_add_f32 v5, v5, v8
	v_cvt_i32_f32_e32 v8, v9
	v_cvt_i32_f32_e32 v9, v12
	v_exp_f32_e32 v6, v6
	s_delay_alu instid0(VALU_DEP_3) | instskip(SKIP_3) | instid1(VALU_DEP_1)
	v_exp_f32_e32 v5, v5
	s_waitcnt_depctr 0xfff
	v_ldexp_f32 v6, v6, v9
	v_ldexp_f32 v5, v5, v8
	v_cndmask_b32_e64 v5, 0, v5, s1
	v_cmp_ngt_f32_e64 s1, 0xc2ce8ed0, v3
	s_delay_alu instid0(VALU_DEP_1) | instskip(SKIP_1) | instid1(VALU_DEP_1)
	v_cndmask_b32_e64 v8, 0, v6, s1
	v_cmp_nlt_f32_e64 s1, 0x42b17218, v2
	v_cndmask_b32_e64 v6, 0x7f800000, v5, s1
	v_cmp_nlt_f32_e64 s1, 0x42b17218, v3
	ds_bpermute_b32 v3, v7, v6
	v_cndmask_b32_e64 v2, 0x7f800000, v8, s1
	ds_bpermute_b32 v5, v7, v2
	s_waitcnt lgkmcnt(1)
	v_add_f32_e32 v7, v6, v3
	ds_bpermute_b32 v8, v10, v7
	s_waitcnt lgkmcnt(1)
	v_add_f32_e32 v3, v2, v5
	ds_bpermute_b32 v5, v10, v3
	s_and_saveexec_b32 s1, vcc_lo
	s_cbranch_execz .LBB410_16
; %bb.5:
	v_add_co_u32 v0, vcc_lo, s4, v0
	v_add_co_ci_u32_e32 v1, vcc_lo, s5, v1, vcc_lo
	s_and_saveexec_b32 s1, s0
	s_cbranch_execz .LBB410_10
; %bb.6:
	s_waitcnt lgkmcnt(1)
	v_add_f32_e32 v7, v7, v8
	s_mov_b32 s2, exec_lo
	s_delay_alu instid0(VALU_DEP_1)
	v_cmpx_neq_f32_e32 0, v7
	s_xor_b32 s2, exec_lo, s2
	s_cbranch_execz .LBB410_8
; %bb.7:
	v_div_scale_f32 v8, null, v7, v7, v6
	s_delay_alu instid0(VALU_DEP_1) | instskip(SKIP_2) | instid1(VALU_DEP_1)
	v_rcp_f32_e32 v9, v8
	s_waitcnt_depctr 0xfff
	v_fma_f32 v10, -v8, v9, 1.0
	v_fmac_f32_e32 v9, v10, v9
	v_div_scale_f32 v10, vcc_lo, v6, v7, v6
	s_delay_alu instid0(VALU_DEP_1) | instskip(NEXT) | instid1(VALU_DEP_1)
	v_mul_f32_e32 v11, v10, v9
	v_fma_f32 v12, -v8, v11, v10
	s_delay_alu instid0(VALU_DEP_1) | instskip(NEXT) | instid1(VALU_DEP_1)
	v_fmac_f32_e32 v11, v12, v9
	v_fma_f32 v8, -v8, v11, v10
	s_delay_alu instid0(VALU_DEP_1) | instskip(NEXT) | instid1(VALU_DEP_1)
	v_div_fmas_f32 v8, v8, v9, v11
	v_div_fixup_f32 v6, v8, v7, v6
	s_delay_alu instid0(VALU_DEP_1)
	v_cvt_f16_f32_e32 v6, v6
	global_store_b16 v[0:1], v6, off
.LBB410_8:
	s_and_not1_saveexec_b32 s2, s2
	s_cbranch_execz .LBB410_10
; %bb.9:
	v_mov_b32_e32 v6, 0x7e00
	global_store_b16 v[0:1], v6, off
.LBB410_10:
	s_or_b32 exec_lo, exec_lo, s1
	v_cmp_ne_u32_e32 vcc_lo, 1, v4
	s_and_b32 exec_lo, exec_lo, vcc_lo
	s_cbranch_execz .LBB410_16
; %bb.11:
	s_and_b32 exec_lo, exec_lo, s0
	s_cbranch_execz .LBB410_16
; %bb.12:
	s_mov_b32 s11, 0
	s_waitcnt lgkmcnt(0)
	v_add_f32_e32 v3, v3, v5
	s_lshl_b64 s[0:1], s[10:11], 1
	s_delay_alu instid0(SALU_CYCLE_1) | instskip(NEXT) | instid1(VALU_DEP_1)
	v_add_co_u32 v0, s0, v0, s0
	v_add_co_ci_u32_e64 v1, s0, s1, v1, s0
	s_mov_b32 s0, exec_lo
	v_cmpx_neq_f32_e32 0, v3
	s_xor_b32 s0, exec_lo, s0
	s_cbranch_execz .LBB410_14
; %bb.13:
	v_div_scale_f32 v4, null, v3, v3, v2
	s_delay_alu instid0(VALU_DEP_1) | instskip(SKIP_2) | instid1(VALU_DEP_1)
	v_rcp_f32_e32 v5, v4
	s_waitcnt_depctr 0xfff
	v_fma_f32 v6, -v4, v5, 1.0
	v_fmac_f32_e32 v5, v6, v5
	v_div_scale_f32 v6, vcc_lo, v2, v3, v2
	s_delay_alu instid0(VALU_DEP_1) | instskip(NEXT) | instid1(VALU_DEP_1)
	v_mul_f32_e32 v7, v6, v5
	v_fma_f32 v8, -v4, v7, v6
	s_delay_alu instid0(VALU_DEP_1) | instskip(NEXT) | instid1(VALU_DEP_1)
	v_fmac_f32_e32 v7, v8, v5
	v_fma_f32 v4, -v4, v7, v6
	s_delay_alu instid0(VALU_DEP_1) | instskip(NEXT) | instid1(VALU_DEP_1)
	v_div_fmas_f32 v4, v4, v5, v7
	v_div_fixup_f32 v2, v4, v3, v2
	s_delay_alu instid0(VALU_DEP_1)
	v_cvt_f16_f32_e32 v2, v2
	global_store_b16 v[0:1], v2, off
                                        ; implicit-def: $vgpr0_vgpr1
.LBB410_14:
	s_and_not1_saveexec_b32 s0, s0
	s_cbranch_execz .LBB410_16
; %bb.15:
	v_mov_b32_e32 v2, 0x7e00
	global_store_b16 v[0:1], v2, off
.LBB410_16:
	s_nop 0
	s_sendmsg sendmsg(MSG_DEALLOC_VGPRS)
	s_endpgm
	.section	.rodata,"a",@progbits
	.p2align	6, 0x0
	.amdhsa_kernel _ZN12_GLOBAL__N_120softmax_warp_forwardIN3c104HalfES2_fLi2ELb0ELb0ELi64EEEvPT0_PKT_iiiPKbib
		.amdhsa_group_segment_fixed_size 0
		.amdhsa_private_segment_fixed_size 0
		.amdhsa_kernarg_size 304
		.amdhsa_user_sgpr_count 15
		.amdhsa_user_sgpr_dispatch_ptr 0
		.amdhsa_user_sgpr_queue_ptr 0
		.amdhsa_user_sgpr_kernarg_segment_ptr 1
		.amdhsa_user_sgpr_dispatch_id 0
		.amdhsa_user_sgpr_private_segment_size 0
		.amdhsa_wavefront_size32 1
		.amdhsa_uses_dynamic_stack 0
		.amdhsa_enable_private_segment 0
		.amdhsa_system_sgpr_workgroup_id_x 1
		.amdhsa_system_sgpr_workgroup_id_y 0
		.amdhsa_system_sgpr_workgroup_id_z 0
		.amdhsa_system_sgpr_workgroup_info 0
		.amdhsa_system_vgpr_workitem_id 1
		.amdhsa_next_free_vgpr 13
		.amdhsa_next_free_sgpr 16
		.amdhsa_reserve_vcc 1
		.amdhsa_float_round_mode_32 0
		.amdhsa_float_round_mode_16_64 0
		.amdhsa_float_denorm_mode_32 3
		.amdhsa_float_denorm_mode_16_64 3
		.amdhsa_dx10_clamp 1
		.amdhsa_ieee_mode 1
		.amdhsa_fp16_overflow 0
		.amdhsa_workgroup_processor_mode 1
		.amdhsa_memory_ordered 1
		.amdhsa_forward_progress 0
		.amdhsa_shared_vgpr_count 0
		.amdhsa_exception_fp_ieee_invalid_op 0
		.amdhsa_exception_fp_denorm_src 0
		.amdhsa_exception_fp_ieee_div_zero 0
		.amdhsa_exception_fp_ieee_overflow 0
		.amdhsa_exception_fp_ieee_underflow 0
		.amdhsa_exception_fp_ieee_inexact 0
		.amdhsa_exception_int_div_zero 0
	.end_amdhsa_kernel
	.section	.text._ZN12_GLOBAL__N_120softmax_warp_forwardIN3c104HalfES2_fLi2ELb0ELb0ELi64EEEvPT0_PKT_iiiPKbib,"axG",@progbits,_ZN12_GLOBAL__N_120softmax_warp_forwardIN3c104HalfES2_fLi2ELb0ELb0ELi64EEEvPT0_PKT_iiiPKbib,comdat
.Lfunc_end410:
	.size	_ZN12_GLOBAL__N_120softmax_warp_forwardIN3c104HalfES2_fLi2ELb0ELb0ELi64EEEvPT0_PKT_iiiPKbib, .Lfunc_end410-_ZN12_GLOBAL__N_120softmax_warp_forwardIN3c104HalfES2_fLi2ELb0ELb0ELi64EEEvPT0_PKT_iiiPKbib
                                        ; -- End function
	.section	.AMDGPU.csdata,"",@progbits
; Kernel info:
; codeLenInByte = 1132
; NumSgprs: 18
; NumVgprs: 13
; ScratchSize: 0
; MemoryBound: 0
; FloatMode: 240
; IeeeMode: 1
; LDSByteSize: 0 bytes/workgroup (compile time only)
; SGPRBlocks: 2
; VGPRBlocks: 1
; NumSGPRsForWavesPerEU: 18
; NumVGPRsForWavesPerEU: 13
; Occupancy: 16
; WaveLimiterHint : 0
; COMPUTE_PGM_RSRC2:SCRATCH_EN: 0
; COMPUTE_PGM_RSRC2:USER_SGPR: 15
; COMPUTE_PGM_RSRC2:TRAP_HANDLER: 0
; COMPUTE_PGM_RSRC2:TGID_X_EN: 1
; COMPUTE_PGM_RSRC2:TGID_Y_EN: 0
; COMPUTE_PGM_RSRC2:TGID_Z_EN: 0
; COMPUTE_PGM_RSRC2:TIDIG_COMP_CNT: 1
	.section	.text._ZN12_GLOBAL__N_120softmax_warp_forwardIN3c104HalfES2_fLi2ELb0ELb0ELi32EEEvPT0_PKT_iiiPKbib,"axG",@progbits,_ZN12_GLOBAL__N_120softmax_warp_forwardIN3c104HalfES2_fLi2ELb0ELb0ELi32EEEvPT0_PKT_iiiPKbib,comdat
	.globl	_ZN12_GLOBAL__N_120softmax_warp_forwardIN3c104HalfES2_fLi2ELb0ELb0ELi32EEEvPT0_PKT_iiiPKbib ; -- Begin function _ZN12_GLOBAL__N_120softmax_warp_forwardIN3c104HalfES2_fLi2ELb0ELb0ELi32EEEvPT0_PKT_iiiPKbib
	.p2align	8
	.type	_ZN12_GLOBAL__N_120softmax_warp_forwardIN3c104HalfES2_fLi2ELb0ELb0ELi32EEEvPT0_PKT_iiiPKbib,@function
_ZN12_GLOBAL__N_120softmax_warp_forwardIN3c104HalfES2_fLi2ELb0ELb0ELi32EEEvPT0_PKT_iiiPKbib: ; @_ZN12_GLOBAL__N_120softmax_warp_forwardIN3c104HalfES2_fLi2ELb0ELb0ELi32EEEvPT0_PKT_iiiPKbib
; %bb.0:
	s_clause 0x1
	s_load_b32 s2, s[0:1], 0x3c
	s_load_b256 s[4:11], s[0:1], 0x0
	v_bfe_u32 v1, v0, 10, 10
	v_and_b32_e32 v2, 0x3ff, v0
	v_dual_mov_b32 v5, 0xff800000 :: v_dual_mov_b32 v6, 0xff800000
	s_waitcnt lgkmcnt(0)
	s_lshr_b32 s0, s2, 16
	s_delay_alu instid0(SALU_CYCLE_1) | instskip(SKIP_2) | instid1(VALU_DEP_1)
	s_mul_i32 s15, s15, s0
	v_cmp_gt_i32_e64 s0, s10, v2
	v_add_lshl_u32 v3, s15, v1, 1
	v_mad_u64_u32 v[0:1], null, v3, s9, v[2:3]
	v_sub_nc_u32_e32 v4, s8, v3
	s_delay_alu instid0(VALU_DEP_1) | instskip(NEXT) | instid1(VALU_DEP_3)
	v_cmp_lt_i32_e32 vcc_lo, 0, v4
	v_ashrrev_i32_e32 v1, 31, v0
	s_and_b32 s2, s0, vcc_lo
	s_delay_alu instid0(VALU_DEP_1) | instskip(NEXT) | instid1(VALU_DEP_1)
	v_lshlrev_b64 v[0:1], 1, v[0:1]
	v_add_co_u32 v2, s1, s6, v0
	s_delay_alu instid0(VALU_DEP_1)
	v_add_co_ci_u32_e64 v3, s1, s7, v1, s1
	s_and_saveexec_b32 s1, s2
	s_cbranch_execz .LBB411_2
; %bb.1:
	global_load_u16 v6, v[2:3], off
	s_waitcnt vmcnt(0)
	v_cvt_f32_f16_e32 v6, v6
.LBB411_2:
	s_or_b32 exec_lo, exec_lo, s1
	v_cmp_lt_i32_e64 s1, 1, v4
	s_delay_alu instid0(VALU_DEP_1) | instskip(NEXT) | instid1(SALU_CYCLE_1)
	s_and_b32 s1, s0, s1
	s_and_saveexec_b32 s2, s1
	s_cbranch_execz .LBB411_4
; %bb.3:
	s_mov_b32 s11, 0
	s_delay_alu instid0(SALU_CYCLE_1) | instskip(NEXT) | instid1(SALU_CYCLE_1)
	s_lshl_b64 s[6:7], s[10:11], 1
	v_add_co_u32 v2, s1, v2, s6
	s_delay_alu instid0(VALU_DEP_1)
	v_add_co_ci_u32_e64 v3, s1, s7, v3, s1
	global_load_u16 v2, v[2:3], off
	s_waitcnt vmcnt(0)
	v_cvt_f32_f16_e32 v5, v2
.LBB411_4:
	s_or_b32 exec_lo, exec_lo, s2
	v_mbcnt_lo_u32_b32 v2, -1, 0
	s_delay_alu instid0(VALU_DEP_1) | instskip(SKIP_2) | instid1(VALU_DEP_3)
	v_and_b32_e32 v3, 28, v2
	v_xor_b32_e32 v7, 2, v2
	v_xor_b32_e32 v10, 1, v2
	v_add_nc_u32_e32 v3, 4, v3
	s_delay_alu instid0(VALU_DEP_1) | instskip(NEXT) | instid1(VALU_DEP_1)
	v_cmp_lt_i32_e64 s1, v7, v3
	v_cndmask_b32_e64 v7, v2, v7, s1
	s_delay_alu instid0(VALU_DEP_4) | instskip(NEXT) | instid1(VALU_DEP_2)
	v_cmp_lt_i32_e64 s1, v10, v3
	v_lshlrev_b32_e32 v7, 2, v7
	s_delay_alu instid0(VALU_DEP_2)
	v_cndmask_b32_e64 v2, v2, v10, s1
	ds_bpermute_b32 v8, v7, v6
	ds_bpermute_b32 v9, v7, v5
	v_lshlrev_b32_e32 v10, 2, v2
	s_waitcnt lgkmcnt(1)
	v_cmp_lt_f32_e64 s1, v6, v8
	s_delay_alu instid0(VALU_DEP_1)
	v_cndmask_b32_e64 v2, v6, v8, s1
	s_waitcnt lgkmcnt(0)
	v_cmp_lt_f32_e64 s1, v5, v9
	ds_bpermute_b32 v8, v10, v2
	v_cndmask_b32_e64 v3, v5, v9, s1
	ds_bpermute_b32 v9, v10, v3
	s_waitcnt lgkmcnt(1)
	v_cmp_lt_f32_e64 s1, v2, v8
	s_delay_alu instid0(VALU_DEP_1) | instskip(SKIP_2) | instid1(VALU_DEP_2)
	v_cndmask_b32_e64 v2, v2, v8, s1
	s_waitcnt lgkmcnt(0)
	v_cmp_lt_f32_e64 s1, v3, v9
	v_sub_f32_e32 v2, v6, v2
	s_delay_alu instid0(VALU_DEP_2) | instskip(NEXT) | instid1(VALU_DEP_2)
	v_cndmask_b32_e64 v3, v3, v9, s1
	v_cmp_ngt_f32_e64 s1, 0xc2ce8ed0, v2
	s_delay_alu instid0(VALU_DEP_2) | instskip(NEXT) | instid1(VALU_DEP_1)
	v_sub_f32_e32 v3, v5, v3
	v_dual_mul_f32 v5, 0x3fb8aa3b, v2 :: v_dual_mul_f32 v6, 0x3fb8aa3b, v3
	s_delay_alu instid0(VALU_DEP_1) | instskip(SKIP_1) | instid1(VALU_DEP_3)
	v_fma_f32 v8, 0x3fb8aa3b, v2, -v5
	v_rndne_f32_e32 v9, v5
	v_fma_f32 v11, 0x3fb8aa3b, v3, -v6
	v_rndne_f32_e32 v12, v6
	s_delay_alu instid0(VALU_DEP_2) | instskip(NEXT) | instid1(VALU_DEP_2)
	v_dual_fmac_f32 v8, 0x32a5705f, v2 :: v_dual_fmac_f32 v11, 0x32a5705f, v3
	v_dual_sub_f32 v6, v6, v12 :: v_dual_sub_f32 v5, v5, v9
	s_delay_alu instid0(VALU_DEP_1) | instskip(SKIP_2) | instid1(VALU_DEP_3)
	v_dual_add_f32 v6, v6, v11 :: v_dual_add_f32 v5, v5, v8
	v_cvt_i32_f32_e32 v8, v9
	v_cvt_i32_f32_e32 v9, v12
	v_exp_f32_e32 v6, v6
	s_delay_alu instid0(VALU_DEP_3) | instskip(SKIP_3) | instid1(VALU_DEP_1)
	v_exp_f32_e32 v5, v5
	s_waitcnt_depctr 0xfff
	v_ldexp_f32 v6, v6, v9
	v_ldexp_f32 v5, v5, v8
	v_cndmask_b32_e64 v5, 0, v5, s1
	v_cmp_ngt_f32_e64 s1, 0xc2ce8ed0, v3
	s_delay_alu instid0(VALU_DEP_1) | instskip(SKIP_1) | instid1(VALU_DEP_1)
	v_cndmask_b32_e64 v8, 0, v6, s1
	v_cmp_nlt_f32_e64 s1, 0x42b17218, v2
	v_cndmask_b32_e64 v6, 0x7f800000, v5, s1
	v_cmp_nlt_f32_e64 s1, 0x42b17218, v3
	ds_bpermute_b32 v3, v7, v6
	v_cndmask_b32_e64 v2, 0x7f800000, v8, s1
	ds_bpermute_b32 v5, v7, v2
	s_waitcnt lgkmcnt(1)
	v_add_f32_e32 v7, v6, v3
	ds_bpermute_b32 v8, v10, v7
	s_waitcnt lgkmcnt(1)
	v_add_f32_e32 v3, v2, v5
	ds_bpermute_b32 v5, v10, v3
	s_and_saveexec_b32 s1, vcc_lo
	s_cbranch_execz .LBB411_16
; %bb.5:
	v_add_co_u32 v0, vcc_lo, s4, v0
	v_add_co_ci_u32_e32 v1, vcc_lo, s5, v1, vcc_lo
	s_and_saveexec_b32 s1, s0
	s_cbranch_execz .LBB411_10
; %bb.6:
	s_waitcnt lgkmcnt(1)
	v_add_f32_e32 v7, v7, v8
	s_mov_b32 s2, exec_lo
	s_delay_alu instid0(VALU_DEP_1)
	v_cmpx_neq_f32_e32 0, v7
	s_xor_b32 s2, exec_lo, s2
	s_cbranch_execz .LBB411_8
; %bb.7:
	v_div_scale_f32 v8, null, v7, v7, v6
	s_delay_alu instid0(VALU_DEP_1) | instskip(SKIP_2) | instid1(VALU_DEP_1)
	v_rcp_f32_e32 v9, v8
	s_waitcnt_depctr 0xfff
	v_fma_f32 v10, -v8, v9, 1.0
	v_fmac_f32_e32 v9, v10, v9
	v_div_scale_f32 v10, vcc_lo, v6, v7, v6
	s_delay_alu instid0(VALU_DEP_1) | instskip(NEXT) | instid1(VALU_DEP_1)
	v_mul_f32_e32 v11, v10, v9
	v_fma_f32 v12, -v8, v11, v10
	s_delay_alu instid0(VALU_DEP_1) | instskip(NEXT) | instid1(VALU_DEP_1)
	v_fmac_f32_e32 v11, v12, v9
	v_fma_f32 v8, -v8, v11, v10
	s_delay_alu instid0(VALU_DEP_1) | instskip(NEXT) | instid1(VALU_DEP_1)
	v_div_fmas_f32 v8, v8, v9, v11
	v_div_fixup_f32 v6, v8, v7, v6
	s_delay_alu instid0(VALU_DEP_1)
	v_cvt_f16_f32_e32 v6, v6
	global_store_b16 v[0:1], v6, off
.LBB411_8:
	s_and_not1_saveexec_b32 s2, s2
	s_cbranch_execz .LBB411_10
; %bb.9:
	v_mov_b32_e32 v6, 0x7e00
	global_store_b16 v[0:1], v6, off
.LBB411_10:
	s_or_b32 exec_lo, exec_lo, s1
	v_cmp_ne_u32_e32 vcc_lo, 1, v4
	s_and_b32 exec_lo, exec_lo, vcc_lo
	s_cbranch_execz .LBB411_16
; %bb.11:
	s_and_b32 exec_lo, exec_lo, s0
	s_cbranch_execz .LBB411_16
; %bb.12:
	s_mov_b32 s11, 0
	s_waitcnt lgkmcnt(0)
	v_add_f32_e32 v3, v3, v5
	s_lshl_b64 s[0:1], s[10:11], 1
	s_delay_alu instid0(SALU_CYCLE_1) | instskip(NEXT) | instid1(VALU_DEP_1)
	v_add_co_u32 v0, s0, v0, s0
	v_add_co_ci_u32_e64 v1, s0, s1, v1, s0
	s_mov_b32 s0, exec_lo
	v_cmpx_neq_f32_e32 0, v3
	s_xor_b32 s0, exec_lo, s0
	s_cbranch_execz .LBB411_14
; %bb.13:
	v_div_scale_f32 v4, null, v3, v3, v2
	s_delay_alu instid0(VALU_DEP_1) | instskip(SKIP_2) | instid1(VALU_DEP_1)
	v_rcp_f32_e32 v5, v4
	s_waitcnt_depctr 0xfff
	v_fma_f32 v6, -v4, v5, 1.0
	v_fmac_f32_e32 v5, v6, v5
	v_div_scale_f32 v6, vcc_lo, v2, v3, v2
	s_delay_alu instid0(VALU_DEP_1) | instskip(NEXT) | instid1(VALU_DEP_1)
	v_mul_f32_e32 v7, v6, v5
	v_fma_f32 v8, -v4, v7, v6
	s_delay_alu instid0(VALU_DEP_1) | instskip(NEXT) | instid1(VALU_DEP_1)
	v_fmac_f32_e32 v7, v8, v5
	v_fma_f32 v4, -v4, v7, v6
	s_delay_alu instid0(VALU_DEP_1) | instskip(NEXT) | instid1(VALU_DEP_1)
	v_div_fmas_f32 v4, v4, v5, v7
	v_div_fixup_f32 v2, v4, v3, v2
	s_delay_alu instid0(VALU_DEP_1)
	v_cvt_f16_f32_e32 v2, v2
	global_store_b16 v[0:1], v2, off
                                        ; implicit-def: $vgpr0_vgpr1
.LBB411_14:
	s_and_not1_saveexec_b32 s0, s0
	s_cbranch_execz .LBB411_16
; %bb.15:
	v_mov_b32_e32 v2, 0x7e00
	global_store_b16 v[0:1], v2, off
.LBB411_16:
	s_nop 0
	s_sendmsg sendmsg(MSG_DEALLOC_VGPRS)
	s_endpgm
	.section	.rodata,"a",@progbits
	.p2align	6, 0x0
	.amdhsa_kernel _ZN12_GLOBAL__N_120softmax_warp_forwardIN3c104HalfES2_fLi2ELb0ELb0ELi32EEEvPT0_PKT_iiiPKbib
		.amdhsa_group_segment_fixed_size 0
		.amdhsa_private_segment_fixed_size 0
		.amdhsa_kernarg_size 304
		.amdhsa_user_sgpr_count 15
		.amdhsa_user_sgpr_dispatch_ptr 0
		.amdhsa_user_sgpr_queue_ptr 0
		.amdhsa_user_sgpr_kernarg_segment_ptr 1
		.amdhsa_user_sgpr_dispatch_id 0
		.amdhsa_user_sgpr_private_segment_size 0
		.amdhsa_wavefront_size32 1
		.amdhsa_uses_dynamic_stack 0
		.amdhsa_enable_private_segment 0
		.amdhsa_system_sgpr_workgroup_id_x 1
		.amdhsa_system_sgpr_workgroup_id_y 0
		.amdhsa_system_sgpr_workgroup_id_z 0
		.amdhsa_system_sgpr_workgroup_info 0
		.amdhsa_system_vgpr_workitem_id 1
		.amdhsa_next_free_vgpr 13
		.amdhsa_next_free_sgpr 16
		.amdhsa_reserve_vcc 1
		.amdhsa_float_round_mode_32 0
		.amdhsa_float_round_mode_16_64 0
		.amdhsa_float_denorm_mode_32 3
		.amdhsa_float_denorm_mode_16_64 3
		.amdhsa_dx10_clamp 1
		.amdhsa_ieee_mode 1
		.amdhsa_fp16_overflow 0
		.amdhsa_workgroup_processor_mode 1
		.amdhsa_memory_ordered 1
		.amdhsa_forward_progress 0
		.amdhsa_shared_vgpr_count 0
		.amdhsa_exception_fp_ieee_invalid_op 0
		.amdhsa_exception_fp_denorm_src 0
		.amdhsa_exception_fp_ieee_div_zero 0
		.amdhsa_exception_fp_ieee_overflow 0
		.amdhsa_exception_fp_ieee_underflow 0
		.amdhsa_exception_fp_ieee_inexact 0
		.amdhsa_exception_int_div_zero 0
	.end_amdhsa_kernel
	.section	.text._ZN12_GLOBAL__N_120softmax_warp_forwardIN3c104HalfES2_fLi2ELb0ELb0ELi32EEEvPT0_PKT_iiiPKbib,"axG",@progbits,_ZN12_GLOBAL__N_120softmax_warp_forwardIN3c104HalfES2_fLi2ELb0ELb0ELi32EEEvPT0_PKT_iiiPKbib,comdat
.Lfunc_end411:
	.size	_ZN12_GLOBAL__N_120softmax_warp_forwardIN3c104HalfES2_fLi2ELb0ELb0ELi32EEEvPT0_PKT_iiiPKbib, .Lfunc_end411-_ZN12_GLOBAL__N_120softmax_warp_forwardIN3c104HalfES2_fLi2ELb0ELb0ELi32EEEvPT0_PKT_iiiPKbib
                                        ; -- End function
	.section	.AMDGPU.csdata,"",@progbits
; Kernel info:
; codeLenInByte = 1132
; NumSgprs: 18
; NumVgprs: 13
; ScratchSize: 0
; MemoryBound: 0
; FloatMode: 240
; IeeeMode: 1
; LDSByteSize: 0 bytes/workgroup (compile time only)
; SGPRBlocks: 2
; VGPRBlocks: 1
; NumSGPRsForWavesPerEU: 18
; NumVGPRsForWavesPerEU: 13
; Occupancy: 16
; WaveLimiterHint : 0
; COMPUTE_PGM_RSRC2:SCRATCH_EN: 0
; COMPUTE_PGM_RSRC2:USER_SGPR: 15
; COMPUTE_PGM_RSRC2:TRAP_HANDLER: 0
; COMPUTE_PGM_RSRC2:TGID_X_EN: 1
; COMPUTE_PGM_RSRC2:TGID_Y_EN: 0
; COMPUTE_PGM_RSRC2:TGID_Z_EN: 0
; COMPUTE_PGM_RSRC2:TIDIG_COMP_CNT: 1
	.section	.text._ZN12_GLOBAL__N_120softmax_warp_forwardIN3c104HalfES2_fLi3ELb0ELb0ELi64EEEvPT0_PKT_iiiPKbib,"axG",@progbits,_ZN12_GLOBAL__N_120softmax_warp_forwardIN3c104HalfES2_fLi3ELb0ELb0ELi64EEEvPT0_PKT_iiiPKbib,comdat
	.globl	_ZN12_GLOBAL__N_120softmax_warp_forwardIN3c104HalfES2_fLi3ELb0ELb0ELi64EEEvPT0_PKT_iiiPKbib ; -- Begin function _ZN12_GLOBAL__N_120softmax_warp_forwardIN3c104HalfES2_fLi3ELb0ELb0ELi64EEEvPT0_PKT_iiiPKbib
	.p2align	8
	.type	_ZN12_GLOBAL__N_120softmax_warp_forwardIN3c104HalfES2_fLi3ELb0ELb0ELi64EEEvPT0_PKT_iiiPKbib,@function
_ZN12_GLOBAL__N_120softmax_warp_forwardIN3c104HalfES2_fLi3ELb0ELb0ELi64EEEvPT0_PKT_iiiPKbib: ; @_ZN12_GLOBAL__N_120softmax_warp_forwardIN3c104HalfES2_fLi3ELb0ELb0ELi64EEEvPT0_PKT_iiiPKbib
; %bb.0:
	s_clause 0x1
	s_load_b32 s2, s[0:1], 0x3c
	s_load_b256 s[4:11], s[0:1], 0x0
	v_bfe_u32 v1, v0, 10, 10
	v_and_b32_e32 v2, 0x3ff, v0
	v_dual_mov_b32 v5, 0xff800000 :: v_dual_mov_b32 v6, 0xff800000
	s_waitcnt lgkmcnt(0)
	s_lshr_b32 s0, s2, 16
	s_delay_alu instid0(SALU_CYCLE_1) | instskip(SKIP_2) | instid1(VALU_DEP_1)
	s_mul_i32 s15, s15, s0
	v_cmp_gt_i32_e64 s0, s10, v2
	v_add_lshl_u32 v3, s15, v1, 1
	v_mad_u64_u32 v[0:1], null, v3, s9, v[2:3]
	v_sub_nc_u32_e32 v4, s8, v3
	s_delay_alu instid0(VALU_DEP_1) | instskip(NEXT) | instid1(VALU_DEP_3)
	v_cmp_lt_i32_e32 vcc_lo, 0, v4
	v_ashrrev_i32_e32 v1, 31, v0
	s_and_b32 s2, s0, vcc_lo
	s_delay_alu instid0(VALU_DEP_1) | instskip(NEXT) | instid1(VALU_DEP_1)
	v_lshlrev_b64 v[0:1], 1, v[0:1]
	v_add_co_u32 v2, s1, s6, v0
	s_delay_alu instid0(VALU_DEP_1)
	v_add_co_ci_u32_e64 v3, s1, s7, v1, s1
	s_and_saveexec_b32 s1, s2
	s_cbranch_execz .LBB412_2
; %bb.1:
	global_load_u16 v6, v[2:3], off
	s_waitcnt vmcnt(0)
	v_cvt_f32_f16_e32 v6, v6
.LBB412_2:
	s_or_b32 exec_lo, exec_lo, s1
	v_cmp_lt_i32_e64 s1, 1, v4
	s_delay_alu instid0(VALU_DEP_1) | instskip(NEXT) | instid1(SALU_CYCLE_1)
	s_and_b32 s1, s0, s1
	s_and_saveexec_b32 s2, s1
	s_cbranch_execz .LBB412_4
; %bb.3:
	s_mov_b32 s11, 0
	s_delay_alu instid0(SALU_CYCLE_1) | instskip(NEXT) | instid1(SALU_CYCLE_1)
	s_lshl_b64 s[6:7], s[10:11], 1
	v_add_co_u32 v2, s1, v2, s6
	s_delay_alu instid0(VALU_DEP_1)
	v_add_co_ci_u32_e64 v3, s1, s7, v3, s1
	global_load_u16 v2, v[2:3], off
	s_waitcnt vmcnt(0)
	v_cvt_f32_f16_e32 v5, v2
.LBB412_4:
	s_or_b32 exec_lo, exec_lo, s2
	v_mbcnt_lo_u32_b32 v2, -1, 0
	s_delay_alu instid0(VALU_DEP_1) | instskip(SKIP_3) | instid1(VALU_DEP_4)
	v_and_b32_e32 v3, 24, v2
	v_xor_b32_e32 v7, 4, v2
	v_xor_b32_e32 v10, 2, v2
	v_xor_b32_e32 v13, 1, v2
	v_add_nc_u32_e32 v3, 8, v3
	s_delay_alu instid0(VALU_DEP_1) | instskip(NEXT) | instid1(VALU_DEP_1)
	v_cmp_lt_i32_e64 s1, v7, v3
	v_cndmask_b32_e64 v7, v2, v7, s1
	v_cmp_lt_i32_e64 s1, v10, v3
	s_delay_alu instid0(VALU_DEP_2) | instskip(NEXT) | instid1(VALU_DEP_2)
	v_lshlrev_b32_e32 v7, 2, v7
	v_cndmask_b32_e64 v10, v2, v10, s1
	ds_bpermute_b32 v8, v7, v6
	ds_bpermute_b32 v9, v7, v5
	v_lshlrev_b32_e32 v10, 2, v10
	s_waitcnt lgkmcnt(1)
	v_cmp_lt_f32_e64 s1, v6, v8
	s_delay_alu instid0(VALU_DEP_1)
	v_cndmask_b32_e64 v8, v6, v8, s1
	s_waitcnt lgkmcnt(0)
	v_cmp_lt_f32_e64 s1, v5, v9
	ds_bpermute_b32 v11, v10, v8
	v_cndmask_b32_e64 v9, v5, v9, s1
	v_cmp_lt_i32_e64 s1, v13, v3
	ds_bpermute_b32 v12, v10, v9
	v_cndmask_b32_e64 v2, v2, v13, s1
	s_delay_alu instid0(VALU_DEP_1) | instskip(SKIP_2) | instid1(VALU_DEP_1)
	v_lshlrev_b32_e32 v13, 2, v2
	s_waitcnt lgkmcnt(1)
	v_cmp_lt_f32_e64 s1, v8, v11
	v_cndmask_b32_e64 v2, v8, v11, s1
	s_waitcnt lgkmcnt(0)
	v_cmp_lt_f32_e64 s1, v9, v12
	ds_bpermute_b32 v8, v13, v2
	v_cndmask_b32_e64 v3, v9, v12, s1
	ds_bpermute_b32 v9, v13, v3
	s_waitcnt lgkmcnt(1)
	v_cmp_lt_f32_e64 s1, v2, v8
	s_delay_alu instid0(VALU_DEP_1) | instskip(SKIP_2) | instid1(VALU_DEP_2)
	v_cndmask_b32_e64 v2, v2, v8, s1
	s_waitcnt lgkmcnt(0)
	v_cmp_lt_f32_e64 s1, v3, v9
	v_sub_f32_e32 v2, v6, v2
	s_delay_alu instid0(VALU_DEP_2) | instskip(NEXT) | instid1(VALU_DEP_2)
	v_cndmask_b32_e64 v3, v3, v9, s1
	v_cmp_ngt_f32_e64 s1, 0xc2ce8ed0, v2
	s_delay_alu instid0(VALU_DEP_2) | instskip(NEXT) | instid1(VALU_DEP_1)
	v_sub_f32_e32 v3, v5, v3
	v_mul_f32_e32 v6, 0x3fb8aa3b, v3
	s_delay_alu instid0(VALU_DEP_1) | instskip(SKIP_1) | instid1(VALU_DEP_1)
	v_fma_f32 v11, 0x3fb8aa3b, v3, -v6
	v_rndne_f32_e32 v12, v6
	v_dual_fmac_f32 v11, 0x32a5705f, v3 :: v_dual_sub_f32 v6, v6, v12
	s_delay_alu instid0(VALU_DEP_1) | instskip(NEXT) | instid1(VALU_DEP_1)
	v_dual_mul_f32 v5, 0x3fb8aa3b, v2 :: v_dual_add_f32 v6, v6, v11
	v_fma_f32 v8, 0x3fb8aa3b, v2, -v5
	v_rndne_f32_e32 v9, v5
	s_delay_alu instid0(VALU_DEP_3) | instskip(NEXT) | instid1(VALU_DEP_1)
	v_exp_f32_e32 v6, v6
	v_dual_fmac_f32 v8, 0x32a5705f, v2 :: v_dual_sub_f32 v5, v5, v9
	s_delay_alu instid0(VALU_DEP_1) | instskip(SKIP_2) | instid1(VALU_DEP_3)
	v_add_f32_e32 v5, v5, v8
	v_cvt_i32_f32_e32 v8, v9
	v_cvt_i32_f32_e32 v9, v12
	v_exp_f32_e32 v5, v5
	s_waitcnt_depctr 0xfff
	v_ldexp_f32 v6, v6, v9
	v_ldexp_f32 v5, v5, v8
	s_delay_alu instid0(VALU_DEP_1) | instskip(SKIP_1) | instid1(VALU_DEP_1)
	v_cndmask_b32_e64 v5, 0, v5, s1
	v_cmp_ngt_f32_e64 s1, 0xc2ce8ed0, v3
	v_cndmask_b32_e64 v8, 0, v6, s1
	v_cmp_nlt_f32_e64 s1, 0x42b17218, v2
	s_delay_alu instid0(VALU_DEP_1)
	v_cndmask_b32_e64 v6, 0x7f800000, v5, s1
	v_cmp_nlt_f32_e64 s1, 0x42b17218, v3
	ds_bpermute_b32 v3, v7, v6
	v_cndmask_b32_e64 v2, 0x7f800000, v8, s1
	ds_bpermute_b32 v5, v7, v2
	s_waitcnt lgkmcnt(1)
	v_add_f32_e32 v3, v6, v3
	ds_bpermute_b32 v7, v10, v3
	s_waitcnt lgkmcnt(1)
	v_add_f32_e32 v5, v2, v5
	;; [unrolled: 3-line block ×3, first 2 shown]
	s_waitcnt lgkmcnt(0)
	v_add_f32_e32 v3, v5, v8
	ds_bpermute_b32 v8, v13, v7
	ds_bpermute_b32 v5, v13, v3
	s_and_saveexec_b32 s1, vcc_lo
	s_cbranch_execz .LBB412_16
; %bb.5:
	v_add_co_u32 v0, vcc_lo, s4, v0
	v_add_co_ci_u32_e32 v1, vcc_lo, s5, v1, vcc_lo
	s_and_saveexec_b32 s1, s0
	s_cbranch_execz .LBB412_10
; %bb.6:
	s_waitcnt lgkmcnt(1)
	v_add_f32_e32 v7, v7, v8
	s_mov_b32 s2, exec_lo
	s_delay_alu instid0(VALU_DEP_1)
	v_cmpx_neq_f32_e32 0, v7
	s_xor_b32 s2, exec_lo, s2
	s_cbranch_execz .LBB412_8
; %bb.7:
	v_div_scale_f32 v8, null, v7, v7, v6
	s_delay_alu instid0(VALU_DEP_1) | instskip(SKIP_2) | instid1(VALU_DEP_1)
	v_rcp_f32_e32 v9, v8
	s_waitcnt_depctr 0xfff
	v_fma_f32 v10, -v8, v9, 1.0
	v_fmac_f32_e32 v9, v10, v9
	v_div_scale_f32 v10, vcc_lo, v6, v7, v6
	s_delay_alu instid0(VALU_DEP_1) | instskip(NEXT) | instid1(VALU_DEP_1)
	v_mul_f32_e32 v11, v10, v9
	v_fma_f32 v12, -v8, v11, v10
	s_delay_alu instid0(VALU_DEP_1) | instskip(NEXT) | instid1(VALU_DEP_1)
	v_fmac_f32_e32 v11, v12, v9
	v_fma_f32 v8, -v8, v11, v10
	s_delay_alu instid0(VALU_DEP_1) | instskip(NEXT) | instid1(VALU_DEP_1)
	v_div_fmas_f32 v8, v8, v9, v11
	v_div_fixup_f32 v6, v8, v7, v6
	s_delay_alu instid0(VALU_DEP_1)
	v_cvt_f16_f32_e32 v6, v6
	global_store_b16 v[0:1], v6, off
.LBB412_8:
	s_and_not1_saveexec_b32 s2, s2
	s_cbranch_execz .LBB412_10
; %bb.9:
	v_mov_b32_e32 v6, 0x7e00
	global_store_b16 v[0:1], v6, off
.LBB412_10:
	s_or_b32 exec_lo, exec_lo, s1
	v_cmp_ne_u32_e32 vcc_lo, 1, v4
	s_and_b32 exec_lo, exec_lo, vcc_lo
	s_cbranch_execz .LBB412_16
; %bb.11:
	s_and_b32 exec_lo, exec_lo, s0
	s_cbranch_execz .LBB412_16
; %bb.12:
	s_mov_b32 s11, 0
	s_waitcnt lgkmcnt(0)
	v_add_f32_e32 v3, v3, v5
	s_lshl_b64 s[0:1], s[10:11], 1
	s_delay_alu instid0(SALU_CYCLE_1) | instskip(NEXT) | instid1(VALU_DEP_1)
	v_add_co_u32 v0, s0, v0, s0
	v_add_co_ci_u32_e64 v1, s0, s1, v1, s0
	s_mov_b32 s0, exec_lo
	v_cmpx_neq_f32_e32 0, v3
	s_xor_b32 s0, exec_lo, s0
	s_cbranch_execz .LBB412_14
; %bb.13:
	v_div_scale_f32 v4, null, v3, v3, v2
	s_delay_alu instid0(VALU_DEP_1) | instskip(SKIP_2) | instid1(VALU_DEP_1)
	v_rcp_f32_e32 v5, v4
	s_waitcnt_depctr 0xfff
	v_fma_f32 v6, -v4, v5, 1.0
	v_fmac_f32_e32 v5, v6, v5
	v_div_scale_f32 v6, vcc_lo, v2, v3, v2
	s_delay_alu instid0(VALU_DEP_1) | instskip(NEXT) | instid1(VALU_DEP_1)
	v_mul_f32_e32 v7, v6, v5
	v_fma_f32 v8, -v4, v7, v6
	s_delay_alu instid0(VALU_DEP_1) | instskip(NEXT) | instid1(VALU_DEP_1)
	v_fmac_f32_e32 v7, v8, v5
	v_fma_f32 v4, -v4, v7, v6
	s_delay_alu instid0(VALU_DEP_1) | instskip(NEXT) | instid1(VALU_DEP_1)
	v_div_fmas_f32 v4, v4, v5, v7
	v_div_fixup_f32 v2, v4, v3, v2
	s_delay_alu instid0(VALU_DEP_1)
	v_cvt_f16_f32_e32 v2, v2
	global_store_b16 v[0:1], v2, off
                                        ; implicit-def: $vgpr0_vgpr1
.LBB412_14:
	s_and_not1_saveexec_b32 s0, s0
	s_cbranch_execz .LBB412_16
; %bb.15:
	v_mov_b32_e32 v2, 0x7e00
	global_store_b16 v[0:1], v2, off
.LBB412_16:
	s_nop 0
	s_sendmsg sendmsg(MSG_DEALLOC_VGPRS)
	s_endpgm
	.section	.rodata,"a",@progbits
	.p2align	6, 0x0
	.amdhsa_kernel _ZN12_GLOBAL__N_120softmax_warp_forwardIN3c104HalfES2_fLi3ELb0ELb0ELi64EEEvPT0_PKT_iiiPKbib
		.amdhsa_group_segment_fixed_size 0
		.amdhsa_private_segment_fixed_size 0
		.amdhsa_kernarg_size 304
		.amdhsa_user_sgpr_count 15
		.amdhsa_user_sgpr_dispatch_ptr 0
		.amdhsa_user_sgpr_queue_ptr 0
		.amdhsa_user_sgpr_kernarg_segment_ptr 1
		.amdhsa_user_sgpr_dispatch_id 0
		.amdhsa_user_sgpr_private_segment_size 0
		.amdhsa_wavefront_size32 1
		.amdhsa_uses_dynamic_stack 0
		.amdhsa_enable_private_segment 0
		.amdhsa_system_sgpr_workgroup_id_x 1
		.amdhsa_system_sgpr_workgroup_id_y 0
		.amdhsa_system_sgpr_workgroup_id_z 0
		.amdhsa_system_sgpr_workgroup_info 0
		.amdhsa_system_vgpr_workitem_id 1
		.amdhsa_next_free_vgpr 14
		.amdhsa_next_free_sgpr 16
		.amdhsa_reserve_vcc 1
		.amdhsa_float_round_mode_32 0
		.amdhsa_float_round_mode_16_64 0
		.amdhsa_float_denorm_mode_32 3
		.amdhsa_float_denorm_mode_16_64 3
		.amdhsa_dx10_clamp 1
		.amdhsa_ieee_mode 1
		.amdhsa_fp16_overflow 0
		.amdhsa_workgroup_processor_mode 1
		.amdhsa_memory_ordered 1
		.amdhsa_forward_progress 0
		.amdhsa_shared_vgpr_count 0
		.amdhsa_exception_fp_ieee_invalid_op 0
		.amdhsa_exception_fp_denorm_src 0
		.amdhsa_exception_fp_ieee_div_zero 0
		.amdhsa_exception_fp_ieee_overflow 0
		.amdhsa_exception_fp_ieee_underflow 0
		.amdhsa_exception_fp_ieee_inexact 0
		.amdhsa_exception_int_div_zero 0
	.end_amdhsa_kernel
	.section	.text._ZN12_GLOBAL__N_120softmax_warp_forwardIN3c104HalfES2_fLi3ELb0ELb0ELi64EEEvPT0_PKT_iiiPKbib,"axG",@progbits,_ZN12_GLOBAL__N_120softmax_warp_forwardIN3c104HalfES2_fLi3ELb0ELb0ELi64EEEvPT0_PKT_iiiPKbib,comdat
.Lfunc_end412:
	.size	_ZN12_GLOBAL__N_120softmax_warp_forwardIN3c104HalfES2_fLi3ELb0ELb0ELi64EEEvPT0_PKT_iiiPKbib, .Lfunc_end412-_ZN12_GLOBAL__N_120softmax_warp_forwardIN3c104HalfES2_fLi3ELb0ELb0ELi64EEEvPT0_PKT_iiiPKbib
                                        ; -- End function
	.section	.AMDGPU.csdata,"",@progbits
; Kernel info:
; codeLenInByte = 1256
; NumSgprs: 18
; NumVgprs: 14
; ScratchSize: 0
; MemoryBound: 0
; FloatMode: 240
; IeeeMode: 1
; LDSByteSize: 0 bytes/workgroup (compile time only)
; SGPRBlocks: 2
; VGPRBlocks: 1
; NumSGPRsForWavesPerEU: 18
; NumVGPRsForWavesPerEU: 14
; Occupancy: 16
; WaveLimiterHint : 0
; COMPUTE_PGM_RSRC2:SCRATCH_EN: 0
; COMPUTE_PGM_RSRC2:USER_SGPR: 15
; COMPUTE_PGM_RSRC2:TRAP_HANDLER: 0
; COMPUTE_PGM_RSRC2:TGID_X_EN: 1
; COMPUTE_PGM_RSRC2:TGID_Y_EN: 0
; COMPUTE_PGM_RSRC2:TGID_Z_EN: 0
; COMPUTE_PGM_RSRC2:TIDIG_COMP_CNT: 1
	.section	.text._ZN12_GLOBAL__N_120softmax_warp_forwardIN3c104HalfES2_fLi3ELb0ELb0ELi32EEEvPT0_PKT_iiiPKbib,"axG",@progbits,_ZN12_GLOBAL__N_120softmax_warp_forwardIN3c104HalfES2_fLi3ELb0ELb0ELi32EEEvPT0_PKT_iiiPKbib,comdat
	.globl	_ZN12_GLOBAL__N_120softmax_warp_forwardIN3c104HalfES2_fLi3ELb0ELb0ELi32EEEvPT0_PKT_iiiPKbib ; -- Begin function _ZN12_GLOBAL__N_120softmax_warp_forwardIN3c104HalfES2_fLi3ELb0ELb0ELi32EEEvPT0_PKT_iiiPKbib
	.p2align	8
	.type	_ZN12_GLOBAL__N_120softmax_warp_forwardIN3c104HalfES2_fLi3ELb0ELb0ELi32EEEvPT0_PKT_iiiPKbib,@function
_ZN12_GLOBAL__N_120softmax_warp_forwardIN3c104HalfES2_fLi3ELb0ELb0ELi32EEEvPT0_PKT_iiiPKbib: ; @_ZN12_GLOBAL__N_120softmax_warp_forwardIN3c104HalfES2_fLi3ELb0ELb0ELi32EEEvPT0_PKT_iiiPKbib
; %bb.0:
	s_clause 0x1
	s_load_b32 s2, s[0:1], 0x3c
	s_load_b256 s[4:11], s[0:1], 0x0
	v_bfe_u32 v1, v0, 10, 10
	v_and_b32_e32 v2, 0x3ff, v0
	v_dual_mov_b32 v5, 0xff800000 :: v_dual_mov_b32 v6, 0xff800000
	s_waitcnt lgkmcnt(0)
	s_lshr_b32 s0, s2, 16
	s_delay_alu instid0(SALU_CYCLE_1) | instskip(SKIP_2) | instid1(VALU_DEP_1)
	s_mul_i32 s15, s15, s0
	v_cmp_gt_i32_e64 s0, s10, v2
	v_add_lshl_u32 v3, s15, v1, 1
	v_mad_u64_u32 v[0:1], null, v3, s9, v[2:3]
	v_sub_nc_u32_e32 v4, s8, v3
	s_delay_alu instid0(VALU_DEP_1) | instskip(NEXT) | instid1(VALU_DEP_3)
	v_cmp_lt_i32_e32 vcc_lo, 0, v4
	v_ashrrev_i32_e32 v1, 31, v0
	s_and_b32 s2, s0, vcc_lo
	s_delay_alu instid0(VALU_DEP_1) | instskip(NEXT) | instid1(VALU_DEP_1)
	v_lshlrev_b64 v[0:1], 1, v[0:1]
	v_add_co_u32 v2, s1, s6, v0
	s_delay_alu instid0(VALU_DEP_1)
	v_add_co_ci_u32_e64 v3, s1, s7, v1, s1
	s_and_saveexec_b32 s1, s2
	s_cbranch_execz .LBB413_2
; %bb.1:
	global_load_u16 v6, v[2:3], off
	s_waitcnt vmcnt(0)
	v_cvt_f32_f16_e32 v6, v6
.LBB413_2:
	s_or_b32 exec_lo, exec_lo, s1
	v_cmp_lt_i32_e64 s1, 1, v4
	s_delay_alu instid0(VALU_DEP_1) | instskip(NEXT) | instid1(SALU_CYCLE_1)
	s_and_b32 s1, s0, s1
	s_and_saveexec_b32 s2, s1
	s_cbranch_execz .LBB413_4
; %bb.3:
	s_mov_b32 s11, 0
	s_delay_alu instid0(SALU_CYCLE_1) | instskip(NEXT) | instid1(SALU_CYCLE_1)
	s_lshl_b64 s[6:7], s[10:11], 1
	v_add_co_u32 v2, s1, v2, s6
	s_delay_alu instid0(VALU_DEP_1)
	v_add_co_ci_u32_e64 v3, s1, s7, v3, s1
	global_load_u16 v2, v[2:3], off
	s_waitcnt vmcnt(0)
	v_cvt_f32_f16_e32 v5, v2
.LBB413_4:
	s_or_b32 exec_lo, exec_lo, s2
	v_mbcnt_lo_u32_b32 v2, -1, 0
	s_delay_alu instid0(VALU_DEP_1) | instskip(SKIP_3) | instid1(VALU_DEP_4)
	v_and_b32_e32 v3, 24, v2
	v_xor_b32_e32 v7, 4, v2
	v_xor_b32_e32 v10, 2, v2
	;; [unrolled: 1-line block ×3, first 2 shown]
	v_add_nc_u32_e32 v3, 8, v3
	s_delay_alu instid0(VALU_DEP_1) | instskip(NEXT) | instid1(VALU_DEP_1)
	v_cmp_lt_i32_e64 s1, v7, v3
	v_cndmask_b32_e64 v7, v2, v7, s1
	v_cmp_lt_i32_e64 s1, v10, v3
	s_delay_alu instid0(VALU_DEP_2) | instskip(NEXT) | instid1(VALU_DEP_2)
	v_lshlrev_b32_e32 v7, 2, v7
	v_cndmask_b32_e64 v10, v2, v10, s1
	ds_bpermute_b32 v8, v7, v6
	ds_bpermute_b32 v9, v7, v5
	v_lshlrev_b32_e32 v10, 2, v10
	s_waitcnt lgkmcnt(1)
	v_cmp_lt_f32_e64 s1, v6, v8
	s_delay_alu instid0(VALU_DEP_1)
	v_cndmask_b32_e64 v8, v6, v8, s1
	s_waitcnt lgkmcnt(0)
	v_cmp_lt_f32_e64 s1, v5, v9
	ds_bpermute_b32 v11, v10, v8
	v_cndmask_b32_e64 v9, v5, v9, s1
	v_cmp_lt_i32_e64 s1, v13, v3
	ds_bpermute_b32 v12, v10, v9
	v_cndmask_b32_e64 v2, v2, v13, s1
	s_delay_alu instid0(VALU_DEP_1) | instskip(SKIP_2) | instid1(VALU_DEP_1)
	v_lshlrev_b32_e32 v13, 2, v2
	s_waitcnt lgkmcnt(1)
	v_cmp_lt_f32_e64 s1, v8, v11
	v_cndmask_b32_e64 v2, v8, v11, s1
	s_waitcnt lgkmcnt(0)
	v_cmp_lt_f32_e64 s1, v9, v12
	ds_bpermute_b32 v8, v13, v2
	v_cndmask_b32_e64 v3, v9, v12, s1
	ds_bpermute_b32 v9, v13, v3
	s_waitcnt lgkmcnt(1)
	v_cmp_lt_f32_e64 s1, v2, v8
	s_delay_alu instid0(VALU_DEP_1) | instskip(SKIP_2) | instid1(VALU_DEP_2)
	v_cndmask_b32_e64 v2, v2, v8, s1
	s_waitcnt lgkmcnt(0)
	v_cmp_lt_f32_e64 s1, v3, v9
	v_sub_f32_e32 v2, v6, v2
	s_delay_alu instid0(VALU_DEP_2) | instskip(NEXT) | instid1(VALU_DEP_2)
	v_cndmask_b32_e64 v3, v3, v9, s1
	v_cmp_ngt_f32_e64 s1, 0xc2ce8ed0, v2
	s_delay_alu instid0(VALU_DEP_2) | instskip(NEXT) | instid1(VALU_DEP_1)
	v_sub_f32_e32 v3, v5, v3
	v_mul_f32_e32 v6, 0x3fb8aa3b, v3
	s_delay_alu instid0(VALU_DEP_1) | instskip(SKIP_1) | instid1(VALU_DEP_1)
	v_fma_f32 v11, 0x3fb8aa3b, v3, -v6
	v_rndne_f32_e32 v12, v6
	v_dual_fmac_f32 v11, 0x32a5705f, v3 :: v_dual_sub_f32 v6, v6, v12
	s_delay_alu instid0(VALU_DEP_1) | instskip(NEXT) | instid1(VALU_DEP_1)
	v_dual_mul_f32 v5, 0x3fb8aa3b, v2 :: v_dual_add_f32 v6, v6, v11
	v_fma_f32 v8, 0x3fb8aa3b, v2, -v5
	v_rndne_f32_e32 v9, v5
	s_delay_alu instid0(VALU_DEP_3) | instskip(NEXT) | instid1(VALU_DEP_1)
	v_exp_f32_e32 v6, v6
	v_dual_fmac_f32 v8, 0x32a5705f, v2 :: v_dual_sub_f32 v5, v5, v9
	s_delay_alu instid0(VALU_DEP_1) | instskip(SKIP_2) | instid1(VALU_DEP_3)
	v_add_f32_e32 v5, v5, v8
	v_cvt_i32_f32_e32 v8, v9
	v_cvt_i32_f32_e32 v9, v12
	v_exp_f32_e32 v5, v5
	s_waitcnt_depctr 0xfff
	v_ldexp_f32 v6, v6, v9
	v_ldexp_f32 v5, v5, v8
	s_delay_alu instid0(VALU_DEP_1) | instskip(SKIP_1) | instid1(VALU_DEP_1)
	v_cndmask_b32_e64 v5, 0, v5, s1
	v_cmp_ngt_f32_e64 s1, 0xc2ce8ed0, v3
	v_cndmask_b32_e64 v8, 0, v6, s1
	v_cmp_nlt_f32_e64 s1, 0x42b17218, v2
	s_delay_alu instid0(VALU_DEP_1)
	v_cndmask_b32_e64 v6, 0x7f800000, v5, s1
	v_cmp_nlt_f32_e64 s1, 0x42b17218, v3
	ds_bpermute_b32 v3, v7, v6
	v_cndmask_b32_e64 v2, 0x7f800000, v8, s1
	ds_bpermute_b32 v5, v7, v2
	s_waitcnt lgkmcnt(1)
	v_add_f32_e32 v3, v6, v3
	ds_bpermute_b32 v7, v10, v3
	s_waitcnt lgkmcnt(1)
	v_add_f32_e32 v5, v2, v5
	;; [unrolled: 3-line block ×3, first 2 shown]
	s_waitcnt lgkmcnt(0)
	v_add_f32_e32 v3, v5, v8
	ds_bpermute_b32 v8, v13, v7
	ds_bpermute_b32 v5, v13, v3
	s_and_saveexec_b32 s1, vcc_lo
	s_cbranch_execz .LBB413_16
; %bb.5:
	v_add_co_u32 v0, vcc_lo, s4, v0
	v_add_co_ci_u32_e32 v1, vcc_lo, s5, v1, vcc_lo
	s_and_saveexec_b32 s1, s0
	s_cbranch_execz .LBB413_10
; %bb.6:
	s_waitcnt lgkmcnt(1)
	v_add_f32_e32 v7, v7, v8
	s_mov_b32 s2, exec_lo
	s_delay_alu instid0(VALU_DEP_1)
	v_cmpx_neq_f32_e32 0, v7
	s_xor_b32 s2, exec_lo, s2
	s_cbranch_execz .LBB413_8
; %bb.7:
	v_div_scale_f32 v8, null, v7, v7, v6
	s_delay_alu instid0(VALU_DEP_1) | instskip(SKIP_2) | instid1(VALU_DEP_1)
	v_rcp_f32_e32 v9, v8
	s_waitcnt_depctr 0xfff
	v_fma_f32 v10, -v8, v9, 1.0
	v_fmac_f32_e32 v9, v10, v9
	v_div_scale_f32 v10, vcc_lo, v6, v7, v6
	s_delay_alu instid0(VALU_DEP_1) | instskip(NEXT) | instid1(VALU_DEP_1)
	v_mul_f32_e32 v11, v10, v9
	v_fma_f32 v12, -v8, v11, v10
	s_delay_alu instid0(VALU_DEP_1) | instskip(NEXT) | instid1(VALU_DEP_1)
	v_fmac_f32_e32 v11, v12, v9
	v_fma_f32 v8, -v8, v11, v10
	s_delay_alu instid0(VALU_DEP_1) | instskip(NEXT) | instid1(VALU_DEP_1)
	v_div_fmas_f32 v8, v8, v9, v11
	v_div_fixup_f32 v6, v8, v7, v6
	s_delay_alu instid0(VALU_DEP_1)
	v_cvt_f16_f32_e32 v6, v6
	global_store_b16 v[0:1], v6, off
.LBB413_8:
	s_and_not1_saveexec_b32 s2, s2
	s_cbranch_execz .LBB413_10
; %bb.9:
	v_mov_b32_e32 v6, 0x7e00
	global_store_b16 v[0:1], v6, off
.LBB413_10:
	s_or_b32 exec_lo, exec_lo, s1
	v_cmp_ne_u32_e32 vcc_lo, 1, v4
	s_and_b32 exec_lo, exec_lo, vcc_lo
	s_cbranch_execz .LBB413_16
; %bb.11:
	s_and_b32 exec_lo, exec_lo, s0
	s_cbranch_execz .LBB413_16
; %bb.12:
	s_mov_b32 s11, 0
	s_waitcnt lgkmcnt(0)
	v_add_f32_e32 v3, v3, v5
	s_lshl_b64 s[0:1], s[10:11], 1
	s_delay_alu instid0(SALU_CYCLE_1) | instskip(NEXT) | instid1(VALU_DEP_1)
	v_add_co_u32 v0, s0, v0, s0
	v_add_co_ci_u32_e64 v1, s0, s1, v1, s0
	s_mov_b32 s0, exec_lo
	v_cmpx_neq_f32_e32 0, v3
	s_xor_b32 s0, exec_lo, s0
	s_cbranch_execz .LBB413_14
; %bb.13:
	v_div_scale_f32 v4, null, v3, v3, v2
	s_delay_alu instid0(VALU_DEP_1) | instskip(SKIP_2) | instid1(VALU_DEP_1)
	v_rcp_f32_e32 v5, v4
	s_waitcnt_depctr 0xfff
	v_fma_f32 v6, -v4, v5, 1.0
	v_fmac_f32_e32 v5, v6, v5
	v_div_scale_f32 v6, vcc_lo, v2, v3, v2
	s_delay_alu instid0(VALU_DEP_1) | instskip(NEXT) | instid1(VALU_DEP_1)
	v_mul_f32_e32 v7, v6, v5
	v_fma_f32 v8, -v4, v7, v6
	s_delay_alu instid0(VALU_DEP_1) | instskip(NEXT) | instid1(VALU_DEP_1)
	v_fmac_f32_e32 v7, v8, v5
	v_fma_f32 v4, -v4, v7, v6
	s_delay_alu instid0(VALU_DEP_1) | instskip(NEXT) | instid1(VALU_DEP_1)
	v_div_fmas_f32 v4, v4, v5, v7
	v_div_fixup_f32 v2, v4, v3, v2
	s_delay_alu instid0(VALU_DEP_1)
	v_cvt_f16_f32_e32 v2, v2
	global_store_b16 v[0:1], v2, off
                                        ; implicit-def: $vgpr0_vgpr1
.LBB413_14:
	s_and_not1_saveexec_b32 s0, s0
	s_cbranch_execz .LBB413_16
; %bb.15:
	v_mov_b32_e32 v2, 0x7e00
	global_store_b16 v[0:1], v2, off
.LBB413_16:
	s_nop 0
	s_sendmsg sendmsg(MSG_DEALLOC_VGPRS)
	s_endpgm
	.section	.rodata,"a",@progbits
	.p2align	6, 0x0
	.amdhsa_kernel _ZN12_GLOBAL__N_120softmax_warp_forwardIN3c104HalfES2_fLi3ELb0ELb0ELi32EEEvPT0_PKT_iiiPKbib
		.amdhsa_group_segment_fixed_size 0
		.amdhsa_private_segment_fixed_size 0
		.amdhsa_kernarg_size 304
		.amdhsa_user_sgpr_count 15
		.amdhsa_user_sgpr_dispatch_ptr 0
		.amdhsa_user_sgpr_queue_ptr 0
		.amdhsa_user_sgpr_kernarg_segment_ptr 1
		.amdhsa_user_sgpr_dispatch_id 0
		.amdhsa_user_sgpr_private_segment_size 0
		.amdhsa_wavefront_size32 1
		.amdhsa_uses_dynamic_stack 0
		.amdhsa_enable_private_segment 0
		.amdhsa_system_sgpr_workgroup_id_x 1
		.amdhsa_system_sgpr_workgroup_id_y 0
		.amdhsa_system_sgpr_workgroup_id_z 0
		.amdhsa_system_sgpr_workgroup_info 0
		.amdhsa_system_vgpr_workitem_id 1
		.amdhsa_next_free_vgpr 14
		.amdhsa_next_free_sgpr 16
		.amdhsa_reserve_vcc 1
		.amdhsa_float_round_mode_32 0
		.amdhsa_float_round_mode_16_64 0
		.amdhsa_float_denorm_mode_32 3
		.amdhsa_float_denorm_mode_16_64 3
		.amdhsa_dx10_clamp 1
		.amdhsa_ieee_mode 1
		.amdhsa_fp16_overflow 0
		.amdhsa_workgroup_processor_mode 1
		.amdhsa_memory_ordered 1
		.amdhsa_forward_progress 0
		.amdhsa_shared_vgpr_count 0
		.amdhsa_exception_fp_ieee_invalid_op 0
		.amdhsa_exception_fp_denorm_src 0
		.amdhsa_exception_fp_ieee_div_zero 0
		.amdhsa_exception_fp_ieee_overflow 0
		.amdhsa_exception_fp_ieee_underflow 0
		.amdhsa_exception_fp_ieee_inexact 0
		.amdhsa_exception_int_div_zero 0
	.end_amdhsa_kernel
	.section	.text._ZN12_GLOBAL__N_120softmax_warp_forwardIN3c104HalfES2_fLi3ELb0ELb0ELi32EEEvPT0_PKT_iiiPKbib,"axG",@progbits,_ZN12_GLOBAL__N_120softmax_warp_forwardIN3c104HalfES2_fLi3ELb0ELb0ELi32EEEvPT0_PKT_iiiPKbib,comdat
.Lfunc_end413:
	.size	_ZN12_GLOBAL__N_120softmax_warp_forwardIN3c104HalfES2_fLi3ELb0ELb0ELi32EEEvPT0_PKT_iiiPKbib, .Lfunc_end413-_ZN12_GLOBAL__N_120softmax_warp_forwardIN3c104HalfES2_fLi3ELb0ELb0ELi32EEEvPT0_PKT_iiiPKbib
                                        ; -- End function
	.section	.AMDGPU.csdata,"",@progbits
; Kernel info:
; codeLenInByte = 1256
; NumSgprs: 18
; NumVgprs: 14
; ScratchSize: 0
; MemoryBound: 0
; FloatMode: 240
; IeeeMode: 1
; LDSByteSize: 0 bytes/workgroup (compile time only)
; SGPRBlocks: 2
; VGPRBlocks: 1
; NumSGPRsForWavesPerEU: 18
; NumVGPRsForWavesPerEU: 14
; Occupancy: 16
; WaveLimiterHint : 0
; COMPUTE_PGM_RSRC2:SCRATCH_EN: 0
; COMPUTE_PGM_RSRC2:USER_SGPR: 15
; COMPUTE_PGM_RSRC2:TRAP_HANDLER: 0
; COMPUTE_PGM_RSRC2:TGID_X_EN: 1
; COMPUTE_PGM_RSRC2:TGID_Y_EN: 0
; COMPUTE_PGM_RSRC2:TGID_Z_EN: 0
; COMPUTE_PGM_RSRC2:TIDIG_COMP_CNT: 1
	.section	.text._ZN12_GLOBAL__N_120softmax_warp_forwardIN3c104HalfES2_fLi4ELb0ELb0ELi64EEEvPT0_PKT_iiiPKbib,"axG",@progbits,_ZN12_GLOBAL__N_120softmax_warp_forwardIN3c104HalfES2_fLi4ELb0ELb0ELi64EEEvPT0_PKT_iiiPKbib,comdat
	.globl	_ZN12_GLOBAL__N_120softmax_warp_forwardIN3c104HalfES2_fLi4ELb0ELb0ELi64EEEvPT0_PKT_iiiPKbib ; -- Begin function _ZN12_GLOBAL__N_120softmax_warp_forwardIN3c104HalfES2_fLi4ELb0ELb0ELi64EEEvPT0_PKT_iiiPKbib
	.p2align	8
	.type	_ZN12_GLOBAL__N_120softmax_warp_forwardIN3c104HalfES2_fLi4ELb0ELb0ELi64EEEvPT0_PKT_iiiPKbib,@function
_ZN12_GLOBAL__N_120softmax_warp_forwardIN3c104HalfES2_fLi4ELb0ELb0ELi64EEEvPT0_PKT_iiiPKbib: ; @_ZN12_GLOBAL__N_120softmax_warp_forwardIN3c104HalfES2_fLi4ELb0ELb0ELi64EEEvPT0_PKT_iiiPKbib
; %bb.0:
	s_clause 0x1
	s_load_b32 s2, s[0:1], 0x3c
	s_load_b256 s[4:11], s[0:1], 0x0
	v_bfe_u32 v1, v0, 10, 10
	v_and_b32_e32 v2, 0x3ff, v0
	v_dual_mov_b32 v5, 0xff800000 :: v_dual_mov_b32 v6, 0xff800000
	s_waitcnt lgkmcnt(0)
	s_lshr_b32 s0, s2, 16
	s_delay_alu instid0(SALU_CYCLE_1) | instskip(SKIP_2) | instid1(VALU_DEP_1)
	s_mul_i32 s15, s15, s0
	v_cmp_gt_i32_e64 s0, s10, v2
	v_add_lshl_u32 v3, s15, v1, 1
	v_mad_u64_u32 v[0:1], null, v3, s9, v[2:3]
	v_sub_nc_u32_e32 v4, s8, v3
	s_delay_alu instid0(VALU_DEP_1) | instskip(NEXT) | instid1(VALU_DEP_3)
	v_cmp_lt_i32_e32 vcc_lo, 0, v4
	v_ashrrev_i32_e32 v1, 31, v0
	s_and_b32 s2, s0, vcc_lo
	s_delay_alu instid0(VALU_DEP_1) | instskip(NEXT) | instid1(VALU_DEP_1)
	v_lshlrev_b64 v[0:1], 1, v[0:1]
	v_add_co_u32 v2, s1, s6, v0
	s_delay_alu instid0(VALU_DEP_1)
	v_add_co_ci_u32_e64 v3, s1, s7, v1, s1
	s_and_saveexec_b32 s1, s2
	s_cbranch_execz .LBB414_2
; %bb.1:
	global_load_u16 v6, v[2:3], off
	s_waitcnt vmcnt(0)
	v_cvt_f32_f16_e32 v6, v6
.LBB414_2:
	s_or_b32 exec_lo, exec_lo, s1
	v_cmp_lt_i32_e64 s1, 1, v4
	s_delay_alu instid0(VALU_DEP_1) | instskip(NEXT) | instid1(SALU_CYCLE_1)
	s_and_b32 s1, s0, s1
	s_and_saveexec_b32 s2, s1
	s_cbranch_execz .LBB414_4
; %bb.3:
	s_mov_b32 s11, 0
	s_delay_alu instid0(SALU_CYCLE_1) | instskip(NEXT) | instid1(SALU_CYCLE_1)
	s_lshl_b64 s[6:7], s[10:11], 1
	v_add_co_u32 v2, s1, v2, s6
	s_delay_alu instid0(VALU_DEP_1)
	v_add_co_ci_u32_e64 v3, s1, s7, v3, s1
	global_load_u16 v2, v[2:3], off
	s_waitcnt vmcnt(0)
	v_cvt_f32_f16_e32 v5, v2
.LBB414_4:
	s_or_b32 exec_lo, exec_lo, s2
	v_mbcnt_lo_u32_b32 v2, -1, 0
	s_delay_alu instid0(VALU_DEP_1)
	v_and_b32_e32 v3, 16, v2
	v_xor_b32_e32 v7, 8, v2
	v_xor_b32_e32 v10, 4, v2
	;; [unrolled: 1-line block ×4, first 2 shown]
	v_add_nc_u32_e32 v3, 16, v3
	s_delay_alu instid0(VALU_DEP_1) | instskip(NEXT) | instid1(VALU_DEP_1)
	v_cmp_lt_i32_e64 s1, v7, v3
	v_cndmask_b32_e64 v7, v2, v7, s1
	v_cmp_lt_i32_e64 s1, v10, v3
	s_delay_alu instid0(VALU_DEP_2) | instskip(NEXT) | instid1(VALU_DEP_2)
	v_lshlrev_b32_e32 v7, 2, v7
	v_cndmask_b32_e64 v10, v2, v10, s1
	ds_bpermute_b32 v8, v7, v6
	ds_bpermute_b32 v9, v7, v5
	v_lshlrev_b32_e32 v10, 2, v10
	s_waitcnt lgkmcnt(1)
	v_cmp_lt_f32_e64 s1, v6, v8
	s_delay_alu instid0(VALU_DEP_1)
	v_cndmask_b32_e64 v8, v6, v8, s1
	s_waitcnt lgkmcnt(0)
	v_cmp_lt_f32_e64 s1, v5, v9
	ds_bpermute_b32 v11, v10, v8
	v_cndmask_b32_e64 v9, v5, v9, s1
	v_cmp_lt_i32_e64 s1, v13, v3
	ds_bpermute_b32 v12, v10, v9
	v_cndmask_b32_e64 v13, v2, v13, s1
	s_delay_alu instid0(VALU_DEP_1) | instskip(SKIP_2) | instid1(VALU_DEP_1)
	v_lshlrev_b32_e32 v13, 2, v13
	s_waitcnt lgkmcnt(1)
	v_cmp_lt_f32_e64 s1, v8, v11
	v_cndmask_b32_e64 v8, v8, v11, s1
	s_waitcnt lgkmcnt(0)
	v_cmp_lt_f32_e64 s1, v9, v12
	ds_bpermute_b32 v11, v13, v8
	v_cndmask_b32_e64 v9, v9, v12, s1
	v_cmp_lt_i32_e64 s1, v14, v3
	ds_bpermute_b32 v12, v13, v9
	v_cndmask_b32_e64 v2, v2, v14, s1
	s_delay_alu instid0(VALU_DEP_1) | instskip(SKIP_2) | instid1(VALU_DEP_1)
	v_lshlrev_b32_e32 v14, 2, v2
	s_waitcnt lgkmcnt(1)
	v_cmp_lt_f32_e64 s1, v8, v11
	v_cndmask_b32_e64 v2, v8, v11, s1
	s_waitcnt lgkmcnt(0)
	v_cmp_lt_f32_e64 s1, v9, v12
	ds_bpermute_b32 v8, v14, v2
	v_cndmask_b32_e64 v3, v9, v12, s1
	ds_bpermute_b32 v9, v14, v3
	s_waitcnt lgkmcnt(1)
	v_cmp_lt_f32_e64 s1, v2, v8
	s_delay_alu instid0(VALU_DEP_1) | instskip(SKIP_2) | instid1(VALU_DEP_2)
	v_cndmask_b32_e64 v2, v2, v8, s1
	s_waitcnt lgkmcnt(0)
	v_cmp_lt_f32_e64 s1, v3, v9
	v_sub_f32_e32 v2, v6, v2
	s_delay_alu instid0(VALU_DEP_2) | instskip(NEXT) | instid1(VALU_DEP_2)
	v_cndmask_b32_e64 v3, v3, v9, s1
	v_cmp_ngt_f32_e64 s1, 0xc2ce8ed0, v2
	s_delay_alu instid0(VALU_DEP_2) | instskip(NEXT) | instid1(VALU_DEP_1)
	v_sub_f32_e32 v3, v5, v3
	v_mul_f32_e32 v6, 0x3fb8aa3b, v3
	s_delay_alu instid0(VALU_DEP_1) | instskip(SKIP_1) | instid1(VALU_DEP_1)
	v_fma_f32 v11, 0x3fb8aa3b, v3, -v6
	v_rndne_f32_e32 v12, v6
	v_dual_fmac_f32 v11, 0x32a5705f, v3 :: v_dual_sub_f32 v6, v6, v12
	s_delay_alu instid0(VALU_DEP_1) | instskip(NEXT) | instid1(VALU_DEP_1)
	v_dual_mul_f32 v5, 0x3fb8aa3b, v2 :: v_dual_add_f32 v6, v6, v11
	v_fma_f32 v8, 0x3fb8aa3b, v2, -v5
	v_rndne_f32_e32 v9, v5
	s_delay_alu instid0(VALU_DEP_3) | instskip(NEXT) | instid1(VALU_DEP_1)
	v_exp_f32_e32 v6, v6
	v_dual_fmac_f32 v8, 0x32a5705f, v2 :: v_dual_sub_f32 v5, v5, v9
	s_delay_alu instid0(VALU_DEP_1) | instskip(SKIP_2) | instid1(VALU_DEP_3)
	v_add_f32_e32 v5, v5, v8
	v_cvt_i32_f32_e32 v8, v9
	v_cvt_i32_f32_e32 v9, v12
	v_exp_f32_e32 v5, v5
	s_waitcnt_depctr 0xfff
	v_ldexp_f32 v6, v6, v9
	v_ldexp_f32 v5, v5, v8
	s_delay_alu instid0(VALU_DEP_1) | instskip(SKIP_1) | instid1(VALU_DEP_1)
	v_cndmask_b32_e64 v5, 0, v5, s1
	v_cmp_ngt_f32_e64 s1, 0xc2ce8ed0, v3
	v_cndmask_b32_e64 v8, 0, v6, s1
	v_cmp_nlt_f32_e64 s1, 0x42b17218, v2
	s_delay_alu instid0(VALU_DEP_1)
	v_cndmask_b32_e64 v6, 0x7f800000, v5, s1
	v_cmp_nlt_f32_e64 s1, 0x42b17218, v3
	ds_bpermute_b32 v3, v7, v6
	v_cndmask_b32_e64 v2, 0x7f800000, v8, s1
	ds_bpermute_b32 v5, v7, v2
	s_waitcnt lgkmcnt(1)
	v_add_f32_e32 v3, v6, v3
	ds_bpermute_b32 v7, v10, v3
	s_waitcnt lgkmcnt(1)
	v_add_f32_e32 v5, v2, v5
	;; [unrolled: 3-line block ×5, first 2 shown]
	s_waitcnt lgkmcnt(0)
	v_add_f32_e32 v3, v5, v8
	ds_bpermute_b32 v8, v14, v7
	ds_bpermute_b32 v5, v14, v3
	s_and_saveexec_b32 s1, vcc_lo
	s_cbranch_execz .LBB414_16
; %bb.5:
	v_add_co_u32 v0, vcc_lo, s4, v0
	v_add_co_ci_u32_e32 v1, vcc_lo, s5, v1, vcc_lo
	s_and_saveexec_b32 s1, s0
	s_cbranch_execz .LBB414_10
; %bb.6:
	s_waitcnt lgkmcnt(1)
	v_add_f32_e32 v7, v7, v8
	s_mov_b32 s2, exec_lo
	s_delay_alu instid0(VALU_DEP_1)
	v_cmpx_neq_f32_e32 0, v7
	s_xor_b32 s2, exec_lo, s2
	s_cbranch_execz .LBB414_8
; %bb.7:
	v_div_scale_f32 v8, null, v7, v7, v6
	s_delay_alu instid0(VALU_DEP_1) | instskip(SKIP_2) | instid1(VALU_DEP_1)
	v_rcp_f32_e32 v9, v8
	s_waitcnt_depctr 0xfff
	v_fma_f32 v10, -v8, v9, 1.0
	v_fmac_f32_e32 v9, v10, v9
	v_div_scale_f32 v10, vcc_lo, v6, v7, v6
	s_delay_alu instid0(VALU_DEP_1) | instskip(NEXT) | instid1(VALU_DEP_1)
	v_mul_f32_e32 v11, v10, v9
	v_fma_f32 v12, -v8, v11, v10
	s_delay_alu instid0(VALU_DEP_1) | instskip(NEXT) | instid1(VALU_DEP_1)
	v_fmac_f32_e32 v11, v12, v9
	v_fma_f32 v8, -v8, v11, v10
	s_delay_alu instid0(VALU_DEP_1) | instskip(NEXT) | instid1(VALU_DEP_1)
	v_div_fmas_f32 v8, v8, v9, v11
	v_div_fixup_f32 v6, v8, v7, v6
	s_delay_alu instid0(VALU_DEP_1)
	v_cvt_f16_f32_e32 v6, v6
	global_store_b16 v[0:1], v6, off
.LBB414_8:
	s_and_not1_saveexec_b32 s2, s2
	s_cbranch_execz .LBB414_10
; %bb.9:
	v_mov_b32_e32 v6, 0x7e00
	global_store_b16 v[0:1], v6, off
.LBB414_10:
	s_or_b32 exec_lo, exec_lo, s1
	v_cmp_ne_u32_e32 vcc_lo, 1, v4
	s_and_b32 exec_lo, exec_lo, vcc_lo
	s_cbranch_execz .LBB414_16
; %bb.11:
	s_and_b32 exec_lo, exec_lo, s0
	s_cbranch_execz .LBB414_16
; %bb.12:
	s_mov_b32 s11, 0
	s_waitcnt lgkmcnt(0)
	v_add_f32_e32 v3, v3, v5
	s_lshl_b64 s[0:1], s[10:11], 1
	s_delay_alu instid0(SALU_CYCLE_1) | instskip(NEXT) | instid1(VALU_DEP_1)
	v_add_co_u32 v0, s0, v0, s0
	v_add_co_ci_u32_e64 v1, s0, s1, v1, s0
	s_mov_b32 s0, exec_lo
	v_cmpx_neq_f32_e32 0, v3
	s_xor_b32 s0, exec_lo, s0
	s_cbranch_execz .LBB414_14
; %bb.13:
	v_div_scale_f32 v4, null, v3, v3, v2
	s_delay_alu instid0(VALU_DEP_1) | instskip(SKIP_2) | instid1(VALU_DEP_1)
	v_rcp_f32_e32 v5, v4
	s_waitcnt_depctr 0xfff
	v_fma_f32 v6, -v4, v5, 1.0
	v_fmac_f32_e32 v5, v6, v5
	v_div_scale_f32 v6, vcc_lo, v2, v3, v2
	s_delay_alu instid0(VALU_DEP_1) | instskip(NEXT) | instid1(VALU_DEP_1)
	v_mul_f32_e32 v7, v6, v5
	v_fma_f32 v8, -v4, v7, v6
	s_delay_alu instid0(VALU_DEP_1) | instskip(NEXT) | instid1(VALU_DEP_1)
	v_fmac_f32_e32 v7, v8, v5
	v_fma_f32 v4, -v4, v7, v6
	s_delay_alu instid0(VALU_DEP_1) | instskip(NEXT) | instid1(VALU_DEP_1)
	v_div_fmas_f32 v4, v4, v5, v7
	v_div_fixup_f32 v2, v4, v3, v2
	s_delay_alu instid0(VALU_DEP_1)
	v_cvt_f16_f32_e32 v2, v2
	global_store_b16 v[0:1], v2, off
                                        ; implicit-def: $vgpr0_vgpr1
.LBB414_14:
	s_and_not1_saveexec_b32 s0, s0
	s_cbranch_execz .LBB414_16
; %bb.15:
	v_mov_b32_e32 v2, 0x7e00
	global_store_b16 v[0:1], v2, off
.LBB414_16:
	s_nop 0
	s_sendmsg sendmsg(MSG_DEALLOC_VGPRS)
	s_endpgm
	.section	.rodata,"a",@progbits
	.p2align	6, 0x0
	.amdhsa_kernel _ZN12_GLOBAL__N_120softmax_warp_forwardIN3c104HalfES2_fLi4ELb0ELb0ELi64EEEvPT0_PKT_iiiPKbib
		.amdhsa_group_segment_fixed_size 0
		.amdhsa_private_segment_fixed_size 0
		.amdhsa_kernarg_size 304
		.amdhsa_user_sgpr_count 15
		.amdhsa_user_sgpr_dispatch_ptr 0
		.amdhsa_user_sgpr_queue_ptr 0
		.amdhsa_user_sgpr_kernarg_segment_ptr 1
		.amdhsa_user_sgpr_dispatch_id 0
		.amdhsa_user_sgpr_private_segment_size 0
		.amdhsa_wavefront_size32 1
		.amdhsa_uses_dynamic_stack 0
		.amdhsa_enable_private_segment 0
		.amdhsa_system_sgpr_workgroup_id_x 1
		.amdhsa_system_sgpr_workgroup_id_y 0
		.amdhsa_system_sgpr_workgroup_id_z 0
		.amdhsa_system_sgpr_workgroup_info 0
		.amdhsa_system_vgpr_workitem_id 1
		.amdhsa_next_free_vgpr 15
		.amdhsa_next_free_sgpr 16
		.amdhsa_reserve_vcc 1
		.amdhsa_float_round_mode_32 0
		.amdhsa_float_round_mode_16_64 0
		.amdhsa_float_denorm_mode_32 3
		.amdhsa_float_denorm_mode_16_64 3
		.amdhsa_dx10_clamp 1
		.amdhsa_ieee_mode 1
		.amdhsa_fp16_overflow 0
		.amdhsa_workgroup_processor_mode 1
		.amdhsa_memory_ordered 1
		.amdhsa_forward_progress 0
		.amdhsa_shared_vgpr_count 0
		.amdhsa_exception_fp_ieee_invalid_op 0
		.amdhsa_exception_fp_denorm_src 0
		.amdhsa_exception_fp_ieee_div_zero 0
		.amdhsa_exception_fp_ieee_overflow 0
		.amdhsa_exception_fp_ieee_underflow 0
		.amdhsa_exception_fp_ieee_inexact 0
		.amdhsa_exception_int_div_zero 0
	.end_amdhsa_kernel
	.section	.text._ZN12_GLOBAL__N_120softmax_warp_forwardIN3c104HalfES2_fLi4ELb0ELb0ELi64EEEvPT0_PKT_iiiPKbib,"axG",@progbits,_ZN12_GLOBAL__N_120softmax_warp_forwardIN3c104HalfES2_fLi4ELb0ELb0ELi64EEEvPT0_PKT_iiiPKbib,comdat
.Lfunc_end414:
	.size	_ZN12_GLOBAL__N_120softmax_warp_forwardIN3c104HalfES2_fLi4ELb0ELb0ELi64EEEvPT0_PKT_iiiPKbib, .Lfunc_end414-_ZN12_GLOBAL__N_120softmax_warp_forwardIN3c104HalfES2_fLi4ELb0ELb0ELi64EEEvPT0_PKT_iiiPKbib
                                        ; -- End function
	.section	.AMDGPU.csdata,"",@progbits
; Kernel info:
; codeLenInByte = 1372
; NumSgprs: 18
; NumVgprs: 15
; ScratchSize: 0
; MemoryBound: 0
; FloatMode: 240
; IeeeMode: 1
; LDSByteSize: 0 bytes/workgroup (compile time only)
; SGPRBlocks: 2
; VGPRBlocks: 1
; NumSGPRsForWavesPerEU: 18
; NumVGPRsForWavesPerEU: 15
; Occupancy: 16
; WaveLimiterHint : 0
; COMPUTE_PGM_RSRC2:SCRATCH_EN: 0
; COMPUTE_PGM_RSRC2:USER_SGPR: 15
; COMPUTE_PGM_RSRC2:TRAP_HANDLER: 0
; COMPUTE_PGM_RSRC2:TGID_X_EN: 1
; COMPUTE_PGM_RSRC2:TGID_Y_EN: 0
; COMPUTE_PGM_RSRC2:TGID_Z_EN: 0
; COMPUTE_PGM_RSRC2:TIDIG_COMP_CNT: 1
	.section	.text._ZN12_GLOBAL__N_120softmax_warp_forwardIN3c104HalfES2_fLi4ELb0ELb0ELi32EEEvPT0_PKT_iiiPKbib,"axG",@progbits,_ZN12_GLOBAL__N_120softmax_warp_forwardIN3c104HalfES2_fLi4ELb0ELb0ELi32EEEvPT0_PKT_iiiPKbib,comdat
	.globl	_ZN12_GLOBAL__N_120softmax_warp_forwardIN3c104HalfES2_fLi4ELb0ELb0ELi32EEEvPT0_PKT_iiiPKbib ; -- Begin function _ZN12_GLOBAL__N_120softmax_warp_forwardIN3c104HalfES2_fLi4ELb0ELb0ELi32EEEvPT0_PKT_iiiPKbib
	.p2align	8
	.type	_ZN12_GLOBAL__N_120softmax_warp_forwardIN3c104HalfES2_fLi4ELb0ELb0ELi32EEEvPT0_PKT_iiiPKbib,@function
_ZN12_GLOBAL__N_120softmax_warp_forwardIN3c104HalfES2_fLi4ELb0ELb0ELi32EEEvPT0_PKT_iiiPKbib: ; @_ZN12_GLOBAL__N_120softmax_warp_forwardIN3c104HalfES2_fLi4ELb0ELb0ELi32EEEvPT0_PKT_iiiPKbib
; %bb.0:
	s_clause 0x1
	s_load_b32 s2, s[0:1], 0x3c
	s_load_b256 s[4:11], s[0:1], 0x0
	v_bfe_u32 v1, v0, 10, 10
	v_and_b32_e32 v2, 0x3ff, v0
	v_dual_mov_b32 v5, 0xff800000 :: v_dual_mov_b32 v6, 0xff800000
	s_waitcnt lgkmcnt(0)
	s_lshr_b32 s0, s2, 16
	s_delay_alu instid0(SALU_CYCLE_1) | instskip(SKIP_2) | instid1(VALU_DEP_1)
	s_mul_i32 s15, s15, s0
	v_cmp_gt_i32_e64 s0, s10, v2
	v_add_lshl_u32 v3, s15, v1, 1
	v_mad_u64_u32 v[0:1], null, v3, s9, v[2:3]
	v_sub_nc_u32_e32 v4, s8, v3
	s_delay_alu instid0(VALU_DEP_1) | instskip(NEXT) | instid1(VALU_DEP_3)
	v_cmp_lt_i32_e32 vcc_lo, 0, v4
	v_ashrrev_i32_e32 v1, 31, v0
	s_and_b32 s2, s0, vcc_lo
	s_delay_alu instid0(VALU_DEP_1) | instskip(NEXT) | instid1(VALU_DEP_1)
	v_lshlrev_b64 v[0:1], 1, v[0:1]
	v_add_co_u32 v2, s1, s6, v0
	s_delay_alu instid0(VALU_DEP_1)
	v_add_co_ci_u32_e64 v3, s1, s7, v1, s1
	s_and_saveexec_b32 s1, s2
	s_cbranch_execz .LBB415_2
; %bb.1:
	global_load_u16 v6, v[2:3], off
	s_waitcnt vmcnt(0)
	v_cvt_f32_f16_e32 v6, v6
.LBB415_2:
	s_or_b32 exec_lo, exec_lo, s1
	v_cmp_lt_i32_e64 s1, 1, v4
	s_delay_alu instid0(VALU_DEP_1) | instskip(NEXT) | instid1(SALU_CYCLE_1)
	s_and_b32 s1, s0, s1
	s_and_saveexec_b32 s2, s1
	s_cbranch_execz .LBB415_4
; %bb.3:
	s_mov_b32 s11, 0
	s_delay_alu instid0(SALU_CYCLE_1) | instskip(NEXT) | instid1(SALU_CYCLE_1)
	s_lshl_b64 s[6:7], s[10:11], 1
	v_add_co_u32 v2, s1, v2, s6
	s_delay_alu instid0(VALU_DEP_1)
	v_add_co_ci_u32_e64 v3, s1, s7, v3, s1
	global_load_u16 v2, v[2:3], off
	s_waitcnt vmcnt(0)
	v_cvt_f32_f16_e32 v5, v2
.LBB415_4:
	s_or_b32 exec_lo, exec_lo, s2
	v_mbcnt_lo_u32_b32 v2, -1, 0
	s_delay_alu instid0(VALU_DEP_1)
	v_and_b32_e32 v3, 16, v2
	v_xor_b32_e32 v7, 8, v2
	v_xor_b32_e32 v10, 4, v2
	;; [unrolled: 1-line block ×4, first 2 shown]
	v_add_nc_u32_e32 v3, 16, v3
	s_delay_alu instid0(VALU_DEP_1) | instskip(NEXT) | instid1(VALU_DEP_1)
	v_cmp_lt_i32_e64 s1, v7, v3
	v_cndmask_b32_e64 v7, v2, v7, s1
	v_cmp_lt_i32_e64 s1, v10, v3
	s_delay_alu instid0(VALU_DEP_2) | instskip(NEXT) | instid1(VALU_DEP_2)
	v_lshlrev_b32_e32 v7, 2, v7
	v_cndmask_b32_e64 v10, v2, v10, s1
	ds_bpermute_b32 v8, v7, v6
	ds_bpermute_b32 v9, v7, v5
	v_lshlrev_b32_e32 v10, 2, v10
	s_waitcnt lgkmcnt(1)
	v_cmp_lt_f32_e64 s1, v6, v8
	s_delay_alu instid0(VALU_DEP_1)
	v_cndmask_b32_e64 v8, v6, v8, s1
	s_waitcnt lgkmcnt(0)
	v_cmp_lt_f32_e64 s1, v5, v9
	ds_bpermute_b32 v11, v10, v8
	v_cndmask_b32_e64 v9, v5, v9, s1
	v_cmp_lt_i32_e64 s1, v13, v3
	ds_bpermute_b32 v12, v10, v9
	v_cndmask_b32_e64 v13, v2, v13, s1
	s_delay_alu instid0(VALU_DEP_1) | instskip(SKIP_2) | instid1(VALU_DEP_1)
	v_lshlrev_b32_e32 v13, 2, v13
	s_waitcnt lgkmcnt(1)
	v_cmp_lt_f32_e64 s1, v8, v11
	v_cndmask_b32_e64 v8, v8, v11, s1
	s_waitcnt lgkmcnt(0)
	v_cmp_lt_f32_e64 s1, v9, v12
	ds_bpermute_b32 v11, v13, v8
	v_cndmask_b32_e64 v9, v9, v12, s1
	v_cmp_lt_i32_e64 s1, v14, v3
	ds_bpermute_b32 v12, v13, v9
	v_cndmask_b32_e64 v2, v2, v14, s1
	s_delay_alu instid0(VALU_DEP_1) | instskip(SKIP_2) | instid1(VALU_DEP_1)
	v_lshlrev_b32_e32 v14, 2, v2
	s_waitcnt lgkmcnt(1)
	v_cmp_lt_f32_e64 s1, v8, v11
	v_cndmask_b32_e64 v2, v8, v11, s1
	s_waitcnt lgkmcnt(0)
	v_cmp_lt_f32_e64 s1, v9, v12
	ds_bpermute_b32 v8, v14, v2
	v_cndmask_b32_e64 v3, v9, v12, s1
	ds_bpermute_b32 v9, v14, v3
	s_waitcnt lgkmcnt(1)
	v_cmp_lt_f32_e64 s1, v2, v8
	s_delay_alu instid0(VALU_DEP_1) | instskip(SKIP_2) | instid1(VALU_DEP_2)
	v_cndmask_b32_e64 v2, v2, v8, s1
	s_waitcnt lgkmcnt(0)
	v_cmp_lt_f32_e64 s1, v3, v9
	v_sub_f32_e32 v2, v6, v2
	s_delay_alu instid0(VALU_DEP_2) | instskip(NEXT) | instid1(VALU_DEP_2)
	v_cndmask_b32_e64 v3, v3, v9, s1
	v_cmp_ngt_f32_e64 s1, 0xc2ce8ed0, v2
	s_delay_alu instid0(VALU_DEP_2) | instskip(NEXT) | instid1(VALU_DEP_1)
	v_sub_f32_e32 v3, v5, v3
	v_mul_f32_e32 v6, 0x3fb8aa3b, v3
	s_delay_alu instid0(VALU_DEP_1) | instskip(SKIP_1) | instid1(VALU_DEP_1)
	v_fma_f32 v11, 0x3fb8aa3b, v3, -v6
	v_rndne_f32_e32 v12, v6
	v_dual_fmac_f32 v11, 0x32a5705f, v3 :: v_dual_sub_f32 v6, v6, v12
	s_delay_alu instid0(VALU_DEP_1) | instskip(NEXT) | instid1(VALU_DEP_1)
	v_dual_mul_f32 v5, 0x3fb8aa3b, v2 :: v_dual_add_f32 v6, v6, v11
	v_fma_f32 v8, 0x3fb8aa3b, v2, -v5
	v_rndne_f32_e32 v9, v5
	s_delay_alu instid0(VALU_DEP_3) | instskip(NEXT) | instid1(VALU_DEP_1)
	v_exp_f32_e32 v6, v6
	v_dual_fmac_f32 v8, 0x32a5705f, v2 :: v_dual_sub_f32 v5, v5, v9
	s_delay_alu instid0(VALU_DEP_1) | instskip(SKIP_2) | instid1(VALU_DEP_3)
	v_add_f32_e32 v5, v5, v8
	v_cvt_i32_f32_e32 v8, v9
	v_cvt_i32_f32_e32 v9, v12
	v_exp_f32_e32 v5, v5
	s_waitcnt_depctr 0xfff
	v_ldexp_f32 v6, v6, v9
	v_ldexp_f32 v5, v5, v8
	s_delay_alu instid0(VALU_DEP_1) | instskip(SKIP_1) | instid1(VALU_DEP_1)
	v_cndmask_b32_e64 v5, 0, v5, s1
	v_cmp_ngt_f32_e64 s1, 0xc2ce8ed0, v3
	v_cndmask_b32_e64 v8, 0, v6, s1
	v_cmp_nlt_f32_e64 s1, 0x42b17218, v2
	s_delay_alu instid0(VALU_DEP_1)
	v_cndmask_b32_e64 v6, 0x7f800000, v5, s1
	v_cmp_nlt_f32_e64 s1, 0x42b17218, v3
	ds_bpermute_b32 v3, v7, v6
	v_cndmask_b32_e64 v2, 0x7f800000, v8, s1
	ds_bpermute_b32 v5, v7, v2
	s_waitcnt lgkmcnt(1)
	v_add_f32_e32 v3, v6, v3
	ds_bpermute_b32 v7, v10, v3
	s_waitcnt lgkmcnt(1)
	v_add_f32_e32 v5, v2, v5
	;; [unrolled: 3-line block ×5, first 2 shown]
	s_waitcnt lgkmcnt(0)
	v_add_f32_e32 v3, v5, v8
	ds_bpermute_b32 v8, v14, v7
	ds_bpermute_b32 v5, v14, v3
	s_and_saveexec_b32 s1, vcc_lo
	s_cbranch_execz .LBB415_16
; %bb.5:
	v_add_co_u32 v0, vcc_lo, s4, v0
	v_add_co_ci_u32_e32 v1, vcc_lo, s5, v1, vcc_lo
	s_and_saveexec_b32 s1, s0
	s_cbranch_execz .LBB415_10
; %bb.6:
	s_waitcnt lgkmcnt(1)
	v_add_f32_e32 v7, v7, v8
	s_mov_b32 s2, exec_lo
	s_delay_alu instid0(VALU_DEP_1)
	v_cmpx_neq_f32_e32 0, v7
	s_xor_b32 s2, exec_lo, s2
	s_cbranch_execz .LBB415_8
; %bb.7:
	v_div_scale_f32 v8, null, v7, v7, v6
	s_delay_alu instid0(VALU_DEP_1) | instskip(SKIP_2) | instid1(VALU_DEP_1)
	v_rcp_f32_e32 v9, v8
	s_waitcnt_depctr 0xfff
	v_fma_f32 v10, -v8, v9, 1.0
	v_fmac_f32_e32 v9, v10, v9
	v_div_scale_f32 v10, vcc_lo, v6, v7, v6
	s_delay_alu instid0(VALU_DEP_1) | instskip(NEXT) | instid1(VALU_DEP_1)
	v_mul_f32_e32 v11, v10, v9
	v_fma_f32 v12, -v8, v11, v10
	s_delay_alu instid0(VALU_DEP_1) | instskip(NEXT) | instid1(VALU_DEP_1)
	v_fmac_f32_e32 v11, v12, v9
	v_fma_f32 v8, -v8, v11, v10
	s_delay_alu instid0(VALU_DEP_1) | instskip(NEXT) | instid1(VALU_DEP_1)
	v_div_fmas_f32 v8, v8, v9, v11
	v_div_fixup_f32 v6, v8, v7, v6
	s_delay_alu instid0(VALU_DEP_1)
	v_cvt_f16_f32_e32 v6, v6
	global_store_b16 v[0:1], v6, off
.LBB415_8:
	s_and_not1_saveexec_b32 s2, s2
	s_cbranch_execz .LBB415_10
; %bb.9:
	v_mov_b32_e32 v6, 0x7e00
	global_store_b16 v[0:1], v6, off
.LBB415_10:
	s_or_b32 exec_lo, exec_lo, s1
	v_cmp_ne_u32_e32 vcc_lo, 1, v4
	s_and_b32 exec_lo, exec_lo, vcc_lo
	s_cbranch_execz .LBB415_16
; %bb.11:
	s_and_b32 exec_lo, exec_lo, s0
	s_cbranch_execz .LBB415_16
; %bb.12:
	s_mov_b32 s11, 0
	s_waitcnt lgkmcnt(0)
	v_add_f32_e32 v3, v3, v5
	s_lshl_b64 s[0:1], s[10:11], 1
	s_delay_alu instid0(SALU_CYCLE_1) | instskip(NEXT) | instid1(VALU_DEP_1)
	v_add_co_u32 v0, s0, v0, s0
	v_add_co_ci_u32_e64 v1, s0, s1, v1, s0
	s_mov_b32 s0, exec_lo
	v_cmpx_neq_f32_e32 0, v3
	s_xor_b32 s0, exec_lo, s0
	s_cbranch_execz .LBB415_14
; %bb.13:
	v_div_scale_f32 v4, null, v3, v3, v2
	s_delay_alu instid0(VALU_DEP_1) | instskip(SKIP_2) | instid1(VALU_DEP_1)
	v_rcp_f32_e32 v5, v4
	s_waitcnt_depctr 0xfff
	v_fma_f32 v6, -v4, v5, 1.0
	v_fmac_f32_e32 v5, v6, v5
	v_div_scale_f32 v6, vcc_lo, v2, v3, v2
	s_delay_alu instid0(VALU_DEP_1) | instskip(NEXT) | instid1(VALU_DEP_1)
	v_mul_f32_e32 v7, v6, v5
	v_fma_f32 v8, -v4, v7, v6
	s_delay_alu instid0(VALU_DEP_1) | instskip(NEXT) | instid1(VALU_DEP_1)
	v_fmac_f32_e32 v7, v8, v5
	v_fma_f32 v4, -v4, v7, v6
	s_delay_alu instid0(VALU_DEP_1) | instskip(NEXT) | instid1(VALU_DEP_1)
	v_div_fmas_f32 v4, v4, v5, v7
	v_div_fixup_f32 v2, v4, v3, v2
	s_delay_alu instid0(VALU_DEP_1)
	v_cvt_f16_f32_e32 v2, v2
	global_store_b16 v[0:1], v2, off
                                        ; implicit-def: $vgpr0_vgpr1
.LBB415_14:
	s_and_not1_saveexec_b32 s0, s0
	s_cbranch_execz .LBB415_16
; %bb.15:
	v_mov_b32_e32 v2, 0x7e00
	global_store_b16 v[0:1], v2, off
.LBB415_16:
	s_nop 0
	s_sendmsg sendmsg(MSG_DEALLOC_VGPRS)
	s_endpgm
	.section	.rodata,"a",@progbits
	.p2align	6, 0x0
	.amdhsa_kernel _ZN12_GLOBAL__N_120softmax_warp_forwardIN3c104HalfES2_fLi4ELb0ELb0ELi32EEEvPT0_PKT_iiiPKbib
		.amdhsa_group_segment_fixed_size 0
		.amdhsa_private_segment_fixed_size 0
		.amdhsa_kernarg_size 304
		.amdhsa_user_sgpr_count 15
		.amdhsa_user_sgpr_dispatch_ptr 0
		.amdhsa_user_sgpr_queue_ptr 0
		.amdhsa_user_sgpr_kernarg_segment_ptr 1
		.amdhsa_user_sgpr_dispatch_id 0
		.amdhsa_user_sgpr_private_segment_size 0
		.amdhsa_wavefront_size32 1
		.amdhsa_uses_dynamic_stack 0
		.amdhsa_enable_private_segment 0
		.amdhsa_system_sgpr_workgroup_id_x 1
		.amdhsa_system_sgpr_workgroup_id_y 0
		.amdhsa_system_sgpr_workgroup_id_z 0
		.amdhsa_system_sgpr_workgroup_info 0
		.amdhsa_system_vgpr_workitem_id 1
		.amdhsa_next_free_vgpr 15
		.amdhsa_next_free_sgpr 16
		.amdhsa_reserve_vcc 1
		.amdhsa_float_round_mode_32 0
		.amdhsa_float_round_mode_16_64 0
		.amdhsa_float_denorm_mode_32 3
		.amdhsa_float_denorm_mode_16_64 3
		.amdhsa_dx10_clamp 1
		.amdhsa_ieee_mode 1
		.amdhsa_fp16_overflow 0
		.amdhsa_workgroup_processor_mode 1
		.amdhsa_memory_ordered 1
		.amdhsa_forward_progress 0
		.amdhsa_shared_vgpr_count 0
		.amdhsa_exception_fp_ieee_invalid_op 0
		.amdhsa_exception_fp_denorm_src 0
		.amdhsa_exception_fp_ieee_div_zero 0
		.amdhsa_exception_fp_ieee_overflow 0
		.amdhsa_exception_fp_ieee_underflow 0
		.amdhsa_exception_fp_ieee_inexact 0
		.amdhsa_exception_int_div_zero 0
	.end_amdhsa_kernel
	.section	.text._ZN12_GLOBAL__N_120softmax_warp_forwardIN3c104HalfES2_fLi4ELb0ELb0ELi32EEEvPT0_PKT_iiiPKbib,"axG",@progbits,_ZN12_GLOBAL__N_120softmax_warp_forwardIN3c104HalfES2_fLi4ELb0ELb0ELi32EEEvPT0_PKT_iiiPKbib,comdat
.Lfunc_end415:
	.size	_ZN12_GLOBAL__N_120softmax_warp_forwardIN3c104HalfES2_fLi4ELb0ELb0ELi32EEEvPT0_PKT_iiiPKbib, .Lfunc_end415-_ZN12_GLOBAL__N_120softmax_warp_forwardIN3c104HalfES2_fLi4ELb0ELb0ELi32EEEvPT0_PKT_iiiPKbib
                                        ; -- End function
	.section	.AMDGPU.csdata,"",@progbits
; Kernel info:
; codeLenInByte = 1372
; NumSgprs: 18
; NumVgprs: 15
; ScratchSize: 0
; MemoryBound: 0
; FloatMode: 240
; IeeeMode: 1
; LDSByteSize: 0 bytes/workgroup (compile time only)
; SGPRBlocks: 2
; VGPRBlocks: 1
; NumSGPRsForWavesPerEU: 18
; NumVGPRsForWavesPerEU: 15
; Occupancy: 16
; WaveLimiterHint : 0
; COMPUTE_PGM_RSRC2:SCRATCH_EN: 0
; COMPUTE_PGM_RSRC2:USER_SGPR: 15
; COMPUTE_PGM_RSRC2:TRAP_HANDLER: 0
; COMPUTE_PGM_RSRC2:TGID_X_EN: 1
; COMPUTE_PGM_RSRC2:TGID_Y_EN: 0
; COMPUTE_PGM_RSRC2:TGID_Z_EN: 0
; COMPUTE_PGM_RSRC2:TIDIG_COMP_CNT: 1
	.section	.text._ZN12_GLOBAL__N_120softmax_warp_forwardIN3c104HalfES2_fLi5ELb0ELb0ELi64EEEvPT0_PKT_iiiPKbib,"axG",@progbits,_ZN12_GLOBAL__N_120softmax_warp_forwardIN3c104HalfES2_fLi5ELb0ELb0ELi64EEEvPT0_PKT_iiiPKbib,comdat
	.globl	_ZN12_GLOBAL__N_120softmax_warp_forwardIN3c104HalfES2_fLi5ELb0ELb0ELi64EEEvPT0_PKT_iiiPKbib ; -- Begin function _ZN12_GLOBAL__N_120softmax_warp_forwardIN3c104HalfES2_fLi5ELb0ELb0ELi64EEEvPT0_PKT_iiiPKbib
	.p2align	8
	.type	_ZN12_GLOBAL__N_120softmax_warp_forwardIN3c104HalfES2_fLi5ELb0ELb0ELi64EEEvPT0_PKT_iiiPKbib,@function
_ZN12_GLOBAL__N_120softmax_warp_forwardIN3c104HalfES2_fLi5ELb0ELb0ELi64EEEvPT0_PKT_iiiPKbib: ; @_ZN12_GLOBAL__N_120softmax_warp_forwardIN3c104HalfES2_fLi5ELb0ELb0ELi64EEEvPT0_PKT_iiiPKbib
; %bb.0:
	s_clause 0x1
	s_load_b32 s2, s[0:1], 0x3c
	s_load_b256 s[4:11], s[0:1], 0x0
	v_bfe_u32 v1, v0, 10, 10
	v_and_b32_e32 v2, 0x3ff, v0
	v_dual_mov_b32 v5, 0xff800000 :: v_dual_mov_b32 v6, 0xff800000
	s_waitcnt lgkmcnt(0)
	s_lshr_b32 s0, s2, 16
	s_delay_alu instid0(SALU_CYCLE_1) | instskip(SKIP_2) | instid1(VALU_DEP_1)
	s_mul_i32 s15, s15, s0
	v_cmp_gt_i32_e64 s0, s10, v2
	v_add_lshl_u32 v3, s15, v1, 1
	v_mad_u64_u32 v[0:1], null, v3, s9, v[2:3]
	v_sub_nc_u32_e32 v4, s8, v3
	s_delay_alu instid0(VALU_DEP_1) | instskip(NEXT) | instid1(VALU_DEP_3)
	v_cmp_lt_i32_e32 vcc_lo, 0, v4
	v_ashrrev_i32_e32 v1, 31, v0
	s_and_b32 s2, s0, vcc_lo
	s_delay_alu instid0(VALU_DEP_1) | instskip(NEXT) | instid1(VALU_DEP_1)
	v_lshlrev_b64 v[0:1], 1, v[0:1]
	v_add_co_u32 v2, s1, s6, v0
	s_delay_alu instid0(VALU_DEP_1)
	v_add_co_ci_u32_e64 v3, s1, s7, v1, s1
	s_and_saveexec_b32 s1, s2
	s_cbranch_execz .LBB416_2
; %bb.1:
	global_load_u16 v6, v[2:3], off
	s_waitcnt vmcnt(0)
	v_cvt_f32_f16_e32 v6, v6
.LBB416_2:
	s_or_b32 exec_lo, exec_lo, s1
	v_cmp_lt_i32_e64 s1, 1, v4
	s_delay_alu instid0(VALU_DEP_1) | instskip(NEXT) | instid1(SALU_CYCLE_1)
	s_and_b32 s1, s0, s1
	s_and_saveexec_b32 s2, s1
	s_cbranch_execz .LBB416_4
; %bb.3:
	s_mov_b32 s11, 0
	s_delay_alu instid0(SALU_CYCLE_1) | instskip(NEXT) | instid1(SALU_CYCLE_1)
	s_lshl_b64 s[6:7], s[10:11], 1
	v_add_co_u32 v2, s1, v2, s6
	s_delay_alu instid0(VALU_DEP_1)
	v_add_co_ci_u32_e64 v3, s1, s7, v3, s1
	global_load_u16 v2, v[2:3], off
	s_waitcnt vmcnt(0)
	v_cvt_f32_f16_e32 v5, v2
.LBB416_4:
	s_or_b32 exec_lo, exec_lo, s2
	v_mbcnt_lo_u32_b32 v2, -1, 0
	s_delay_alu instid0(VALU_DEP_1)
	v_xor_b32_e32 v3, 16, v2
	v_xor_b32_e32 v9, 8, v2
	;; [unrolled: 1-line block ×5, first 2 shown]
	v_cmp_gt_i32_e64 s1, 32, v3
	s_delay_alu instid0(VALU_DEP_1) | instskip(SKIP_1) | instid1(VALU_DEP_2)
	v_cndmask_b32_e64 v3, v2, v3, s1
	v_cmp_gt_i32_e64 s1, 32, v9
	v_lshlrev_b32_e32 v3, 2, v3
	s_delay_alu instid0(VALU_DEP_2)
	v_cndmask_b32_e64 v9, v2, v9, s1
	ds_bpermute_b32 v7, v3, v6
	ds_bpermute_b32 v8, v3, v5
	v_lshlrev_b32_e32 v9, 2, v9
	s_waitcnt lgkmcnt(1)
	v_cmp_lt_f32_e64 s1, v6, v7
	s_delay_alu instid0(VALU_DEP_1)
	v_cndmask_b32_e64 v7, v6, v7, s1
	s_waitcnt lgkmcnt(0)
	v_cmp_lt_f32_e64 s1, v5, v8
	ds_bpermute_b32 v10, v9, v7
	v_cndmask_b32_e64 v8, v5, v8, s1
	v_cmp_gt_i32_e64 s1, 32, v12
	ds_bpermute_b32 v11, v9, v8
	v_cndmask_b32_e64 v12, v2, v12, s1
	s_delay_alu instid0(VALU_DEP_1) | instskip(SKIP_2) | instid1(VALU_DEP_1)
	v_lshlrev_b32_e32 v12, 2, v12
	s_waitcnt lgkmcnt(1)
	v_cmp_lt_f32_e64 s1, v7, v10
	v_cndmask_b32_e64 v7, v7, v10, s1
	s_waitcnt lgkmcnt(0)
	v_cmp_lt_f32_e64 s1, v8, v11
	ds_bpermute_b32 v10, v12, v7
	v_cndmask_b32_e64 v8, v8, v11, s1
	v_cmp_gt_i32_e64 s1, 32, v13
	ds_bpermute_b32 v11, v12, v8
	v_cndmask_b32_e64 v13, v2, v13, s1
	s_delay_alu instid0(VALU_DEP_1) | instskip(SKIP_2) | instid1(VALU_DEP_1)
	v_lshlrev_b32_e32 v13, 2, v13
	s_waitcnt lgkmcnt(1)
	v_cmp_lt_f32_e64 s1, v7, v10
	;; [unrolled: 12-line block ×3, first 2 shown]
	v_cndmask_b32_e64 v2, v7, v10, s1
	s_waitcnt lgkmcnt(0)
	v_cmp_lt_f32_e64 s1, v8, v11
	s_delay_alu instid0(VALU_DEP_1) | instskip(SKIP_4) | instid1(VALU_DEP_1)
	v_cndmask_b32_e64 v7, v8, v11, s1
	ds_bpermute_b32 v8, v14, v2
	ds_bpermute_b32 v10, v14, v7
	s_waitcnt lgkmcnt(1)
	v_cmp_lt_f32_e64 s1, v2, v8
	v_cndmask_b32_e64 v2, v2, v8, s1
	s_waitcnt lgkmcnt(0)
	v_cmp_lt_f32_e64 s1, v7, v10
	s_delay_alu instid0(VALU_DEP_2) | instskip(NEXT) | instid1(VALU_DEP_2)
	v_sub_f32_e32 v2, v6, v2
	v_cndmask_b32_e64 v7, v7, v10, s1
	s_delay_alu instid0(VALU_DEP_1) | instskip(SKIP_1) | instid1(VALU_DEP_2)
	v_dual_mul_f32 v6, 0x3fb8aa3b, v2 :: v_dual_sub_f32 v5, v5, v7
	v_cmp_ngt_f32_e64 s1, 0xc2ce8ed0, v2
	v_fma_f32 v8, 0x3fb8aa3b, v2, -v6
	s_delay_alu instid0(VALU_DEP_3) | instskip(SKIP_1) | instid1(VALU_DEP_3)
	v_mul_f32_e32 v7, 0x3fb8aa3b, v5
	v_rndne_f32_e32 v10, v6
	v_fmac_f32_e32 v8, 0x32a5705f, v2
	s_delay_alu instid0(VALU_DEP_3) | instskip(SKIP_1) | instid1(VALU_DEP_2)
	v_fma_f32 v11, 0x3fb8aa3b, v5, -v7
	v_rndne_f32_e32 v15, v7
	v_dual_sub_f32 v6, v6, v10 :: v_dual_fmac_f32 v11, 0x32a5705f, v5
	s_delay_alu instid0(VALU_DEP_1) | instskip(SKIP_2) | instid1(VALU_DEP_3)
	v_dual_sub_f32 v7, v7, v15 :: v_dual_add_f32 v6, v6, v8
	v_cvt_i32_f32_e32 v8, v10
	v_cvt_i32_f32_e32 v10, v15
	v_add_f32_e32 v7, v7, v11
	s_delay_alu instid0(VALU_DEP_4) | instskip(NEXT) | instid1(VALU_DEP_1)
	v_exp_f32_e32 v6, v6
	v_exp_f32_e32 v7, v7
	s_waitcnt_depctr 0xfff
	v_ldexp_f32 v6, v6, v8
	v_ldexp_f32 v7, v7, v10
	s_delay_alu instid0(VALU_DEP_2) | instskip(SKIP_1) | instid1(VALU_DEP_1)
	v_cndmask_b32_e64 v6, 0, v6, s1
	v_cmp_ngt_f32_e64 s1, 0xc2ce8ed0, v5
	v_cndmask_b32_e64 v7, 0, v7, s1
	v_cmp_nlt_f32_e64 s1, 0x42b17218, v2
	s_delay_alu instid0(VALU_DEP_1)
	v_cndmask_b32_e64 v6, 0x7f800000, v6, s1
	v_cmp_nlt_f32_e64 s1, 0x42b17218, v5
	ds_bpermute_b32 v5, v3, v6
	v_cndmask_b32_e64 v2, 0x7f800000, v7, s1
	ds_bpermute_b32 v3, v3, v2
	s_waitcnt lgkmcnt(1)
	v_add_f32_e32 v5, v6, v5
	ds_bpermute_b32 v7, v9, v5
	s_waitcnt lgkmcnt(1)
	v_add_f32_e32 v3, v2, v3
	;; [unrolled: 3-line block ×7, first 2 shown]
	s_waitcnt lgkmcnt(0)
	v_add_f32_e32 v3, v3, v8
	ds_bpermute_b32 v8, v14, v7
	ds_bpermute_b32 v5, v14, v3
	s_and_saveexec_b32 s1, vcc_lo
	s_cbranch_execz .LBB416_16
; %bb.5:
	v_add_co_u32 v0, vcc_lo, s4, v0
	v_add_co_ci_u32_e32 v1, vcc_lo, s5, v1, vcc_lo
	s_and_saveexec_b32 s1, s0
	s_cbranch_execz .LBB416_10
; %bb.6:
	s_waitcnt lgkmcnt(1)
	v_add_f32_e32 v7, v7, v8
	s_mov_b32 s2, exec_lo
	s_delay_alu instid0(VALU_DEP_1)
	v_cmpx_neq_f32_e32 0, v7
	s_xor_b32 s2, exec_lo, s2
	s_cbranch_execz .LBB416_8
; %bb.7:
	v_div_scale_f32 v8, null, v7, v7, v6
	s_delay_alu instid0(VALU_DEP_1) | instskip(SKIP_2) | instid1(VALU_DEP_1)
	v_rcp_f32_e32 v9, v8
	s_waitcnt_depctr 0xfff
	v_fma_f32 v10, -v8, v9, 1.0
	v_fmac_f32_e32 v9, v10, v9
	v_div_scale_f32 v10, vcc_lo, v6, v7, v6
	s_delay_alu instid0(VALU_DEP_1) | instskip(NEXT) | instid1(VALU_DEP_1)
	v_mul_f32_e32 v11, v10, v9
	v_fma_f32 v12, -v8, v11, v10
	s_delay_alu instid0(VALU_DEP_1) | instskip(NEXT) | instid1(VALU_DEP_1)
	v_fmac_f32_e32 v11, v12, v9
	v_fma_f32 v8, -v8, v11, v10
	s_delay_alu instid0(VALU_DEP_1) | instskip(NEXT) | instid1(VALU_DEP_1)
	v_div_fmas_f32 v8, v8, v9, v11
	v_div_fixup_f32 v6, v8, v7, v6
	s_delay_alu instid0(VALU_DEP_1)
	v_cvt_f16_f32_e32 v6, v6
	global_store_b16 v[0:1], v6, off
.LBB416_8:
	s_and_not1_saveexec_b32 s2, s2
	s_cbranch_execz .LBB416_10
; %bb.9:
	v_mov_b32_e32 v6, 0x7e00
	global_store_b16 v[0:1], v6, off
.LBB416_10:
	s_or_b32 exec_lo, exec_lo, s1
	v_cmp_ne_u32_e32 vcc_lo, 1, v4
	s_and_b32 exec_lo, exec_lo, vcc_lo
	s_cbranch_execz .LBB416_16
; %bb.11:
	s_and_b32 exec_lo, exec_lo, s0
	s_cbranch_execz .LBB416_16
; %bb.12:
	s_mov_b32 s11, 0
	s_waitcnt lgkmcnt(0)
	v_add_f32_e32 v3, v3, v5
	s_lshl_b64 s[0:1], s[10:11], 1
	s_delay_alu instid0(SALU_CYCLE_1) | instskip(NEXT) | instid1(VALU_DEP_1)
	v_add_co_u32 v0, s0, v0, s0
	v_add_co_ci_u32_e64 v1, s0, s1, v1, s0
	s_mov_b32 s0, exec_lo
	v_cmpx_neq_f32_e32 0, v3
	s_xor_b32 s0, exec_lo, s0
	s_cbranch_execz .LBB416_14
; %bb.13:
	v_div_scale_f32 v4, null, v3, v3, v2
	s_delay_alu instid0(VALU_DEP_1) | instskip(SKIP_2) | instid1(VALU_DEP_1)
	v_rcp_f32_e32 v5, v4
	s_waitcnt_depctr 0xfff
	v_fma_f32 v6, -v4, v5, 1.0
	v_fmac_f32_e32 v5, v6, v5
	v_div_scale_f32 v6, vcc_lo, v2, v3, v2
	s_delay_alu instid0(VALU_DEP_1) | instskip(NEXT) | instid1(VALU_DEP_1)
	v_mul_f32_e32 v7, v6, v5
	v_fma_f32 v8, -v4, v7, v6
	s_delay_alu instid0(VALU_DEP_1) | instskip(NEXT) | instid1(VALU_DEP_1)
	v_fmac_f32_e32 v7, v8, v5
	v_fma_f32 v4, -v4, v7, v6
	s_delay_alu instid0(VALU_DEP_1) | instskip(NEXT) | instid1(VALU_DEP_1)
	v_div_fmas_f32 v4, v4, v5, v7
	v_div_fixup_f32 v2, v4, v3, v2
	s_delay_alu instid0(VALU_DEP_1)
	v_cvt_f16_f32_e32 v2, v2
	global_store_b16 v[0:1], v2, off
                                        ; implicit-def: $vgpr0_vgpr1
.LBB416_14:
	s_and_not1_saveexec_b32 s0, s0
	s_cbranch_execz .LBB416_16
; %bb.15:
	v_mov_b32_e32 v2, 0x7e00
	global_store_b16 v[0:1], v2, off
.LBB416_16:
	s_nop 0
	s_sendmsg sendmsg(MSG_DEALLOC_VGPRS)
	s_endpgm
	.section	.rodata,"a",@progbits
	.p2align	6, 0x0
	.amdhsa_kernel _ZN12_GLOBAL__N_120softmax_warp_forwardIN3c104HalfES2_fLi5ELb0ELb0ELi64EEEvPT0_PKT_iiiPKbib
		.amdhsa_group_segment_fixed_size 0
		.amdhsa_private_segment_fixed_size 0
		.amdhsa_kernarg_size 304
		.amdhsa_user_sgpr_count 15
		.amdhsa_user_sgpr_dispatch_ptr 0
		.amdhsa_user_sgpr_queue_ptr 0
		.amdhsa_user_sgpr_kernarg_segment_ptr 1
		.amdhsa_user_sgpr_dispatch_id 0
		.amdhsa_user_sgpr_private_segment_size 0
		.amdhsa_wavefront_size32 1
		.amdhsa_uses_dynamic_stack 0
		.amdhsa_enable_private_segment 0
		.amdhsa_system_sgpr_workgroup_id_x 1
		.amdhsa_system_sgpr_workgroup_id_y 0
		.amdhsa_system_sgpr_workgroup_id_z 0
		.amdhsa_system_sgpr_workgroup_info 0
		.amdhsa_system_vgpr_workitem_id 1
		.amdhsa_next_free_vgpr 16
		.amdhsa_next_free_sgpr 16
		.amdhsa_reserve_vcc 1
		.amdhsa_float_round_mode_32 0
		.amdhsa_float_round_mode_16_64 0
		.amdhsa_float_denorm_mode_32 3
		.amdhsa_float_denorm_mode_16_64 3
		.amdhsa_dx10_clamp 1
		.amdhsa_ieee_mode 1
		.amdhsa_fp16_overflow 0
		.amdhsa_workgroup_processor_mode 1
		.amdhsa_memory_ordered 1
		.amdhsa_forward_progress 0
		.amdhsa_shared_vgpr_count 0
		.amdhsa_exception_fp_ieee_invalid_op 0
		.amdhsa_exception_fp_denorm_src 0
		.amdhsa_exception_fp_ieee_div_zero 0
		.amdhsa_exception_fp_ieee_overflow 0
		.amdhsa_exception_fp_ieee_underflow 0
		.amdhsa_exception_fp_ieee_inexact 0
		.amdhsa_exception_int_div_zero 0
	.end_amdhsa_kernel
	.section	.text._ZN12_GLOBAL__N_120softmax_warp_forwardIN3c104HalfES2_fLi5ELb0ELb0ELi64EEEvPT0_PKT_iiiPKbib,"axG",@progbits,_ZN12_GLOBAL__N_120softmax_warp_forwardIN3c104HalfES2_fLi5ELb0ELb0ELi64EEEvPT0_PKT_iiiPKbib,comdat
.Lfunc_end416:
	.size	_ZN12_GLOBAL__N_120softmax_warp_forwardIN3c104HalfES2_fLi5ELb0ELb0ELi64EEEvPT0_PKT_iiiPKbib, .Lfunc_end416-_ZN12_GLOBAL__N_120softmax_warp_forwardIN3c104HalfES2_fLi5ELb0ELb0ELi64EEEvPT0_PKT_iiiPKbib
                                        ; -- End function
	.section	.AMDGPU.csdata,"",@progbits
; Kernel info:
; codeLenInByte = 1480
; NumSgprs: 18
; NumVgprs: 16
; ScratchSize: 0
; MemoryBound: 0
; FloatMode: 240
; IeeeMode: 1
; LDSByteSize: 0 bytes/workgroup (compile time only)
; SGPRBlocks: 2
; VGPRBlocks: 1
; NumSGPRsForWavesPerEU: 18
; NumVGPRsForWavesPerEU: 16
; Occupancy: 16
; WaveLimiterHint : 0
; COMPUTE_PGM_RSRC2:SCRATCH_EN: 0
; COMPUTE_PGM_RSRC2:USER_SGPR: 15
; COMPUTE_PGM_RSRC2:TRAP_HANDLER: 0
; COMPUTE_PGM_RSRC2:TGID_X_EN: 1
; COMPUTE_PGM_RSRC2:TGID_Y_EN: 0
; COMPUTE_PGM_RSRC2:TGID_Z_EN: 0
; COMPUTE_PGM_RSRC2:TIDIG_COMP_CNT: 1
	.section	.text._ZN12_GLOBAL__N_120softmax_warp_forwardIN3c104HalfES2_fLi5ELb0ELb0ELi32EEEvPT0_PKT_iiiPKbib,"axG",@progbits,_ZN12_GLOBAL__N_120softmax_warp_forwardIN3c104HalfES2_fLi5ELb0ELb0ELi32EEEvPT0_PKT_iiiPKbib,comdat
	.globl	_ZN12_GLOBAL__N_120softmax_warp_forwardIN3c104HalfES2_fLi5ELb0ELb0ELi32EEEvPT0_PKT_iiiPKbib ; -- Begin function _ZN12_GLOBAL__N_120softmax_warp_forwardIN3c104HalfES2_fLi5ELb0ELb0ELi32EEEvPT0_PKT_iiiPKbib
	.p2align	8
	.type	_ZN12_GLOBAL__N_120softmax_warp_forwardIN3c104HalfES2_fLi5ELb0ELb0ELi32EEEvPT0_PKT_iiiPKbib,@function
_ZN12_GLOBAL__N_120softmax_warp_forwardIN3c104HalfES2_fLi5ELb0ELb0ELi32EEEvPT0_PKT_iiiPKbib: ; @_ZN12_GLOBAL__N_120softmax_warp_forwardIN3c104HalfES2_fLi5ELb0ELb0ELi32EEEvPT0_PKT_iiiPKbib
; %bb.0:
	s_clause 0x1
	s_load_b32 s2, s[0:1], 0x3c
	s_load_b256 s[4:11], s[0:1], 0x0
	v_bfe_u32 v1, v0, 10, 10
	v_and_b32_e32 v2, 0x3ff, v0
	v_dual_mov_b32 v5, 0xff800000 :: v_dual_mov_b32 v6, 0xff800000
	s_waitcnt lgkmcnt(0)
	s_lshr_b32 s0, s2, 16
	s_delay_alu instid0(SALU_CYCLE_1) | instskip(SKIP_2) | instid1(VALU_DEP_1)
	s_mul_i32 s15, s15, s0
	v_cmp_gt_i32_e64 s0, s10, v2
	v_add_lshl_u32 v3, s15, v1, 1
	v_mad_u64_u32 v[0:1], null, v3, s9, v[2:3]
	v_sub_nc_u32_e32 v4, s8, v3
	s_delay_alu instid0(VALU_DEP_1) | instskip(NEXT) | instid1(VALU_DEP_3)
	v_cmp_lt_i32_e32 vcc_lo, 0, v4
	v_ashrrev_i32_e32 v1, 31, v0
	s_and_b32 s2, s0, vcc_lo
	s_delay_alu instid0(VALU_DEP_1) | instskip(NEXT) | instid1(VALU_DEP_1)
	v_lshlrev_b64 v[0:1], 1, v[0:1]
	v_add_co_u32 v2, s1, s6, v0
	s_delay_alu instid0(VALU_DEP_1)
	v_add_co_ci_u32_e64 v3, s1, s7, v1, s1
	s_and_saveexec_b32 s1, s2
	s_cbranch_execz .LBB417_2
; %bb.1:
	global_load_u16 v6, v[2:3], off
	s_waitcnt vmcnt(0)
	v_cvt_f32_f16_e32 v6, v6
.LBB417_2:
	s_or_b32 exec_lo, exec_lo, s1
	v_cmp_lt_i32_e64 s1, 1, v4
	s_delay_alu instid0(VALU_DEP_1) | instskip(NEXT) | instid1(SALU_CYCLE_1)
	s_and_b32 s1, s0, s1
	s_and_saveexec_b32 s2, s1
	s_cbranch_execz .LBB417_4
; %bb.3:
	s_mov_b32 s11, 0
	s_delay_alu instid0(SALU_CYCLE_1) | instskip(NEXT) | instid1(SALU_CYCLE_1)
	s_lshl_b64 s[6:7], s[10:11], 1
	v_add_co_u32 v2, s1, v2, s6
	s_delay_alu instid0(VALU_DEP_1)
	v_add_co_ci_u32_e64 v3, s1, s7, v3, s1
	global_load_u16 v2, v[2:3], off
	s_waitcnt vmcnt(0)
	v_cvt_f32_f16_e32 v5, v2
.LBB417_4:
	s_or_b32 exec_lo, exec_lo, s2
	v_mbcnt_lo_u32_b32 v2, -1, 0
	s_delay_alu instid0(VALU_DEP_1)
	v_xor_b32_e32 v3, 16, v2
	v_xor_b32_e32 v9, 8, v2
	v_xor_b32_e32 v12, 4, v2
	v_xor_b32_e32 v13, 2, v2
	v_xor_b32_e32 v14, 1, v2
	v_cmp_gt_i32_e64 s1, 32, v3
	s_delay_alu instid0(VALU_DEP_1) | instskip(SKIP_1) | instid1(VALU_DEP_2)
	v_cndmask_b32_e64 v3, v2, v3, s1
	v_cmp_gt_i32_e64 s1, 32, v9
	v_lshlrev_b32_e32 v3, 2, v3
	s_delay_alu instid0(VALU_DEP_2)
	v_cndmask_b32_e64 v9, v2, v9, s1
	ds_bpermute_b32 v7, v3, v6
	ds_bpermute_b32 v8, v3, v5
	v_lshlrev_b32_e32 v9, 2, v9
	s_waitcnt lgkmcnt(1)
	v_cmp_lt_f32_e64 s1, v6, v7
	s_delay_alu instid0(VALU_DEP_1)
	v_cndmask_b32_e64 v7, v6, v7, s1
	s_waitcnt lgkmcnt(0)
	v_cmp_lt_f32_e64 s1, v5, v8
	ds_bpermute_b32 v10, v9, v7
	v_cndmask_b32_e64 v8, v5, v8, s1
	v_cmp_gt_i32_e64 s1, 32, v12
	ds_bpermute_b32 v11, v9, v8
	v_cndmask_b32_e64 v12, v2, v12, s1
	s_delay_alu instid0(VALU_DEP_1) | instskip(SKIP_2) | instid1(VALU_DEP_1)
	v_lshlrev_b32_e32 v12, 2, v12
	s_waitcnt lgkmcnt(1)
	v_cmp_lt_f32_e64 s1, v7, v10
	v_cndmask_b32_e64 v7, v7, v10, s1
	s_waitcnt lgkmcnt(0)
	v_cmp_lt_f32_e64 s1, v8, v11
	ds_bpermute_b32 v10, v12, v7
	v_cndmask_b32_e64 v8, v8, v11, s1
	v_cmp_gt_i32_e64 s1, 32, v13
	ds_bpermute_b32 v11, v12, v8
	v_cndmask_b32_e64 v13, v2, v13, s1
	s_delay_alu instid0(VALU_DEP_1) | instskip(SKIP_2) | instid1(VALU_DEP_1)
	v_lshlrev_b32_e32 v13, 2, v13
	s_waitcnt lgkmcnt(1)
	v_cmp_lt_f32_e64 s1, v7, v10
	;; [unrolled: 12-line block ×3, first 2 shown]
	v_cndmask_b32_e64 v2, v7, v10, s1
	s_waitcnt lgkmcnt(0)
	v_cmp_lt_f32_e64 s1, v8, v11
	s_delay_alu instid0(VALU_DEP_1) | instskip(SKIP_4) | instid1(VALU_DEP_1)
	v_cndmask_b32_e64 v7, v8, v11, s1
	ds_bpermute_b32 v8, v14, v2
	ds_bpermute_b32 v10, v14, v7
	s_waitcnt lgkmcnt(1)
	v_cmp_lt_f32_e64 s1, v2, v8
	v_cndmask_b32_e64 v2, v2, v8, s1
	s_waitcnt lgkmcnt(0)
	v_cmp_lt_f32_e64 s1, v7, v10
	s_delay_alu instid0(VALU_DEP_2) | instskip(NEXT) | instid1(VALU_DEP_2)
	v_sub_f32_e32 v2, v6, v2
	v_cndmask_b32_e64 v7, v7, v10, s1
	s_delay_alu instid0(VALU_DEP_1) | instskip(SKIP_1) | instid1(VALU_DEP_2)
	v_dual_mul_f32 v6, 0x3fb8aa3b, v2 :: v_dual_sub_f32 v5, v5, v7
	v_cmp_ngt_f32_e64 s1, 0xc2ce8ed0, v2
	v_fma_f32 v8, 0x3fb8aa3b, v2, -v6
	s_delay_alu instid0(VALU_DEP_3) | instskip(SKIP_1) | instid1(VALU_DEP_3)
	v_mul_f32_e32 v7, 0x3fb8aa3b, v5
	v_rndne_f32_e32 v10, v6
	v_fmac_f32_e32 v8, 0x32a5705f, v2
	s_delay_alu instid0(VALU_DEP_3) | instskip(SKIP_1) | instid1(VALU_DEP_2)
	v_fma_f32 v11, 0x3fb8aa3b, v5, -v7
	v_rndne_f32_e32 v15, v7
	v_dual_sub_f32 v6, v6, v10 :: v_dual_fmac_f32 v11, 0x32a5705f, v5
	s_delay_alu instid0(VALU_DEP_1) | instskip(SKIP_2) | instid1(VALU_DEP_3)
	v_dual_sub_f32 v7, v7, v15 :: v_dual_add_f32 v6, v6, v8
	v_cvt_i32_f32_e32 v8, v10
	v_cvt_i32_f32_e32 v10, v15
	v_add_f32_e32 v7, v7, v11
	s_delay_alu instid0(VALU_DEP_4) | instskip(NEXT) | instid1(VALU_DEP_1)
	v_exp_f32_e32 v6, v6
	v_exp_f32_e32 v7, v7
	s_waitcnt_depctr 0xfff
	v_ldexp_f32 v6, v6, v8
	v_ldexp_f32 v7, v7, v10
	s_delay_alu instid0(VALU_DEP_2) | instskip(SKIP_1) | instid1(VALU_DEP_1)
	v_cndmask_b32_e64 v6, 0, v6, s1
	v_cmp_ngt_f32_e64 s1, 0xc2ce8ed0, v5
	v_cndmask_b32_e64 v7, 0, v7, s1
	v_cmp_nlt_f32_e64 s1, 0x42b17218, v2
	s_delay_alu instid0(VALU_DEP_1)
	v_cndmask_b32_e64 v6, 0x7f800000, v6, s1
	v_cmp_nlt_f32_e64 s1, 0x42b17218, v5
	ds_bpermute_b32 v5, v3, v6
	v_cndmask_b32_e64 v2, 0x7f800000, v7, s1
	ds_bpermute_b32 v3, v3, v2
	s_waitcnt lgkmcnt(1)
	v_add_f32_e32 v5, v6, v5
	ds_bpermute_b32 v7, v9, v5
	s_waitcnt lgkmcnt(1)
	v_add_f32_e32 v3, v2, v3
	;; [unrolled: 3-line block ×7, first 2 shown]
	s_waitcnt lgkmcnt(0)
	v_add_f32_e32 v3, v3, v8
	ds_bpermute_b32 v8, v14, v7
	ds_bpermute_b32 v5, v14, v3
	s_and_saveexec_b32 s1, vcc_lo
	s_cbranch_execz .LBB417_16
; %bb.5:
	v_add_co_u32 v0, vcc_lo, s4, v0
	v_add_co_ci_u32_e32 v1, vcc_lo, s5, v1, vcc_lo
	s_and_saveexec_b32 s1, s0
	s_cbranch_execz .LBB417_10
; %bb.6:
	s_waitcnt lgkmcnt(1)
	v_add_f32_e32 v7, v7, v8
	s_mov_b32 s2, exec_lo
	s_delay_alu instid0(VALU_DEP_1)
	v_cmpx_neq_f32_e32 0, v7
	s_xor_b32 s2, exec_lo, s2
	s_cbranch_execz .LBB417_8
; %bb.7:
	v_div_scale_f32 v8, null, v7, v7, v6
	s_delay_alu instid0(VALU_DEP_1) | instskip(SKIP_2) | instid1(VALU_DEP_1)
	v_rcp_f32_e32 v9, v8
	s_waitcnt_depctr 0xfff
	v_fma_f32 v10, -v8, v9, 1.0
	v_fmac_f32_e32 v9, v10, v9
	v_div_scale_f32 v10, vcc_lo, v6, v7, v6
	s_delay_alu instid0(VALU_DEP_1) | instskip(NEXT) | instid1(VALU_DEP_1)
	v_mul_f32_e32 v11, v10, v9
	v_fma_f32 v12, -v8, v11, v10
	s_delay_alu instid0(VALU_DEP_1) | instskip(NEXT) | instid1(VALU_DEP_1)
	v_fmac_f32_e32 v11, v12, v9
	v_fma_f32 v8, -v8, v11, v10
	s_delay_alu instid0(VALU_DEP_1) | instskip(NEXT) | instid1(VALU_DEP_1)
	v_div_fmas_f32 v8, v8, v9, v11
	v_div_fixup_f32 v6, v8, v7, v6
	s_delay_alu instid0(VALU_DEP_1)
	v_cvt_f16_f32_e32 v6, v6
	global_store_b16 v[0:1], v6, off
.LBB417_8:
	s_and_not1_saveexec_b32 s2, s2
	s_cbranch_execz .LBB417_10
; %bb.9:
	v_mov_b32_e32 v6, 0x7e00
	global_store_b16 v[0:1], v6, off
.LBB417_10:
	s_or_b32 exec_lo, exec_lo, s1
	v_cmp_ne_u32_e32 vcc_lo, 1, v4
	s_and_b32 exec_lo, exec_lo, vcc_lo
	s_cbranch_execz .LBB417_16
; %bb.11:
	s_and_b32 exec_lo, exec_lo, s0
	s_cbranch_execz .LBB417_16
; %bb.12:
	s_mov_b32 s11, 0
	s_waitcnt lgkmcnt(0)
	v_add_f32_e32 v3, v3, v5
	s_lshl_b64 s[0:1], s[10:11], 1
	s_delay_alu instid0(SALU_CYCLE_1) | instskip(NEXT) | instid1(VALU_DEP_1)
	v_add_co_u32 v0, s0, v0, s0
	v_add_co_ci_u32_e64 v1, s0, s1, v1, s0
	s_mov_b32 s0, exec_lo
	v_cmpx_neq_f32_e32 0, v3
	s_xor_b32 s0, exec_lo, s0
	s_cbranch_execz .LBB417_14
; %bb.13:
	v_div_scale_f32 v4, null, v3, v3, v2
	s_delay_alu instid0(VALU_DEP_1) | instskip(SKIP_2) | instid1(VALU_DEP_1)
	v_rcp_f32_e32 v5, v4
	s_waitcnt_depctr 0xfff
	v_fma_f32 v6, -v4, v5, 1.0
	v_fmac_f32_e32 v5, v6, v5
	v_div_scale_f32 v6, vcc_lo, v2, v3, v2
	s_delay_alu instid0(VALU_DEP_1) | instskip(NEXT) | instid1(VALU_DEP_1)
	v_mul_f32_e32 v7, v6, v5
	v_fma_f32 v8, -v4, v7, v6
	s_delay_alu instid0(VALU_DEP_1) | instskip(NEXT) | instid1(VALU_DEP_1)
	v_fmac_f32_e32 v7, v8, v5
	v_fma_f32 v4, -v4, v7, v6
	s_delay_alu instid0(VALU_DEP_1) | instskip(NEXT) | instid1(VALU_DEP_1)
	v_div_fmas_f32 v4, v4, v5, v7
	v_div_fixup_f32 v2, v4, v3, v2
	s_delay_alu instid0(VALU_DEP_1)
	v_cvt_f16_f32_e32 v2, v2
	global_store_b16 v[0:1], v2, off
                                        ; implicit-def: $vgpr0_vgpr1
.LBB417_14:
	s_and_not1_saveexec_b32 s0, s0
	s_cbranch_execz .LBB417_16
; %bb.15:
	v_mov_b32_e32 v2, 0x7e00
	global_store_b16 v[0:1], v2, off
.LBB417_16:
	s_nop 0
	s_sendmsg sendmsg(MSG_DEALLOC_VGPRS)
	s_endpgm
	.section	.rodata,"a",@progbits
	.p2align	6, 0x0
	.amdhsa_kernel _ZN12_GLOBAL__N_120softmax_warp_forwardIN3c104HalfES2_fLi5ELb0ELb0ELi32EEEvPT0_PKT_iiiPKbib
		.amdhsa_group_segment_fixed_size 0
		.amdhsa_private_segment_fixed_size 0
		.amdhsa_kernarg_size 304
		.amdhsa_user_sgpr_count 15
		.amdhsa_user_sgpr_dispatch_ptr 0
		.amdhsa_user_sgpr_queue_ptr 0
		.amdhsa_user_sgpr_kernarg_segment_ptr 1
		.amdhsa_user_sgpr_dispatch_id 0
		.amdhsa_user_sgpr_private_segment_size 0
		.amdhsa_wavefront_size32 1
		.amdhsa_uses_dynamic_stack 0
		.amdhsa_enable_private_segment 0
		.amdhsa_system_sgpr_workgroup_id_x 1
		.amdhsa_system_sgpr_workgroup_id_y 0
		.amdhsa_system_sgpr_workgroup_id_z 0
		.amdhsa_system_sgpr_workgroup_info 0
		.amdhsa_system_vgpr_workitem_id 1
		.amdhsa_next_free_vgpr 16
		.amdhsa_next_free_sgpr 16
		.amdhsa_reserve_vcc 1
		.amdhsa_float_round_mode_32 0
		.amdhsa_float_round_mode_16_64 0
		.amdhsa_float_denorm_mode_32 3
		.amdhsa_float_denorm_mode_16_64 3
		.amdhsa_dx10_clamp 1
		.amdhsa_ieee_mode 1
		.amdhsa_fp16_overflow 0
		.amdhsa_workgroup_processor_mode 1
		.amdhsa_memory_ordered 1
		.amdhsa_forward_progress 0
		.amdhsa_shared_vgpr_count 0
		.amdhsa_exception_fp_ieee_invalid_op 0
		.amdhsa_exception_fp_denorm_src 0
		.amdhsa_exception_fp_ieee_div_zero 0
		.amdhsa_exception_fp_ieee_overflow 0
		.amdhsa_exception_fp_ieee_underflow 0
		.amdhsa_exception_fp_ieee_inexact 0
		.amdhsa_exception_int_div_zero 0
	.end_amdhsa_kernel
	.section	.text._ZN12_GLOBAL__N_120softmax_warp_forwardIN3c104HalfES2_fLi5ELb0ELb0ELi32EEEvPT0_PKT_iiiPKbib,"axG",@progbits,_ZN12_GLOBAL__N_120softmax_warp_forwardIN3c104HalfES2_fLi5ELb0ELb0ELi32EEEvPT0_PKT_iiiPKbib,comdat
.Lfunc_end417:
	.size	_ZN12_GLOBAL__N_120softmax_warp_forwardIN3c104HalfES2_fLi5ELb0ELb0ELi32EEEvPT0_PKT_iiiPKbib, .Lfunc_end417-_ZN12_GLOBAL__N_120softmax_warp_forwardIN3c104HalfES2_fLi5ELb0ELb0ELi32EEEvPT0_PKT_iiiPKbib
                                        ; -- End function
	.section	.AMDGPU.csdata,"",@progbits
; Kernel info:
; codeLenInByte = 1480
; NumSgprs: 18
; NumVgprs: 16
; ScratchSize: 0
; MemoryBound: 0
; FloatMode: 240
; IeeeMode: 1
; LDSByteSize: 0 bytes/workgroup (compile time only)
; SGPRBlocks: 2
; VGPRBlocks: 1
; NumSGPRsForWavesPerEU: 18
; NumVGPRsForWavesPerEU: 16
; Occupancy: 16
; WaveLimiterHint : 0
; COMPUTE_PGM_RSRC2:SCRATCH_EN: 0
; COMPUTE_PGM_RSRC2:USER_SGPR: 15
; COMPUTE_PGM_RSRC2:TRAP_HANDLER: 0
; COMPUTE_PGM_RSRC2:TGID_X_EN: 1
; COMPUTE_PGM_RSRC2:TGID_Y_EN: 0
; COMPUTE_PGM_RSRC2:TGID_Z_EN: 0
; COMPUTE_PGM_RSRC2:TIDIG_COMP_CNT: 1
	.section	.text._ZN12_GLOBAL__N_120softmax_warp_forwardIN3c104HalfES2_fLi6ELb0ELb0ELi64EEEvPT0_PKT_iiiPKbib,"axG",@progbits,_ZN12_GLOBAL__N_120softmax_warp_forwardIN3c104HalfES2_fLi6ELb0ELb0ELi64EEEvPT0_PKT_iiiPKbib,comdat
	.globl	_ZN12_GLOBAL__N_120softmax_warp_forwardIN3c104HalfES2_fLi6ELb0ELb0ELi64EEEvPT0_PKT_iiiPKbib ; -- Begin function _ZN12_GLOBAL__N_120softmax_warp_forwardIN3c104HalfES2_fLi6ELb0ELb0ELi64EEEvPT0_PKT_iiiPKbib
	.p2align	8
	.type	_ZN12_GLOBAL__N_120softmax_warp_forwardIN3c104HalfES2_fLi6ELb0ELb0ELi64EEEvPT0_PKT_iiiPKbib,@function
_ZN12_GLOBAL__N_120softmax_warp_forwardIN3c104HalfES2_fLi6ELb0ELb0ELi64EEEvPT0_PKT_iiiPKbib: ; @_ZN12_GLOBAL__N_120softmax_warp_forwardIN3c104HalfES2_fLi6ELb0ELb0ELi64EEEvPT0_PKT_iiiPKbib
; %bb.0:
	s_clause 0x1
	s_load_b32 s2, s[0:1], 0x3c
	s_load_b256 s[4:11], s[0:1], 0x0
	v_bfe_u32 v1, v0, 10, 10
	v_and_b32_e32 v2, 0x3ff, v0
	v_dual_mov_b32 v5, 0xff800000 :: v_dual_mov_b32 v6, 0xff800000
	s_waitcnt lgkmcnt(0)
	s_lshr_b32 s0, s2, 16
	s_delay_alu instid0(SALU_CYCLE_1) | instskip(SKIP_2) | instid1(VALU_DEP_1)
	s_mul_i32 s15, s15, s0
	v_cmp_gt_i32_e64 s0, s10, v2
	v_add_lshl_u32 v3, s15, v1, 1
	v_mad_u64_u32 v[0:1], null, v3, s9, v[2:3]
	v_sub_nc_u32_e32 v4, s8, v3
	s_delay_alu instid0(VALU_DEP_1) | instskip(NEXT) | instid1(VALU_DEP_3)
	v_cmp_lt_i32_e32 vcc_lo, 0, v4
	v_ashrrev_i32_e32 v1, 31, v0
	s_and_b32 s2, s0, vcc_lo
	s_delay_alu instid0(VALU_DEP_1) | instskip(NEXT) | instid1(VALU_DEP_1)
	v_lshlrev_b64 v[0:1], 1, v[0:1]
	v_add_co_u32 v2, s1, s6, v0
	s_delay_alu instid0(VALU_DEP_1)
	v_add_co_ci_u32_e64 v3, s1, s7, v1, s1
	s_and_saveexec_b32 s1, s2
	s_cbranch_execz .LBB418_2
; %bb.1:
	global_load_u16 v6, v[2:3], off
	s_waitcnt vmcnt(0)
	v_cvt_f32_f16_e32 v6, v6
.LBB418_2:
	s_or_b32 exec_lo, exec_lo, s1
	v_cmp_lt_i32_e64 s1, 1, v4
	s_delay_alu instid0(VALU_DEP_1) | instskip(NEXT) | instid1(SALU_CYCLE_1)
	s_and_b32 s1, s0, s1
	s_and_saveexec_b32 s2, s1
	s_cbranch_execz .LBB418_4
; %bb.3:
	s_mov_b32 s11, 0
	s_delay_alu instid0(SALU_CYCLE_1) | instskip(NEXT) | instid1(SALU_CYCLE_1)
	s_lshl_b64 s[6:7], s[10:11], 1
	v_add_co_u32 v2, s1, v2, s6
	s_delay_alu instid0(VALU_DEP_1)
	v_add_co_ci_u32_e64 v3, s1, s7, v3, s1
	global_load_u16 v2, v[2:3], off
	s_waitcnt vmcnt(0)
	v_cvt_f32_f16_e32 v5, v2
.LBB418_4:
	s_or_b32 exec_lo, exec_lo, s2
	v_mbcnt_lo_u32_b32 v2, -1, 0
	s_delay_alu instid0(VALU_DEP_1)
	v_or_b32_e32 v3, 32, v2
	v_xor_b32_e32 v9, 16, v2
	v_xor_b32_e32 v12, 8, v2
	;; [unrolled: 1-line block ×4, first 2 shown]
	v_cmp_gt_i32_e64 s1, 64, v3
	v_xor_b32_e32 v15, 1, v2
	s_delay_alu instid0(VALU_DEP_2) | instskip(SKIP_1) | instid1(VALU_DEP_2)
	v_cndmask_b32_e64 v3, v2, v3, s1
	v_cmp_gt_i32_e64 s1, 64, v9
	v_lshlrev_b32_e32 v3, 2, v3
	s_delay_alu instid0(VALU_DEP_2)
	v_cndmask_b32_e64 v9, v2, v9, s1
	ds_bpermute_b32 v7, v3, v6
	ds_bpermute_b32 v8, v3, v5
	v_lshlrev_b32_e32 v9, 2, v9
	s_waitcnt lgkmcnt(1)
	v_cmp_lt_f32_e64 s1, v6, v7
	s_delay_alu instid0(VALU_DEP_1)
	v_cndmask_b32_e64 v7, v6, v7, s1
	s_waitcnt lgkmcnt(0)
	v_cmp_lt_f32_e64 s1, v5, v8
	ds_bpermute_b32 v10, v9, v7
	v_cndmask_b32_e64 v8, v5, v8, s1
	v_cmp_gt_i32_e64 s1, 64, v12
	ds_bpermute_b32 v11, v9, v8
	v_cndmask_b32_e64 v12, v2, v12, s1
	s_delay_alu instid0(VALU_DEP_1) | instskip(SKIP_2) | instid1(VALU_DEP_1)
	v_lshlrev_b32_e32 v12, 2, v12
	s_waitcnt lgkmcnt(1)
	v_cmp_lt_f32_e64 s1, v7, v10
	v_cndmask_b32_e64 v7, v7, v10, s1
	s_waitcnt lgkmcnt(0)
	v_cmp_lt_f32_e64 s1, v8, v11
	ds_bpermute_b32 v10, v12, v7
	v_cndmask_b32_e64 v8, v8, v11, s1
	v_cmp_gt_i32_e64 s1, 64, v13
	ds_bpermute_b32 v11, v12, v8
	v_cndmask_b32_e64 v13, v2, v13, s1
	s_delay_alu instid0(VALU_DEP_1) | instskip(SKIP_2) | instid1(VALU_DEP_1)
	v_lshlrev_b32_e32 v13, 2, v13
	s_waitcnt lgkmcnt(1)
	v_cmp_lt_f32_e64 s1, v7, v10
	;; [unrolled: 12-line block ×4, first 2 shown]
	v_cndmask_b32_e64 v2, v7, v10, s1
	s_waitcnt lgkmcnt(0)
	v_cmp_lt_f32_e64 s1, v8, v11
	s_delay_alu instid0(VALU_DEP_1) | instskip(SKIP_4) | instid1(VALU_DEP_1)
	v_cndmask_b32_e64 v7, v8, v11, s1
	ds_bpermute_b32 v8, v15, v2
	ds_bpermute_b32 v10, v15, v7
	s_waitcnt lgkmcnt(1)
	v_cmp_lt_f32_e64 s1, v2, v8
	v_cndmask_b32_e64 v2, v2, v8, s1
	s_waitcnt lgkmcnt(0)
	v_cmp_lt_f32_e64 s1, v7, v10
	s_delay_alu instid0(VALU_DEP_2) | instskip(NEXT) | instid1(VALU_DEP_2)
	v_sub_f32_e32 v2, v6, v2
	v_cndmask_b32_e64 v7, v7, v10, s1
	s_delay_alu instid0(VALU_DEP_1) | instskip(SKIP_1) | instid1(VALU_DEP_2)
	v_dual_mul_f32 v6, 0x3fb8aa3b, v2 :: v_dual_sub_f32 v5, v5, v7
	v_cmp_ngt_f32_e64 s1, 0xc2ce8ed0, v2
	v_fma_f32 v8, 0x3fb8aa3b, v2, -v6
	s_delay_alu instid0(VALU_DEP_3) | instskip(SKIP_1) | instid1(VALU_DEP_3)
	v_mul_f32_e32 v7, 0x3fb8aa3b, v5
	v_rndne_f32_e32 v10, v6
	v_fmac_f32_e32 v8, 0x32a5705f, v2
	s_delay_alu instid0(VALU_DEP_3) | instskip(SKIP_1) | instid1(VALU_DEP_2)
	v_fma_f32 v11, 0x3fb8aa3b, v5, -v7
	v_rndne_f32_e32 v16, v7
	v_dual_sub_f32 v6, v6, v10 :: v_dual_fmac_f32 v11, 0x32a5705f, v5
	s_delay_alu instid0(VALU_DEP_2) | instskip(NEXT) | instid1(VALU_DEP_2)
	v_sub_f32_e32 v7, v7, v16
	v_add_f32_e32 v6, v6, v8
	v_cvt_i32_f32_e32 v8, v10
	v_cvt_i32_f32_e32 v10, v16
	s_delay_alu instid0(VALU_DEP_4) | instskip(NEXT) | instid1(VALU_DEP_4)
	v_add_f32_e32 v7, v7, v11
	v_exp_f32_e32 v6, v6
	s_delay_alu instid0(VALU_DEP_1) | instskip(SKIP_3) | instid1(VALU_DEP_2)
	v_exp_f32_e32 v7, v7
	s_waitcnt_depctr 0xfff
	v_ldexp_f32 v6, v6, v8
	v_ldexp_f32 v7, v7, v10
	v_cndmask_b32_e64 v6, 0, v6, s1
	v_cmp_ngt_f32_e64 s1, 0xc2ce8ed0, v5
	s_delay_alu instid0(VALU_DEP_1) | instskip(SKIP_1) | instid1(VALU_DEP_1)
	v_cndmask_b32_e64 v7, 0, v7, s1
	v_cmp_nlt_f32_e64 s1, 0x42b17218, v2
	v_cndmask_b32_e64 v6, 0x7f800000, v6, s1
	v_cmp_nlt_f32_e64 s1, 0x42b17218, v5
	ds_bpermute_b32 v5, v3, v6
	v_cndmask_b32_e64 v2, 0x7f800000, v7, s1
	ds_bpermute_b32 v3, v3, v2
	s_waitcnt lgkmcnt(1)
	v_add_f32_e32 v5, v6, v5
	ds_bpermute_b32 v7, v9, v5
	s_waitcnt lgkmcnt(1)
	v_add_f32_e32 v3, v2, v3
	;; [unrolled: 3-line block ×9, first 2 shown]
	s_waitcnt lgkmcnt(0)
	v_add_f32_e32 v3, v3, v8
	ds_bpermute_b32 v8, v15, v7
	ds_bpermute_b32 v5, v15, v3
	s_and_saveexec_b32 s1, vcc_lo
	s_cbranch_execz .LBB418_16
; %bb.5:
	v_add_co_u32 v0, vcc_lo, s4, v0
	v_add_co_ci_u32_e32 v1, vcc_lo, s5, v1, vcc_lo
	s_and_saveexec_b32 s1, s0
	s_cbranch_execz .LBB418_10
; %bb.6:
	s_waitcnt lgkmcnt(1)
	v_add_f32_e32 v7, v7, v8
	s_mov_b32 s2, exec_lo
	s_delay_alu instid0(VALU_DEP_1)
	v_cmpx_neq_f32_e32 0, v7
	s_xor_b32 s2, exec_lo, s2
	s_cbranch_execz .LBB418_8
; %bb.7:
	v_div_scale_f32 v8, null, v7, v7, v6
	s_delay_alu instid0(VALU_DEP_1) | instskip(SKIP_2) | instid1(VALU_DEP_1)
	v_rcp_f32_e32 v9, v8
	s_waitcnt_depctr 0xfff
	v_fma_f32 v10, -v8, v9, 1.0
	v_fmac_f32_e32 v9, v10, v9
	v_div_scale_f32 v10, vcc_lo, v6, v7, v6
	s_delay_alu instid0(VALU_DEP_1) | instskip(NEXT) | instid1(VALU_DEP_1)
	v_mul_f32_e32 v11, v10, v9
	v_fma_f32 v12, -v8, v11, v10
	s_delay_alu instid0(VALU_DEP_1) | instskip(NEXT) | instid1(VALU_DEP_1)
	v_fmac_f32_e32 v11, v12, v9
	v_fma_f32 v8, -v8, v11, v10
	s_delay_alu instid0(VALU_DEP_1) | instskip(NEXT) | instid1(VALU_DEP_1)
	v_div_fmas_f32 v8, v8, v9, v11
	v_div_fixup_f32 v6, v8, v7, v6
	s_delay_alu instid0(VALU_DEP_1)
	v_cvt_f16_f32_e32 v6, v6
	global_store_b16 v[0:1], v6, off
.LBB418_8:
	s_and_not1_saveexec_b32 s2, s2
	s_cbranch_execz .LBB418_10
; %bb.9:
	v_mov_b32_e32 v6, 0x7e00
	global_store_b16 v[0:1], v6, off
.LBB418_10:
	s_or_b32 exec_lo, exec_lo, s1
	v_cmp_ne_u32_e32 vcc_lo, 1, v4
	s_and_b32 exec_lo, exec_lo, vcc_lo
	s_cbranch_execz .LBB418_16
; %bb.11:
	s_and_b32 exec_lo, exec_lo, s0
	s_cbranch_execz .LBB418_16
; %bb.12:
	s_mov_b32 s11, 0
	s_waitcnt lgkmcnt(0)
	v_add_f32_e32 v3, v3, v5
	s_lshl_b64 s[0:1], s[10:11], 1
	s_delay_alu instid0(SALU_CYCLE_1) | instskip(NEXT) | instid1(VALU_DEP_1)
	v_add_co_u32 v0, s0, v0, s0
	v_add_co_ci_u32_e64 v1, s0, s1, v1, s0
	s_mov_b32 s0, exec_lo
	v_cmpx_neq_f32_e32 0, v3
	s_xor_b32 s0, exec_lo, s0
	s_cbranch_execz .LBB418_14
; %bb.13:
	v_div_scale_f32 v4, null, v3, v3, v2
	s_delay_alu instid0(VALU_DEP_1) | instskip(SKIP_2) | instid1(VALU_DEP_1)
	v_rcp_f32_e32 v5, v4
	s_waitcnt_depctr 0xfff
	v_fma_f32 v6, -v4, v5, 1.0
	v_fmac_f32_e32 v5, v6, v5
	v_div_scale_f32 v6, vcc_lo, v2, v3, v2
	s_delay_alu instid0(VALU_DEP_1) | instskip(NEXT) | instid1(VALU_DEP_1)
	v_mul_f32_e32 v7, v6, v5
	v_fma_f32 v8, -v4, v7, v6
	s_delay_alu instid0(VALU_DEP_1) | instskip(NEXT) | instid1(VALU_DEP_1)
	v_fmac_f32_e32 v7, v8, v5
	v_fma_f32 v4, -v4, v7, v6
	s_delay_alu instid0(VALU_DEP_1) | instskip(NEXT) | instid1(VALU_DEP_1)
	v_div_fmas_f32 v4, v4, v5, v7
	v_div_fixup_f32 v2, v4, v3, v2
	s_delay_alu instid0(VALU_DEP_1)
	v_cvt_f16_f32_e32 v2, v2
	global_store_b16 v[0:1], v2, off
                                        ; implicit-def: $vgpr0_vgpr1
.LBB418_14:
	s_and_not1_saveexec_b32 s0, s0
	s_cbranch_execz .LBB418_16
; %bb.15:
	v_mov_b32_e32 v2, 0x7e00
	global_store_b16 v[0:1], v2, off
.LBB418_16:
	s_nop 0
	s_sendmsg sendmsg(MSG_DEALLOC_VGPRS)
	s_endpgm
	.section	.rodata,"a",@progbits
	.p2align	6, 0x0
	.amdhsa_kernel _ZN12_GLOBAL__N_120softmax_warp_forwardIN3c104HalfES2_fLi6ELb0ELb0ELi64EEEvPT0_PKT_iiiPKbib
		.amdhsa_group_segment_fixed_size 0
		.amdhsa_private_segment_fixed_size 0
		.amdhsa_kernarg_size 304
		.amdhsa_user_sgpr_count 15
		.amdhsa_user_sgpr_dispatch_ptr 0
		.amdhsa_user_sgpr_queue_ptr 0
		.amdhsa_user_sgpr_kernarg_segment_ptr 1
		.amdhsa_user_sgpr_dispatch_id 0
		.amdhsa_user_sgpr_private_segment_size 0
		.amdhsa_wavefront_size32 1
		.amdhsa_uses_dynamic_stack 0
		.amdhsa_enable_private_segment 0
		.amdhsa_system_sgpr_workgroup_id_x 1
		.amdhsa_system_sgpr_workgroup_id_y 0
		.amdhsa_system_sgpr_workgroup_id_z 0
		.amdhsa_system_sgpr_workgroup_info 0
		.amdhsa_system_vgpr_workitem_id 1
		.amdhsa_next_free_vgpr 17
		.amdhsa_next_free_sgpr 16
		.amdhsa_reserve_vcc 1
		.amdhsa_float_round_mode_32 0
		.amdhsa_float_round_mode_16_64 0
		.amdhsa_float_denorm_mode_32 3
		.amdhsa_float_denorm_mode_16_64 3
		.amdhsa_dx10_clamp 1
		.amdhsa_ieee_mode 1
		.amdhsa_fp16_overflow 0
		.amdhsa_workgroup_processor_mode 1
		.amdhsa_memory_ordered 1
		.amdhsa_forward_progress 0
		.amdhsa_shared_vgpr_count 0
		.amdhsa_exception_fp_ieee_invalid_op 0
		.amdhsa_exception_fp_denorm_src 0
		.amdhsa_exception_fp_ieee_div_zero 0
		.amdhsa_exception_fp_ieee_overflow 0
		.amdhsa_exception_fp_ieee_underflow 0
		.amdhsa_exception_fp_ieee_inexact 0
		.amdhsa_exception_int_div_zero 0
	.end_amdhsa_kernel
	.section	.text._ZN12_GLOBAL__N_120softmax_warp_forwardIN3c104HalfES2_fLi6ELb0ELb0ELi64EEEvPT0_PKT_iiiPKbib,"axG",@progbits,_ZN12_GLOBAL__N_120softmax_warp_forwardIN3c104HalfES2_fLi6ELb0ELb0ELi64EEEvPT0_PKT_iiiPKbib,comdat
.Lfunc_end418:
	.size	_ZN12_GLOBAL__N_120softmax_warp_forwardIN3c104HalfES2_fLi6ELb0ELb0ELi64EEEvPT0_PKT_iiiPKbib, .Lfunc_end418-_ZN12_GLOBAL__N_120softmax_warp_forwardIN3c104HalfES2_fLi6ELb0ELb0ELi64EEEvPT0_PKT_iiiPKbib
                                        ; -- End function
	.section	.AMDGPU.csdata,"",@progbits
; Kernel info:
; codeLenInByte = 1596
; NumSgprs: 18
; NumVgprs: 17
; ScratchSize: 0
; MemoryBound: 0
; FloatMode: 240
; IeeeMode: 1
; LDSByteSize: 0 bytes/workgroup (compile time only)
; SGPRBlocks: 2
; VGPRBlocks: 2
; NumSGPRsForWavesPerEU: 18
; NumVGPRsForWavesPerEU: 17
; Occupancy: 16
; WaveLimiterHint : 0
; COMPUTE_PGM_RSRC2:SCRATCH_EN: 0
; COMPUTE_PGM_RSRC2:USER_SGPR: 15
; COMPUTE_PGM_RSRC2:TRAP_HANDLER: 0
; COMPUTE_PGM_RSRC2:TGID_X_EN: 1
; COMPUTE_PGM_RSRC2:TGID_Y_EN: 0
; COMPUTE_PGM_RSRC2:TGID_Z_EN: 0
; COMPUTE_PGM_RSRC2:TIDIG_COMP_CNT: 1
	.section	.text._ZN12_GLOBAL__N_120softmax_warp_forwardIN3c104HalfES2_fLi6ELb0ELb0ELi32EEEvPT0_PKT_iiiPKbib,"axG",@progbits,_ZN12_GLOBAL__N_120softmax_warp_forwardIN3c104HalfES2_fLi6ELb0ELb0ELi32EEEvPT0_PKT_iiiPKbib,comdat
	.globl	_ZN12_GLOBAL__N_120softmax_warp_forwardIN3c104HalfES2_fLi6ELb0ELb0ELi32EEEvPT0_PKT_iiiPKbib ; -- Begin function _ZN12_GLOBAL__N_120softmax_warp_forwardIN3c104HalfES2_fLi6ELb0ELb0ELi32EEEvPT0_PKT_iiiPKbib
	.p2align	8
	.type	_ZN12_GLOBAL__N_120softmax_warp_forwardIN3c104HalfES2_fLi6ELb0ELb0ELi32EEEvPT0_PKT_iiiPKbib,@function
_ZN12_GLOBAL__N_120softmax_warp_forwardIN3c104HalfES2_fLi6ELb0ELb0ELi32EEEvPT0_PKT_iiiPKbib: ; @_ZN12_GLOBAL__N_120softmax_warp_forwardIN3c104HalfES2_fLi6ELb0ELb0ELi32EEEvPT0_PKT_iiiPKbib
; %bb.0:
	s_clause 0x1
	s_load_b32 s2, s[0:1], 0x3c
	s_load_b256 s[4:11], s[0:1], 0x0
	v_bfe_u32 v1, v0, 10, 10
	v_and_b32_e32 v4, 0x3ff, v0
	v_dual_mov_b32 v6, 0xff800000 :: v_dual_mov_b32 v7, 0xff800000
	s_waitcnt lgkmcnt(0)
	s_lshr_b32 s0, s2, 16
	s_delay_alu instid0(VALU_DEP_2) | instskip(SKIP_1) | instid1(SALU_CYCLE_1)
	v_cmp_gt_i32_e64 s1, s10, v4
	s_mul_i32 s15, s15, s0
	v_add_lshl_u32 v2, s15, v1, 1
	s_delay_alu instid0(VALU_DEP_1) | instskip(SKIP_1) | instid1(VALU_DEP_1)
	v_mad_u64_u32 v[0:1], null, v2, s9, v[4:5]
	v_sub_nc_u32_e32 v5, s8, v2
	v_cmp_lt_i32_e32 vcc_lo, 0, v5
	s_delay_alu instid0(VALU_DEP_3) | instskip(SKIP_1) | instid1(VALU_DEP_1)
	v_ashrrev_i32_e32 v1, 31, v0
	s_and_b32 s2, vcc_lo, s1
	v_lshlrev_b64 v[0:1], 1, v[0:1]
	s_delay_alu instid0(VALU_DEP_1) | instskip(NEXT) | instid1(VALU_DEP_1)
	v_add_co_u32 v2, s0, s6, v0
	v_add_co_ci_u32_e64 v3, s0, s7, v1, s0
	s_and_saveexec_b32 s0, s2
	s_cbranch_execz .LBB419_2
; %bb.1:
	global_load_u16 v7, v[2:3], off
	s_waitcnt vmcnt(0)
	v_cvt_f32_f16_e32 v7, v7
.LBB419_2:
	s_or_b32 exec_lo, exec_lo, s0
	v_add_nc_u32_e32 v4, 32, v4
	s_delay_alu instid0(VALU_DEP_1) | instskip(NEXT) | instid1(VALU_DEP_1)
	v_cmp_gt_i32_e64 s0, s10, v4
	s_and_b32 s3, vcc_lo, s0
	s_delay_alu instid0(SALU_CYCLE_1)
	s_and_saveexec_b32 s2, s3
	s_cbranch_execz .LBB419_4
; %bb.3:
	global_load_u16 v4, v[2:3], off offset:64
	s_waitcnt vmcnt(0)
	v_cvt_f32_f16_e32 v6, v4
.LBB419_4:
	s_or_b32 exec_lo, exec_lo, s2
	v_cmp_lt_i32_e64 s2, 1, v5
	v_mov_b32_e32 v4, 0xff800000
	v_mov_b32_e32 v8, 0xff800000
	s_delay_alu instid0(VALU_DEP_3) | instskip(NEXT) | instid1(SALU_CYCLE_1)
	s_and_b32 s3, s2, s1
	s_and_saveexec_b32 s6, s3
	s_cbranch_execz .LBB419_6
; %bb.5:
	s_mov_b32 s11, 0
	s_delay_alu instid0(SALU_CYCLE_1) | instskip(NEXT) | instid1(SALU_CYCLE_1)
	s_lshl_b64 s[8:9], s[10:11], 1
	v_add_co_u32 v8, s3, v2, s8
	s_delay_alu instid0(VALU_DEP_1)
	v_add_co_ci_u32_e64 v9, s3, s9, v3, s3
	global_load_u16 v8, v[8:9], off
	s_waitcnt vmcnt(0)
	v_cvt_f32_f16_e32 v8, v8
.LBB419_6:
	s_or_b32 exec_lo, exec_lo, s6
	s_and_b32 s2, s2, s0
	s_delay_alu instid0(SALU_CYCLE_1)
	s_and_saveexec_b32 s3, s2
	s_cbranch_execz .LBB419_8
; %bb.7:
	s_mov_b32 s11, 0
	s_delay_alu instid0(SALU_CYCLE_1) | instskip(NEXT) | instid1(SALU_CYCLE_1)
	s_lshl_b64 s[6:7], s[10:11], 1
	v_add_co_u32 v2, s2, v2, s6
	s_delay_alu instid0(VALU_DEP_1)
	v_add_co_ci_u32_e64 v3, s2, s7, v3, s2
	global_load_u16 v2, v[2:3], off offset:64
	s_waitcnt vmcnt(0)
	v_cvt_f32_f16_e32 v4, v2
.LBB419_8:
	s_or_b32 exec_lo, exec_lo, s3
	v_mbcnt_lo_u32_b32 v2, -1, 0
	s_delay_alu instid0(VALU_DEP_1)
	v_xor_b32_e32 v3, 16, v2
	v_xor_b32_e32 v13, 8, v2
	;; [unrolled: 1-line block ×5, first 2 shown]
	v_cmp_gt_i32_e64 s2, 32, v3
	s_delay_alu instid0(VALU_DEP_1) | instskip(SKIP_1) | instid1(VALU_DEP_2)
	v_cndmask_b32_e64 v3, v2, v3, s2
	v_cmp_gt_f32_e64 s2, v7, v6
	v_lshlrev_b32_e32 v3, 2, v3
	s_delay_alu instid0(VALU_DEP_2)
	v_cndmask_b32_e64 v9, v6, v7, s2
	v_cmp_gt_f32_e64 s2, v8, v4
	ds_bpermute_b32 v11, v3, v9
	v_cndmask_b32_e64 v10, v4, v8, s2
	v_cmp_gt_i32_e64 s2, 32, v13
	ds_bpermute_b32 v12, v3, v10
	v_cndmask_b32_e64 v13, v2, v13, s2
	s_delay_alu instid0(VALU_DEP_1) | instskip(SKIP_2) | instid1(VALU_DEP_1)
	v_lshlrev_b32_e32 v13, 2, v13
	s_waitcnt lgkmcnt(1)
	v_cmp_lt_f32_e64 s2, v9, v11
	v_cndmask_b32_e64 v9, v9, v11, s2
	s_waitcnt lgkmcnt(0)
	v_cmp_lt_f32_e64 s2, v10, v12
	ds_bpermute_b32 v11, v13, v9
	v_cndmask_b32_e64 v10, v10, v12, s2
	v_cmp_gt_i32_e64 s2, 32, v14
	ds_bpermute_b32 v12, v13, v10
	v_cndmask_b32_e64 v14, v2, v14, s2
	s_delay_alu instid0(VALU_DEP_1) | instskip(SKIP_2) | instid1(VALU_DEP_1)
	v_lshlrev_b32_e32 v14, 2, v14
	s_waitcnt lgkmcnt(1)
	v_cmp_lt_f32_e64 s2, v9, v11
	v_cndmask_b32_e64 v9, v9, v11, s2
	s_waitcnt lgkmcnt(0)
	v_cmp_lt_f32_e64 s2, v10, v12
	;; [unrolled: 12-line block ×4, first 2 shown]
	s_delay_alu instid0(VALU_DEP_1) | instskip(SKIP_4) | instid1(VALU_DEP_1)
	v_cndmask_b32_e64 v9, v10, v12, s2
	ds_bpermute_b32 v10, v16, v2
	ds_bpermute_b32 v11, v16, v9
	s_waitcnt lgkmcnt(1)
	v_cmp_lt_f32_e64 s2, v2, v10
	v_cndmask_b32_e64 v2, v2, v10, s2
	s_waitcnt lgkmcnt(0)
	v_cmp_lt_f32_e64 s2, v9, v11
	s_delay_alu instid0(VALU_DEP_1) | instskip(NEXT) | instid1(VALU_DEP_3)
	v_cndmask_b32_e64 v9, v9, v11, s2
	v_sub_f32_e32 v7, v7, v2
	v_sub_f32_e32 v2, v6, v2
	s_delay_alu instid0(VALU_DEP_3) | instskip(SKIP_1) | instid1(VALU_DEP_4)
	v_sub_f32_e32 v4, v4, v9
	v_sub_f32_e32 v6, v8, v9
	v_mul_f32_e32 v8, 0x3fb8aa3b, v7
	v_cmp_ngt_f32_e64 s2, 0xc2ce8ed0, v7
	s_delay_alu instid0(VALU_DEP_4) | instskip(NEXT) | instid1(VALU_DEP_3)
	v_mul_f32_e32 v11, 0x3fb8aa3b, v4
	v_rndne_f32_e32 v17, v8
	v_mul_f32_e32 v9, 0x3fb8aa3b, v2
	v_fma_f32 v12, 0x3fb8aa3b, v7, -v8
	s_delay_alu instid0(VALU_DEP_4)
	v_rndne_f32_e32 v23, v11
	v_mul_f32_e32 v10, 0x3fb8aa3b, v6
	v_sub_f32_e32 v8, v8, v17
	v_fma_f32 v18, 0x3fb8aa3b, v2, -v9
	v_rndne_f32_e32 v19, v9
	v_fma_f32 v22, 0x3fb8aa3b, v4, -v11
	v_sub_f32_e32 v11, v11, v23
	v_fma_f32 v20, 0x3fb8aa3b, v6, -v10
	s_delay_alu instid0(VALU_DEP_4) | instskip(SKIP_2) | instid1(VALU_DEP_4)
	v_dual_fmac_f32 v18, 0x32a5705f, v2 :: v_dual_sub_f32 v9, v9, v19
	v_fmac_f32_e32 v12, 0x32a5705f, v7
	v_rndne_f32_e32 v21, v10
	v_fmac_f32_e32 v20, 0x32a5705f, v6
	s_delay_alu instid0(VALU_DEP_4) | instskip(NEXT) | instid1(VALU_DEP_4)
	v_dual_fmac_f32 v22, 0x32a5705f, v4 :: v_dual_add_f32 v9, v9, v18
	v_add_f32_e32 v8, v8, v12
	s_delay_alu instid0(VALU_DEP_4) | instskip(SKIP_1) | instid1(VALU_DEP_4)
	v_sub_f32_e32 v10, v10, v21
	v_cvt_i32_f32_e32 v12, v17
	v_add_f32_e32 v11, v11, v22
	v_exp_f32_e32 v9, v9
	v_exp_f32_e32 v8, v8
	v_add_f32_e32 v10, v10, v20
	v_cvt_i32_f32_e32 v17, v19
	v_exp_f32_e32 v11, v11
	v_cvt_i32_f32_e32 v18, v21
	v_cvt_i32_f32_e32 v19, v23
	v_exp_f32_e32 v10, v10
	v_ldexp_f32 v9, v9, v17
	s_delay_alu instid0(TRANS32_DEP_3)
	v_ldexp_f32 v8, v8, v12
	s_waitcnt_depctr 0xfff
	v_ldexp_f32 v11, v11, v19
	v_cndmask_b32_e64 v8, 0, v8, s2
	v_cmp_ngt_f32_e64 s2, 0xc2ce8ed0, v2
	v_ldexp_f32 v10, v10, v18
	s_delay_alu instid0(VALU_DEP_2) | instskip(SKIP_1) | instid1(VALU_DEP_1)
	v_cndmask_b32_e64 v9, 0, v9, s2
	v_cmp_ngt_f32_e64 s2, 0xc2ce8ed0, v6
	v_cndmask_b32_e64 v10, 0, v10, s2
	v_cmp_ngt_f32_e64 s2, 0xc2ce8ed0, v4
	s_delay_alu instid0(VALU_DEP_1) | instskip(SKIP_1) | instid1(VALU_DEP_1)
	v_cndmask_b32_e64 v11, 0, v11, s2
	v_cmp_nlt_f32_e64 s2, 0x42b17218, v7
	v_cndmask_b32_e64 v8, 0x7f800000, v8, s2
	v_cmp_nlt_f32_e64 s2, 0x42b17218, v2
	s_delay_alu instid0(VALU_DEP_1) | instskip(SKIP_1) | instid1(VALU_DEP_2)
	v_cndmask_b32_e64 v7, 0x7f800000, v9, s2
	v_cmp_nlt_f32_e64 s2, 0x42b17218, v6
	v_add_f32_e32 v2, v8, v7
	s_delay_alu instid0(VALU_DEP_2) | instskip(SKIP_3) | instid1(VALU_DEP_1)
	v_cndmask_b32_e64 v6, 0x7f800000, v10, s2
	v_cmp_nlt_f32_e64 s2, 0x42b17218, v4
	ds_bpermute_b32 v10, v3, v2
	v_cndmask_b32_e64 v4, 0x7f800000, v11, s2
	v_add_f32_e32 v9, v6, v4
	ds_bpermute_b32 v3, v3, v9
	s_waitcnt lgkmcnt(0)
	v_dual_add_f32 v2, v2, v10 :: v_dual_add_f32 v3, v9, v3
	ds_bpermute_b32 v9, v13, v2
	ds_bpermute_b32 v10, v13, v3
	s_waitcnt lgkmcnt(0)
	v_dual_add_f32 v2, v2, v9 :: v_dual_add_f32 v3, v3, v10
	ds_bpermute_b32 v9, v14, v2
	;; [unrolled: 4-line block ×4, first 2 shown]
	ds_bpermute_b32 v3, v16, v2
	s_and_saveexec_b32 s2, vcc_lo
	s_cbranch_execz .LBB419_22
; %bb.9:
	v_add_co_u32 v0, vcc_lo, s4, v0
	v_add_co_ci_u32_e32 v1, vcc_lo, s5, v1, vcc_lo
	s_and_saveexec_b32 s3, s1
	s_cbranch_execz .LBB419_17
; %bb.10:
	s_waitcnt lgkmcnt(1)
	v_dual_add_f32 v9, v9, v10 :: v_dual_mov_b32 v10, 0x7e00
	s_delay_alu instid0(VALU_DEP_1) | instskip(NEXT) | instid1(VALU_DEP_1)
	v_cmp_neq_f32_e64 s2, 0, v9
	s_and_saveexec_b32 s4, s2
	s_cbranch_execz .LBB419_12
; %bb.11:
	v_div_scale_f32 v10, null, v9, v9, v8
	s_delay_alu instid0(VALU_DEP_1) | instskip(SKIP_2) | instid1(VALU_DEP_1)
	v_rcp_f32_e32 v11, v10
	s_waitcnt_depctr 0xfff
	v_fma_f32 v12, -v10, v11, 1.0
	v_fmac_f32_e32 v11, v12, v11
	v_div_scale_f32 v12, vcc_lo, v8, v9, v8
	s_delay_alu instid0(VALU_DEP_1) | instskip(NEXT) | instid1(VALU_DEP_1)
	v_mul_f32_e32 v13, v12, v11
	v_fma_f32 v14, -v10, v13, v12
	s_delay_alu instid0(VALU_DEP_1) | instskip(NEXT) | instid1(VALU_DEP_1)
	v_fmac_f32_e32 v13, v14, v11
	v_fma_f32 v10, -v10, v13, v12
	s_delay_alu instid0(VALU_DEP_1) | instskip(NEXT) | instid1(VALU_DEP_1)
	v_div_fmas_f32 v10, v10, v11, v13
	v_div_fixup_f32 v8, v10, v9, v8
	s_delay_alu instid0(VALU_DEP_1)
	v_cvt_f16_f32_e32 v10, v8
.LBB419_12:
	s_or_b32 exec_lo, exec_lo, s4
	global_store_b16 v[0:1], v10, off
	s_and_b32 exec_lo, exec_lo, s0
	s_cbranch_execz .LBB419_17
; %bb.13:
	s_and_saveexec_b32 s4, s2
	s_delay_alu instid0(SALU_CYCLE_1)
	s_xor_b32 s2, exec_lo, s4
	s_cbranch_execz .LBB419_15
; %bb.14:
	v_div_scale_f32 v8, null, v9, v9, v7
	s_delay_alu instid0(VALU_DEP_1) | instskip(SKIP_2) | instid1(VALU_DEP_1)
	v_rcp_f32_e32 v10, v8
	s_waitcnt_depctr 0xfff
	v_fma_f32 v11, -v8, v10, 1.0
	v_fmac_f32_e32 v10, v11, v10
	v_div_scale_f32 v11, vcc_lo, v7, v9, v7
	s_delay_alu instid0(VALU_DEP_1) | instskip(NEXT) | instid1(VALU_DEP_1)
	v_mul_f32_e32 v12, v11, v10
	v_fma_f32 v13, -v8, v12, v11
	s_delay_alu instid0(VALU_DEP_1) | instskip(NEXT) | instid1(VALU_DEP_1)
	v_fmac_f32_e32 v12, v13, v10
	v_fma_f32 v8, -v8, v12, v11
	s_delay_alu instid0(VALU_DEP_1) | instskip(NEXT) | instid1(VALU_DEP_1)
	v_div_fmas_f32 v8, v8, v10, v12
	v_div_fixup_f32 v7, v8, v9, v7
	s_delay_alu instid0(VALU_DEP_1)
	v_cvt_f16_f32_e32 v7, v7
	global_store_b16 v[0:1], v7, off offset:64
.LBB419_15:
	s_and_not1_saveexec_b32 s2, s2
	s_cbranch_execz .LBB419_17
; %bb.16:
	v_mov_b32_e32 v7, 0x7e00
	global_store_b16 v[0:1], v7, off offset:64
.LBB419_17:
	s_or_b32 exec_lo, exec_lo, s3
	v_cmp_ne_u32_e32 vcc_lo, 1, v5
	s_and_b32 exec_lo, exec_lo, vcc_lo
	s_cbranch_execz .LBB419_22
; %bb.18:
	s_and_b32 exec_lo, exec_lo, s1
	s_cbranch_execz .LBB419_22
; %bb.19:
	s_mov_b32 s11, 0
	s_waitcnt lgkmcnt(0)
	v_add_f32_e32 v5, v2, v3
	s_lshl_b64 s[2:3], s[10:11], 1
	s_delay_alu instid0(SALU_CYCLE_1) | instskip(NEXT) | instid1(VALU_DEP_2)
	v_add_co_u32 v2, vcc_lo, v0, s2
	v_cmp_neq_f32_e64 s1, 0, v5
	v_add_co_ci_u32_e32 v3, vcc_lo, s3, v1, vcc_lo
	s_delay_alu instid0(VALU_DEP_2) | instskip(NEXT) | instid1(SALU_CYCLE_1)
	s_and_saveexec_b32 s2, s1
	s_xor_b32 s2, exec_lo, s2
	s_cbranch_execnz .LBB419_23
; %bb.20:
	s_and_not1_saveexec_b32 s2, s2
	s_cbranch_execnz .LBB419_24
.LBB419_21:
	s_or_b32 exec_lo, exec_lo, s2
	s_delay_alu instid0(SALU_CYCLE_1)
	s_and_b32 exec_lo, exec_lo, s0
	s_cbranch_execnz .LBB419_25
.LBB419_22:
	s_nop 0
	s_sendmsg sendmsg(MSG_DEALLOC_VGPRS)
	s_endpgm
.LBB419_23:
	v_div_scale_f32 v7, null, v5, v5, v6
	s_delay_alu instid0(VALU_DEP_1) | instskip(SKIP_2) | instid1(VALU_DEP_1)
	v_rcp_f32_e32 v8, v7
	s_waitcnt_depctr 0xfff
	v_fma_f32 v9, -v7, v8, 1.0
	v_fmac_f32_e32 v8, v9, v8
	v_div_scale_f32 v9, vcc_lo, v6, v5, v6
	s_delay_alu instid0(VALU_DEP_1) | instskip(NEXT) | instid1(VALU_DEP_1)
	v_mul_f32_e32 v10, v9, v8
	v_fma_f32 v11, -v7, v10, v9
	s_delay_alu instid0(VALU_DEP_1) | instskip(NEXT) | instid1(VALU_DEP_1)
	v_fmac_f32_e32 v10, v11, v8
	v_fma_f32 v7, -v7, v10, v9
	s_delay_alu instid0(VALU_DEP_1) | instskip(NEXT) | instid1(VALU_DEP_1)
	v_div_fmas_f32 v7, v7, v8, v10
	v_div_fixup_f32 v6, v7, v5, v6
	s_delay_alu instid0(VALU_DEP_1)
	v_cvt_f16_f32_e32 v6, v6
	global_store_b16 v[2:3], v6, off
                                        ; implicit-def: $vgpr2_vgpr3
	s_and_not1_saveexec_b32 s2, s2
	s_cbranch_execz .LBB419_21
.LBB419_24:
	v_mov_b32_e32 v6, 0x7e00
	global_store_b16 v[2:3], v6, off
	s_or_b32 exec_lo, exec_lo, s2
	s_delay_alu instid0(SALU_CYCLE_1)
	s_and_b32 exec_lo, exec_lo, s0
	s_cbranch_execz .LBB419_22
.LBB419_25:
	s_ashr_i32 s11, s10, 31
	s_delay_alu instid0(SALU_CYCLE_1) | instskip(NEXT) | instid1(SALU_CYCLE_1)
	s_lshl_b64 s[2:3], s[10:11], 1
	v_add_co_u32 v0, vcc_lo, v0, s2
	v_add_co_ci_u32_e32 v1, vcc_lo, s3, v1, vcc_lo
	s_and_saveexec_b32 s0, s1
	s_delay_alu instid0(SALU_CYCLE_1)
	s_xor_b32 s0, exec_lo, s0
	s_cbranch_execz .LBB419_27
; %bb.26:
	v_div_scale_f32 v2, null, v5, v5, v4
	s_delay_alu instid0(VALU_DEP_1) | instskip(SKIP_2) | instid1(VALU_DEP_1)
	v_rcp_f32_e32 v3, v2
	s_waitcnt_depctr 0xfff
	v_fma_f32 v6, -v2, v3, 1.0
	v_fmac_f32_e32 v3, v6, v3
	v_div_scale_f32 v6, vcc_lo, v4, v5, v4
	s_delay_alu instid0(VALU_DEP_1) | instskip(NEXT) | instid1(VALU_DEP_1)
	v_mul_f32_e32 v7, v6, v3
	v_fma_f32 v8, -v2, v7, v6
	s_delay_alu instid0(VALU_DEP_1) | instskip(NEXT) | instid1(VALU_DEP_1)
	v_fmac_f32_e32 v7, v8, v3
	v_fma_f32 v2, -v2, v7, v6
	s_delay_alu instid0(VALU_DEP_1) | instskip(NEXT) | instid1(VALU_DEP_1)
	v_div_fmas_f32 v2, v2, v3, v7
	v_div_fixup_f32 v2, v2, v5, v4
	s_delay_alu instid0(VALU_DEP_1)
	v_cvt_f16_f32_e32 v2, v2
	global_store_b16 v[0:1], v2, off offset:64
                                        ; implicit-def: $vgpr0_vgpr1
.LBB419_27:
	s_and_not1_saveexec_b32 s0, s0
	s_cbranch_execz .LBB419_22
; %bb.28:
	v_mov_b32_e32 v2, 0x7e00
	global_store_b16 v[0:1], v2, off offset:64
	s_nop 0
	s_sendmsg sendmsg(MSG_DEALLOC_VGPRS)
	s_endpgm
	.section	.rodata,"a",@progbits
	.p2align	6, 0x0
	.amdhsa_kernel _ZN12_GLOBAL__N_120softmax_warp_forwardIN3c104HalfES2_fLi6ELb0ELb0ELi32EEEvPT0_PKT_iiiPKbib
		.amdhsa_group_segment_fixed_size 0
		.amdhsa_private_segment_fixed_size 0
		.amdhsa_kernarg_size 304
		.amdhsa_user_sgpr_count 15
		.amdhsa_user_sgpr_dispatch_ptr 0
		.amdhsa_user_sgpr_queue_ptr 0
		.amdhsa_user_sgpr_kernarg_segment_ptr 1
		.amdhsa_user_sgpr_dispatch_id 0
		.amdhsa_user_sgpr_private_segment_size 0
		.amdhsa_wavefront_size32 1
		.amdhsa_uses_dynamic_stack 0
		.amdhsa_enable_private_segment 0
		.amdhsa_system_sgpr_workgroup_id_x 1
		.amdhsa_system_sgpr_workgroup_id_y 0
		.amdhsa_system_sgpr_workgroup_id_z 0
		.amdhsa_system_sgpr_workgroup_info 0
		.amdhsa_system_vgpr_workitem_id 1
		.amdhsa_next_free_vgpr 24
		.amdhsa_next_free_sgpr 16
		.amdhsa_reserve_vcc 1
		.amdhsa_float_round_mode_32 0
		.amdhsa_float_round_mode_16_64 0
		.amdhsa_float_denorm_mode_32 3
		.amdhsa_float_denorm_mode_16_64 3
		.amdhsa_dx10_clamp 1
		.amdhsa_ieee_mode 1
		.amdhsa_fp16_overflow 0
		.amdhsa_workgroup_processor_mode 1
		.amdhsa_memory_ordered 1
		.amdhsa_forward_progress 0
		.amdhsa_shared_vgpr_count 0
		.amdhsa_exception_fp_ieee_invalid_op 0
		.amdhsa_exception_fp_denorm_src 0
		.amdhsa_exception_fp_ieee_div_zero 0
		.amdhsa_exception_fp_ieee_overflow 0
		.amdhsa_exception_fp_ieee_underflow 0
		.amdhsa_exception_fp_ieee_inexact 0
		.amdhsa_exception_int_div_zero 0
	.end_amdhsa_kernel
	.section	.text._ZN12_GLOBAL__N_120softmax_warp_forwardIN3c104HalfES2_fLi6ELb0ELb0ELi32EEEvPT0_PKT_iiiPKbib,"axG",@progbits,_ZN12_GLOBAL__N_120softmax_warp_forwardIN3c104HalfES2_fLi6ELb0ELb0ELi32EEEvPT0_PKT_iiiPKbib,comdat
.Lfunc_end419:
	.size	_ZN12_GLOBAL__N_120softmax_warp_forwardIN3c104HalfES2_fLi6ELb0ELb0ELi32EEEvPT0_PKT_iiiPKbib, .Lfunc_end419-_ZN12_GLOBAL__N_120softmax_warp_forwardIN3c104HalfES2_fLi6ELb0ELb0ELi32EEEvPT0_PKT_iiiPKbib
                                        ; -- End function
	.section	.AMDGPU.csdata,"",@progbits
; Kernel info:
; codeLenInByte = 2236
; NumSgprs: 18
; NumVgprs: 24
; ScratchSize: 0
; MemoryBound: 0
; FloatMode: 240
; IeeeMode: 1
; LDSByteSize: 0 bytes/workgroup (compile time only)
; SGPRBlocks: 2
; VGPRBlocks: 2
; NumSGPRsForWavesPerEU: 18
; NumVGPRsForWavesPerEU: 24
; Occupancy: 16
; WaveLimiterHint : 0
; COMPUTE_PGM_RSRC2:SCRATCH_EN: 0
; COMPUTE_PGM_RSRC2:USER_SGPR: 15
; COMPUTE_PGM_RSRC2:TRAP_HANDLER: 0
; COMPUTE_PGM_RSRC2:TGID_X_EN: 1
; COMPUTE_PGM_RSRC2:TGID_Y_EN: 0
; COMPUTE_PGM_RSRC2:TGID_Z_EN: 0
; COMPUTE_PGM_RSRC2:TIDIG_COMP_CNT: 1
	.section	.text._ZN12_GLOBAL__N_120softmax_warp_forwardIN3c104HalfES2_fLi7ELb0ELb0ELi64EEEvPT0_PKT_iiiPKbib,"axG",@progbits,_ZN12_GLOBAL__N_120softmax_warp_forwardIN3c104HalfES2_fLi7ELb0ELb0ELi64EEEvPT0_PKT_iiiPKbib,comdat
	.globl	_ZN12_GLOBAL__N_120softmax_warp_forwardIN3c104HalfES2_fLi7ELb0ELb0ELi64EEEvPT0_PKT_iiiPKbib ; -- Begin function _ZN12_GLOBAL__N_120softmax_warp_forwardIN3c104HalfES2_fLi7ELb0ELb0ELi64EEEvPT0_PKT_iiiPKbib
	.p2align	8
	.type	_ZN12_GLOBAL__N_120softmax_warp_forwardIN3c104HalfES2_fLi7ELb0ELb0ELi64EEEvPT0_PKT_iiiPKbib,@function
_ZN12_GLOBAL__N_120softmax_warp_forwardIN3c104HalfES2_fLi7ELb0ELb0ELi64EEEvPT0_PKT_iiiPKbib: ; @_ZN12_GLOBAL__N_120softmax_warp_forwardIN3c104HalfES2_fLi7ELb0ELb0ELi64EEEvPT0_PKT_iiiPKbib
; %bb.0:
	s_clause 0x1
	s_load_b32 s2, s[0:1], 0x3c
	s_load_b256 s[4:11], s[0:1], 0x0
	v_bfe_u32 v1, v0, 10, 10
	v_and_b32_e32 v4, 0x3ff, v0
	v_dual_mov_b32 v6, 0xff800000 :: v_dual_mov_b32 v7, 0xff800000
	s_waitcnt lgkmcnt(0)
	s_lshr_b32 s0, s2, 16
	s_delay_alu instid0(VALU_DEP_2) | instskip(SKIP_1) | instid1(SALU_CYCLE_1)
	v_cmp_gt_i32_e64 s1, s10, v4
	s_mul_i32 s15, s15, s0
	v_add_lshl_u32 v2, s15, v1, 1
	s_delay_alu instid0(VALU_DEP_1) | instskip(SKIP_1) | instid1(VALU_DEP_1)
	v_mad_u64_u32 v[0:1], null, v2, s9, v[4:5]
	v_sub_nc_u32_e32 v5, s8, v2
	v_cmp_lt_i32_e32 vcc_lo, 0, v5
	s_delay_alu instid0(VALU_DEP_3) | instskip(SKIP_1) | instid1(VALU_DEP_1)
	v_ashrrev_i32_e32 v1, 31, v0
	s_and_b32 s2, vcc_lo, s1
	v_lshlrev_b64 v[0:1], 1, v[0:1]
	s_delay_alu instid0(VALU_DEP_1) | instskip(NEXT) | instid1(VALU_DEP_1)
	v_add_co_u32 v2, s0, s6, v0
	v_add_co_ci_u32_e64 v3, s0, s7, v1, s0
	s_and_saveexec_b32 s0, s2
	s_cbranch_execz .LBB420_2
; %bb.1:
	global_load_u16 v7, v[2:3], off
	s_waitcnt vmcnt(0)
	v_cvt_f32_f16_e32 v7, v7
.LBB420_2:
	s_or_b32 exec_lo, exec_lo, s0
	v_add_nc_u32_e32 v4, 64, v4
	s_delay_alu instid0(VALU_DEP_1) | instskip(NEXT) | instid1(VALU_DEP_1)
	v_cmp_gt_i32_e64 s0, s10, v4
	s_and_b32 s3, vcc_lo, s0
	s_delay_alu instid0(SALU_CYCLE_1)
	s_and_saveexec_b32 s2, s3
	s_cbranch_execz .LBB420_4
; %bb.3:
	global_load_u16 v4, v[2:3], off offset:128
	s_waitcnt vmcnt(0)
	v_cvt_f32_f16_e32 v6, v4
.LBB420_4:
	s_or_b32 exec_lo, exec_lo, s2
	v_cmp_lt_i32_e64 s2, 1, v5
	v_mov_b32_e32 v4, 0xff800000
	v_mov_b32_e32 v8, 0xff800000
	s_delay_alu instid0(VALU_DEP_3) | instskip(NEXT) | instid1(SALU_CYCLE_1)
	s_and_b32 s3, s2, s1
	s_and_saveexec_b32 s6, s3
	s_cbranch_execz .LBB420_6
; %bb.5:
	s_mov_b32 s11, 0
	s_delay_alu instid0(SALU_CYCLE_1) | instskip(NEXT) | instid1(SALU_CYCLE_1)
	s_lshl_b64 s[8:9], s[10:11], 1
	v_add_co_u32 v8, s3, v2, s8
	s_delay_alu instid0(VALU_DEP_1)
	v_add_co_ci_u32_e64 v9, s3, s9, v3, s3
	global_load_u16 v8, v[8:9], off
	s_waitcnt vmcnt(0)
	v_cvt_f32_f16_e32 v8, v8
.LBB420_6:
	s_or_b32 exec_lo, exec_lo, s6
	s_and_b32 s2, s2, s0
	s_delay_alu instid0(SALU_CYCLE_1)
	s_and_saveexec_b32 s3, s2
	s_cbranch_execz .LBB420_8
; %bb.7:
	s_mov_b32 s11, 0
	s_delay_alu instid0(SALU_CYCLE_1) | instskip(NEXT) | instid1(SALU_CYCLE_1)
	s_lshl_b64 s[6:7], s[10:11], 1
	v_add_co_u32 v2, s2, v2, s6
	s_delay_alu instid0(VALU_DEP_1)
	v_add_co_ci_u32_e64 v3, s2, s7, v3, s2
	global_load_u16 v2, v[2:3], off offset:128
	s_waitcnt vmcnt(0)
	v_cvt_f32_f16_e32 v4, v2
.LBB420_8:
	s_or_b32 exec_lo, exec_lo, s3
	v_mbcnt_lo_u32_b32 v2, -1, 0
	s_delay_alu instid0(VALU_DEP_1)
	v_or_b32_e32 v3, 32, v2
	v_xor_b32_e32 v13, 16, v2
	v_xor_b32_e32 v14, 8, v2
	;; [unrolled: 1-line block ×4, first 2 shown]
	v_cmp_gt_i32_e64 s2, 64, v3
	v_xor_b32_e32 v17, 1, v2
	s_delay_alu instid0(VALU_DEP_2) | instskip(SKIP_1) | instid1(VALU_DEP_2)
	v_cndmask_b32_e64 v3, v2, v3, s2
	v_cmp_gt_f32_e64 s2, v7, v6
	v_lshlrev_b32_e32 v10, 2, v3
	s_delay_alu instid0(VALU_DEP_2)
	v_cndmask_b32_e64 v9, v6, v7, s2
	v_cmp_gt_f32_e64 s2, v8, v4
	ds_bpermute_b32 v11, v10, v9
	v_cndmask_b32_e64 v3, v4, v8, s2
	v_cmp_gt_i32_e64 s2, 64, v13
	ds_bpermute_b32 v12, v10, v3
	v_cndmask_b32_e64 v13, v2, v13, s2
	s_delay_alu instid0(VALU_DEP_1) | instskip(SKIP_2) | instid1(VALU_DEP_1)
	v_lshlrev_b32_e32 v13, 2, v13
	s_waitcnt lgkmcnt(1)
	v_cmp_lt_f32_e64 s2, v9, v11
	v_cndmask_b32_e64 v9, v9, v11, s2
	s_waitcnt lgkmcnt(0)
	v_cmp_lt_f32_e64 s2, v3, v12
	ds_bpermute_b32 v11, v13, v9
	v_cndmask_b32_e64 v3, v3, v12, s2
	v_cmp_gt_i32_e64 s2, 64, v14
	ds_bpermute_b32 v12, v13, v3
	v_cndmask_b32_e64 v14, v2, v14, s2
	s_delay_alu instid0(VALU_DEP_1) | instskip(SKIP_2) | instid1(VALU_DEP_1)
	v_lshlrev_b32_e32 v14, 2, v14
	s_waitcnt lgkmcnt(1)
	v_cmp_lt_f32_e64 s2, v9, v11
	v_cndmask_b32_e64 v9, v9, v11, s2
	s_waitcnt lgkmcnt(0)
	v_cmp_lt_f32_e64 s2, v3, v12
	;; [unrolled: 12-line block ×5, first 2 shown]
	ds_bpermute_b32 v9, v17, v2
	v_cndmask_b32_e64 v3, v3, v12, s2
	ds_bpermute_b32 v11, v17, v3
	s_waitcnt lgkmcnt(1)
	v_cmp_lt_f32_e64 s2, v2, v9
	s_delay_alu instid0(VALU_DEP_1) | instskip(SKIP_2) | instid1(VALU_DEP_2)
	v_cndmask_b32_e64 v2, v2, v9, s2
	s_waitcnt lgkmcnt(0)
	v_cmp_lt_f32_e64 s2, v3, v11
	v_sub_f32_e32 v7, v7, v2
	s_delay_alu instid0(VALU_DEP_2) | instskip(SKIP_1) | instid1(VALU_DEP_3)
	v_cndmask_b32_e64 v3, v3, v11, s2
	v_sub_f32_e32 v2, v6, v2
	v_cmp_ngt_f32_e64 s2, 0xc2ce8ed0, v7
	s_delay_alu instid0(VALU_DEP_3) | instskip(SKIP_1) | instid1(VALU_DEP_4)
	v_sub_f32_e32 v6, v8, v3
	v_sub_f32_e32 v4, v4, v3
	v_dual_mul_f32 v3, 0x3fb8aa3b, v7 :: v_dual_mul_f32 v8, 0x3fb8aa3b, v2
	s_delay_alu instid0(VALU_DEP_3) | instskip(NEXT) | instid1(VALU_DEP_2)
	v_mul_f32_e32 v9, 0x3fb8aa3b, v6
	v_fma_f32 v12, 0x3fb8aa3b, v7, -v3
	v_rndne_f32_e32 v18, v3
	s_delay_alu instid0(VALU_DEP_4) | instskip(SKIP_2) | instid1(VALU_DEP_4)
	v_fma_f32 v19, 0x3fb8aa3b, v2, -v8
	v_rndne_f32_e32 v20, v8
	v_fma_f32 v21, 0x3fb8aa3b, v6, -v9
	v_dual_fmac_f32 v12, 0x32a5705f, v7 :: v_dual_sub_f32 v3, v3, v18
	s_delay_alu instid0(VALU_DEP_4) | instskip(SKIP_1) | instid1(VALU_DEP_4)
	v_fmac_f32_e32 v19, 0x32a5705f, v2
	v_rndne_f32_e32 v22, v9
	v_dual_sub_f32 v8, v8, v20 :: v_dual_fmac_f32 v21, 0x32a5705f, v6
	v_mul_f32_e32 v11, 0x3fb8aa3b, v4
	v_add_f32_e32 v3, v3, v12
	s_delay_alu instid0(VALU_DEP_3) | instskip(SKIP_1) | instid1(VALU_DEP_4)
	v_dual_sub_f32 v9, v9, v22 :: v_dual_add_f32 v8, v8, v19
	v_cvt_i32_f32_e32 v12, v18
	v_fma_f32 v23, 0x3fb8aa3b, v4, -v11
	v_rndne_f32_e32 v24, v11
	v_exp_f32_e32 v3, v3
	v_add_f32_e32 v9, v9, v21
	v_exp_f32_e32 v8, v8
	v_fmac_f32_e32 v23, 0x32a5705f, v4
	v_sub_f32_e32 v11, v11, v24
	v_cvt_i32_f32_e32 v18, v20
	v_exp_f32_e32 v9, v9
	v_cvt_i32_f32_e32 v19, v22
	v_cvt_i32_f32_e32 v20, v24
	v_add_f32_e32 v11, v11, v23
	v_ldexp_f32 v3, v3, v12
	s_delay_alu instid0(TRANS32_DEP_2) | instskip(NEXT) | instid1(VALU_DEP_3)
	v_ldexp_f32 v8, v8, v18
	v_exp_f32_e32 v11, v11
	s_delay_alu instid0(VALU_DEP_2) | instskip(SKIP_1) | instid1(TRANS32_DEP_2)
	v_cndmask_b32_e64 v3, 0, v3, s2
	v_cmp_ngt_f32_e64 s2, 0xc2ce8ed0, v2
	v_ldexp_f32 v9, v9, v19
	s_delay_alu instid0(VALU_DEP_2)
	v_cndmask_b32_e64 v12, 0, v8, s2
	v_cmp_ngt_f32_e64 s2, 0xc2ce8ed0, v6
	s_waitcnt_depctr 0xfff
	v_ldexp_f32 v11, v11, v20
	v_cndmask_b32_e64 v9, 0, v9, s2
	v_cmp_ngt_f32_e64 s2, 0xc2ce8ed0, v4
	s_delay_alu instid0(VALU_DEP_1) | instskip(SKIP_1) | instid1(VALU_DEP_1)
	v_cndmask_b32_e64 v11, 0, v11, s2
	v_cmp_nlt_f32_e64 s2, 0x42b17218, v7
	v_cndmask_b32_e64 v8, 0x7f800000, v3, s2
	v_cmp_nlt_f32_e64 s2, 0x42b17218, v2
	s_delay_alu instid0(VALU_DEP_1) | instskip(SKIP_1) | instid1(VALU_DEP_2)
	v_cndmask_b32_e64 v3, 0x7f800000, v12, s2
	v_cmp_nlt_f32_e64 s2, 0x42b17218, v6
	v_add_f32_e32 v2, v8, v3
	s_delay_alu instid0(VALU_DEP_2) | instskip(SKIP_3) | instid1(VALU_DEP_1)
	v_cndmask_b32_e64 v6, 0x7f800000, v9, s2
	v_cmp_nlt_f32_e64 s2, 0x42b17218, v4
	ds_bpermute_b32 v9, v10, v2
	v_cndmask_b32_e64 v4, 0x7f800000, v11, s2
	v_add_f32_e32 v7, v6, v4
	ds_bpermute_b32 v10, v10, v7
	s_waitcnt lgkmcnt(1)
	v_add_f32_e32 v2, v2, v9
	ds_bpermute_b32 v9, v13, v2
	s_waitcnt lgkmcnt(1)
	;; [unrolled: 3-line block ×9, first 2 shown]
	v_dual_add_f32 v9, v2, v9 :: v_dual_add_f32 v2, v7, v10
	ds_bpermute_b32 v10, v17, v9
	ds_bpermute_b32 v7, v17, v2
	s_and_saveexec_b32 s2, vcc_lo
	s_cbranch_execz .LBB420_22
; %bb.9:
	v_add_co_u32 v0, vcc_lo, s4, v0
	v_add_co_ci_u32_e32 v1, vcc_lo, s5, v1, vcc_lo
	s_and_saveexec_b32 s3, s1
	s_cbranch_execz .LBB420_17
; %bb.10:
	s_waitcnt lgkmcnt(1)
	v_dual_add_f32 v9, v9, v10 :: v_dual_mov_b32 v10, 0x7e00
	s_delay_alu instid0(VALU_DEP_1) | instskip(NEXT) | instid1(VALU_DEP_1)
	v_cmp_neq_f32_e64 s2, 0, v9
	s_and_saveexec_b32 s4, s2
	s_cbranch_execz .LBB420_12
; %bb.11:
	v_div_scale_f32 v10, null, v9, v9, v8
	s_delay_alu instid0(VALU_DEP_1) | instskip(SKIP_2) | instid1(VALU_DEP_1)
	v_rcp_f32_e32 v11, v10
	s_waitcnt_depctr 0xfff
	v_fma_f32 v12, -v10, v11, 1.0
	v_fmac_f32_e32 v11, v12, v11
	v_div_scale_f32 v12, vcc_lo, v8, v9, v8
	s_delay_alu instid0(VALU_DEP_1) | instskip(NEXT) | instid1(VALU_DEP_1)
	v_mul_f32_e32 v13, v12, v11
	v_fma_f32 v14, -v10, v13, v12
	s_delay_alu instid0(VALU_DEP_1) | instskip(NEXT) | instid1(VALU_DEP_1)
	v_fmac_f32_e32 v13, v14, v11
	v_fma_f32 v10, -v10, v13, v12
	s_delay_alu instid0(VALU_DEP_1) | instskip(NEXT) | instid1(VALU_DEP_1)
	v_div_fmas_f32 v10, v10, v11, v13
	v_div_fixup_f32 v8, v10, v9, v8
	s_delay_alu instid0(VALU_DEP_1)
	v_cvt_f16_f32_e32 v10, v8
.LBB420_12:
	s_or_b32 exec_lo, exec_lo, s4
	global_store_b16 v[0:1], v10, off
	s_and_b32 exec_lo, exec_lo, s0
	s_cbranch_execz .LBB420_17
; %bb.13:
	s_and_saveexec_b32 s4, s2
	s_delay_alu instid0(SALU_CYCLE_1)
	s_xor_b32 s2, exec_lo, s4
	s_cbranch_execz .LBB420_15
; %bb.14:
	v_div_scale_f32 v8, null, v9, v9, v3
	s_delay_alu instid0(VALU_DEP_1) | instskip(SKIP_2) | instid1(VALU_DEP_1)
	v_rcp_f32_e32 v10, v8
	s_waitcnt_depctr 0xfff
	v_fma_f32 v11, -v8, v10, 1.0
	v_fmac_f32_e32 v10, v11, v10
	v_div_scale_f32 v11, vcc_lo, v3, v9, v3
	s_delay_alu instid0(VALU_DEP_1) | instskip(NEXT) | instid1(VALU_DEP_1)
	v_mul_f32_e32 v12, v11, v10
	v_fma_f32 v13, -v8, v12, v11
	s_delay_alu instid0(VALU_DEP_1) | instskip(NEXT) | instid1(VALU_DEP_1)
	v_fmac_f32_e32 v12, v13, v10
	v_fma_f32 v8, -v8, v12, v11
	s_delay_alu instid0(VALU_DEP_1) | instskip(NEXT) | instid1(VALU_DEP_1)
	v_div_fmas_f32 v8, v8, v10, v12
	v_div_fixup_f32 v3, v8, v9, v3
	s_delay_alu instid0(VALU_DEP_1)
	v_cvt_f16_f32_e32 v3, v3
	global_store_b16 v[0:1], v3, off offset:128
.LBB420_15:
	s_and_not1_saveexec_b32 s2, s2
	s_cbranch_execz .LBB420_17
; %bb.16:
	v_mov_b32_e32 v3, 0x7e00
	global_store_b16 v[0:1], v3, off offset:128
.LBB420_17:
	s_or_b32 exec_lo, exec_lo, s3
	v_cmp_ne_u32_e32 vcc_lo, 1, v5
	s_and_b32 exec_lo, exec_lo, vcc_lo
	s_cbranch_execz .LBB420_22
; %bb.18:
	s_and_b32 exec_lo, exec_lo, s1
	s_cbranch_execz .LBB420_22
; %bb.19:
	s_mov_b32 s11, 0
	s_waitcnt lgkmcnt(0)
	v_add_f32_e32 v5, v2, v7
	s_lshl_b64 s[2:3], s[10:11], 1
	s_delay_alu instid0(SALU_CYCLE_1) | instskip(NEXT) | instid1(VALU_DEP_2)
	v_add_co_u32 v2, vcc_lo, v0, s2
	v_cmp_neq_f32_e64 s1, 0, v5
	v_add_co_ci_u32_e32 v3, vcc_lo, s3, v1, vcc_lo
	s_delay_alu instid0(VALU_DEP_2) | instskip(NEXT) | instid1(SALU_CYCLE_1)
	s_and_saveexec_b32 s2, s1
	s_xor_b32 s2, exec_lo, s2
	s_cbranch_execnz .LBB420_23
; %bb.20:
	s_and_not1_saveexec_b32 s2, s2
	s_cbranch_execnz .LBB420_24
.LBB420_21:
	s_or_b32 exec_lo, exec_lo, s2
	s_delay_alu instid0(SALU_CYCLE_1)
	s_and_b32 exec_lo, exec_lo, s0
	s_cbranch_execnz .LBB420_25
.LBB420_22:
	s_nop 0
	s_sendmsg sendmsg(MSG_DEALLOC_VGPRS)
	s_endpgm
.LBB420_23:
	v_div_scale_f32 v7, null, v5, v5, v6
	s_delay_alu instid0(VALU_DEP_1) | instskip(SKIP_2) | instid1(VALU_DEP_1)
	v_rcp_f32_e32 v8, v7
	s_waitcnt_depctr 0xfff
	v_fma_f32 v9, -v7, v8, 1.0
	v_fmac_f32_e32 v8, v9, v8
	v_div_scale_f32 v9, vcc_lo, v6, v5, v6
	s_delay_alu instid0(VALU_DEP_1) | instskip(NEXT) | instid1(VALU_DEP_1)
	v_mul_f32_e32 v10, v9, v8
	v_fma_f32 v11, -v7, v10, v9
	s_delay_alu instid0(VALU_DEP_1) | instskip(NEXT) | instid1(VALU_DEP_1)
	v_fmac_f32_e32 v10, v11, v8
	v_fma_f32 v7, -v7, v10, v9
	s_delay_alu instid0(VALU_DEP_1) | instskip(NEXT) | instid1(VALU_DEP_1)
	v_div_fmas_f32 v7, v7, v8, v10
	v_div_fixup_f32 v6, v7, v5, v6
	s_delay_alu instid0(VALU_DEP_1)
	v_cvt_f16_f32_e32 v6, v6
	global_store_b16 v[2:3], v6, off
                                        ; implicit-def: $vgpr2_vgpr3
	s_and_not1_saveexec_b32 s2, s2
	s_cbranch_execz .LBB420_21
.LBB420_24:
	v_mov_b32_e32 v6, 0x7e00
	global_store_b16 v[2:3], v6, off
	s_or_b32 exec_lo, exec_lo, s2
	s_delay_alu instid0(SALU_CYCLE_1)
	s_and_b32 exec_lo, exec_lo, s0
	s_cbranch_execz .LBB420_22
.LBB420_25:
	s_ashr_i32 s11, s10, 31
	s_delay_alu instid0(SALU_CYCLE_1) | instskip(NEXT) | instid1(SALU_CYCLE_1)
	s_lshl_b64 s[2:3], s[10:11], 1
	v_add_co_u32 v0, vcc_lo, v0, s2
	v_add_co_ci_u32_e32 v1, vcc_lo, s3, v1, vcc_lo
	s_and_saveexec_b32 s0, s1
	s_delay_alu instid0(SALU_CYCLE_1)
	s_xor_b32 s0, exec_lo, s0
	s_cbranch_execz .LBB420_27
; %bb.26:
	v_div_scale_f32 v2, null, v5, v5, v4
	s_delay_alu instid0(VALU_DEP_1) | instskip(SKIP_2) | instid1(VALU_DEP_1)
	v_rcp_f32_e32 v3, v2
	s_waitcnt_depctr 0xfff
	v_fma_f32 v6, -v2, v3, 1.0
	v_fmac_f32_e32 v3, v6, v3
	v_div_scale_f32 v6, vcc_lo, v4, v5, v4
	s_delay_alu instid0(VALU_DEP_1) | instskip(NEXT) | instid1(VALU_DEP_1)
	v_mul_f32_e32 v7, v6, v3
	v_fma_f32 v8, -v2, v7, v6
	s_delay_alu instid0(VALU_DEP_1) | instskip(NEXT) | instid1(VALU_DEP_1)
	v_fmac_f32_e32 v7, v8, v3
	v_fma_f32 v2, -v2, v7, v6
	s_delay_alu instid0(VALU_DEP_1) | instskip(NEXT) | instid1(VALU_DEP_1)
	v_div_fmas_f32 v2, v2, v3, v7
	v_div_fixup_f32 v2, v2, v5, v4
	s_delay_alu instid0(VALU_DEP_1)
	v_cvt_f16_f32_e32 v2, v2
	global_store_b16 v[0:1], v2, off offset:128
                                        ; implicit-def: $vgpr0_vgpr1
.LBB420_27:
	s_and_not1_saveexec_b32 s0, s0
	s_cbranch_execz .LBB420_22
; %bb.28:
	v_mov_b32_e32 v2, 0x7e00
	global_store_b16 v[0:1], v2, off offset:128
	s_nop 0
	s_sendmsg sendmsg(MSG_DEALLOC_VGPRS)
	s_endpgm
	.section	.rodata,"a",@progbits
	.p2align	6, 0x0
	.amdhsa_kernel _ZN12_GLOBAL__N_120softmax_warp_forwardIN3c104HalfES2_fLi7ELb0ELb0ELi64EEEvPT0_PKT_iiiPKbib
		.amdhsa_group_segment_fixed_size 0
		.amdhsa_private_segment_fixed_size 0
		.amdhsa_kernarg_size 304
		.amdhsa_user_sgpr_count 15
		.amdhsa_user_sgpr_dispatch_ptr 0
		.amdhsa_user_sgpr_queue_ptr 0
		.amdhsa_user_sgpr_kernarg_segment_ptr 1
		.amdhsa_user_sgpr_dispatch_id 0
		.amdhsa_user_sgpr_private_segment_size 0
		.amdhsa_wavefront_size32 1
		.amdhsa_uses_dynamic_stack 0
		.amdhsa_enable_private_segment 0
		.amdhsa_system_sgpr_workgroup_id_x 1
		.amdhsa_system_sgpr_workgroup_id_y 0
		.amdhsa_system_sgpr_workgroup_id_z 0
		.amdhsa_system_sgpr_workgroup_info 0
		.amdhsa_system_vgpr_workitem_id 1
		.amdhsa_next_free_vgpr 25
		.amdhsa_next_free_sgpr 16
		.amdhsa_reserve_vcc 1
		.amdhsa_float_round_mode_32 0
		.amdhsa_float_round_mode_16_64 0
		.amdhsa_float_denorm_mode_32 3
		.amdhsa_float_denorm_mode_16_64 3
		.amdhsa_dx10_clamp 1
		.amdhsa_ieee_mode 1
		.amdhsa_fp16_overflow 0
		.amdhsa_workgroup_processor_mode 1
		.amdhsa_memory_ordered 1
		.amdhsa_forward_progress 0
		.amdhsa_shared_vgpr_count 0
		.amdhsa_exception_fp_ieee_invalid_op 0
		.amdhsa_exception_fp_denorm_src 0
		.amdhsa_exception_fp_ieee_div_zero 0
		.amdhsa_exception_fp_ieee_overflow 0
		.amdhsa_exception_fp_ieee_underflow 0
		.amdhsa_exception_fp_ieee_inexact 0
		.amdhsa_exception_int_div_zero 0
	.end_amdhsa_kernel
	.section	.text._ZN12_GLOBAL__N_120softmax_warp_forwardIN3c104HalfES2_fLi7ELb0ELb0ELi64EEEvPT0_PKT_iiiPKbib,"axG",@progbits,_ZN12_GLOBAL__N_120softmax_warp_forwardIN3c104HalfES2_fLi7ELb0ELb0ELi64EEEvPT0_PKT_iiiPKbib,comdat
.Lfunc_end420:
	.size	_ZN12_GLOBAL__N_120softmax_warp_forwardIN3c104HalfES2_fLi7ELb0ELb0ELi64EEEvPT0_PKT_iiiPKbib, .Lfunc_end420-_ZN12_GLOBAL__N_120softmax_warp_forwardIN3c104HalfES2_fLi7ELb0ELb0ELi64EEEvPT0_PKT_iiiPKbib
                                        ; -- End function
	.section	.AMDGPU.csdata,"",@progbits
; Kernel info:
; codeLenInByte = 2360
; NumSgprs: 18
; NumVgprs: 25
; ScratchSize: 0
; MemoryBound: 0
; FloatMode: 240
; IeeeMode: 1
; LDSByteSize: 0 bytes/workgroup (compile time only)
; SGPRBlocks: 2
; VGPRBlocks: 3
; NumSGPRsForWavesPerEU: 18
; NumVGPRsForWavesPerEU: 25
; Occupancy: 16
; WaveLimiterHint : 0
; COMPUTE_PGM_RSRC2:SCRATCH_EN: 0
; COMPUTE_PGM_RSRC2:USER_SGPR: 15
; COMPUTE_PGM_RSRC2:TRAP_HANDLER: 0
; COMPUTE_PGM_RSRC2:TGID_X_EN: 1
; COMPUTE_PGM_RSRC2:TGID_Y_EN: 0
; COMPUTE_PGM_RSRC2:TGID_Z_EN: 0
; COMPUTE_PGM_RSRC2:TIDIG_COMP_CNT: 1
	.section	.text._ZN12_GLOBAL__N_120softmax_warp_forwardIN3c104HalfES2_fLi7ELb0ELb0ELi32EEEvPT0_PKT_iiiPKbib,"axG",@progbits,_ZN12_GLOBAL__N_120softmax_warp_forwardIN3c104HalfES2_fLi7ELb0ELb0ELi32EEEvPT0_PKT_iiiPKbib,comdat
	.globl	_ZN12_GLOBAL__N_120softmax_warp_forwardIN3c104HalfES2_fLi7ELb0ELb0ELi32EEEvPT0_PKT_iiiPKbib ; -- Begin function _ZN12_GLOBAL__N_120softmax_warp_forwardIN3c104HalfES2_fLi7ELb0ELb0ELi32EEEvPT0_PKT_iiiPKbib
	.p2align	8
	.type	_ZN12_GLOBAL__N_120softmax_warp_forwardIN3c104HalfES2_fLi7ELb0ELb0ELi32EEEvPT0_PKT_iiiPKbib,@function
_ZN12_GLOBAL__N_120softmax_warp_forwardIN3c104HalfES2_fLi7ELb0ELb0ELi32EEEvPT0_PKT_iiiPKbib: ; @_ZN12_GLOBAL__N_120softmax_warp_forwardIN3c104HalfES2_fLi7ELb0ELb0ELi32EEEvPT0_PKT_iiiPKbib
; %bb.0:
	s_clause 0x1
	s_load_b32 s2, s[0:1], 0x3c
	s_load_b256 s[16:23], s[0:1], 0x0
	v_bfe_u32 v1, v0, 10, 10
	v_and_b32_e32 v4, 0x3ff, v0
	v_mov_b32_e32 v6, 0xff800000
	v_mov_b32_e32 v8, 0xff800000
	s_waitcnt lgkmcnt(0)
	s_lshr_b32 s0, s2, 16
	v_cmp_gt_i32_e64 s3, s22, v4
	s_mul_i32 s15, s15, s0
	s_delay_alu instid0(SALU_CYCLE_1) | instskip(NEXT) | instid1(VALU_DEP_1)
	v_add_lshl_u32 v2, s15, v1, 1
	v_mad_u64_u32 v[0:1], null, v2, s21, v[4:5]
	v_sub_nc_u32_e32 v5, s20, v2
	s_delay_alu instid0(VALU_DEP_1) | instskip(NEXT) | instid1(VALU_DEP_3)
	v_cmp_lt_i32_e32 vcc_lo, 0, v5
	v_ashrrev_i32_e32 v1, 31, v0
	s_and_b32 s1, vcc_lo, s3
	s_delay_alu instid0(VALU_DEP_1) | instskip(NEXT) | instid1(VALU_DEP_1)
	v_lshlrev_b64 v[0:1], 1, v[0:1]
	v_add_co_u32 v2, s0, s18, v0
	s_delay_alu instid0(VALU_DEP_1)
	v_add_co_ci_u32_e64 v3, s0, s19, v1, s0
	s_and_saveexec_b32 s0, s1
	s_cbranch_execz .LBB421_2
; %bb.1:
	global_load_u16 v7, v[2:3], off
	s_waitcnt vmcnt(0)
	v_cvt_f32_f16_e32 v8, v7
.LBB421_2:
	s_or_b32 exec_lo, exec_lo, s0
	v_add_nc_u32_e32 v7, 32, v4
	s_delay_alu instid0(VALU_DEP_1) | instskip(NEXT) | instid1(VALU_DEP_1)
	v_cmp_gt_i32_e64 s2, s22, v7
	s_and_b32 s1, vcc_lo, s2
	s_delay_alu instid0(SALU_CYCLE_1)
	s_and_saveexec_b32 s0, s1
	s_cbranch_execz .LBB421_4
; %bb.3:
	global_load_u16 v6, v[2:3], off offset:64
	s_waitcnt vmcnt(0)
	v_cvt_f32_f16_e32 v6, v6
.LBB421_4:
	s_or_b32 exec_lo, exec_lo, s0
	v_add_nc_u32_e32 v7, 64, v4
	v_mov_b32_e32 v9, 0xff800000
	s_delay_alu instid0(VALU_DEP_2) | instskip(SKIP_1) | instid1(VALU_DEP_2)
	v_cmp_gt_i32_e64 s1, s22, v7
	v_mov_b32_e32 v7, 0xff800000
	s_and_b32 s4, vcc_lo, s1
	s_delay_alu instid0(SALU_CYCLE_1)
	s_and_saveexec_b32 s0, s4
	s_cbranch_execz .LBB421_6
; %bb.5:
	global_load_u16 v9, v[2:3], off offset:128
	s_waitcnt vmcnt(0)
	v_cvt_f32_f16_e32 v9, v9
.LBB421_6:
	s_or_b32 exec_lo, exec_lo, s0
	v_add_nc_u32_e32 v4, 0x60, v4
	s_delay_alu instid0(VALU_DEP_1) | instskip(NEXT) | instid1(VALU_DEP_1)
	v_cmp_gt_i32_e64 s0, s22, v4
	s_and_b32 s5, vcc_lo, s0
	s_delay_alu instid0(SALU_CYCLE_1)
	s_and_saveexec_b32 s4, s5
	s_cbranch_execz .LBB421_8
; %bb.7:
	global_load_u16 v4, v[2:3], off offset:192
	s_waitcnt vmcnt(0)
	v_cvt_f32_f16_e32 v7, v4
.LBB421_8:
	s_or_b32 exec_lo, exec_lo, s4
	v_cmp_lt_i32_e64 s4, 1, v5
	v_dual_mov_b32 v4, 0xff800000 :: v_dual_mov_b32 v11, 0xff800000
	s_delay_alu instid0(VALU_DEP_2) | instskip(NEXT) | instid1(SALU_CYCLE_1)
	s_and_b32 s5, s4, s3
	s_and_saveexec_b32 s6, s5
	s_cbranch_execz .LBB421_10
; %bb.9:
	s_mov_b32 s23, 0
	s_delay_alu instid0(SALU_CYCLE_1) | instskip(NEXT) | instid1(SALU_CYCLE_1)
	s_lshl_b64 s[8:9], s[22:23], 1
	v_add_co_u32 v10, s5, v2, s8
	s_delay_alu instid0(VALU_DEP_1)
	v_add_co_ci_u32_e64 v11, s5, s9, v3, s5
	global_load_u16 v10, v[10:11], off
	s_waitcnt vmcnt(0)
	v_cvt_f32_f16_e32 v11, v10
.LBB421_10:
	s_or_b32 exec_lo, exec_lo, s6
	s_and_b32 s5, s4, s2
	s_delay_alu instid0(SALU_CYCLE_1)
	s_and_saveexec_b32 s6, s5
	s_cbranch_execz .LBB421_12
; %bb.11:
	s_mov_b32 s23, 0
	s_delay_alu instid0(SALU_CYCLE_1) | instskip(NEXT) | instid1(SALU_CYCLE_1)
	s_lshl_b64 s[8:9], s[22:23], 1
	v_add_co_u32 v12, s5, v2, s8
	s_delay_alu instid0(VALU_DEP_1)
	v_add_co_ci_u32_e64 v13, s5, s9, v3, s5
	global_load_u16 v4, v[12:13], off offset:64
	s_waitcnt vmcnt(0)
	v_cvt_f32_f16_e32 v4, v4
.LBB421_12:
	s_or_b32 exec_lo, exec_lo, s6
	v_mov_b32_e32 v10, 0xff800000
	v_mov_b32_e32 v12, 0xff800000
	s_and_b32 s5, s4, s1
	s_delay_alu instid0(SALU_CYCLE_1)
	s_and_saveexec_b32 s6, s5
	s_cbranch_execz .LBB421_14
; %bb.13:
	s_mov_b32 s23, 0
	s_delay_alu instid0(SALU_CYCLE_1) | instskip(NEXT) | instid1(SALU_CYCLE_1)
	s_lshl_b64 s[8:9], s[22:23], 1
	v_add_co_u32 v12, s5, v2, s8
	s_delay_alu instid0(VALU_DEP_1)
	v_add_co_ci_u32_e64 v13, s5, s9, v3, s5
	global_load_u16 v12, v[12:13], off offset:128
	s_waitcnt vmcnt(0)
	v_cvt_f32_f16_e32 v12, v12
.LBB421_14:
	s_or_b32 exec_lo, exec_lo, s6
	s_and_b32 s4, s4, s0
	s_delay_alu instid0(SALU_CYCLE_1)
	s_and_saveexec_b32 s5, s4
	s_cbranch_execz .LBB421_16
; %bb.15:
	s_mov_b32 s23, 0
	s_delay_alu instid0(SALU_CYCLE_1) | instskip(NEXT) | instid1(SALU_CYCLE_1)
	s_lshl_b64 s[6:7], s[22:23], 1
	v_add_co_u32 v2, s4, v2, s6
	s_delay_alu instid0(VALU_DEP_1)
	v_add_co_ci_u32_e64 v3, s4, s7, v3, s4
	global_load_u16 v2, v[2:3], off offset:192
	s_waitcnt vmcnt(0)
	v_cvt_f32_f16_e32 v10, v2
.LBB421_16:
	s_or_b32 exec_lo, exec_lo, s5
	v_cmp_gt_f32_e64 s4, v8, v6
	v_mbcnt_lo_u32_b32 v2, -1, 0
	s_delay_alu instid0(VALU_DEP_2) | instskip(SKIP_1) | instid1(VALU_DEP_3)
	v_cndmask_b32_e64 v3, v6, v8, s4
	v_cmp_gt_f32_e64 s4, v11, v4
	v_xor_b32_e32 v13, 16, v2
	v_xor_b32_e32 v17, 8, v2
	;; [unrolled: 1-line block ×4, first 2 shown]
	v_cndmask_b32_e64 v14, v4, v11, s4
	v_cmp_gt_f32_e64 s4, v3, v9
	v_xor_b32_e32 v20, 1, v2
	s_delay_alu instid0(VALU_DEP_2) | instskip(SKIP_1) | instid1(VALU_DEP_1)
	v_cndmask_b32_e64 v3, v9, v3, s4
	v_cmp_gt_i32_e64 s4, 32, v13
	v_cndmask_b32_e64 v13, v2, v13, s4
	v_cmp_gt_f32_e64 s4, v14, v12
	s_delay_alu instid0(VALU_DEP_2) | instskip(NEXT) | instid1(VALU_DEP_2)
	v_lshlrev_b32_e32 v15, 2, v13
	v_cndmask_b32_e64 v14, v12, v14, s4
	v_cmp_gt_f32_e64 s4, v3, v7
	s_delay_alu instid0(VALU_DEP_1) | instskip(NEXT) | instid1(VALU_DEP_3)
	v_cndmask_b32_e64 v3, v7, v3, s4
	v_cmp_gt_f32_e64 s4, v14, v10
	s_delay_alu instid0(VALU_DEP_1) | instskip(SKIP_4) | instid1(VALU_DEP_1)
	v_cndmask_b32_e64 v13, v10, v14, s4
	ds_bpermute_b32 v14, v15, v3
	v_cmp_gt_i32_e64 s4, 32, v17
	ds_bpermute_b32 v16, v15, v13
	v_cndmask_b32_e64 v17, v2, v17, s4
	v_lshlrev_b32_e32 v17, 2, v17
	s_waitcnt lgkmcnt(1)
	v_cmp_lt_f32_e64 s4, v3, v14
	s_delay_alu instid0(VALU_DEP_1)
	v_cndmask_b32_e64 v3, v3, v14, s4
	s_waitcnt lgkmcnt(0)
	v_cmp_lt_f32_e64 s4, v13, v16
	ds_bpermute_b32 v14, v17, v3
	v_cndmask_b32_e64 v13, v13, v16, s4
	v_cmp_gt_i32_e64 s4, 32, v18
	ds_bpermute_b32 v16, v17, v13
	v_cndmask_b32_e64 v18, v2, v18, s4
	s_delay_alu instid0(VALU_DEP_1) | instskip(SKIP_2) | instid1(VALU_DEP_1)
	v_lshlrev_b32_e32 v18, 2, v18
	s_waitcnt lgkmcnt(1)
	v_cmp_lt_f32_e64 s4, v3, v14
	v_cndmask_b32_e64 v3, v3, v14, s4
	s_waitcnt lgkmcnt(0)
	v_cmp_lt_f32_e64 s4, v13, v16
	ds_bpermute_b32 v14, v18, v3
	v_cndmask_b32_e64 v13, v13, v16, s4
	v_cmp_gt_i32_e64 s4, 32, v19
	ds_bpermute_b32 v16, v18, v13
	v_cndmask_b32_e64 v19, v2, v19, s4
	s_delay_alu instid0(VALU_DEP_1) | instskip(SKIP_2) | instid1(VALU_DEP_1)
	v_lshlrev_b32_e32 v19, 2, v19
	s_waitcnt lgkmcnt(1)
	v_cmp_lt_f32_e64 s4, v3, v14
	;; [unrolled: 12-line block ×3, first 2 shown]
	v_cndmask_b32_e64 v2, v3, v14, s4
	s_waitcnt lgkmcnt(0)
	v_cmp_lt_f32_e64 s4, v13, v16
	s_delay_alu instid0(VALU_DEP_1) | instskip(SKIP_4) | instid1(VALU_DEP_1)
	v_cndmask_b32_e64 v3, v13, v16, s4
	ds_bpermute_b32 v13, v20, v2
	ds_bpermute_b32 v14, v20, v3
	s_waitcnt lgkmcnt(1)
	v_cmp_lt_f32_e64 s4, v2, v13
	v_cndmask_b32_e64 v2, v2, v13, s4
	s_waitcnt lgkmcnt(0)
	v_cmp_lt_f32_e64 s4, v3, v14
	s_delay_alu instid0(VALU_DEP_2) | instskip(NEXT) | instid1(VALU_DEP_2)
	v_sub_f32_e32 v8, v8, v2
	v_cndmask_b32_e64 v3, v3, v14, s4
	v_sub_f32_e32 v6, v6, v2
	v_sub_f32_e32 v9, v9, v2
	;; [unrolled: 1-line block ×3, first 2 shown]
	v_cmp_ngt_f32_e64 s4, 0xc2ce8ed0, v8
	v_sub_f32_e32 v4, v4, v3
	v_sub_f32_e32 v7, v11, v3
	;; [unrolled: 1-line block ×3, first 2 shown]
	v_dual_sub_f32 v14, v10, v3 :: v_dual_mul_f32 v3, 0x3fb8aa3b, v8
	s_delay_alu instid0(VALU_DEP_4) | instskip(SKIP_1) | instid1(VALU_DEP_3)
	v_dual_mul_f32 v10, 0x3fb8aa3b, v6 :: v_dual_mul_f32 v21, 0x3fb8aa3b, v4
	v_dual_mul_f32 v12, 0x3fb8aa3b, v9 :: v_dual_mul_f32 v13, 0x3fb8aa3b, v2
	v_fma_f32 v24, 0x3fb8aa3b, v8, -v3
	v_rndne_f32_e32 v25, v3
	v_mul_f32_e32 v22, 0x3fb8aa3b, v11
	v_fma_f32 v26, 0x3fb8aa3b, v6, -v10
	v_rndne_f32_e32 v27, v10
	v_rndne_f32_e32 v31, v13
	v_dual_sub_f32 v3, v3, v25 :: v_dual_fmac_f32 v24, 0x32a5705f, v8
	v_dual_mul_f32 v16, 0x3fb8aa3b, v7 :: v_dual_mul_f32 v23, 0x3fb8aa3b, v14
	v_fma_f32 v28, 0x3fb8aa3b, v9, -v12
	v_rndne_f32_e32 v29, v12
	v_fma_f32 v30, 0x3fb8aa3b, v2, -v13
	v_rndne_f32_e32 v35, v21
	v_dual_fmac_f32 v26, 0x32a5705f, v6 :: v_dual_sub_f32 v13, v13, v31
	v_dual_sub_f32 v10, v10, v27 :: v_dual_add_f32 v3, v3, v24
	v_fma_f32 v34, 0x3fb8aa3b, v4, -v21
	v_fma_f32 v36, 0x3fb8aa3b, v11, -v22
	v_rndne_f32_e32 v37, v22
	v_rndne_f32_e32 v39, v23
	v_fmac_f32_e32 v28, 0x32a5705f, v9
	v_fmac_f32_e32 v30, 0x32a5705f, v2
	v_dual_sub_f32 v12, v12, v29 :: v_dual_sub_f32 v21, v21, v35
	v_add_f32_e32 v10, v10, v26
	v_exp_f32_e32 v3, v3
	v_fma_f32 v32, 0x3fb8aa3b, v7, -v16
	v_rndne_f32_e32 v33, v16
	v_fma_f32 v38, 0x3fb8aa3b, v14, -v23
	v_cvt_i32_f32_e32 v25, v25
	v_fmac_f32_e32 v36, 0x32a5705f, v11
	v_dual_sub_f32 v22, v22, v37 :: v_dual_sub_f32 v23, v23, v39
	v_dual_add_f32 v13, v13, v30 :: v_dual_add_f32 v12, v12, v28
	v_exp_f32_e32 v10, v10
	v_cvt_i32_f32_e32 v27, v27
	v_fmac_f32_e32 v34, 0x32a5705f, v4
	v_fmac_f32_e32 v32, 0x32a5705f, v7
	;; [unrolled: 1-line block ×3, first 2 shown]
	v_sub_f32_e32 v16, v16, v33
	v_add_f32_e32 v22, v22, v36
	v_exp_f32_e32 v12, v12
	v_ldexp_f32 v3, v3, v25
	v_cvt_i32_f32_e32 v29, v29
	v_add_f32_e32 v21, v21, v34
	v_dual_add_f32 v23, v23, v38 :: v_dual_add_f32 v16, v16, v32
	v_exp_f32_e32 v13, v13
	v_exp_f32_e32 v22, v22
	v_ldexp_f32 v10, v10, v27
	v_cndmask_b32_e64 v3, 0, v3, s4
	v_cmp_ngt_f32_e64 s4, 0xc2ce8ed0, v6
	v_cvt_i32_f32_e32 v31, v31
	v_exp_f32_e32 v16, v16
	v_cvt_i32_f32_e32 v24, v37
	v_ldexp_f32 v12, v12, v29
	v_cndmask_b32_e64 v10, 0, v10, s4
	v_cmp_ngt_f32_e64 s4, 0xc2ce8ed0, v9
	v_cvt_i32_f32_e32 v33, v33
	v_exp_f32_e32 v21, v21
	v_ldexp_f32 v13, v13, v31
	v_ldexp_f32 v22, v22, v24
	v_cndmask_b32_e64 v24, 0, v12, s4
	v_cmp_ngt_f32_e64 s4, 0xc2ce8ed0, v2
	v_cvt_i32_f32_e32 v35, v35
	v_ldexp_f32 v16, v16, v33
	v_exp_f32_e32 v23, v23
	v_cvt_i32_f32_e32 v26, v39
	v_cndmask_b32_e64 v25, 0, v13, s4
	v_cmp_ngt_f32_e64 s4, 0xc2ce8ed0, v7
	v_ldexp_f32 v21, v21, v35
	s_delay_alu instid0(VALU_DEP_2) | instskip(SKIP_1) | instid1(TRANS32_DEP_1)
	v_cndmask_b32_e64 v16, 0, v16, s4
	v_cmp_ngt_f32_e64 s4, 0xc2ce8ed0, v4
	v_ldexp_f32 v23, v23, v26
	s_delay_alu instid0(VALU_DEP_2) | instskip(SKIP_1) | instid1(VALU_DEP_1)
	v_cndmask_b32_e64 v21, 0, v21, s4
	v_cmp_ngt_f32_e64 s4, 0xc2ce8ed0, v11
	v_cndmask_b32_e64 v22, 0, v22, s4
	v_cmp_ngt_f32_e64 s4, 0xc2ce8ed0, v14
	s_delay_alu instid0(VALU_DEP_1) | instskip(SKIP_1) | instid1(VALU_DEP_1)
	v_cndmask_b32_e64 v23, 0, v23, s4
	v_cmp_nlt_f32_e64 s4, 0x42b17218, v8
	v_cndmask_b32_e64 v13, 0x7f800000, v3, s4
	v_cmp_nlt_f32_e64 s4, 0x42b17218, v6
	s_delay_alu instid0(VALU_DEP_1) | instskip(SKIP_1) | instid1(VALU_DEP_2)
	v_cndmask_b32_e64 v12, 0x7f800000, v10, s4
	v_cmp_nlt_f32_e64 s4, 0x42b17218, v7
	v_add_f32_e32 v7, v13, v12
	s_delay_alu instid0(VALU_DEP_2) | instskip(SKIP_1) | instid1(VALU_DEP_1)
	v_cndmask_b32_e64 v6, 0x7f800000, v16, s4
	v_cmp_nlt_f32_e64 s4, 0x42b17218, v4
	v_cndmask_b32_e64 v4, 0x7f800000, v21, s4
	v_cmp_nlt_f32_e64 s4, 0x42b17218, v9
	s_delay_alu instid0(VALU_DEP_2) | instskip(NEXT) | instid1(VALU_DEP_2)
	v_add_f32_e32 v8, v6, v4
	v_cndmask_b32_e64 v10, 0x7f800000, v24, s4
	v_cmp_nlt_f32_e64 s4, 0x42b17218, v11
	s_delay_alu instid0(VALU_DEP_2) | instskip(NEXT) | instid1(VALU_DEP_2)
	v_add_f32_e32 v7, v7, v10
	;; [unrolled: 4-line block ×4, first 2 shown]
	v_cndmask_b32_e64 v2, 0x7f800000, v23, s4
	ds_bpermute_b32 v11, v15, v7
	v_add_f32_e32 v8, v8, v2
	ds_bpermute_b32 v14, v15, v8
	s_waitcnt lgkmcnt(1)
	v_add_f32_e32 v7, v7, v11
	ds_bpermute_b32 v11, v17, v7
	s_waitcnt lgkmcnt(1)
	;; [unrolled: 3-line block ×7, first 2 shown]
	v_add_f32_e32 v11, v7, v11
	s_waitcnt lgkmcnt(0)
	v_add_f32_e32 v7, v8, v14
	ds_bpermute_b32 v14, v20, v11
	ds_bpermute_b32 v8, v20, v7
	s_and_saveexec_b32 s4, vcc_lo
	s_cbranch_execz .LBB421_40
; %bb.17:
	v_add_co_u32 v0, vcc_lo, s16, v0
	v_add_co_ci_u32_e32 v1, vcc_lo, s17, v1, vcc_lo
	s_and_saveexec_b32 s5, s3
	s_cbranch_execz .LBB421_35
; %bb.18:
	s_waitcnt lgkmcnt(1)
	v_dual_add_f32 v11, v11, v14 :: v_dual_mov_b32 v14, 0x7e00
	s_delay_alu instid0(VALU_DEP_1) | instskip(NEXT) | instid1(VALU_DEP_1)
	v_cmp_neq_f32_e64 s4, 0, v11
	s_and_saveexec_b32 s6, s4
	s_cbranch_execz .LBB421_20
; %bb.19:
	v_div_scale_f32 v14, null, v11, v11, v13
	s_delay_alu instid0(VALU_DEP_1) | instskip(SKIP_2) | instid1(VALU_DEP_1)
	v_rcp_f32_e32 v15, v14
	s_waitcnt_depctr 0xfff
	v_fma_f32 v16, -v14, v15, 1.0
	v_fmac_f32_e32 v15, v16, v15
	v_div_scale_f32 v16, vcc_lo, v13, v11, v13
	s_delay_alu instid0(VALU_DEP_1) | instskip(NEXT) | instid1(VALU_DEP_1)
	v_mul_f32_e32 v17, v16, v15
	v_fma_f32 v18, -v14, v17, v16
	s_delay_alu instid0(VALU_DEP_1) | instskip(NEXT) | instid1(VALU_DEP_1)
	v_fmac_f32_e32 v17, v18, v15
	v_fma_f32 v14, -v14, v17, v16
	s_delay_alu instid0(VALU_DEP_1) | instskip(NEXT) | instid1(VALU_DEP_1)
	v_div_fmas_f32 v14, v14, v15, v17
	v_div_fixup_f32 v13, v14, v11, v13
	s_delay_alu instid0(VALU_DEP_1)
	v_cvt_f16_f32_e32 v14, v13
.LBB421_20:
	s_or_b32 exec_lo, exec_lo, s6
	global_store_b16 v[0:1], v14, off
	s_and_b32 exec_lo, exec_lo, s2
	s_cbranch_execz .LBB421_35
; %bb.21:
	s_and_saveexec_b32 s6, s4
	s_delay_alu instid0(SALU_CYCLE_1)
	s_xor_b32 s6, exec_lo, s6
	s_cbranch_execnz .LBB421_24
; %bb.22:
	s_and_not1_saveexec_b32 s6, s6
	s_cbranch_execnz .LBB421_25
.LBB421_23:
	s_or_b32 exec_lo, exec_lo, s6
	s_delay_alu instid0(SALU_CYCLE_1)
	s_and_b32 exec_lo, exec_lo, s1
	s_cbranch_execnz .LBB421_26
	s_branch .LBB421_35
.LBB421_24:
	v_div_scale_f32 v13, null, v11, v11, v12
	s_delay_alu instid0(VALU_DEP_1) | instskip(SKIP_2) | instid1(VALU_DEP_1)
	v_rcp_f32_e32 v14, v13
	s_waitcnt_depctr 0xfff
	v_fma_f32 v15, -v13, v14, 1.0
	v_fmac_f32_e32 v14, v15, v14
	v_div_scale_f32 v15, vcc_lo, v12, v11, v12
	s_delay_alu instid0(VALU_DEP_1) | instskip(NEXT) | instid1(VALU_DEP_1)
	v_mul_f32_e32 v16, v15, v14
	v_fma_f32 v17, -v13, v16, v15
	s_delay_alu instid0(VALU_DEP_1) | instskip(NEXT) | instid1(VALU_DEP_1)
	v_fmac_f32_e32 v16, v17, v14
	v_fma_f32 v13, -v13, v16, v15
	s_delay_alu instid0(VALU_DEP_1) | instskip(NEXT) | instid1(VALU_DEP_1)
	v_div_fmas_f32 v13, v13, v14, v16
	v_div_fixup_f32 v12, v13, v11, v12
	s_delay_alu instid0(VALU_DEP_1)
	v_cvt_f16_f32_e32 v12, v12
	global_store_b16 v[0:1], v12, off offset:64
	s_and_not1_saveexec_b32 s6, s6
	s_cbranch_execz .LBB421_23
.LBB421_25:
	v_mov_b32_e32 v12, 0x7e00
	global_store_b16 v[0:1], v12, off offset:64
	s_or_b32 exec_lo, exec_lo, s6
	s_delay_alu instid0(SALU_CYCLE_1)
	s_and_b32 exec_lo, exec_lo, s1
	s_cbranch_execz .LBB421_35
.LBB421_26:
	s_and_saveexec_b32 s6, s4
	s_delay_alu instid0(SALU_CYCLE_1)
	s_xor_b32 s6, exec_lo, s6
	s_cbranch_execnz .LBB421_29
; %bb.27:
	s_and_not1_saveexec_b32 s6, s6
	s_cbranch_execnz .LBB421_30
.LBB421_28:
	s_or_b32 exec_lo, exec_lo, s6
	s_delay_alu instid0(SALU_CYCLE_1)
	s_and_b32 exec_lo, exec_lo, s0
	s_cbranch_execnz .LBB421_31
	s_branch .LBB421_35
.LBB421_29:
	v_div_scale_f32 v12, null, v11, v11, v10
	s_delay_alu instid0(VALU_DEP_1) | instskip(SKIP_2) | instid1(VALU_DEP_1)
	v_rcp_f32_e32 v13, v12
	s_waitcnt_depctr 0xfff
	v_fma_f32 v14, -v12, v13, 1.0
	v_fmac_f32_e32 v13, v14, v13
	v_div_scale_f32 v14, vcc_lo, v10, v11, v10
	s_delay_alu instid0(VALU_DEP_1) | instskip(NEXT) | instid1(VALU_DEP_1)
	v_mul_f32_e32 v15, v14, v13
	v_fma_f32 v16, -v12, v15, v14
	s_delay_alu instid0(VALU_DEP_1) | instskip(NEXT) | instid1(VALU_DEP_1)
	v_fmac_f32_e32 v15, v16, v13
	v_fma_f32 v12, -v12, v15, v14
	s_delay_alu instid0(VALU_DEP_1) | instskip(NEXT) | instid1(VALU_DEP_1)
	v_div_fmas_f32 v12, v12, v13, v15
	v_div_fixup_f32 v10, v12, v11, v10
	s_delay_alu instid0(VALU_DEP_1)
	v_cvt_f16_f32_e32 v10, v10
	global_store_b16 v[0:1], v10, off offset:128
	s_and_not1_saveexec_b32 s6, s6
	s_cbranch_execz .LBB421_28
.LBB421_30:
	v_mov_b32_e32 v10, 0x7e00
	global_store_b16 v[0:1], v10, off offset:128
	s_or_b32 exec_lo, exec_lo, s6
	s_delay_alu instid0(SALU_CYCLE_1)
	s_and_b32 exec_lo, exec_lo, s0
	s_cbranch_execz .LBB421_35
.LBB421_31:
	s_and_saveexec_b32 s6, s4
	s_delay_alu instid0(SALU_CYCLE_1)
	s_xor_b32 s4, exec_lo, s6
	s_cbranch_execz .LBB421_33
; %bb.32:
	v_div_scale_f32 v10, null, v11, v11, v9
	s_delay_alu instid0(VALU_DEP_1) | instskip(SKIP_2) | instid1(VALU_DEP_1)
	v_rcp_f32_e32 v12, v10
	s_waitcnt_depctr 0xfff
	v_fma_f32 v13, -v10, v12, 1.0
	v_fmac_f32_e32 v12, v13, v12
	v_div_scale_f32 v13, vcc_lo, v9, v11, v9
	s_delay_alu instid0(VALU_DEP_1) | instskip(NEXT) | instid1(VALU_DEP_1)
	v_mul_f32_e32 v14, v13, v12
	v_fma_f32 v15, -v10, v14, v13
	s_delay_alu instid0(VALU_DEP_1) | instskip(NEXT) | instid1(VALU_DEP_1)
	v_fmac_f32_e32 v14, v15, v12
	v_fma_f32 v10, -v10, v14, v13
	s_delay_alu instid0(VALU_DEP_1) | instskip(NEXT) | instid1(VALU_DEP_1)
	v_div_fmas_f32 v10, v10, v12, v14
	v_div_fixup_f32 v9, v10, v11, v9
	s_delay_alu instid0(VALU_DEP_1)
	v_cvt_f16_f32_e32 v9, v9
	global_store_b16 v[0:1], v9, off offset:192
.LBB421_33:
	s_and_not1_saveexec_b32 s4, s4
	s_cbranch_execz .LBB421_35
; %bb.34:
	v_mov_b32_e32 v9, 0x7e00
	global_store_b16 v[0:1], v9, off offset:192
.LBB421_35:
	s_or_b32 exec_lo, exec_lo, s5
	v_cmp_ne_u32_e32 vcc_lo, 1, v5
	s_and_b32 exec_lo, exec_lo, vcc_lo
	s_cbranch_execz .LBB421_40
; %bb.36:
	s_and_b32 exec_lo, exec_lo, s3
	s_cbranch_execz .LBB421_40
; %bb.37:
	s_ashr_i32 s23, s22, 31
	s_waitcnt lgkmcnt(0)
	v_add_f32_e32 v5, v7, v8
	s_lshl_b64 s[4:5], s[22:23], 1
	s_delay_alu instid0(SALU_CYCLE_1) | instskip(NEXT) | instid1(VALU_DEP_2)
	v_add_co_u32 v0, vcc_lo, v0, s4
	v_cmp_neq_f32_e64 s3, 0, v5
	v_add_co_ci_u32_e32 v1, vcc_lo, s5, v1, vcc_lo
	s_delay_alu instid0(VALU_DEP_2) | instskip(NEXT) | instid1(SALU_CYCLE_1)
	s_and_saveexec_b32 s4, s3
	s_xor_b32 s4, exec_lo, s4
	s_cbranch_execnz .LBB421_41
; %bb.38:
	s_and_not1_saveexec_b32 s4, s4
	s_cbranch_execnz .LBB421_42
.LBB421_39:
	s_or_b32 exec_lo, exec_lo, s4
	s_delay_alu instid0(SALU_CYCLE_1)
	s_and_b32 exec_lo, exec_lo, s2
	s_cbranch_execnz .LBB421_43
.LBB421_40:
	s_nop 0
	s_sendmsg sendmsg(MSG_DEALLOC_VGPRS)
	s_endpgm
.LBB421_41:
	v_div_scale_f32 v7, null, v5, v5, v6
	s_delay_alu instid0(VALU_DEP_1) | instskip(SKIP_2) | instid1(VALU_DEP_1)
	v_rcp_f32_e32 v8, v7
	s_waitcnt_depctr 0xfff
	v_fma_f32 v9, -v7, v8, 1.0
	v_fmac_f32_e32 v8, v9, v8
	v_div_scale_f32 v9, vcc_lo, v6, v5, v6
	s_delay_alu instid0(VALU_DEP_1) | instskip(NEXT) | instid1(VALU_DEP_1)
	v_mul_f32_e32 v10, v9, v8
	v_fma_f32 v11, -v7, v10, v9
	s_delay_alu instid0(VALU_DEP_1) | instskip(NEXT) | instid1(VALU_DEP_1)
	v_fmac_f32_e32 v10, v11, v8
	v_fma_f32 v7, -v7, v10, v9
	s_delay_alu instid0(VALU_DEP_1) | instskip(NEXT) | instid1(VALU_DEP_1)
	v_div_fmas_f32 v7, v7, v8, v10
	v_div_fixup_f32 v6, v7, v5, v6
	s_delay_alu instid0(VALU_DEP_1)
	v_cvt_f16_f32_e32 v6, v6
	global_store_b16 v[0:1], v6, off
	s_and_not1_saveexec_b32 s4, s4
	s_cbranch_execz .LBB421_39
.LBB421_42:
	v_mov_b32_e32 v6, 0x7e00
	global_store_b16 v[0:1], v6, off
	s_or_b32 exec_lo, exec_lo, s4
	s_delay_alu instid0(SALU_CYCLE_1)
	s_and_b32 exec_lo, exec_lo, s2
	s_cbranch_execz .LBB421_40
.LBB421_43:
	s_and_saveexec_b32 s2, s3
	s_delay_alu instid0(SALU_CYCLE_1)
	s_xor_b32 s2, exec_lo, s2
	s_cbranch_execnz .LBB421_46
; %bb.44:
	s_and_not1_saveexec_b32 s2, s2
	s_cbranch_execnz .LBB421_47
.LBB421_45:
	s_or_b32 exec_lo, exec_lo, s2
	s_delay_alu instid0(SALU_CYCLE_1)
	s_and_b32 exec_lo, exec_lo, s1
	s_cbranch_execz .LBB421_40
	s_branch .LBB421_48
.LBB421_46:
	v_div_scale_f32 v6, null, v5, v5, v4
	s_delay_alu instid0(VALU_DEP_1) | instskip(SKIP_2) | instid1(VALU_DEP_1)
	v_rcp_f32_e32 v7, v6
	s_waitcnt_depctr 0xfff
	v_fma_f32 v8, -v6, v7, 1.0
	v_fmac_f32_e32 v7, v8, v7
	v_div_scale_f32 v8, vcc_lo, v4, v5, v4
	s_delay_alu instid0(VALU_DEP_1) | instskip(NEXT) | instid1(VALU_DEP_1)
	v_mul_f32_e32 v9, v8, v7
	v_fma_f32 v10, -v6, v9, v8
	s_delay_alu instid0(VALU_DEP_1) | instskip(NEXT) | instid1(VALU_DEP_1)
	v_fmac_f32_e32 v9, v10, v7
	v_fma_f32 v6, -v6, v9, v8
	s_delay_alu instid0(VALU_DEP_1) | instskip(NEXT) | instid1(VALU_DEP_1)
	v_div_fmas_f32 v6, v6, v7, v9
	v_div_fixup_f32 v4, v6, v5, v4
	s_delay_alu instid0(VALU_DEP_1)
	v_cvt_f16_f32_e32 v4, v4
	global_store_b16 v[0:1], v4, off offset:64
	s_and_not1_saveexec_b32 s2, s2
	s_cbranch_execz .LBB421_45
.LBB421_47:
	v_mov_b32_e32 v4, 0x7e00
	global_store_b16 v[0:1], v4, off offset:64
	s_or_b32 exec_lo, exec_lo, s2
	s_delay_alu instid0(SALU_CYCLE_1)
	s_and_b32 exec_lo, exec_lo, s1
	s_cbranch_execz .LBB421_40
.LBB421_48:
	s_and_saveexec_b32 s1, s3
	s_delay_alu instid0(SALU_CYCLE_1)
	s_xor_b32 s1, exec_lo, s1
	s_cbranch_execnz .LBB421_51
; %bb.49:
	s_and_not1_saveexec_b32 s1, s1
	s_cbranch_execnz .LBB421_52
.LBB421_50:
	s_or_b32 exec_lo, exec_lo, s1
	s_delay_alu instid0(SALU_CYCLE_1)
	s_and_b32 exec_lo, exec_lo, s0
	s_cbranch_execz .LBB421_40
	s_branch .LBB421_53
.LBB421_51:
	v_div_scale_f32 v4, null, v5, v5, v3
	s_delay_alu instid0(VALU_DEP_1) | instskip(SKIP_2) | instid1(VALU_DEP_1)
	v_rcp_f32_e32 v6, v4
	s_waitcnt_depctr 0xfff
	v_fma_f32 v7, -v4, v6, 1.0
	v_fmac_f32_e32 v6, v7, v6
	v_div_scale_f32 v7, vcc_lo, v3, v5, v3
	s_delay_alu instid0(VALU_DEP_1) | instskip(NEXT) | instid1(VALU_DEP_1)
	v_mul_f32_e32 v8, v7, v6
	v_fma_f32 v9, -v4, v8, v7
	s_delay_alu instid0(VALU_DEP_1) | instskip(NEXT) | instid1(VALU_DEP_1)
	v_fmac_f32_e32 v8, v9, v6
	v_fma_f32 v4, -v4, v8, v7
	s_delay_alu instid0(VALU_DEP_1) | instskip(NEXT) | instid1(VALU_DEP_1)
	v_div_fmas_f32 v4, v4, v6, v8
	v_div_fixup_f32 v3, v4, v5, v3
	s_delay_alu instid0(VALU_DEP_1)
	v_cvt_f16_f32_e32 v3, v3
	global_store_b16 v[0:1], v3, off offset:128
	s_and_not1_saveexec_b32 s1, s1
	s_cbranch_execz .LBB421_50
.LBB421_52:
	v_mov_b32_e32 v3, 0x7e00
	global_store_b16 v[0:1], v3, off offset:128
	s_or_b32 exec_lo, exec_lo, s1
	s_delay_alu instid0(SALU_CYCLE_1)
	s_and_b32 exec_lo, exec_lo, s0
	s_cbranch_execz .LBB421_40
.LBB421_53:
	s_and_saveexec_b32 s0, s3
	s_delay_alu instid0(SALU_CYCLE_1)
	s_xor_b32 s0, exec_lo, s0
	s_cbranch_execz .LBB421_55
; %bb.54:
	v_div_scale_f32 v3, null, v5, v5, v2
	s_delay_alu instid0(VALU_DEP_1) | instskip(SKIP_2) | instid1(VALU_DEP_1)
	v_rcp_f32_e32 v4, v3
	s_waitcnt_depctr 0xfff
	v_fma_f32 v6, -v3, v4, 1.0
	v_fmac_f32_e32 v4, v6, v4
	v_div_scale_f32 v6, vcc_lo, v2, v5, v2
	s_delay_alu instid0(VALU_DEP_1) | instskip(NEXT) | instid1(VALU_DEP_1)
	v_mul_f32_e32 v7, v6, v4
	v_fma_f32 v8, -v3, v7, v6
	s_delay_alu instid0(VALU_DEP_1) | instskip(NEXT) | instid1(VALU_DEP_1)
	v_fmac_f32_e32 v7, v8, v4
	v_fma_f32 v3, -v3, v7, v6
	s_delay_alu instid0(VALU_DEP_1) | instskip(NEXT) | instid1(VALU_DEP_1)
	v_div_fmas_f32 v3, v3, v4, v7
	v_div_fixup_f32 v2, v3, v5, v2
	s_delay_alu instid0(VALU_DEP_1)
	v_cvt_f16_f32_e32 v2, v2
	global_store_b16 v[0:1], v2, off offset:192
                                        ; implicit-def: $vgpr0_vgpr1
.LBB421_55:
	s_and_not1_saveexec_b32 s0, s0
	s_cbranch_execz .LBB421_40
; %bb.56:
	v_mov_b32_e32 v2, 0x7e00
	global_store_b16 v[0:1], v2, off offset:192
	s_nop 0
	s_sendmsg sendmsg(MSG_DEALLOC_VGPRS)
	s_endpgm
	.section	.rodata,"a",@progbits
	.p2align	6, 0x0
	.amdhsa_kernel _ZN12_GLOBAL__N_120softmax_warp_forwardIN3c104HalfES2_fLi7ELb0ELb0ELi32EEEvPT0_PKT_iiiPKbib
		.amdhsa_group_segment_fixed_size 0
		.amdhsa_private_segment_fixed_size 0
		.amdhsa_kernarg_size 304
		.amdhsa_user_sgpr_count 15
		.amdhsa_user_sgpr_dispatch_ptr 0
		.amdhsa_user_sgpr_queue_ptr 0
		.amdhsa_user_sgpr_kernarg_segment_ptr 1
		.amdhsa_user_sgpr_dispatch_id 0
		.amdhsa_user_sgpr_private_segment_size 0
		.amdhsa_wavefront_size32 1
		.amdhsa_uses_dynamic_stack 0
		.amdhsa_enable_private_segment 0
		.amdhsa_system_sgpr_workgroup_id_x 1
		.amdhsa_system_sgpr_workgroup_id_y 0
		.amdhsa_system_sgpr_workgroup_id_z 0
		.amdhsa_system_sgpr_workgroup_info 0
		.amdhsa_system_vgpr_workitem_id 1
		.amdhsa_next_free_vgpr 40
		.amdhsa_next_free_sgpr 24
		.amdhsa_reserve_vcc 1
		.amdhsa_float_round_mode_32 0
		.amdhsa_float_round_mode_16_64 0
		.amdhsa_float_denorm_mode_32 3
		.amdhsa_float_denorm_mode_16_64 3
		.amdhsa_dx10_clamp 1
		.amdhsa_ieee_mode 1
		.amdhsa_fp16_overflow 0
		.amdhsa_workgroup_processor_mode 1
		.amdhsa_memory_ordered 1
		.amdhsa_forward_progress 0
		.amdhsa_shared_vgpr_count 0
		.amdhsa_exception_fp_ieee_invalid_op 0
		.amdhsa_exception_fp_denorm_src 0
		.amdhsa_exception_fp_ieee_div_zero 0
		.amdhsa_exception_fp_ieee_overflow 0
		.amdhsa_exception_fp_ieee_underflow 0
		.amdhsa_exception_fp_ieee_inexact 0
		.amdhsa_exception_int_div_zero 0
	.end_amdhsa_kernel
	.section	.text._ZN12_GLOBAL__N_120softmax_warp_forwardIN3c104HalfES2_fLi7ELb0ELb0ELi32EEEvPT0_PKT_iiiPKbib,"axG",@progbits,_ZN12_GLOBAL__N_120softmax_warp_forwardIN3c104HalfES2_fLi7ELb0ELb0ELi32EEEvPT0_PKT_iiiPKbib,comdat
.Lfunc_end421:
	.size	_ZN12_GLOBAL__N_120softmax_warp_forwardIN3c104HalfES2_fLi7ELb0ELb0ELi32EEEvPT0_PKT_iiiPKbib, .Lfunc_end421-_ZN12_GLOBAL__N_120softmax_warp_forwardIN3c104HalfES2_fLi7ELb0ELb0ELi32EEEvPT0_PKT_iiiPKbib
                                        ; -- End function
	.section	.AMDGPU.csdata,"",@progbits
; Kernel info:
; codeLenInByte = 3756
; NumSgprs: 26
; NumVgprs: 40
; ScratchSize: 0
; MemoryBound: 0
; FloatMode: 240
; IeeeMode: 1
; LDSByteSize: 0 bytes/workgroup (compile time only)
; SGPRBlocks: 3
; VGPRBlocks: 4
; NumSGPRsForWavesPerEU: 26
; NumVGPRsForWavesPerEU: 40
; Occupancy: 16
; WaveLimiterHint : 0
; COMPUTE_PGM_RSRC2:SCRATCH_EN: 0
; COMPUTE_PGM_RSRC2:USER_SGPR: 15
; COMPUTE_PGM_RSRC2:TRAP_HANDLER: 0
; COMPUTE_PGM_RSRC2:TGID_X_EN: 1
; COMPUTE_PGM_RSRC2:TGID_Y_EN: 0
; COMPUTE_PGM_RSRC2:TGID_Z_EN: 0
; COMPUTE_PGM_RSRC2:TIDIG_COMP_CNT: 1
	.section	.text._ZN12_GLOBAL__N_120softmax_warp_forwardIN3c104HalfES2_fLi8ELb0ELb0ELi64EEEvPT0_PKT_iiiPKbib,"axG",@progbits,_ZN12_GLOBAL__N_120softmax_warp_forwardIN3c104HalfES2_fLi8ELb0ELb0ELi64EEEvPT0_PKT_iiiPKbib,comdat
	.globl	_ZN12_GLOBAL__N_120softmax_warp_forwardIN3c104HalfES2_fLi8ELb0ELb0ELi64EEEvPT0_PKT_iiiPKbib ; -- Begin function _ZN12_GLOBAL__N_120softmax_warp_forwardIN3c104HalfES2_fLi8ELb0ELb0ELi64EEEvPT0_PKT_iiiPKbib
	.p2align	8
	.type	_ZN12_GLOBAL__N_120softmax_warp_forwardIN3c104HalfES2_fLi8ELb0ELb0ELi64EEEvPT0_PKT_iiiPKbib,@function
_ZN12_GLOBAL__N_120softmax_warp_forwardIN3c104HalfES2_fLi8ELb0ELb0ELi64EEEvPT0_PKT_iiiPKbib: ; @_ZN12_GLOBAL__N_120softmax_warp_forwardIN3c104HalfES2_fLi8ELb0ELb0ELi64EEEvPT0_PKT_iiiPKbib
; %bb.0:
	s_clause 0x1
	s_load_b32 s2, s[0:1], 0x3c
	s_load_b256 s[4:11], s[0:1], 0x0
	v_bfe_u32 v1, v0, 10, 10
	v_mov_b32_e32 v6, 0xff800000
	v_mov_b32_e32 v8, 0xff800000
	s_waitcnt lgkmcnt(0)
	s_lshr_b32 s0, s2, 16
	s_delay_alu instid0(SALU_CYCLE_1) | instskip(SKIP_1) | instid1(VALU_DEP_1)
	v_mad_u64_u32 v[3:4], null, s15, s0, v[1:2]
	v_and_b32_e32 v2, 0x3ff, v0
	v_cmp_gt_i32_e32 vcc_lo, s10, v2
	s_delay_alu instid0(VALU_DEP_3) | instskip(SKIP_1) | instid1(VALU_DEP_1)
	v_mad_u64_u32 v[0:1], null, v3, s9, v[2:3]
	v_sub_nc_u32_e32 v5, s8, v3
	v_cmp_lt_i32_e64 s3, 0, v5
	s_delay_alu instid0(VALU_DEP_3) | instskip(NEXT) | instid1(VALU_DEP_2)
	v_ashrrev_i32_e32 v1, 31, v0
	s_and_b32 s1, s3, vcc_lo
	s_delay_alu instid0(VALU_DEP_1) | instskip(NEXT) | instid1(VALU_DEP_1)
	v_lshlrev_b64 v[0:1], 1, v[0:1]
	v_add_co_u32 v3, s0, s6, v0
	s_delay_alu instid0(VALU_DEP_1)
	v_add_co_ci_u32_e64 v4, s0, s7, v1, s0
	s_and_saveexec_b32 s0, s1
	s_cbranch_execz .LBB422_2
; %bb.1:
	global_load_u16 v7, v[3:4], off
	s_waitcnt vmcnt(0)
	v_cvt_f32_f16_e32 v8, v7
.LBB422_2:
	s_or_b32 exec_lo, exec_lo, s0
	v_add_nc_u32_e32 v7, 64, v2
	s_delay_alu instid0(VALU_DEP_1) | instskip(NEXT) | instid1(VALU_DEP_1)
	v_cmp_gt_i32_e64 s2, s10, v7
	s_and_b32 s1, s3, s2
	s_delay_alu instid0(SALU_CYCLE_1)
	s_and_saveexec_b32 s0, s1
	s_cbranch_execz .LBB422_4
; %bb.3:
	global_load_u16 v6, v[3:4], off offset:128
	s_waitcnt vmcnt(0)
	v_cvt_f32_f16_e32 v6, v6
.LBB422_4:
	s_or_b32 exec_lo, exec_lo, s0
	v_add_nc_u32_e32 v7, 0x80, v2
	v_mov_b32_e32 v9, 0xff800000
	s_delay_alu instid0(VALU_DEP_2) | instskip(SKIP_1) | instid1(VALU_DEP_2)
	v_cmp_gt_i32_e64 s1, s10, v7
	v_mov_b32_e32 v7, 0xff800000
	s_and_b32 s6, s3, s1
	s_delay_alu instid0(SALU_CYCLE_1)
	s_and_saveexec_b32 s0, s6
	s_cbranch_execz .LBB422_6
; %bb.5:
	global_load_u16 v9, v[3:4], off offset:256
	s_waitcnt vmcnt(0)
	v_cvt_f32_f16_e32 v9, v9
.LBB422_6:
	s_or_b32 exec_lo, exec_lo, s0
	v_add_nc_u32_e32 v2, 0xc0, v2
	s_delay_alu instid0(VALU_DEP_1) | instskip(NEXT) | instid1(VALU_DEP_1)
	v_cmp_gt_i32_e64 s0, s10, v2
	s_and_b32 s6, s3, s0
	s_delay_alu instid0(SALU_CYCLE_1)
	s_and_saveexec_b32 s3, s6
	s_cbranch_execz .LBB422_8
; %bb.7:
	global_load_u16 v2, v[3:4], off offset:384
	s_waitcnt vmcnt(0)
	v_cvt_f32_f16_e32 v7, v2
.LBB422_8:
	s_or_b32 exec_lo, exec_lo, s3
	v_cmp_gt_f32_e64 s3, v8, v6
	v_mbcnt_lo_u32_b32 v2, -1, 0
	s_mov_b32 s6, exec_lo
	s_delay_alu instid0(VALU_DEP_2) | instskip(NEXT) | instid1(VALU_DEP_2)
	v_cndmask_b32_e64 v3, v6, v8, s3
	v_or_b32_e32 v4, 32, v2
	v_xor_b32_e32 v11, 16, v2
	v_xor_b32_e32 v12, 8, v2
	;; [unrolled: 1-line block ×3, first 2 shown]
	v_cmp_gt_f32_e64 s3, v3, v9
	v_xor_b32_e32 v14, 2, v2
	v_xor_b32_e32 v15, 1, v2
	s_delay_alu instid0(VALU_DEP_3) | instskip(SKIP_1) | instid1(VALU_DEP_1)
	v_cndmask_b32_e64 v3, v9, v3, s3
	v_cmp_gt_i32_e64 s3, 64, v4
	v_cndmask_b32_e64 v4, v2, v4, s3
	s_delay_alu instid0(VALU_DEP_3) | instskip(NEXT) | instid1(VALU_DEP_2)
	v_cmp_gt_f32_e64 s3, v3, v7
	v_lshlrev_b32_e32 v10, 2, v4
	s_delay_alu instid0(VALU_DEP_2) | instskip(SKIP_3) | instid1(VALU_DEP_1)
	v_cndmask_b32_e64 v3, v7, v3, s3
	v_cmp_gt_i32_e64 s3, 64, v11
	ds_bpermute_b32 v4, v10, v3
	v_cndmask_b32_e64 v11, v2, v11, s3
	v_lshlrev_b32_e32 v11, 2, v11
	s_waitcnt lgkmcnt(0)
	v_cmp_lt_f32_e64 s3, v3, v4
	s_delay_alu instid0(VALU_DEP_1) | instskip(SKIP_3) | instid1(VALU_DEP_1)
	v_cndmask_b32_e64 v3, v3, v4, s3
	v_cmp_gt_i32_e64 s3, 64, v12
	ds_bpermute_b32 v4, v11, v3
	v_cndmask_b32_e64 v12, v2, v12, s3
	v_lshlrev_b32_e32 v12, 2, v12
	s_waitcnt lgkmcnt(0)
	v_cmp_lt_f32_e64 s3, v3, v4
	s_delay_alu instid0(VALU_DEP_1) | instskip(SKIP_3) | instid1(VALU_DEP_1)
	v_cndmask_b32_e64 v3, v3, v4, s3
	v_cmp_gt_i32_e64 s3, 64, v13
	ds_bpermute_b32 v4, v12, v3
	v_cndmask_b32_e64 v13, v2, v13, s3
	v_lshlrev_b32_e32 v13, 2, v13
	s_waitcnt lgkmcnt(0)
	v_cmp_lt_f32_e64 s3, v3, v4
	s_delay_alu instid0(VALU_DEP_1) | instskip(SKIP_3) | instid1(VALU_DEP_1)
	v_cndmask_b32_e64 v3, v3, v4, s3
	v_cmp_gt_i32_e64 s3, 64, v14
	ds_bpermute_b32 v4, v13, v3
	v_cndmask_b32_e64 v14, v2, v14, s3
	v_lshlrev_b32_e32 v14, 2, v14
	s_waitcnt lgkmcnt(0)
	v_cmp_lt_f32_e64 s3, v3, v4
	s_delay_alu instid0(VALU_DEP_1) | instskip(SKIP_3) | instid1(VALU_DEP_1)
	v_cndmask_b32_e64 v3, v3, v4, s3
	v_cmp_gt_i32_e64 s3, 64, v15
	ds_bpermute_b32 v4, v14, v3
	v_cndmask_b32_e64 v2, v2, v15, s3
	v_lshlrev_b32_e32 v15, 2, v2
	s_waitcnt lgkmcnt(0)
	v_cmp_lt_f32_e64 s3, v3, v4
	s_delay_alu instid0(VALU_DEP_1) | instskip(SKIP_3) | instid1(VALU_DEP_1)
	v_cndmask_b32_e64 v2, v3, v4, s3
	ds_bpermute_b32 v3, v15, v2
	s_waitcnt lgkmcnt(0)
	v_cmp_lt_f32_e64 s3, v2, v3
	v_cndmask_b32_e64 v2, v2, v3, s3
	s_delay_alu instid0(VALU_DEP_1) | instskip(SKIP_3) | instid1(VALU_DEP_3)
	v_sub_f32_e32 v3, v8, v2
	v_sub_f32_e32 v4, v6, v2
	v_sub_f32_e32 v8, v9, v2
	v_sub_f32_e32 v2, v7, v2
	v_dual_mul_f32 v6, 0x3fb8aa3b, v3 :: v_dual_mul_f32 v7, 0x3fb8aa3b, v4
	s_delay_alu instid0(VALU_DEP_3) | instskip(SKIP_1) | instid1(VALU_DEP_3)
	v_mul_f32_e32 v9, 0x3fb8aa3b, v8
	v_cmp_ngt_f32_e64 s3, 0xc2ce8ed0, v3
	v_fma_f32 v17, 0x3fb8aa3b, v3, -v6
	v_rndne_f32_e32 v18, v6
	v_fma_f32 v19, 0x3fb8aa3b, v4, -v7
	v_rndne_f32_e32 v20, v7
	v_fma_f32 v21, 0x3fb8aa3b, v8, -v9
	s_delay_alu instid0(VALU_DEP_4) | instskip(NEXT) | instid1(VALU_DEP_4)
	v_dual_fmac_f32 v17, 0x32a5705f, v3 :: v_dual_sub_f32 v6, v6, v18
	v_fmac_f32_e32 v19, 0x32a5705f, v4
	s_delay_alu instid0(VALU_DEP_4) | instskip(SKIP_1) | instid1(VALU_DEP_4)
	v_dual_mul_f32 v16, 0x3fb8aa3b, v2 :: v_dual_sub_f32 v7, v7, v20
	v_rndne_f32_e32 v22, v9
	v_dual_fmac_f32 v21, 0x32a5705f, v8 :: v_dual_add_f32 v6, v6, v17
	s_delay_alu instid0(VALU_DEP_3) | instskip(SKIP_1) | instid1(VALU_DEP_4)
	v_fma_f32 v23, 0x3fb8aa3b, v2, -v16
	v_rndne_f32_e32 v17, v16
	v_sub_f32_e32 v9, v9, v22
	v_add_f32_e32 v7, v7, v19
	v_exp_f32_e32 v6, v6
	s_delay_alu instid0(VALU_DEP_3) | instskip(NEXT) | instid1(VALU_DEP_3)
	v_dual_fmac_f32 v23, 0x32a5705f, v2 :: v_dual_sub_f32 v16, v16, v17
	v_add_f32_e32 v9, v9, v21
	s_delay_alu instid0(VALU_DEP_3)
	v_exp_f32_e32 v7, v7
	v_cvt_i32_f32_e32 v18, v18
	v_cvt_i32_f32_e32 v19, v20
	v_add_f32_e32 v16, v16, v23
	v_exp_f32_e32 v9, v9
	v_cvt_i32_f32_e32 v20, v22
	s_delay_alu instid0(TRANS32_DEP_3) | instskip(SKIP_2) | instid1(TRANS32_DEP_3)
	v_ldexp_f32 v6, v6, v18
	v_cvt_i32_f32_e32 v17, v17
	v_exp_f32_e32 v16, v16
	v_ldexp_f32 v7, v7, v19
	s_delay_alu instid0(VALU_DEP_3) | instskip(SKIP_1) | instid1(TRANS32_DEP_2)
	v_cndmask_b32_e64 v6, 0, v6, s3
	v_cmp_ngt_f32_e64 s3, 0xc2ce8ed0, v4
	v_ldexp_f32 v9, v9, v20
	s_delay_alu instid0(VALU_DEP_2) | instskip(SKIP_1) | instid1(VALU_DEP_1)
	v_cndmask_b32_e64 v18, 0, v7, s3
	v_cmp_ngt_f32_e64 s3, 0xc2ce8ed0, v8
	v_cndmask_b32_e64 v9, 0, v9, s3
	v_cmp_nlt_f32_e64 s3, 0x42b17218, v3
	s_delay_alu instid0(TRANS32_DEP_1) | instskip(NEXT) | instid1(VALU_DEP_2)
	v_ldexp_f32 v3, v16, v17
	v_cndmask_b32_e64 v7, 0x7f800000, v6, s3
	v_cmp_nlt_f32_e64 s3, 0x42b17218, v4
	s_delay_alu instid0(VALU_DEP_1) | instskip(SKIP_1) | instid1(VALU_DEP_2)
	v_cndmask_b32_e64 v6, 0x7f800000, v18, s3
	v_cmp_nlt_f32_e64 s3, 0x42b17218, v8
	v_add_f32_e32 v8, v7, v6
	s_delay_alu instid0(VALU_DEP_2) | instskip(SKIP_1) | instid1(VALU_DEP_2)
	v_cndmask_b32_e64 v4, 0x7f800000, v9, s3
	v_cmp_ngt_f32_e64 s3, 0xc2ce8ed0, v2
	v_add_f32_e32 v8, v8, v4
	s_delay_alu instid0(VALU_DEP_2) | instskip(SKIP_1) | instid1(VALU_DEP_1)
	v_cndmask_b32_e64 v3, 0, v3, s3
	v_cmp_nlt_f32_e64 s3, 0x42b17218, v2
	v_cndmask_b32_e64 v2, 0x7f800000, v3, s3
	s_delay_alu instid0(VALU_DEP_1)
	v_add_f32_e32 v3, v8, v2
	ds_bpermute_b32 v8, v10, v3
	s_waitcnt lgkmcnt(0)
	v_add_f32_e32 v3, v3, v8
	ds_bpermute_b32 v8, v11, v3
	s_waitcnt lgkmcnt(0)
	v_add_f32_e32 v3, v3, v8
	ds_bpermute_b32 v8, v12, v3
	s_waitcnt lgkmcnt(0)
	v_add_f32_e32 v3, v3, v8
	ds_bpermute_b32 v8, v13, v3
	s_waitcnt lgkmcnt(0)
	v_add_f32_e32 v3, v3, v8
	ds_bpermute_b32 v8, v14, v3
	s_waitcnt lgkmcnt(0)
	v_add_f32_e32 v3, v3, v8
	ds_bpermute_b32 v8, v15, v3
	v_cmpx_lt_i32_e32 0, v5
	s_cbranch_execz .LBB422_22
; %bb.9:
	s_and_b32 exec_lo, exec_lo, vcc_lo
	s_cbranch_execz .LBB422_22
; %bb.10:
	s_waitcnt lgkmcnt(0)
	v_add_f32_e32 v3, v3, v8
	v_mov_b32_e32 v5, 0x7e00
	s_delay_alu instid0(VALU_DEP_2) | instskip(NEXT) | instid1(VALU_DEP_1)
	v_cmp_neq_f32_e64 s3, 0, v3
	s_and_saveexec_b32 s6, s3
	s_cbranch_execz .LBB422_12
; %bb.11:
	v_div_scale_f32 v5, null, v3, v3, v7
	s_delay_alu instid0(VALU_DEP_1) | instskip(SKIP_2) | instid1(VALU_DEP_1)
	v_rcp_f32_e32 v8, v5
	s_waitcnt_depctr 0xfff
	v_fma_f32 v9, -v5, v8, 1.0
	v_fmac_f32_e32 v8, v9, v8
	v_div_scale_f32 v9, vcc_lo, v7, v3, v7
	s_delay_alu instid0(VALU_DEP_1) | instskip(NEXT) | instid1(VALU_DEP_1)
	v_mul_f32_e32 v10, v9, v8
	v_fma_f32 v11, -v5, v10, v9
	s_delay_alu instid0(VALU_DEP_1) | instskip(NEXT) | instid1(VALU_DEP_1)
	v_fmac_f32_e32 v10, v11, v8
	v_fma_f32 v5, -v5, v10, v9
	s_delay_alu instid0(VALU_DEP_1) | instskip(NEXT) | instid1(VALU_DEP_1)
	v_div_fmas_f32 v5, v5, v8, v10
	v_div_fixup_f32 v5, v5, v3, v7
	s_delay_alu instid0(VALU_DEP_1)
	v_cvt_f16_f32_e32 v5, v5
.LBB422_12:
	s_or_b32 exec_lo, exec_lo, s6
	v_add_co_u32 v0, vcc_lo, s4, v0
	v_add_co_ci_u32_e32 v1, vcc_lo, s5, v1, vcc_lo
	global_store_b16 v[0:1], v5, off
	s_and_b32 exec_lo, exec_lo, s2
	s_cbranch_execz .LBB422_22
; %bb.13:
	v_mov_b32_e32 v5, 0x7e00
	s_and_saveexec_b32 s2, s3
	s_cbranch_execz .LBB422_15
; %bb.14:
	v_div_scale_f32 v5, null, v3, v3, v6
	s_delay_alu instid0(VALU_DEP_1) | instskip(SKIP_2) | instid1(VALU_DEP_1)
	v_rcp_f32_e32 v7, v5
	s_waitcnt_depctr 0xfff
	v_fma_f32 v8, -v5, v7, 1.0
	v_fmac_f32_e32 v7, v8, v7
	v_div_scale_f32 v8, vcc_lo, v6, v3, v6
	s_delay_alu instid0(VALU_DEP_1) | instskip(NEXT) | instid1(VALU_DEP_1)
	v_mul_f32_e32 v9, v8, v7
	v_fma_f32 v10, -v5, v9, v8
	s_delay_alu instid0(VALU_DEP_1) | instskip(NEXT) | instid1(VALU_DEP_1)
	v_fmac_f32_e32 v9, v10, v7
	v_fma_f32 v5, -v5, v9, v8
	s_delay_alu instid0(VALU_DEP_1) | instskip(NEXT) | instid1(VALU_DEP_1)
	v_div_fmas_f32 v5, v5, v7, v9
	v_div_fixup_f32 v5, v5, v3, v6
	s_delay_alu instid0(VALU_DEP_1)
	v_cvt_f16_f32_e32 v5, v5
.LBB422_15:
	s_or_b32 exec_lo, exec_lo, s2
	global_store_b16 v[0:1], v5, off offset:128
	s_and_b32 exec_lo, exec_lo, s1
	s_cbranch_execz .LBB422_22
; %bb.16:
	v_mov_b32_e32 v5, 0x7e00
	s_and_saveexec_b32 s1, s3
	s_cbranch_execz .LBB422_18
; %bb.17:
	v_div_scale_f32 v5, null, v3, v3, v4
	s_delay_alu instid0(VALU_DEP_1) | instskip(SKIP_2) | instid1(VALU_DEP_1)
	v_rcp_f32_e32 v6, v5
	s_waitcnt_depctr 0xfff
	v_fma_f32 v7, -v5, v6, 1.0
	v_fmac_f32_e32 v6, v7, v6
	v_div_scale_f32 v7, vcc_lo, v4, v3, v4
	s_delay_alu instid0(VALU_DEP_1) | instskip(NEXT) | instid1(VALU_DEP_1)
	v_mul_f32_e32 v8, v7, v6
	v_fma_f32 v9, -v5, v8, v7
	s_delay_alu instid0(VALU_DEP_1) | instskip(NEXT) | instid1(VALU_DEP_1)
	v_fmac_f32_e32 v8, v9, v6
	v_fma_f32 v5, -v5, v8, v7
	s_delay_alu instid0(VALU_DEP_1) | instskip(NEXT) | instid1(VALU_DEP_1)
	v_div_fmas_f32 v5, v5, v6, v8
	v_div_fixup_f32 v4, v5, v3, v4
	s_delay_alu instid0(VALU_DEP_1)
	v_cvt_f16_f32_e32 v5, v4
.LBB422_18:
	s_or_b32 exec_lo, exec_lo, s1
	global_store_b16 v[0:1], v5, off offset:256
	;; [unrolled: 28-line block ×3, first 2 shown]
.LBB422_22:
	s_nop 0
	s_sendmsg sendmsg(MSG_DEALLOC_VGPRS)
	s_endpgm
	.section	.rodata,"a",@progbits
	.p2align	6, 0x0
	.amdhsa_kernel _ZN12_GLOBAL__N_120softmax_warp_forwardIN3c104HalfES2_fLi8ELb0ELb0ELi64EEEvPT0_PKT_iiiPKbib
		.amdhsa_group_segment_fixed_size 0
		.amdhsa_private_segment_fixed_size 0
		.amdhsa_kernarg_size 304
		.amdhsa_user_sgpr_count 15
		.amdhsa_user_sgpr_dispatch_ptr 0
		.amdhsa_user_sgpr_queue_ptr 0
		.amdhsa_user_sgpr_kernarg_segment_ptr 1
		.amdhsa_user_sgpr_dispatch_id 0
		.amdhsa_user_sgpr_private_segment_size 0
		.amdhsa_wavefront_size32 1
		.amdhsa_uses_dynamic_stack 0
		.amdhsa_enable_private_segment 0
		.amdhsa_system_sgpr_workgroup_id_x 1
		.amdhsa_system_sgpr_workgroup_id_y 0
		.amdhsa_system_sgpr_workgroup_id_z 0
		.amdhsa_system_sgpr_workgroup_info 0
		.amdhsa_system_vgpr_workitem_id 1
		.amdhsa_next_free_vgpr 24
		.amdhsa_next_free_sgpr 16
		.amdhsa_reserve_vcc 1
		.amdhsa_float_round_mode_32 0
		.amdhsa_float_round_mode_16_64 0
		.amdhsa_float_denorm_mode_32 3
		.amdhsa_float_denorm_mode_16_64 3
		.amdhsa_dx10_clamp 1
		.amdhsa_ieee_mode 1
		.amdhsa_fp16_overflow 0
		.amdhsa_workgroup_processor_mode 1
		.amdhsa_memory_ordered 1
		.amdhsa_forward_progress 0
		.amdhsa_shared_vgpr_count 0
		.amdhsa_exception_fp_ieee_invalid_op 0
		.amdhsa_exception_fp_denorm_src 0
		.amdhsa_exception_fp_ieee_div_zero 0
		.amdhsa_exception_fp_ieee_overflow 0
		.amdhsa_exception_fp_ieee_underflow 0
		.amdhsa_exception_fp_ieee_inexact 0
		.amdhsa_exception_int_div_zero 0
	.end_amdhsa_kernel
	.section	.text._ZN12_GLOBAL__N_120softmax_warp_forwardIN3c104HalfES2_fLi8ELb0ELb0ELi64EEEvPT0_PKT_iiiPKbib,"axG",@progbits,_ZN12_GLOBAL__N_120softmax_warp_forwardIN3c104HalfES2_fLi8ELb0ELb0ELi64EEEvPT0_PKT_iiiPKbib,comdat
.Lfunc_end422:
	.size	_ZN12_GLOBAL__N_120softmax_warp_forwardIN3c104HalfES2_fLi8ELb0ELb0ELi64EEEvPT0_PKT_iiiPKbib, .Lfunc_end422-_ZN12_GLOBAL__N_120softmax_warp_forwardIN3c104HalfES2_fLi8ELb0ELb0ELi64EEEvPT0_PKT_iiiPKbib
                                        ; -- End function
	.section	.AMDGPU.csdata,"",@progbits
; Kernel info:
; codeLenInByte = 1928
; NumSgprs: 18
; NumVgprs: 24
; ScratchSize: 0
; MemoryBound: 0
; FloatMode: 240
; IeeeMode: 1
; LDSByteSize: 0 bytes/workgroup (compile time only)
; SGPRBlocks: 2
; VGPRBlocks: 2
; NumSGPRsForWavesPerEU: 18
; NumVGPRsForWavesPerEU: 24
; Occupancy: 16
; WaveLimiterHint : 0
; COMPUTE_PGM_RSRC2:SCRATCH_EN: 0
; COMPUTE_PGM_RSRC2:USER_SGPR: 15
; COMPUTE_PGM_RSRC2:TRAP_HANDLER: 0
; COMPUTE_PGM_RSRC2:TGID_X_EN: 1
; COMPUTE_PGM_RSRC2:TGID_Y_EN: 0
; COMPUTE_PGM_RSRC2:TGID_Z_EN: 0
; COMPUTE_PGM_RSRC2:TIDIG_COMP_CNT: 1
	.section	.text._ZN12_GLOBAL__N_120softmax_warp_forwardIN3c104HalfES2_fLi8ELb0ELb0ELi32EEEvPT0_PKT_iiiPKbib,"axG",@progbits,_ZN12_GLOBAL__N_120softmax_warp_forwardIN3c104HalfES2_fLi8ELb0ELb0ELi32EEEvPT0_PKT_iiiPKbib,comdat
	.globl	_ZN12_GLOBAL__N_120softmax_warp_forwardIN3c104HalfES2_fLi8ELb0ELb0ELi32EEEvPT0_PKT_iiiPKbib ; -- Begin function _ZN12_GLOBAL__N_120softmax_warp_forwardIN3c104HalfES2_fLi8ELb0ELb0ELi32EEEvPT0_PKT_iiiPKbib
	.p2align	8
	.type	_ZN12_GLOBAL__N_120softmax_warp_forwardIN3c104HalfES2_fLi8ELb0ELb0ELi32EEEvPT0_PKT_iiiPKbib,@function
_ZN12_GLOBAL__N_120softmax_warp_forwardIN3c104HalfES2_fLi8ELb0ELb0ELi32EEEvPT0_PKT_iiiPKbib: ; @_ZN12_GLOBAL__N_120softmax_warp_forwardIN3c104HalfES2_fLi8ELb0ELb0ELi32EEEvPT0_PKT_iiiPKbib
; %bb.0:
	s_clause 0x1
	s_load_b32 s2, s[0:1], 0x3c
	s_load_b256 s[16:23], s[0:1], 0x0
	v_bfe_u32 v1, v0, 10, 10
	v_mov_b32_e32 v6, 0xff800000
	v_mov_b32_e32 v10, 0xff800000
	s_waitcnt lgkmcnt(0)
	s_lshr_b32 s0, s2, 16
	s_delay_alu instid0(SALU_CYCLE_1) | instskip(SKIP_1) | instid1(VALU_DEP_1)
	v_mad_u64_u32 v[3:4], null, s15, s0, v[1:2]
	v_and_b32_e32 v2, 0x3ff, v0
	v_cmp_gt_i32_e32 vcc_lo, s22, v2
	s_delay_alu instid0(VALU_DEP_3) | instskip(SKIP_1) | instid1(VALU_DEP_1)
	v_mad_u64_u32 v[0:1], null, v3, s21, v[2:3]
	v_sub_nc_u32_e32 v5, s20, v3
	v_cmp_lt_i32_e64 s7, 0, v5
	s_delay_alu instid0(VALU_DEP_3) | instskip(NEXT) | instid1(VALU_DEP_2)
	v_ashrrev_i32_e32 v1, 31, v0
	s_and_b32 s1, s7, vcc_lo
	s_delay_alu instid0(VALU_DEP_1) | instskip(NEXT) | instid1(VALU_DEP_1)
	v_lshlrev_b64 v[0:1], 1, v[0:1]
	v_add_co_u32 v3, s0, s18, v0
	s_delay_alu instid0(VALU_DEP_1)
	v_add_co_ci_u32_e64 v4, s0, s19, v1, s0
	s_and_saveexec_b32 s0, s1
	s_cbranch_execz .LBB423_2
; %bb.1:
	global_load_u16 v7, v[3:4], off
	s_waitcnt vmcnt(0)
	v_cvt_f32_f16_e32 v10, v7
.LBB423_2:
	s_or_b32 exec_lo, exec_lo, s0
	v_add_nc_u32_e32 v7, 32, v2
	s_delay_alu instid0(VALU_DEP_1) | instskip(NEXT) | instid1(VALU_DEP_1)
	v_cmp_gt_i32_e64 s6, s22, v7
	s_and_b32 s1, s7, s6
	s_delay_alu instid0(SALU_CYCLE_1)
	s_and_saveexec_b32 s0, s1
	s_cbranch_execz .LBB423_4
; %bb.3:
	global_load_u16 v6, v[3:4], off offset:64
	s_waitcnt vmcnt(0)
	v_cvt_f32_f16_e32 v6, v6
.LBB423_4:
	s_or_b32 exec_lo, exec_lo, s0
	v_add_nc_u32_e32 v7, 64, v2
	v_mov_b32_e32 v11, 0xff800000
	s_delay_alu instid0(VALU_DEP_2) | instskip(SKIP_1) | instid1(VALU_DEP_2)
	v_cmp_gt_i32_e64 s5, s22, v7
	v_mov_b32_e32 v7, 0xff800000
	s_and_b32 s1, s7, s5
	s_delay_alu instid0(SALU_CYCLE_1)
	s_and_saveexec_b32 s0, s1
	s_cbranch_execz .LBB423_6
; %bb.5:
	global_load_u16 v8, v[3:4], off offset:128
	s_waitcnt vmcnt(0)
	v_cvt_f32_f16_e32 v11, v8
.LBB423_6:
	s_or_b32 exec_lo, exec_lo, s0
	v_add_nc_u32_e32 v8, 0x60, v2
	s_delay_alu instid0(VALU_DEP_1) | instskip(NEXT) | instid1(VALU_DEP_1)
	v_cmp_gt_i32_e64 s4, s22, v8
	s_and_b32 s1, s7, s4
	s_delay_alu instid0(SALU_CYCLE_1)
	s_and_saveexec_b32 s0, s1
	s_cbranch_execz .LBB423_8
; %bb.7:
	global_load_u16 v7, v[3:4], off offset:192
	s_waitcnt vmcnt(0)
	v_cvt_f32_f16_e32 v7, v7
.LBB423_8:
	s_or_b32 exec_lo, exec_lo, s0
	v_add_nc_u32_e32 v8, 0x80, v2
	v_mov_b32_e32 v12, 0xff800000
	s_delay_alu instid0(VALU_DEP_2) | instskip(SKIP_1) | instid1(VALU_DEP_2)
	v_cmp_gt_i32_e64 s3, s22, v8
	v_mov_b32_e32 v8, 0xff800000
	s_and_b32 s1, s7, s3
	s_delay_alu instid0(SALU_CYCLE_1)
	s_and_saveexec_b32 s0, s1
	s_cbranch_execz .LBB423_10
; %bb.9:
	global_load_u16 v9, v[3:4], off offset:256
	s_waitcnt vmcnt(0)
	v_cvt_f32_f16_e32 v12, v9
.LBB423_10:
	;; [unrolled: 28-line block ×3, first 2 shown]
	s_or_b32 exec_lo, exec_lo, s0
	v_add_nc_u32_e32 v2, 0xe0, v2
	s_delay_alu instid0(VALU_DEP_1) | instskip(NEXT) | instid1(VALU_DEP_1)
	v_cmp_gt_i32_e64 s0, s22, v2
	s_and_b32 s8, s7, s0
	s_delay_alu instid0(SALU_CYCLE_1)
	s_and_saveexec_b32 s7, s8
	s_cbranch_execz .LBB423_16
; %bb.15:
	global_load_u16 v2, v[3:4], off offset:448
	s_waitcnt vmcnt(0)
	v_cvt_f32_f16_e32 v9, v2
.LBB423_16:
	s_or_b32 exec_lo, exec_lo, s7
	v_cmp_gt_f32_e64 s7, v10, v6
	v_mbcnt_lo_u32_b32 v3, -1, 0
	s_mov_b32 s8, exec_lo
	s_delay_alu instid0(VALU_DEP_2) | instskip(NEXT) | instid1(VALU_DEP_2)
	v_cndmask_b32_e64 v2, v6, v10, s7
	v_xor_b32_e32 v4, 16, v3
	v_xor_b32_e32 v15, 8, v3
	;; [unrolled: 1-line block ×4, first 2 shown]
	v_cmp_gt_f32_e64 s7, v2, v11
	v_xor_b32_e32 v18, 1, v3
	s_delay_alu instid0(VALU_DEP_2) | instskip(NEXT) | instid1(VALU_DEP_1)
	v_cndmask_b32_e64 v2, v11, v2, s7
	v_cmp_gt_f32_e64 s7, v2, v7
	s_delay_alu instid0(VALU_DEP_1) | instskip(NEXT) | instid1(VALU_DEP_1)
	v_cndmask_b32_e64 v2, v7, v2, s7
	v_cmp_gt_f32_e64 s7, v2, v12
	s_delay_alu instid0(VALU_DEP_1) | instskip(NEXT) | instid1(VALU_DEP_1)
	v_cndmask_b32_e64 v2, v12, v2, s7
	v_cmp_gt_f32_e64 s7, v2, v8
	s_delay_alu instid0(VALU_DEP_1) | instskip(SKIP_1) | instid1(VALU_DEP_1)
	v_cndmask_b32_e64 v2, v8, v2, s7
	v_cmp_gt_i32_e64 s7, 32, v4
	v_cndmask_b32_e64 v4, v3, v4, s7
	s_delay_alu instid0(VALU_DEP_3) | instskip(NEXT) | instid1(VALU_DEP_2)
	v_cmp_gt_f32_e64 s7, v2, v13
	v_lshlrev_b32_e32 v14, 2, v4
	s_delay_alu instid0(VALU_DEP_2) | instskip(NEXT) | instid1(VALU_DEP_1)
	v_cndmask_b32_e64 v2, v13, v2, s7
	v_cmp_gt_f32_e64 s7, v2, v9
	s_delay_alu instid0(VALU_DEP_1) | instskip(SKIP_3) | instid1(VALU_DEP_1)
	v_cndmask_b32_e64 v2, v9, v2, s7
	v_cmp_gt_i32_e64 s7, 32, v15
	ds_bpermute_b32 v4, v14, v2
	v_cndmask_b32_e64 v15, v3, v15, s7
	v_lshlrev_b32_e32 v15, 2, v15
	s_waitcnt lgkmcnt(0)
	v_cmp_lt_f32_e64 s7, v2, v4
	s_delay_alu instid0(VALU_DEP_1) | instskip(SKIP_3) | instid1(VALU_DEP_1)
	v_cndmask_b32_e64 v2, v2, v4, s7
	v_cmp_gt_i32_e64 s7, 32, v16
	ds_bpermute_b32 v4, v15, v2
	v_cndmask_b32_e64 v16, v3, v16, s7
	v_lshlrev_b32_e32 v16, 2, v16
	s_waitcnt lgkmcnt(0)
	v_cmp_lt_f32_e64 s7, v2, v4
	;; [unrolled: 8-line block ×4, first 2 shown]
	s_delay_alu instid0(VALU_DEP_1) | instskip(SKIP_3) | instid1(VALU_DEP_1)
	v_cndmask_b32_e64 v2, v2, v4, s7
	ds_bpermute_b32 v3, v18, v2
	s_waitcnt lgkmcnt(0)
	v_cmp_lt_f32_e64 s7, v2, v3
	v_cndmask_b32_e64 v2, v2, v3, s7
	s_delay_alu instid0(VALU_DEP_1)
	v_sub_f32_e32 v19, v8, v2
	v_sub_f32_e32 v3, v10, v2
	;; [unrolled: 1-line block ×6, first 2 shown]
	v_dual_sub_f32 v13, v13, v2 :: v_dual_mul_f32 v8, 0x3fb8aa3b, v3
	s_delay_alu instid0(VALU_DEP_3) | instskip(SKIP_2) | instid1(VALU_DEP_4)
	v_dual_sub_f32 v2, v9, v2 :: v_dual_mul_f32 v11, 0x3fb8aa3b, v7
	v_dual_mul_f32 v9, 0x3fb8aa3b, v4 :: v_dual_mul_f32 v10, 0x3fb8aa3b, v6
	v_mul_f32_e32 v21, 0x3fb8aa3b, v19
	v_fma_f32 v24, 0x3fb8aa3b, v3, -v8
	v_rndne_f32_e32 v25, v8
	s_delay_alu instid0(VALU_DEP_4)
	v_fma_f32 v26, 0x3fb8aa3b, v4, -v9
	v_rndne_f32_e32 v27, v9
	v_rndne_f32_e32 v35, v21
	v_mul_f32_e32 v22, 0x3fb8aa3b, v13
	v_rndne_f32_e32 v31, v11
	v_fma_f32 v34, 0x3fb8aa3b, v19, -v21
	v_dual_sub_f32 v9, v9, v27 :: v_dual_sub_f32 v8, v8, v25
	v_dual_fmac_f32 v26, 0x32a5705f, v4 :: v_dual_sub_f32 v21, v21, v35
	v_fmac_f32_e32 v24, 0x32a5705f, v3
	v_dual_mul_f32 v20, 0x3fb8aa3b, v12 :: v_dual_mul_f32 v23, 0x3fb8aa3b, v2
	v_fma_f32 v28, 0x3fb8aa3b, v6, -v10
	v_rndne_f32_e32 v29, v10
	v_fma_f32 v30, 0x3fb8aa3b, v7, -v11
	v_sub_f32_e32 v11, v11, v31
	v_dual_fmac_f32 v34, 0x32a5705f, v19 :: v_dual_add_f32 v9, v9, v26
	v_add_f32_e32 v8, v8, v24
	v_fma_f32 v36, 0x3fb8aa3b, v13, -v22
	v_rndne_f32_e32 v37, v22
	v_rndne_f32_e32 v39, v23
	v_fmac_f32_e32 v28, 0x32a5705f, v6
	v_dual_fmac_f32 v30, 0x32a5705f, v7 :: v_dual_add_f32 v21, v21, v34
	v_sub_f32_e32 v10, v10, v29
	v_exp_f32_e32 v8, v8
	v_fma_f32 v38, 0x3fb8aa3b, v2, -v23
	s_delay_alu instid0(VALU_DEP_3)
	v_add_f32_e32 v11, v11, v30
	v_cvt_i32_f32_e32 v25, v25
	v_fmac_f32_e32 v36, 0x32a5705f, v13
	v_dual_sub_f32 v22, v22, v37 :: v_dual_sub_f32 v23, v23, v39
	v_add_f32_e32 v10, v10, v28
	v_exp_f32_e32 v9, v9
	v_cvt_i32_f32_e32 v27, v27
	s_delay_alu instid0(VALU_DEP_3)
	v_add_f32_e32 v22, v22, v36
	v_ldexp_f32 v8, v8, v25
	v_exp_f32_e32 v10, v10
	v_cmp_ngt_f32_e64 s7, 0xc2ce8ed0, v3
	v_cvt_i32_f32_e32 v29, v29
	v_exp_f32_e32 v22, v22
	v_fma_f32 v32, 0x3fb8aa3b, v12, -v20
	v_rndne_f32_e32 v33, v20
	v_ldexp_f32 v9, v9, v27
	v_cndmask_b32_e64 v8, 0, v8, s7
	v_cmp_ngt_f32_e64 s7, 0xc2ce8ed0, v4
	v_exp_f32_e32 v11, v11
	v_cvt_i32_f32_e32 v24, v37
	v_ldexp_f32 v10, v10, v29
	v_cvt_i32_f32_e32 v31, v31
	v_cndmask_b32_e64 v9, 0, v9, s7
	v_cmp_ngt_f32_e64 s7, 0xc2ce8ed0, v6
	v_sub_f32_e32 v20, v20, v33
	v_fmac_f32_e32 v38, 0x32a5705f, v2
	v_fmac_f32_e32 v32, 0x32a5705f, v12
	v_ldexp_f32 v22, v22, v24
	v_cndmask_b32_e64 v24, 0, v10, s7
	v_cmp_nlt_f32_e64 s7, 0x42b17218, v3
	s_delay_alu instid0(VALU_DEP_4) | instskip(SKIP_2) | instid1(VALU_DEP_4)
	v_dual_add_f32 v23, v23, v38 :: v_dual_add_f32 v20, v20, v32
	v_ldexp_f32 v25, v11, v31
	v_cvt_i32_f32_e32 v33, v33
	v_cndmask_b32_e64 v11, 0x7f800000, v8, s7
	v_cmp_nlt_f32_e64 s7, 0x42b17218, v4
	v_exp_f32_e32 v20, v20
	v_exp_f32_e32 v21, v21
	v_cvt_i32_f32_e32 v35, v35
	v_exp_f32_e32 v23, v23
	v_cndmask_b32_e64 v10, 0x7f800000, v9, s7
	v_cmp_ngt_f32_e64 s7, 0xc2ce8ed0, v7
	v_cvt_i32_f32_e32 v26, v39
	s_delay_alu instid0(VALU_DEP_3) | instskip(NEXT) | instid1(VALU_DEP_3)
	v_add_f32_e32 v4, v11, v10
	v_cndmask_b32_e64 v3, 0, v25, s7
	v_cmp_nlt_f32_e64 s7, 0x42b17218, v6
	v_ldexp_f32 v20, v20, v33
	v_ldexp_f32 v21, v21, v35
	s_delay_alu instid0(VALU_DEP_3) | instskip(SKIP_1) | instid1(VALU_DEP_1)
	v_cndmask_b32_e64 v9, 0x7f800000, v24, s7
	v_cmp_ngt_f32_e64 s7, 0xc2ce8ed0, v12
	v_cndmask_b32_e64 v6, 0, v20, s7
	v_cmp_nlt_f32_e64 s7, 0x42b17218, v7
	s_delay_alu instid0(VALU_DEP_1) | instskip(SKIP_2) | instid1(VALU_DEP_2)
	v_cndmask_b32_e64 v8, 0x7f800000, v3, s7
	v_cmp_ngt_f32_e64 s7, 0xc2ce8ed0, v19
	v_add_f32_e32 v3, v4, v9
	v_cndmask_b32_e64 v4, 0, v21, s7
	v_cmp_nlt_f32_e64 s7, 0x42b17218, v12
	s_delay_alu instid0(VALU_DEP_3) | instskip(NEXT) | instid1(VALU_DEP_2)
	v_add_f32_e32 v3, v3, v8
	v_cndmask_b32_e64 v7, 0x7f800000, v6, s7
	v_cmp_ngt_f32_e64 s7, 0xc2ce8ed0, v13
	s_delay_alu instid0(VALU_DEP_2) | instskip(NEXT) | instid1(VALU_DEP_2)
	v_add_f32_e32 v3, v3, v7
	v_cndmask_b32_e64 v12, 0, v22, s7
	v_cmp_nlt_f32_e64 s7, 0x42b17218, v19
	v_ldexp_f32 v19, v23, v26
	s_delay_alu instid0(VALU_DEP_2) | instskip(SKIP_1) | instid1(VALU_DEP_2)
	v_cndmask_b32_e64 v6, 0x7f800000, v4, s7
	v_cmp_nlt_f32_e64 s7, 0x42b17218, v13
	v_add_f32_e32 v3, v3, v6
	s_delay_alu instid0(VALU_DEP_2) | instskip(SKIP_1) | instid1(VALU_DEP_2)
	v_cndmask_b32_e64 v4, 0x7f800000, v12, s7
	v_cmp_ngt_f32_e64 s7, 0xc2ce8ed0, v2
	v_add_f32_e32 v3, v3, v4
	s_delay_alu instid0(VALU_DEP_2) | instskip(SKIP_1) | instid1(VALU_DEP_1)
	v_cndmask_b32_e64 v12, 0, v19, s7
	v_cmp_nlt_f32_e64 s7, 0x42b17218, v2
	v_cndmask_b32_e64 v2, 0x7f800000, v12, s7
	s_delay_alu instid0(VALU_DEP_1)
	v_add_f32_e32 v3, v3, v2
	ds_bpermute_b32 v12, v14, v3
	s_waitcnt lgkmcnt(0)
	v_add_f32_e32 v3, v3, v12
	ds_bpermute_b32 v12, v15, v3
	s_waitcnt lgkmcnt(0)
	v_add_f32_e32 v3, v3, v12
	ds_bpermute_b32 v12, v16, v3
	s_waitcnt lgkmcnt(0)
	v_add_f32_e32 v3, v3, v12
	ds_bpermute_b32 v12, v17, v3
	s_waitcnt lgkmcnt(0)
	v_add_f32_e32 v3, v3, v12
	ds_bpermute_b32 v12, v18, v3
	v_cmpx_lt_i32_e32 0, v5
	s_cbranch_execz .LBB423_42
; %bb.17:
	s_and_b32 exec_lo, exec_lo, vcc_lo
	s_cbranch_execz .LBB423_42
; %bb.18:
	s_waitcnt lgkmcnt(0)
	v_add_f32_e32 v3, v3, v12
	v_mov_b32_e32 v5, 0x7e00
	s_delay_alu instid0(VALU_DEP_2) | instskip(NEXT) | instid1(VALU_DEP_1)
	v_cmp_neq_f32_e64 s7, 0, v3
	s_and_saveexec_b32 s8, s7
	s_cbranch_execz .LBB423_20
; %bb.19:
	v_div_scale_f32 v5, null, v3, v3, v11
	s_delay_alu instid0(VALU_DEP_1) | instskip(SKIP_2) | instid1(VALU_DEP_1)
	v_rcp_f32_e32 v12, v5
	s_waitcnt_depctr 0xfff
	v_fma_f32 v13, -v5, v12, 1.0
	v_fmac_f32_e32 v12, v13, v12
	v_div_scale_f32 v13, vcc_lo, v11, v3, v11
	s_delay_alu instid0(VALU_DEP_1) | instskip(NEXT) | instid1(VALU_DEP_1)
	v_mul_f32_e32 v14, v13, v12
	v_fma_f32 v15, -v5, v14, v13
	s_delay_alu instid0(VALU_DEP_1) | instskip(NEXT) | instid1(VALU_DEP_1)
	v_fmac_f32_e32 v14, v15, v12
	v_fma_f32 v5, -v5, v14, v13
	s_delay_alu instid0(VALU_DEP_1) | instskip(NEXT) | instid1(VALU_DEP_1)
	v_div_fmas_f32 v5, v5, v12, v14
	v_div_fixup_f32 v5, v5, v3, v11
	s_delay_alu instid0(VALU_DEP_1)
	v_cvt_f16_f32_e32 v5, v5
.LBB423_20:
	s_or_b32 exec_lo, exec_lo, s8
	v_add_co_u32 v0, vcc_lo, s16, v0
	v_add_co_ci_u32_e32 v1, vcc_lo, s17, v1, vcc_lo
	global_store_b16 v[0:1], v5, off
	s_and_b32 exec_lo, exec_lo, s6
	s_cbranch_execz .LBB423_42
; %bb.21:
	v_mov_b32_e32 v5, 0x7e00
	s_and_saveexec_b32 s6, s7
	s_cbranch_execz .LBB423_23
; %bb.22:
	v_div_scale_f32 v5, null, v3, v3, v10
	s_delay_alu instid0(VALU_DEP_1) | instskip(SKIP_2) | instid1(VALU_DEP_1)
	v_rcp_f32_e32 v11, v5
	s_waitcnt_depctr 0xfff
	v_fma_f32 v12, -v5, v11, 1.0
	v_fmac_f32_e32 v11, v12, v11
	v_div_scale_f32 v12, vcc_lo, v10, v3, v10
	s_delay_alu instid0(VALU_DEP_1) | instskip(NEXT) | instid1(VALU_DEP_1)
	v_mul_f32_e32 v13, v12, v11
	v_fma_f32 v14, -v5, v13, v12
	s_delay_alu instid0(VALU_DEP_1) | instskip(NEXT) | instid1(VALU_DEP_1)
	v_fmac_f32_e32 v13, v14, v11
	v_fma_f32 v5, -v5, v13, v12
	s_delay_alu instid0(VALU_DEP_1) | instskip(NEXT) | instid1(VALU_DEP_1)
	v_div_fmas_f32 v5, v5, v11, v13
	v_div_fixup_f32 v5, v5, v3, v10
	s_delay_alu instid0(VALU_DEP_1)
	v_cvt_f16_f32_e32 v5, v5
.LBB423_23:
	s_or_b32 exec_lo, exec_lo, s6
	global_store_b16 v[0:1], v5, off offset:64
	s_and_b32 exec_lo, exec_lo, s5
	s_cbranch_execz .LBB423_42
; %bb.24:
	v_mov_b32_e32 v5, 0x7e00
	s_and_saveexec_b32 s5, s7
	s_cbranch_execz .LBB423_26
; %bb.25:
	v_div_scale_f32 v5, null, v3, v3, v9
	s_delay_alu instid0(VALU_DEP_1) | instskip(SKIP_2) | instid1(VALU_DEP_1)
	v_rcp_f32_e32 v10, v5
	s_waitcnt_depctr 0xfff
	v_fma_f32 v11, -v5, v10, 1.0
	v_fmac_f32_e32 v10, v11, v10
	v_div_scale_f32 v11, vcc_lo, v9, v3, v9
	s_delay_alu instid0(VALU_DEP_1) | instskip(NEXT) | instid1(VALU_DEP_1)
	v_mul_f32_e32 v12, v11, v10
	v_fma_f32 v13, -v5, v12, v11
	s_delay_alu instid0(VALU_DEP_1) | instskip(NEXT) | instid1(VALU_DEP_1)
	v_fmac_f32_e32 v12, v13, v10
	v_fma_f32 v5, -v5, v12, v11
	s_delay_alu instid0(VALU_DEP_1) | instskip(NEXT) | instid1(VALU_DEP_1)
	v_div_fmas_f32 v5, v5, v10, v12
	v_div_fixup_f32 v5, v5, v3, v9
	s_delay_alu instid0(VALU_DEP_1)
	v_cvt_f16_f32_e32 v5, v5
.LBB423_26:
	s_or_b32 exec_lo, exec_lo, s5
	global_store_b16 v[0:1], v5, off offset:128
	;; [unrolled: 28-line block ×7, first 2 shown]
.LBB423_42:
	s_nop 0
	s_sendmsg sendmsg(MSG_DEALLOC_VGPRS)
	s_endpgm
	.section	.rodata,"a",@progbits
	.p2align	6, 0x0
	.amdhsa_kernel _ZN12_GLOBAL__N_120softmax_warp_forwardIN3c104HalfES2_fLi8ELb0ELb0ELi32EEEvPT0_PKT_iiiPKbib
		.amdhsa_group_segment_fixed_size 0
		.amdhsa_private_segment_fixed_size 0
		.amdhsa_kernarg_size 304
		.amdhsa_user_sgpr_count 15
		.amdhsa_user_sgpr_dispatch_ptr 0
		.amdhsa_user_sgpr_queue_ptr 0
		.amdhsa_user_sgpr_kernarg_segment_ptr 1
		.amdhsa_user_sgpr_dispatch_id 0
		.amdhsa_user_sgpr_private_segment_size 0
		.amdhsa_wavefront_size32 1
		.amdhsa_uses_dynamic_stack 0
		.amdhsa_enable_private_segment 0
		.amdhsa_system_sgpr_workgroup_id_x 1
		.amdhsa_system_sgpr_workgroup_id_y 0
		.amdhsa_system_sgpr_workgroup_id_z 0
		.amdhsa_system_sgpr_workgroup_info 0
		.amdhsa_system_vgpr_workitem_id 1
		.amdhsa_next_free_vgpr 40
		.amdhsa_next_free_sgpr 24
		.amdhsa_reserve_vcc 1
		.amdhsa_float_round_mode_32 0
		.amdhsa_float_round_mode_16_64 0
		.amdhsa_float_denorm_mode_32 3
		.amdhsa_float_denorm_mode_16_64 3
		.amdhsa_dx10_clamp 1
		.amdhsa_ieee_mode 1
		.amdhsa_fp16_overflow 0
		.amdhsa_workgroup_processor_mode 1
		.amdhsa_memory_ordered 1
		.amdhsa_forward_progress 0
		.amdhsa_shared_vgpr_count 0
		.amdhsa_exception_fp_ieee_invalid_op 0
		.amdhsa_exception_fp_denorm_src 0
		.amdhsa_exception_fp_ieee_div_zero 0
		.amdhsa_exception_fp_ieee_overflow 0
		.amdhsa_exception_fp_ieee_underflow 0
		.amdhsa_exception_fp_ieee_inexact 0
		.amdhsa_exception_int_div_zero 0
	.end_amdhsa_kernel
	.section	.text._ZN12_GLOBAL__N_120softmax_warp_forwardIN3c104HalfES2_fLi8ELb0ELb0ELi32EEEvPT0_PKT_iiiPKbib,"axG",@progbits,_ZN12_GLOBAL__N_120softmax_warp_forwardIN3c104HalfES2_fLi8ELb0ELb0ELi32EEEvPT0_PKT_iiiPKbib,comdat
.Lfunc_end423:
	.size	_ZN12_GLOBAL__N_120softmax_warp_forwardIN3c104HalfES2_fLi8ELb0ELb0ELi32EEEvPT0_PKT_iiiPKbib, .Lfunc_end423-_ZN12_GLOBAL__N_120softmax_warp_forwardIN3c104HalfES2_fLi8ELb0ELb0ELi32EEEvPT0_PKT_iiiPKbib
                                        ; -- End function
	.section	.AMDGPU.csdata,"",@progbits
; Kernel info:
; codeLenInByte = 3160
; NumSgprs: 26
; NumVgprs: 40
; ScratchSize: 0
; MemoryBound: 0
; FloatMode: 240
; IeeeMode: 1
; LDSByteSize: 0 bytes/workgroup (compile time only)
; SGPRBlocks: 3
; VGPRBlocks: 4
; NumSGPRsForWavesPerEU: 26
; NumVGPRsForWavesPerEU: 40
; Occupancy: 16
; WaveLimiterHint : 0
; COMPUTE_PGM_RSRC2:SCRATCH_EN: 0
; COMPUTE_PGM_RSRC2:USER_SGPR: 15
; COMPUTE_PGM_RSRC2:TRAP_HANDLER: 0
; COMPUTE_PGM_RSRC2:TGID_X_EN: 1
; COMPUTE_PGM_RSRC2:TGID_Y_EN: 0
; COMPUTE_PGM_RSRC2:TGID_Z_EN: 0
; COMPUTE_PGM_RSRC2:TIDIG_COMP_CNT: 1
	.section	.text._ZN12_GLOBAL__N_120softmax_warp_forwardIN3c104HalfES2_fLi9ELb0ELb0ELi64EEEvPT0_PKT_iiiPKbib,"axG",@progbits,_ZN12_GLOBAL__N_120softmax_warp_forwardIN3c104HalfES2_fLi9ELb0ELb0ELi64EEEvPT0_PKT_iiiPKbib,comdat
	.globl	_ZN12_GLOBAL__N_120softmax_warp_forwardIN3c104HalfES2_fLi9ELb0ELb0ELi64EEEvPT0_PKT_iiiPKbib ; -- Begin function _ZN12_GLOBAL__N_120softmax_warp_forwardIN3c104HalfES2_fLi9ELb0ELb0ELi64EEEvPT0_PKT_iiiPKbib
	.p2align	8
	.type	_ZN12_GLOBAL__N_120softmax_warp_forwardIN3c104HalfES2_fLi9ELb0ELb0ELi64EEEvPT0_PKT_iiiPKbib,@function
_ZN12_GLOBAL__N_120softmax_warp_forwardIN3c104HalfES2_fLi9ELb0ELb0ELi64EEEvPT0_PKT_iiiPKbib: ; @_ZN12_GLOBAL__N_120softmax_warp_forwardIN3c104HalfES2_fLi9ELb0ELb0ELi64EEEvPT0_PKT_iiiPKbib
; %bb.0:
	s_clause 0x1
	s_load_b32 s2, s[0:1], 0x3c
	s_load_b256 s[16:23], s[0:1], 0x0
	v_bfe_u32 v1, v0, 10, 10
	v_mov_b32_e32 v6, 0xff800000
	v_mov_b32_e32 v10, 0xff800000
	s_waitcnt lgkmcnt(0)
	s_lshr_b32 s0, s2, 16
	s_delay_alu instid0(SALU_CYCLE_1) | instskip(SKIP_1) | instid1(VALU_DEP_1)
	v_mad_u64_u32 v[3:4], null, s15, s0, v[1:2]
	v_and_b32_e32 v2, 0x3ff, v0
	v_cmp_gt_i32_e32 vcc_lo, s22, v2
	s_delay_alu instid0(VALU_DEP_3) | instskip(SKIP_1) | instid1(VALU_DEP_1)
	v_mad_u64_u32 v[0:1], null, v3, s21, v[2:3]
	v_sub_nc_u32_e32 v5, s20, v3
	v_cmp_lt_i32_e64 s7, 0, v5
	s_delay_alu instid0(VALU_DEP_3) | instskip(NEXT) | instid1(VALU_DEP_2)
	v_ashrrev_i32_e32 v1, 31, v0
	s_and_b32 s1, s7, vcc_lo
	s_delay_alu instid0(VALU_DEP_1) | instskip(NEXT) | instid1(VALU_DEP_1)
	v_lshlrev_b64 v[0:1], 1, v[0:1]
	v_add_co_u32 v3, s0, s18, v0
	s_delay_alu instid0(VALU_DEP_1)
	v_add_co_ci_u32_e64 v4, s0, s19, v1, s0
	s_and_saveexec_b32 s0, s1
	s_cbranch_execz .LBB424_2
; %bb.1:
	global_load_u16 v7, v[3:4], off
	s_waitcnt vmcnt(0)
	v_cvt_f32_f16_e32 v10, v7
.LBB424_2:
	s_or_b32 exec_lo, exec_lo, s0
	v_add_nc_u32_e32 v7, 64, v2
	s_delay_alu instid0(VALU_DEP_1) | instskip(NEXT) | instid1(VALU_DEP_1)
	v_cmp_gt_i32_e64 s6, s22, v7
	s_and_b32 s1, s7, s6
	s_delay_alu instid0(SALU_CYCLE_1)
	s_and_saveexec_b32 s0, s1
	s_cbranch_execz .LBB424_4
; %bb.3:
	global_load_u16 v6, v[3:4], off offset:128
	s_waitcnt vmcnt(0)
	v_cvt_f32_f16_e32 v6, v6
.LBB424_4:
	s_or_b32 exec_lo, exec_lo, s0
	v_add_nc_u32_e32 v7, 0x80, v2
	v_mov_b32_e32 v11, 0xff800000
	s_delay_alu instid0(VALU_DEP_2) | instskip(SKIP_1) | instid1(VALU_DEP_2)
	v_cmp_gt_i32_e64 s5, s22, v7
	v_mov_b32_e32 v7, 0xff800000
	s_and_b32 s1, s7, s5
	s_delay_alu instid0(SALU_CYCLE_1)
	s_and_saveexec_b32 s0, s1
	s_cbranch_execz .LBB424_6
; %bb.5:
	global_load_u16 v8, v[3:4], off offset:256
	s_waitcnt vmcnt(0)
	v_cvt_f32_f16_e32 v11, v8
.LBB424_6:
	s_or_b32 exec_lo, exec_lo, s0
	v_add_nc_u32_e32 v8, 0xc0, v2
	s_delay_alu instid0(VALU_DEP_1) | instskip(NEXT) | instid1(VALU_DEP_1)
	v_cmp_gt_i32_e64 s4, s22, v8
	s_and_b32 s1, s7, s4
	s_delay_alu instid0(SALU_CYCLE_1)
	s_and_saveexec_b32 s0, s1
	s_cbranch_execz .LBB424_8
; %bb.7:
	global_load_u16 v7, v[3:4], off offset:384
	s_waitcnt vmcnt(0)
	v_cvt_f32_f16_e32 v7, v7
.LBB424_8:
	s_or_b32 exec_lo, exec_lo, s0
	v_add_nc_u32_e32 v8, 0x100, v2
	v_mov_b32_e32 v12, 0xff800000
	s_delay_alu instid0(VALU_DEP_2) | instskip(SKIP_1) | instid1(VALU_DEP_2)
	v_cmp_gt_i32_e64 s3, s22, v8
	v_mov_b32_e32 v8, 0xff800000
	s_and_b32 s1, s7, s3
	s_delay_alu instid0(SALU_CYCLE_1)
	s_and_saveexec_b32 s0, s1
	s_cbranch_execz .LBB424_10
; %bb.9:
	global_load_u16 v9, v[3:4], off offset:512
	s_waitcnt vmcnt(0)
	v_cvt_f32_f16_e32 v12, v9
.LBB424_10:
	;; [unrolled: 28-line block ×3, first 2 shown]
	s_or_b32 exec_lo, exec_lo, s0
	v_add_nc_u32_e32 v2, 0x1c0, v2
	s_delay_alu instid0(VALU_DEP_1) | instskip(NEXT) | instid1(VALU_DEP_1)
	v_cmp_gt_i32_e64 s0, s22, v2
	s_and_b32 s8, s7, s0
	s_delay_alu instid0(SALU_CYCLE_1)
	s_and_saveexec_b32 s7, s8
	s_cbranch_execz .LBB424_16
; %bb.15:
	global_load_u16 v2, v[3:4], off offset:896
	s_waitcnt vmcnt(0)
	v_cvt_f32_f16_e32 v9, v2
.LBB424_16:
	s_or_b32 exec_lo, exec_lo, s7
	v_cmp_gt_f32_e64 s7, v10, v6
	v_mbcnt_lo_u32_b32 v3, -1, 0
	s_mov_b32 s8, exec_lo
	s_delay_alu instid0(VALU_DEP_2) | instskip(NEXT) | instid1(VALU_DEP_2)
	v_cndmask_b32_e64 v2, v6, v10, s7
	v_or_b32_e32 v4, 32, v3
	v_xor_b32_e32 v15, 16, v3
	v_xor_b32_e32 v16, 8, v3
	;; [unrolled: 1-line block ×3, first 2 shown]
	v_cmp_gt_f32_e64 s7, v2, v11
	v_xor_b32_e32 v18, 2, v3
	v_xor_b32_e32 v19, 1, v3
	s_delay_alu instid0(VALU_DEP_3) | instskip(NEXT) | instid1(VALU_DEP_1)
	v_cndmask_b32_e64 v2, v11, v2, s7
	v_cmp_gt_f32_e64 s7, v2, v7
	s_delay_alu instid0(VALU_DEP_1) | instskip(NEXT) | instid1(VALU_DEP_1)
	v_cndmask_b32_e64 v2, v7, v2, s7
	v_cmp_gt_f32_e64 s7, v2, v12
	s_delay_alu instid0(VALU_DEP_1) | instskip(NEXT) | instid1(VALU_DEP_1)
	v_cndmask_b32_e64 v2, v12, v2, s7
	v_cmp_gt_f32_e64 s7, v2, v8
	s_delay_alu instid0(VALU_DEP_1) | instskip(SKIP_1) | instid1(VALU_DEP_1)
	v_cndmask_b32_e64 v2, v8, v2, s7
	v_cmp_gt_i32_e64 s7, 64, v4
	v_cndmask_b32_e64 v4, v3, v4, s7
	s_delay_alu instid0(VALU_DEP_3) | instskip(NEXT) | instid1(VALU_DEP_2)
	v_cmp_gt_f32_e64 s7, v2, v13
	v_lshlrev_b32_e32 v14, 2, v4
	s_delay_alu instid0(VALU_DEP_2) | instskip(NEXT) | instid1(VALU_DEP_1)
	v_cndmask_b32_e64 v2, v13, v2, s7
	v_cmp_gt_f32_e64 s7, v2, v9
	s_delay_alu instid0(VALU_DEP_1) | instskip(SKIP_3) | instid1(VALU_DEP_1)
	v_cndmask_b32_e64 v2, v9, v2, s7
	v_cmp_gt_i32_e64 s7, 64, v15
	ds_bpermute_b32 v4, v14, v2
	v_cndmask_b32_e64 v15, v3, v15, s7
	v_lshlrev_b32_e32 v15, 2, v15
	s_waitcnt lgkmcnt(0)
	v_cmp_lt_f32_e64 s7, v2, v4
	s_delay_alu instid0(VALU_DEP_1) | instskip(SKIP_3) | instid1(VALU_DEP_1)
	v_cndmask_b32_e64 v2, v2, v4, s7
	v_cmp_gt_i32_e64 s7, 64, v16
	ds_bpermute_b32 v4, v15, v2
	v_cndmask_b32_e64 v16, v3, v16, s7
	v_lshlrev_b32_e32 v16, 2, v16
	s_waitcnt lgkmcnt(0)
	v_cmp_lt_f32_e64 s7, v2, v4
	;; [unrolled: 8-line block ×5, first 2 shown]
	s_delay_alu instid0(VALU_DEP_1) | instskip(SKIP_3) | instid1(VALU_DEP_1)
	v_cndmask_b32_e64 v2, v2, v4, s7
	ds_bpermute_b32 v3, v19, v2
	s_waitcnt lgkmcnt(0)
	v_cmp_lt_f32_e64 s7, v2, v3
	v_cndmask_b32_e64 v2, v2, v3, s7
	s_delay_alu instid0(VALU_DEP_1) | instskip(SKIP_4) | instid1(VALU_DEP_4)
	v_sub_f32_e32 v12, v12, v2
	v_sub_f32_e32 v3, v10, v2
	;; [unrolled: 1-line block ×5, first 2 shown]
	v_dual_sub_f32 v13, v13, v2 :: v_dual_mul_f32 v8, 0x3fb8aa3b, v3
	v_sub_f32_e32 v6, v11, v2
	v_dual_sub_f32 v2, v9, v2 :: v_dual_mul_f32 v21, 0x3fb8aa3b, v12
	v_mul_f32_e32 v9, 0x3fb8aa3b, v4
	v_mul_f32_e32 v11, 0x3fb8aa3b, v7
	v_fma_f32 v25, 0x3fb8aa3b, v3, -v8
	v_rndne_f32_e32 v26, v8
	v_dual_mul_f32 v10, 0x3fb8aa3b, v6 :: v_dual_mul_f32 v23, 0x3fb8aa3b, v13
	v_fma_f32 v27, 0x3fb8aa3b, v4, -v9
	v_rndne_f32_e32 v28, v9
	v_mul_f32_e32 v24, 0x3fb8aa3b, v2
	v_rndne_f32_e32 v32, v11
	v_dual_fmac_f32 v25, 0x32a5705f, v3 :: v_dual_sub_f32 v8, v8, v26
	v_fma_f32 v29, 0x3fb8aa3b, v6, -v10
	v_rndne_f32_e32 v30, v10
	v_fma_f32 v31, 0x3fb8aa3b, v7, -v11
	v_rndne_f32_e32 v34, v21
	v_mul_f32_e32 v22, 0x3fb8aa3b, v20
	s_delay_alu instid0(VALU_DEP_4)
	v_dual_fmac_f32 v27, 0x32a5705f, v4 :: v_dual_sub_f32 v10, v10, v30
	v_sub_f32_e32 v9, v9, v28
	v_fma_f32 v39, 0x3fb8aa3b, v2, -v24
	v_rndne_f32_e32 v40, v24
	v_dual_sub_f32 v11, v11, v32 :: v_dual_add_f32 v8, v8, v25
	v_fma_f32 v33, 0x3fb8aa3b, v12, -v21
	v_fma_f32 v37, 0x3fb8aa3b, v13, -v23
	v_rndne_f32_e32 v38, v23
	v_dual_fmac_f32 v31, 0x32a5705f, v7 :: v_dual_sub_f32 v24, v24, v40
	v_sub_f32_e32 v21, v21, v34
	v_fma_f32 v35, 0x3fb8aa3b, v20, -v22
	v_rndne_f32_e32 v36, v22
	v_fmac_f32_e32 v29, 0x32a5705f, v6
	v_fmac_f32_e32 v39, 0x32a5705f, v2
	v_add_f32_e32 v9, v9, v27
	v_exp_f32_e32 v8, v8
	v_cvt_i32_f32_e32 v26, v26
	s_delay_alu instid0(VALU_DEP_3) | instskip(SKIP_3) | instid1(VALU_DEP_3)
	v_dual_fmac_f32 v35, 0x32a5705f, v20 :: v_dual_add_f32 v24, v24, v39
	v_sub_f32_e32 v22, v22, v36
	v_dual_fmac_f32 v33, 0x32a5705f, v12 :: v_dual_add_f32 v10, v10, v29
	v_fmac_f32_e32 v37, 0x32a5705f, v13
	v_dual_sub_f32 v23, v23, v38 :: v_dual_add_f32 v22, v22, v35
	v_exp_f32_e32 v9, v9
	v_cvt_i32_f32_e32 v28, v28
	v_exp_f32_e32 v10, v10
	s_delay_alu instid0(VALU_DEP_2)
	v_add_f32_e32 v23, v23, v37
	v_ldexp_f32 v8, v8, v26
	v_cmp_ngt_f32_e64 s7, 0xc2ce8ed0, v3
	v_cvt_i32_f32_e32 v30, v30
	v_add_f32_e32 v11, v11, v31
	v_exp_f32_e32 v23, v23
	v_cvt_i32_f32_e32 v25, v38
	v_ldexp_f32 v9, v9, v28
	v_cndmask_b32_e64 v8, 0, v8, s7
	v_cmp_ngt_f32_e64 s7, 0xc2ce8ed0, v4
	v_exp_f32_e32 v11, v11
	v_ldexp_f32 v10, v10, v30
	v_cvt_i32_f32_e32 v32, v32
	v_add_f32_e32 v21, v21, v33
	v_cndmask_b32_e64 v9, 0, v9, s7
	v_cmp_ngt_f32_e64 s7, 0xc2ce8ed0, v6
	v_ldexp_f32 v23, v23, v25
	v_cvt_i32_f32_e32 v34, v34
	v_exp_f32_e32 v21, v21
	v_exp_f32_e32 v22, v22
	v_cndmask_b32_e64 v25, 0, v10, s7
	v_cmp_nlt_f32_e64 s7, 0x42b17218, v3
	v_ldexp_f32 v26, v11, v32
	v_cvt_i32_f32_e32 v36, v36
	v_exp_f32_e32 v24, v24
	v_cvt_i32_f32_e32 v27, v40
	v_cndmask_b32_e64 v11, 0x7f800000, v8, s7
	v_cmp_nlt_f32_e64 s7, 0x42b17218, v4
	v_ldexp_f32 v21, v21, v34
	v_ldexp_f32 v22, v22, v36
	s_delay_alu instid0(VALU_DEP_3) | instskip(SKIP_1) | instid1(VALU_DEP_2)
	v_cndmask_b32_e64 v10, 0x7f800000, v9, s7
	v_cmp_ngt_f32_e64 s7, 0xc2ce8ed0, v7
	v_add_f32_e32 v4, v11, v10
	s_delay_alu instid0(VALU_DEP_2) | instskip(SKIP_1) | instid1(VALU_DEP_1)
	v_cndmask_b32_e64 v3, 0, v26, s7
	v_cmp_nlt_f32_e64 s7, 0x42b17218, v6
	v_cndmask_b32_e64 v9, 0x7f800000, v25, s7
	v_cmp_ngt_f32_e64 s7, 0xc2ce8ed0, v12
	s_delay_alu instid0(VALU_DEP_1) | instskip(SKIP_1) | instid1(VALU_DEP_1)
	v_cndmask_b32_e64 v6, 0, v21, s7
	v_cmp_nlt_f32_e64 s7, 0x42b17218, v7
	v_cndmask_b32_e64 v8, 0x7f800000, v3, s7
	v_cmp_ngt_f32_e64 s7, 0xc2ce8ed0, v20
	v_add_f32_e32 v3, v4, v9
	s_delay_alu instid0(VALU_DEP_2) | instskip(SKIP_1) | instid1(VALU_DEP_3)
	v_cndmask_b32_e64 v4, 0, v22, s7
	v_cmp_nlt_f32_e64 s7, 0x42b17218, v12
	v_add_f32_e32 v3, v3, v8
	s_delay_alu instid0(VALU_DEP_2) | instskip(SKIP_1) | instid1(VALU_DEP_2)
	v_cndmask_b32_e64 v7, 0x7f800000, v6, s7
	v_cmp_ngt_f32_e64 s7, 0xc2ce8ed0, v13
	v_add_f32_e32 v3, v3, v7
	s_delay_alu instid0(VALU_DEP_2) | instskip(SKIP_2) | instid1(VALU_DEP_2)
	v_cndmask_b32_e64 v12, 0, v23, s7
	v_cmp_nlt_f32_e64 s7, 0x42b17218, v20
	v_ldexp_f32 v20, v24, v27
	v_cndmask_b32_e64 v6, 0x7f800000, v4, s7
	v_cmp_nlt_f32_e64 s7, 0x42b17218, v13
	s_delay_alu instid0(VALU_DEP_2) | instskip(NEXT) | instid1(VALU_DEP_2)
	v_add_f32_e32 v3, v3, v6
	v_cndmask_b32_e64 v4, 0x7f800000, v12, s7
	v_cmp_ngt_f32_e64 s7, 0xc2ce8ed0, v2
	s_delay_alu instid0(VALU_DEP_2) | instskip(NEXT) | instid1(VALU_DEP_2)
	v_add_f32_e32 v3, v3, v4
	v_cndmask_b32_e64 v12, 0, v20, s7
	v_cmp_nlt_f32_e64 s7, 0x42b17218, v2
	s_delay_alu instid0(VALU_DEP_1) | instskip(NEXT) | instid1(VALU_DEP_1)
	v_cndmask_b32_e64 v2, 0x7f800000, v12, s7
	v_add_f32_e32 v3, v3, v2
	ds_bpermute_b32 v12, v14, v3
	s_waitcnt lgkmcnt(0)
	v_add_f32_e32 v3, v3, v12
	ds_bpermute_b32 v12, v15, v3
	s_waitcnt lgkmcnt(0)
	;; [unrolled: 3-line block ×5, first 2 shown]
	v_add_f32_e32 v3, v3, v12
	ds_bpermute_b32 v12, v19, v3
	v_cmpx_lt_i32_e32 0, v5
	s_cbranch_execz .LBB424_42
; %bb.17:
	s_and_b32 exec_lo, exec_lo, vcc_lo
	s_cbranch_execz .LBB424_42
; %bb.18:
	s_waitcnt lgkmcnt(0)
	v_add_f32_e32 v3, v3, v12
	v_mov_b32_e32 v5, 0x7e00
	s_delay_alu instid0(VALU_DEP_2) | instskip(NEXT) | instid1(VALU_DEP_1)
	v_cmp_neq_f32_e64 s7, 0, v3
	s_and_saveexec_b32 s8, s7
	s_cbranch_execz .LBB424_20
; %bb.19:
	v_div_scale_f32 v5, null, v3, v3, v11
	s_delay_alu instid0(VALU_DEP_1) | instskip(SKIP_2) | instid1(VALU_DEP_1)
	v_rcp_f32_e32 v12, v5
	s_waitcnt_depctr 0xfff
	v_fma_f32 v13, -v5, v12, 1.0
	v_fmac_f32_e32 v12, v13, v12
	v_div_scale_f32 v13, vcc_lo, v11, v3, v11
	s_delay_alu instid0(VALU_DEP_1) | instskip(NEXT) | instid1(VALU_DEP_1)
	v_mul_f32_e32 v14, v13, v12
	v_fma_f32 v15, -v5, v14, v13
	s_delay_alu instid0(VALU_DEP_1) | instskip(NEXT) | instid1(VALU_DEP_1)
	v_fmac_f32_e32 v14, v15, v12
	v_fma_f32 v5, -v5, v14, v13
	s_delay_alu instid0(VALU_DEP_1) | instskip(NEXT) | instid1(VALU_DEP_1)
	v_div_fmas_f32 v5, v5, v12, v14
	v_div_fixup_f32 v5, v5, v3, v11
	s_delay_alu instid0(VALU_DEP_1)
	v_cvt_f16_f32_e32 v5, v5
.LBB424_20:
	s_or_b32 exec_lo, exec_lo, s8
	v_add_co_u32 v0, vcc_lo, s16, v0
	v_add_co_ci_u32_e32 v1, vcc_lo, s17, v1, vcc_lo
	global_store_b16 v[0:1], v5, off
	s_and_b32 exec_lo, exec_lo, s6
	s_cbranch_execz .LBB424_42
; %bb.21:
	v_mov_b32_e32 v5, 0x7e00
	s_and_saveexec_b32 s6, s7
	s_cbranch_execz .LBB424_23
; %bb.22:
	v_div_scale_f32 v5, null, v3, v3, v10
	s_delay_alu instid0(VALU_DEP_1) | instskip(SKIP_2) | instid1(VALU_DEP_1)
	v_rcp_f32_e32 v11, v5
	s_waitcnt_depctr 0xfff
	v_fma_f32 v12, -v5, v11, 1.0
	v_fmac_f32_e32 v11, v12, v11
	v_div_scale_f32 v12, vcc_lo, v10, v3, v10
	s_delay_alu instid0(VALU_DEP_1) | instskip(NEXT) | instid1(VALU_DEP_1)
	v_mul_f32_e32 v13, v12, v11
	v_fma_f32 v14, -v5, v13, v12
	s_delay_alu instid0(VALU_DEP_1) | instskip(NEXT) | instid1(VALU_DEP_1)
	v_fmac_f32_e32 v13, v14, v11
	v_fma_f32 v5, -v5, v13, v12
	s_delay_alu instid0(VALU_DEP_1) | instskip(NEXT) | instid1(VALU_DEP_1)
	v_div_fmas_f32 v5, v5, v11, v13
	v_div_fixup_f32 v5, v5, v3, v10
	s_delay_alu instid0(VALU_DEP_1)
	v_cvt_f16_f32_e32 v5, v5
.LBB424_23:
	s_or_b32 exec_lo, exec_lo, s6
	global_store_b16 v[0:1], v5, off offset:128
	s_and_b32 exec_lo, exec_lo, s5
	s_cbranch_execz .LBB424_42
; %bb.24:
	v_mov_b32_e32 v5, 0x7e00
	s_and_saveexec_b32 s5, s7
	s_cbranch_execz .LBB424_26
; %bb.25:
	v_div_scale_f32 v5, null, v3, v3, v9
	s_delay_alu instid0(VALU_DEP_1) | instskip(SKIP_2) | instid1(VALU_DEP_1)
	v_rcp_f32_e32 v10, v5
	s_waitcnt_depctr 0xfff
	v_fma_f32 v11, -v5, v10, 1.0
	v_fmac_f32_e32 v10, v11, v10
	v_div_scale_f32 v11, vcc_lo, v9, v3, v9
	s_delay_alu instid0(VALU_DEP_1) | instskip(NEXT) | instid1(VALU_DEP_1)
	v_mul_f32_e32 v12, v11, v10
	v_fma_f32 v13, -v5, v12, v11
	s_delay_alu instid0(VALU_DEP_1) | instskip(NEXT) | instid1(VALU_DEP_1)
	v_fmac_f32_e32 v12, v13, v10
	v_fma_f32 v5, -v5, v12, v11
	s_delay_alu instid0(VALU_DEP_1) | instskip(NEXT) | instid1(VALU_DEP_1)
	v_div_fmas_f32 v5, v5, v10, v12
	v_div_fixup_f32 v5, v5, v3, v9
	s_delay_alu instid0(VALU_DEP_1)
	v_cvt_f16_f32_e32 v5, v5
.LBB424_26:
	s_or_b32 exec_lo, exec_lo, s5
	global_store_b16 v[0:1], v5, off offset:256
	;; [unrolled: 28-line block ×7, first 2 shown]
.LBB424_42:
	s_nop 0
	s_sendmsg sendmsg(MSG_DEALLOC_VGPRS)
	s_endpgm
	.section	.rodata,"a",@progbits
	.p2align	6, 0x0
	.amdhsa_kernel _ZN12_GLOBAL__N_120softmax_warp_forwardIN3c104HalfES2_fLi9ELb0ELb0ELi64EEEvPT0_PKT_iiiPKbib
		.amdhsa_group_segment_fixed_size 0
		.amdhsa_private_segment_fixed_size 0
		.amdhsa_kernarg_size 304
		.amdhsa_user_sgpr_count 15
		.amdhsa_user_sgpr_dispatch_ptr 0
		.amdhsa_user_sgpr_queue_ptr 0
		.amdhsa_user_sgpr_kernarg_segment_ptr 1
		.amdhsa_user_sgpr_dispatch_id 0
		.amdhsa_user_sgpr_private_segment_size 0
		.amdhsa_wavefront_size32 1
		.amdhsa_uses_dynamic_stack 0
		.amdhsa_enable_private_segment 0
		.amdhsa_system_sgpr_workgroup_id_x 1
		.amdhsa_system_sgpr_workgroup_id_y 0
		.amdhsa_system_sgpr_workgroup_id_z 0
		.amdhsa_system_sgpr_workgroup_info 0
		.amdhsa_system_vgpr_workitem_id 1
		.amdhsa_next_free_vgpr 41
		.amdhsa_next_free_sgpr 24
		.amdhsa_reserve_vcc 1
		.amdhsa_float_round_mode_32 0
		.amdhsa_float_round_mode_16_64 0
		.amdhsa_float_denorm_mode_32 3
		.amdhsa_float_denorm_mode_16_64 3
		.amdhsa_dx10_clamp 1
		.amdhsa_ieee_mode 1
		.amdhsa_fp16_overflow 0
		.amdhsa_workgroup_processor_mode 1
		.amdhsa_memory_ordered 1
		.amdhsa_forward_progress 0
		.amdhsa_shared_vgpr_count 0
		.amdhsa_exception_fp_ieee_invalid_op 0
		.amdhsa_exception_fp_denorm_src 0
		.amdhsa_exception_fp_ieee_div_zero 0
		.amdhsa_exception_fp_ieee_overflow 0
		.amdhsa_exception_fp_ieee_underflow 0
		.amdhsa_exception_fp_ieee_inexact 0
		.amdhsa_exception_int_div_zero 0
	.end_amdhsa_kernel
	.section	.text._ZN12_GLOBAL__N_120softmax_warp_forwardIN3c104HalfES2_fLi9ELb0ELb0ELi64EEEvPT0_PKT_iiiPKbib,"axG",@progbits,_ZN12_GLOBAL__N_120softmax_warp_forwardIN3c104HalfES2_fLi9ELb0ELb0ELi64EEEvPT0_PKT_iiiPKbib,comdat
.Lfunc_end424:
	.size	_ZN12_GLOBAL__N_120softmax_warp_forwardIN3c104HalfES2_fLi9ELb0ELb0ELi64EEEvPT0_PKT_iiiPKbib, .Lfunc_end424-_ZN12_GLOBAL__N_120softmax_warp_forwardIN3c104HalfES2_fLi9ELb0ELb0ELi64EEEvPT0_PKT_iiiPKbib
                                        ; -- End function
	.section	.AMDGPU.csdata,"",@progbits
; Kernel info:
; codeLenInByte = 3232
; NumSgprs: 26
; NumVgprs: 41
; ScratchSize: 0
; MemoryBound: 0
; FloatMode: 240
; IeeeMode: 1
; LDSByteSize: 0 bytes/workgroup (compile time only)
; SGPRBlocks: 3
; VGPRBlocks: 5
; NumSGPRsForWavesPerEU: 26
; NumVGPRsForWavesPerEU: 41
; Occupancy: 16
; WaveLimiterHint : 0
; COMPUTE_PGM_RSRC2:SCRATCH_EN: 0
; COMPUTE_PGM_RSRC2:USER_SGPR: 15
; COMPUTE_PGM_RSRC2:TRAP_HANDLER: 0
; COMPUTE_PGM_RSRC2:TGID_X_EN: 1
; COMPUTE_PGM_RSRC2:TGID_Y_EN: 0
; COMPUTE_PGM_RSRC2:TGID_Z_EN: 0
; COMPUTE_PGM_RSRC2:TIDIG_COMP_CNT: 1
	.section	.text._ZN12_GLOBAL__N_120softmax_warp_forwardIN3c104HalfES2_fLi9ELb0ELb0ELi32EEEvPT0_PKT_iiiPKbib,"axG",@progbits,_ZN12_GLOBAL__N_120softmax_warp_forwardIN3c104HalfES2_fLi9ELb0ELb0ELi32EEEvPT0_PKT_iiiPKbib,comdat
	.globl	_ZN12_GLOBAL__N_120softmax_warp_forwardIN3c104HalfES2_fLi9ELb0ELb0ELi32EEEvPT0_PKT_iiiPKbib ; -- Begin function _ZN12_GLOBAL__N_120softmax_warp_forwardIN3c104HalfES2_fLi9ELb0ELb0ELi32EEEvPT0_PKT_iiiPKbib
	.p2align	8
	.type	_ZN12_GLOBAL__N_120softmax_warp_forwardIN3c104HalfES2_fLi9ELb0ELb0ELi32EEEvPT0_PKT_iiiPKbib,@function
_ZN12_GLOBAL__N_120softmax_warp_forwardIN3c104HalfES2_fLi9ELb0ELb0ELi32EEEvPT0_PKT_iiiPKbib: ; @_ZN12_GLOBAL__N_120softmax_warp_forwardIN3c104HalfES2_fLi9ELb0ELb0ELi32EEEvPT0_PKT_iiiPKbib
; %bb.0:
	s_clause 0x1
	s_load_b32 s2, s[0:1], 0x3c
	s_load_b256 s[16:23], s[0:1], 0x0
	v_bfe_u32 v1, v0, 10, 10
	v_mov_b32_e32 v6, 0xff800000
	v_mov_b32_e32 v18, 0xff800000
	s_waitcnt lgkmcnt(0)
	s_lshr_b32 s0, s2, 16
	s_delay_alu instid0(SALU_CYCLE_1) | instskip(SKIP_1) | instid1(VALU_DEP_1)
	v_mad_u64_u32 v[3:4], null, s15, s0, v[1:2]
	v_and_b32_e32 v2, 0x3ff, v0
	v_cmp_gt_i32_e32 vcc_lo, s22, v2
	s_delay_alu instid0(VALU_DEP_3) | instskip(SKIP_1) | instid1(VALU_DEP_1)
	v_mad_u64_u32 v[0:1], null, v3, s21, v[2:3]
	v_sub_nc_u32_e32 v5, s20, v3
	v_cmp_lt_i32_e64 s15, 0, v5
	s_delay_alu instid0(VALU_DEP_3) | instskip(NEXT) | instid1(VALU_DEP_2)
	v_ashrrev_i32_e32 v1, 31, v0
	s_and_b32 s1, s15, vcc_lo
	s_delay_alu instid0(VALU_DEP_1) | instskip(NEXT) | instid1(VALU_DEP_1)
	v_lshlrev_b64 v[0:1], 1, v[0:1]
	v_add_co_u32 v3, s0, s18, v0
	s_delay_alu instid0(VALU_DEP_1)
	v_add_co_ci_u32_e64 v4, s0, s19, v1, s0
	s_and_saveexec_b32 s0, s1
	s_cbranch_execz .LBB425_2
; %bb.1:
	global_load_u16 v7, v[3:4], off
	s_waitcnt vmcnt(0)
	v_cvt_f32_f16_e32 v18, v7
.LBB425_2:
	s_or_b32 exec_lo, exec_lo, s0
	v_add_nc_u32_e32 v7, 32, v2
	s_delay_alu instid0(VALU_DEP_1) | instskip(NEXT) | instid1(VALU_DEP_1)
	v_cmp_gt_i32_e64 s14, s22, v7
	s_and_b32 s1, s15, s14
	s_delay_alu instid0(SALU_CYCLE_1)
	s_and_saveexec_b32 s0, s1
	s_cbranch_execz .LBB425_4
; %bb.3:
	global_load_u16 v6, v[3:4], off offset:64
	s_waitcnt vmcnt(0)
	v_cvt_f32_f16_e32 v6, v6
.LBB425_4:
	s_or_b32 exec_lo, exec_lo, s0
	v_dual_mov_b32 v10, 0xff800000 :: v_dual_add_nc_u32 v7, 64, v2
	v_mov_b32_e32 v19, 0xff800000
	s_delay_alu instid0(VALU_DEP_2) | instskip(NEXT) | instid1(VALU_DEP_1)
	v_cmp_gt_i32_e64 s13, s22, v7
	s_and_b32 s1, s15, s13
	s_delay_alu instid0(SALU_CYCLE_1)
	s_and_saveexec_b32 s0, s1
	s_cbranch_execz .LBB425_6
; %bb.5:
	global_load_u16 v7, v[3:4], off offset:128
	s_waitcnt vmcnt(0)
	v_cvt_f32_f16_e32 v19, v7
.LBB425_6:
	s_or_b32 exec_lo, exec_lo, s0
	v_add_nc_u32_e32 v7, 0x60, v2
	s_delay_alu instid0(VALU_DEP_1) | instskip(NEXT) | instid1(VALU_DEP_1)
	v_cmp_gt_i32_e64 s12, s22, v7
	s_and_b32 s1, s15, s12
	s_delay_alu instid0(SALU_CYCLE_1)
	s_and_saveexec_b32 s0, s1
	s_cbranch_execz .LBB425_8
; %bb.7:
	global_load_u16 v7, v[3:4], off offset:192
	s_waitcnt vmcnt(0)
	v_cvt_f32_f16_e32 v10, v7
.LBB425_8:
	s_or_b32 exec_lo, exec_lo, s0
	v_add_nc_u32_e32 v7, 0x80, v2
	v_mov_b32_e32 v12, 0xff800000
	v_mov_b32_e32 v20, 0xff800000
	s_delay_alu instid0(VALU_DEP_3) | instskip(NEXT) | instid1(VALU_DEP_1)
	v_cmp_gt_i32_e64 s11, s22, v7
	s_and_b32 s1, s15, s11
	s_delay_alu instid0(SALU_CYCLE_1)
	s_and_saveexec_b32 s0, s1
	s_cbranch_execz .LBB425_10
; %bb.9:
	global_load_u16 v7, v[3:4], off offset:256
	s_waitcnt vmcnt(0)
	v_cvt_f32_f16_e32 v20, v7
.LBB425_10:
	s_or_b32 exec_lo, exec_lo, s0
	v_add_nc_u32_e32 v7, 0xa0, v2
	s_delay_alu instid0(VALU_DEP_1) | instskip(NEXT) | instid1(VALU_DEP_1)
	v_cmp_gt_i32_e64 s10, s22, v7
	s_and_b32 s1, s15, s10
	s_delay_alu instid0(SALU_CYCLE_1)
	s_and_saveexec_b32 s0, s1
	s_cbranch_execz .LBB425_12
; %bb.11:
	global_load_u16 v7, v[3:4], off offset:320
	s_waitcnt vmcnt(0)
	v_cvt_f32_f16_e32 v12, v7
.LBB425_12:
	s_or_b32 exec_lo, exec_lo, s0
	v_add_nc_u32_e32 v7, 0xc0, v2
	v_mov_b32_e32 v13, 0xff800000
	v_mov_b32_e32 v21, 0xff800000
	s_delay_alu instid0(VALU_DEP_3) | instskip(NEXT) | instid1(VALU_DEP_1)
	;; [unrolled: 28-line block ×6, first 2 shown]
	v_cmp_gt_i32_e64 s1, s22, v7
	s_and_b32 s18, s15, s1
	s_delay_alu instid0(SALU_CYCLE_1)
	s_and_saveexec_b32 s0, s18
	s_cbranch_execz .LBB425_30
; %bb.29:
	global_load_u16 v7, v[3:4], off offset:896
	s_waitcnt vmcnt(0)
	v_cvt_f32_f16_e32 v25, v7
.LBB425_30:
	s_or_b32 exec_lo, exec_lo, s0
	v_add_nc_u32_e32 v2, 0x1e0, v2
	s_delay_alu instid0(VALU_DEP_1) | instskip(NEXT) | instid1(VALU_DEP_1)
	v_cmp_gt_i32_e64 s0, s22, v2
	s_and_b32 s18, s15, s0
	s_delay_alu instid0(SALU_CYCLE_1)
	s_and_saveexec_b32 s15, s18
	s_cbranch_execz .LBB425_32
; %bb.31:
	global_load_u16 v2, v[3:4], off offset:960
	s_waitcnt vmcnt(0)
	v_cvt_f32_f16_e32 v17, v2
.LBB425_32:
	s_or_b32 exec_lo, exec_lo, s15
	v_cmp_gt_f32_e64 s15, v18, v6
	v_mbcnt_lo_u32_b32 v4, -1, 0
	s_mov_b32 s18, exec_lo
	s_delay_alu instid0(VALU_DEP_2) | instskip(NEXT) | instid1(VALU_DEP_2)
	v_cndmask_b32_e64 v2, v6, v18, s15
	v_xor_b32_e32 v3, 16, v4
	v_xor_b32_e32 v7, 8, v4
	s_delay_alu instid0(VALU_DEP_3) | instskip(NEXT) | instid1(VALU_DEP_1)
	v_cmp_gt_f32_e64 s15, v2, v19
	v_cndmask_b32_e64 v2, v19, v2, s15
	s_delay_alu instid0(VALU_DEP_1) | instskip(NEXT) | instid1(VALU_DEP_1)
	v_cmp_gt_f32_e64 s15, v2, v10
	v_cndmask_b32_e64 v2, v10, v2, s15
	s_delay_alu instid0(VALU_DEP_1) | instskip(NEXT) | instid1(VALU_DEP_1)
	v_cmp_gt_f32_e64 s15, v2, v20
	v_cndmask_b32_e64 v2, v20, v2, s15
	s_delay_alu instid0(VALU_DEP_1) | instskip(NEXT) | instid1(VALU_DEP_1)
	v_cmp_gt_f32_e64 s15, v2, v12
	v_cndmask_b32_e64 v2, v12, v2, s15
	s_delay_alu instid0(VALU_DEP_1) | instskip(NEXT) | instid1(VALU_DEP_1)
	v_cmp_gt_f32_e64 s15, v2, v21
	v_cndmask_b32_e64 v2, v21, v2, s15
	s_delay_alu instid0(VALU_DEP_1) | instskip(NEXT) | instid1(VALU_DEP_1)
	v_cmp_gt_f32_e64 s15, v2, v13
	v_cndmask_b32_e64 v2, v13, v2, s15
	s_delay_alu instid0(VALU_DEP_1) | instskip(NEXT) | instid1(VALU_DEP_1)
	v_cmp_gt_f32_e64 s15, v2, v22
	v_cndmask_b32_e64 v2, v22, v2, s15
	s_delay_alu instid0(VALU_DEP_1) | instskip(NEXT) | instid1(VALU_DEP_1)
	v_cmp_gt_f32_e64 s15, v2, v14
	v_cndmask_b32_e64 v2, v14, v2, s15
	s_delay_alu instid0(VALU_DEP_1) | instskip(NEXT) | instid1(VALU_DEP_1)
	v_cmp_gt_f32_e64 s15, v2, v23
	v_cndmask_b32_e64 v2, v23, v2, s15
	s_delay_alu instid0(VALU_DEP_1) | instskip(NEXT) | instid1(VALU_DEP_1)
	v_cmp_gt_f32_e64 s15, v2, v15
	v_cndmask_b32_e64 v2, v15, v2, s15
	s_delay_alu instid0(VALU_DEP_1) | instskip(NEXT) | instid1(VALU_DEP_1)
	v_cmp_gt_f32_e64 s15, v2, v24
	v_cndmask_b32_e64 v2, v24, v2, s15
	s_delay_alu instid0(VALU_DEP_1) | instskip(NEXT) | instid1(VALU_DEP_1)
	v_cmp_gt_f32_e64 s15, v2, v16
	v_cndmask_b32_e64 v2, v16, v2, s15
	v_cmp_gt_i32_e64 s15, 32, v3
	s_delay_alu instid0(VALU_DEP_1) | instskip(NEXT) | instid1(VALU_DEP_3)
	v_cndmask_b32_e64 v3, v4, v3, s15
	v_cmp_gt_f32_e64 s15, v2, v25
	s_delay_alu instid0(VALU_DEP_2) | instskip(NEXT) | instid1(VALU_DEP_2)
	v_lshlrev_b32_e32 v3, 2, v3
	v_cndmask_b32_e64 v2, v25, v2, s15
	s_delay_alu instid0(VALU_DEP_1) | instskip(NEXT) | instid1(VALU_DEP_1)
	v_cmp_gt_f32_e64 s15, v2, v17
	v_cndmask_b32_e64 v2, v17, v2, s15
	v_cmp_gt_i32_e64 s15, 32, v7
	ds_bpermute_b32 v8, v3, v2
	v_cndmask_b32_e64 v7, v4, v7, s15
	s_delay_alu instid0(VALU_DEP_1) | instskip(SKIP_2) | instid1(VALU_DEP_1)
	v_lshlrev_b32_e32 v7, 2, v7
	s_waitcnt lgkmcnt(0)
	v_cmp_lt_f32_e64 s15, v2, v8
	v_cndmask_b32_e64 v2, v2, v8, s15
	v_xor_b32_e32 v8, 4, v4
	ds_bpermute_b32 v9, v7, v2
	v_cmp_gt_i32_e64 s15, 32, v8
	s_delay_alu instid0(VALU_DEP_1) | instskip(NEXT) | instid1(VALU_DEP_1)
	v_cndmask_b32_e64 v8, v4, v8, s15
	v_lshlrev_b32_e32 v8, 2, v8
	s_waitcnt lgkmcnt(0)
	v_cmp_lt_f32_e64 s15, v2, v9
	s_delay_alu instid0(VALU_DEP_1) | instskip(SKIP_3) | instid1(VALU_DEP_1)
	v_cndmask_b32_e64 v2, v2, v9, s15
	v_xor_b32_e32 v9, 2, v4
	ds_bpermute_b32 v11, v8, v2
	v_cmp_gt_i32_e64 s15, 32, v9
	v_cndmask_b32_e64 v9, v4, v9, s15
	s_delay_alu instid0(VALU_DEP_1) | instskip(SKIP_2) | instid1(VALU_DEP_1)
	v_lshlrev_b32_e32 v9, 2, v9
	s_waitcnt lgkmcnt(0)
	v_cmp_lt_f32_e64 s15, v2, v11
	v_cndmask_b32_e64 v2, v2, v11, s15
	v_xor_b32_e32 v11, 1, v4
	ds_bpermute_b32 v26, v9, v2
	v_cmp_gt_i32_e64 s15, 32, v11
	s_delay_alu instid0(VALU_DEP_1) | instskip(NEXT) | instid1(VALU_DEP_1)
	v_cndmask_b32_e64 v4, v4, v11, s15
	v_lshlrev_b32_e32 v11, 2, v4
	s_waitcnt lgkmcnt(0)
	v_cmp_lt_f32_e64 s15, v2, v26
	s_delay_alu instid0(VALU_DEP_1) | instskip(SKIP_3) | instid1(VALU_DEP_1)
	v_cndmask_b32_e64 v2, v2, v26, s15
	ds_bpermute_b32 v4, v11, v2
	s_waitcnt lgkmcnt(0)
	v_cmp_lt_f32_e64 s15, v2, v4
	v_cndmask_b32_e64 v4, v2, v4, s15
	s_delay_alu instid0(VALU_DEP_1)
	v_sub_f32_e32 v6, v6, v4
	v_sub_f32_e32 v2, v18, v4
	;; [unrolled: 1-line block ×5, first 2 shown]
	v_dual_mul_f32 v15, 0x3fb8aa3b, v6 :: v_dual_sub_f32 v14, v14, v4
	v_sub_f32_e32 v25, v25, v4
	v_sub_f32_e32 v31, v17, v4
	;; [unrolled: 1-line block ×3, first 2 shown]
	s_delay_alu instid0(VALU_DEP_4)
	v_rndne_f32_e32 v43, v15
	v_sub_f32_e32 v30, v16, v4
	v_dual_mul_f32 v16, 0x3fb8aa3b, v18 :: v_dual_sub_f32 v13, v13, v4
	v_mul_f32_e32 v20, 0x3fb8aa3b, v19
	v_dual_sub_f32 v10, v10, v4 :: v_dual_mul_f32 v35, 0x3fb8aa3b, v29
	v_dual_sub_f32 v26, v21, v4 :: v_dual_mul_f32 v33, 0x3fb8aa3b, v14
	v_sub_f32_e32 v27, v22, v4
	v_fma_f32 v42, 0x3fb8aa3b, v6, -v15
	s_delay_alu instid0(VALU_DEP_3)
	v_dual_sub_f32 v15, v15, v43 :: v_dual_mul_f32 v22, 0x3fb8aa3b, v26
	v_dual_sub_f32 v28, v23, v4 :: v_dual_mul_f32 v37, 0x3fb8aa3b, v30
	v_dual_mul_f32 v23, 0x3fb8aa3b, v13 :: v_dual_sub_f32 v12, v12, v4
	v_mul_f32_e32 v17, 0x3fb8aa3b, v10
	v_mul_f32_e32 v4, 0x3fb8aa3b, v2
	v_fma_f32 v44, 0x3fb8aa3b, v18, -v16
	v_rndne_f32_e32 v45, v16
	v_fma_f32 v48, 0x3fb8aa3b, v19, -v20
	v_rndne_f32_e32 v55, v23
	;; [unrolled: 2-line block ×3, first 2 shown]
	v_mul_f32_e32 v21, 0x3fb8aa3b, v12
	v_fmac_f32_e32 v42, 0x32a5705f, v6
	v_fma_f32 v54, 0x3fb8aa3b, v13, -v23
	v_dual_sub_f32 v23, v23, v55 :: v_dual_fmac_f32 v40, 0x32a5705f, v2
	v_sub_f32_e32 v4, v4, v41
	v_rndne_f32_e32 v59, v33
	v_rndne_f32_e32 v63, v35
	v_fmac_f32_e32 v44, 0x32a5705f, v18
	v_sub_f32_e32 v16, v16, v45
	v_add_f32_e32 v4, v4, v40
	v_dual_fmac_f32 v48, 0x32a5705f, v19 :: v_dual_add_f32 v15, v15, v42
	v_mul_f32_e32 v32, 0x3fb8aa3b, v27
	v_fma_f32 v46, 0x3fb8aa3b, v10, -v17
	s_delay_alu instid0(VALU_DEP_4)
	v_exp_f32_e32 v4, v4
	v_rndne_f32_e32 v47, v17
	v_fma_f32 v58, 0x3fb8aa3b, v14, -v33
	v_fma_f32 v62, 0x3fb8aa3b, v29, -v35
	v_cvt_i32_f32_e32 v41, v41
	v_sub_f32_e32 v33, v33, v59
	v_dual_sub_f32 v35, v35, v63 :: v_dual_add_f32 v16, v16, v44
	v_exp_f32_e32 v15, v15
	v_dual_mul_f32 v34, 0x3fb8aa3b, v28 :: v_dual_sub_f32 v17, v17, v47
	v_fma_f32 v50, 0x3fb8aa3b, v12, -v21
	v_rndne_f32_e32 v51, v21
	v_fma_f32 v52, 0x3fb8aa3b, v26, -v22
	v_rndne_f32_e32 v53, v22
	;; [unrolled: 2-line block ×3, first 2 shown]
	v_cvt_i32_f32_e32 v43, v43
	v_fmac_f32_e32 v46, 0x32a5705f, v10
	v_fmac_f32_e32 v58, 0x32a5705f, v14
	;; [unrolled: 1-line block ×3, first 2 shown]
	v_exp_f32_e32 v16, v16
	v_ldexp_f32 v4, v4, v41
	v_cmp_ngt_f32_e64 s15, 0xc2ce8ed0, v2
	v_dual_add_f32 v33, v33, v58 :: v_dual_mul_f32 v38, 0x3fb8aa3b, v25
	v_dual_mul_f32 v39, 0x3fb8aa3b, v31 :: v_dual_mul_f32 v36, 0x3fb8aa3b, v24
	v_sub_f32_e32 v21, v21, v51
	v_fma_f32 v66, 0x3fb8aa3b, v30, -v37
	v_cvt_i32_f32_e32 v45, v45
	v_fmac_f32_e32 v52, 0x32a5705f, v26
	v_dual_fmac_f32 v56, 0x32a5705f, v27 :: v_dual_add_f32 v23, v23, v54
	v_dual_sub_f32 v37, v37, v67 :: v_dual_fmac_f32 v50, 0x32a5705f, v12
	v_dual_add_f32 v17, v17, v46 :: v_dual_sub_f32 v22, v22, v53
	v_ldexp_f32 v15, v15, v43
	v_cndmask_b32_e64 v4, 0, v4, s15
	s_delay_alu instid0(VALU_DEP_4)
	v_add_f32_e32 v21, v21, v50
	v_cmp_ngt_f32_e64 s15, 0xc2ce8ed0, v6
	v_rndne_f32_e32 v49, v20
	v_add_f32_e32 v22, v22, v52
	v_exp_f32_e32 v23, v23
	v_ldexp_f32 v16, v16, v45
	v_cndmask_b32_e64 v15, 0, v15, s15
	v_cmp_ngt_f32_e64 s15, 0xc2ce8ed0, v18
	v_rndne_f32_e32 v71, v39
	v_sub_f32_e32 v20, v20, v49
	v_cvt_i32_f32_e32 v55, v55
	v_exp_f32_e32 v17, v17
	v_exp_f32_e32 v22, v22
	v_cndmask_b32_e64 v16, 0, v16, s15
	v_cmp_nlt_f32_e64 s15, 0x42b17218, v2
	v_fma_f32 v70, 0x3fb8aa3b, v31, -v39
	v_sub_f32_e32 v39, v39, v71
	v_cvt_i32_f32_e32 v47, v47
	v_cvt_i32_f32_e32 v53, v53
	v_add_f32_e32 v20, v20, v48
	v_ldexp_f32 v42, v23, v55
	v_cndmask_b32_e64 v23, 0x7f800000, v4, s15
	v_cmp_nlt_f32_e64 s15, 0x42b17218, v6
	v_exp_f32_e32 v21, v21
	v_exp_f32_e32 v20, v20
	v_ldexp_f32 v17, v17, v47
	v_ldexp_f32 v41, v22, v53
	v_cndmask_b32_e64 v22, 0x7f800000, v15, s15
	v_cmp_ngt_f32_e64 s15, 0xc2ce8ed0, v10
	v_cvt_i32_f32_e32 v49, v49
	v_cvt_i32_f32_e32 v51, v51
	v_rndne_f32_e32 v57, v32
	v_add_f32_e32 v4, v23, v22
	v_cndmask_b32_e64 v2, 0, v17, s15
	v_cmp_nlt_f32_e64 s15, 0x42b17218, v18
	v_ldexp_f32 v20, v20, v49
	v_ldexp_f32 v40, v21, v51
	v_fmac_f32_e32 v62, 0x32a5705f, v29
	v_sub_f32_e32 v32, v32, v57
	v_cndmask_b32_e64 v21, 0x7f800000, v16, s15
	v_cmp_ngt_f32_e64 s15, 0xc2ce8ed0, v19
	v_fma_f32 v60, 0x3fb8aa3b, v28, -v34
	s_delay_alu instid0(VALU_DEP_4) | instskip(SKIP_1) | instid1(VALU_DEP_4)
	v_dual_add_f32 v35, v35, v62 :: v_dual_add_f32 v32, v32, v56
	v_rndne_f32_e32 v61, v34
	v_cndmask_b32_e64 v6, 0, v20, s15
	v_cmp_nlt_f32_e64 s15, 0x42b17218, v10
	v_cvt_i32_f32_e32 v57, v57
	v_exp_f32_e32 v32, v32
	v_fmac_f32_e32 v66, 0x32a5705f, v30
	v_fmac_f32_e32 v60, 0x32a5705f, v28
	v_cndmask_b32_e64 v20, 0x7f800000, v2, s15
	v_cmp_ngt_f32_e64 s15, 0xc2ce8ed0, v12
	s_delay_alu instid0(VALU_DEP_4) | instskip(SKIP_2) | instid1(VALU_DEP_4)
	v_dual_add_f32 v2, v4, v21 :: v_dual_add_f32 v37, v37, v66
	v_fmac_f32_e32 v70, 0x32a5705f, v31
	v_sub_f32_e32 v34, v34, v61
	v_cndmask_b32_e64 v4, 0, v40, s15
	v_cmp_nlt_f32_e64 s15, 0x42b17218, v19
	v_exp_f32_e32 v33, v33
	v_add_f32_e32 v39, v39, v70
	v_ldexp_f32 v32, v32, v57
	v_cvt_i32_f32_e32 v59, v59
	v_cndmask_b32_e64 v19, 0x7f800000, v6, s15
	v_cmp_ngt_f32_e64 s15, 0xc2ce8ed0, v26
	v_add_f32_e32 v34, v34, v60
	v_fma_f32 v64, 0x3fb8aa3b, v24, -v36
	v_rndne_f32_e32 v65, v36
	v_cvt_i32_f32_e32 v61, v61
	v_cndmask_b32_e64 v6, 0, v41, s15
	v_cmp_nlt_f32_e64 s15, 0x42b17218, v12
	v_exp_f32_e32 v34, v34
	v_ldexp_f32 v33, v33, v59
	v_fmac_f32_e32 v64, 0x32a5705f, v24
	v_sub_f32_e32 v36, v36, v65
	v_cndmask_b32_e64 v18, 0x7f800000, v4, s15
	v_cmp_ngt_f32_e64 s15, 0xc2ce8ed0, v13
	v_exp_f32_e32 v35, v35
	v_cvt_i32_f32_e32 v63, v63
	v_add_f32_e32 v36, v36, v64
	v_add_f32_e32 v2, v2, v20
	v_cndmask_b32_e64 v4, 0, v42, s15
	v_cmp_nlt_f32_e64 s15, 0x42b17218, v26
	v_ldexp_f32 v34, v34, v61
	v_exp_f32_e32 v36, v36
	v_fma_f32 v68, 0x3fb8aa3b, v25, -v38
	v_rndne_f32_e32 v69, v38
	v_cndmask_b32_e64 v17, 0x7f800000, v6, s15
	v_cmp_ngt_f32_e64 s15, 0xc2ce8ed0, v27
	v_ldexp_f32 v35, v35, v63
	v_cvt_i32_f32_e32 v65, v65
	v_add_f32_e32 v2, v2, v19
	v_fmac_f32_e32 v68, 0x32a5705f, v25
	v_cndmask_b32_e64 v6, 0, v32, s15
	v_cmp_nlt_f32_e64 s15, 0x42b17218, v13
	v_sub_f32_e32 v38, v38, v69
	v_exp_f32_e32 v37, v37
	v_ldexp_f32 v36, v36, v65
	v_add_f32_e32 v2, v2, v18
	v_cndmask_b32_e64 v16, 0x7f800000, v4, s15
	v_cmp_ngt_f32_e64 s15, 0xc2ce8ed0, v14
	v_cvt_i32_f32_e32 v67, v67
	v_add_f32_e32 v38, v38, v68
	v_add_f32_e32 v2, v2, v17
	v_cvt_i32_f32_e32 v69, v69
	v_cndmask_b32_e64 v4, 0, v33, s15
	v_cmp_nlt_f32_e64 s15, 0x42b17218, v27
	v_exp_f32_e32 v38, v38
	v_ldexp_f32 v37, v37, v67
	v_add_f32_e32 v2, v2, v16
	v_exp_f32_e32 v39, v39
	v_cndmask_b32_e64 v15, 0x7f800000, v6, s15
	v_cmp_ngt_f32_e64 s15, 0xc2ce8ed0, v28
	v_cvt_i32_f32_e32 v71, v71
	s_delay_alu instid0(VALU_DEP_3) | instskip(NEXT) | instid1(VALU_DEP_3)
	v_add_f32_e32 v2, v2, v15
	v_cndmask_b32_e64 v6, 0, v34, s15
	v_cmp_nlt_f32_e64 s15, 0x42b17218, v14
	v_ldexp_f32 v38, v38, v69
	s_delay_alu instid0(TRANS32_DEP_1) | instskip(NEXT) | instid1(VALU_DEP_3)
	v_ldexp_f32 v26, v39, v71
	v_cndmask_b32_e64 v14, 0x7f800000, v4, s15
	v_cmp_ngt_f32_e64 s15, 0xc2ce8ed0, v29
	s_delay_alu instid0(VALU_DEP_2) | instskip(NEXT) | instid1(VALU_DEP_2)
	v_add_f32_e32 v2, v2, v14
	v_cndmask_b32_e64 v4, 0, v35, s15
	v_cmp_nlt_f32_e64 s15, 0x42b17218, v28
	s_delay_alu instid0(VALU_DEP_1) | instskip(SKIP_1) | instid1(VALU_DEP_2)
	v_cndmask_b32_e64 v13, 0x7f800000, v6, s15
	v_cmp_ngt_f32_e64 s15, 0xc2ce8ed0, v24
	v_add_f32_e32 v2, v2, v13
	s_delay_alu instid0(VALU_DEP_2) | instskip(SKIP_1) | instid1(VALU_DEP_1)
	v_cndmask_b32_e64 v6, 0, v36, s15
	v_cmp_nlt_f32_e64 s15, 0x42b17218, v29
	v_cndmask_b32_e64 v12, 0x7f800000, v4, s15
	v_cmp_ngt_f32_e64 s15, 0xc2ce8ed0, v30
	s_delay_alu instid0(VALU_DEP_2) | instskip(NEXT) | instid1(VALU_DEP_2)
	v_add_f32_e32 v2, v2, v12
	v_cndmask_b32_e64 v4, 0, v37, s15
	v_cmp_nlt_f32_e64 s15, 0x42b17218, v24
	s_delay_alu instid0(VALU_DEP_1) | instskip(SKIP_1) | instid1(VALU_DEP_2)
	v_cndmask_b32_e64 v10, 0x7f800000, v6, s15
	v_cmp_ngt_f32_e64 s15, 0xc2ce8ed0, v25
	v_add_f32_e32 v2, v2, v10
	s_delay_alu instid0(VALU_DEP_2) | instskip(SKIP_1) | instid1(VALU_DEP_1)
	v_cndmask_b32_e64 v24, 0, v38, s15
	v_cmp_nlt_f32_e64 s15, 0x42b17218, v30
	v_cndmask_b32_e64 v6, 0x7f800000, v4, s15
	v_cmp_nlt_f32_e64 s15, 0x42b17218, v25
	s_delay_alu instid0(VALU_DEP_2) | instskip(NEXT) | instid1(VALU_DEP_2)
	v_add_f32_e32 v2, v2, v6
	v_cndmask_b32_e64 v4, 0x7f800000, v24, s15
	v_cmp_ngt_f32_e64 s15, 0xc2ce8ed0, v31
	s_delay_alu instid0(VALU_DEP_2) | instskip(NEXT) | instid1(VALU_DEP_2)
	v_add_f32_e32 v25, v2, v4
	v_cndmask_b32_e64 v24, 0, v26, s15
	v_cmp_nlt_f32_e64 s15, 0x42b17218, v31
	s_delay_alu instid0(VALU_DEP_1) | instskip(NEXT) | instid1(VALU_DEP_1)
	v_cndmask_b32_e64 v2, 0x7f800000, v24, s15
	v_add_f32_e32 v24, v25, v2
	ds_bpermute_b32 v3, v3, v24
	s_waitcnt lgkmcnt(0)
	v_add_f32_e32 v3, v24, v3
	ds_bpermute_b32 v7, v7, v3
	s_waitcnt lgkmcnt(0)
	;; [unrolled: 3-line block ×4, first 2 shown]
	v_add_f32_e32 v3, v3, v7
	ds_bpermute_b32 v7, v11, v3
	v_cmpx_lt_i32_e32 0, v5
	s_cbranch_execz .LBB425_82
; %bb.33:
	s_and_b32 exec_lo, exec_lo, vcc_lo
	s_cbranch_execz .LBB425_82
; %bb.34:
	s_waitcnt lgkmcnt(0)
	v_add_f32_e32 v3, v3, v7
	v_mov_b32_e32 v5, 0x7e00
	s_delay_alu instid0(VALU_DEP_2) | instskip(NEXT) | instid1(VALU_DEP_1)
	v_cmp_neq_f32_e64 s15, 0, v3
	s_and_saveexec_b32 s18, s15
	s_cbranch_execz .LBB425_36
; %bb.35:
	v_div_scale_f32 v5, null, v3, v3, v23
	s_delay_alu instid0(VALU_DEP_1) | instskip(SKIP_2) | instid1(VALU_DEP_1)
	v_rcp_f32_e32 v7, v5
	s_waitcnt_depctr 0xfff
	v_fma_f32 v8, -v5, v7, 1.0
	v_fmac_f32_e32 v7, v8, v7
	v_div_scale_f32 v8, vcc_lo, v23, v3, v23
	s_delay_alu instid0(VALU_DEP_1) | instskip(NEXT) | instid1(VALU_DEP_1)
	v_mul_f32_e32 v9, v8, v7
	v_fma_f32 v11, -v5, v9, v8
	s_delay_alu instid0(VALU_DEP_1) | instskip(NEXT) | instid1(VALU_DEP_1)
	v_fmac_f32_e32 v9, v11, v7
	v_fma_f32 v5, -v5, v9, v8
	s_delay_alu instid0(VALU_DEP_1) | instskip(NEXT) | instid1(VALU_DEP_1)
	v_div_fmas_f32 v5, v5, v7, v9
	v_div_fixup_f32 v5, v5, v3, v23
	s_delay_alu instid0(VALU_DEP_1)
	v_cvt_f16_f32_e32 v5, v5
.LBB425_36:
	s_or_b32 exec_lo, exec_lo, s18
	v_add_co_u32 v0, vcc_lo, s16, v0
	v_add_co_ci_u32_e32 v1, vcc_lo, s17, v1, vcc_lo
	global_store_b16 v[0:1], v5, off
	s_and_b32 exec_lo, exec_lo, s14
	s_cbranch_execz .LBB425_82
; %bb.37:
	v_mov_b32_e32 v5, 0x7e00
	s_and_saveexec_b32 s14, s15
	s_cbranch_execz .LBB425_39
; %bb.38:
	v_div_scale_f32 v5, null, v3, v3, v22
	s_delay_alu instid0(VALU_DEP_1) | instskip(SKIP_2) | instid1(VALU_DEP_1)
	v_rcp_f32_e32 v7, v5
	s_waitcnt_depctr 0xfff
	v_fma_f32 v8, -v5, v7, 1.0
	v_fmac_f32_e32 v7, v8, v7
	v_div_scale_f32 v8, vcc_lo, v22, v3, v22
	s_delay_alu instid0(VALU_DEP_1) | instskip(NEXT) | instid1(VALU_DEP_1)
	v_mul_f32_e32 v9, v8, v7
	v_fma_f32 v11, -v5, v9, v8
	s_delay_alu instid0(VALU_DEP_1) | instskip(NEXT) | instid1(VALU_DEP_1)
	v_fmac_f32_e32 v9, v11, v7
	v_fma_f32 v5, -v5, v9, v8
	s_delay_alu instid0(VALU_DEP_1) | instskip(NEXT) | instid1(VALU_DEP_1)
	v_div_fmas_f32 v5, v5, v7, v9
	v_div_fixup_f32 v5, v5, v3, v22
	s_delay_alu instid0(VALU_DEP_1)
	v_cvt_f16_f32_e32 v5, v5
.LBB425_39:
	s_or_b32 exec_lo, exec_lo, s14
	global_store_b16 v[0:1], v5, off offset:64
	s_and_b32 exec_lo, exec_lo, s13
	s_cbranch_execz .LBB425_82
; %bb.40:
	v_mov_b32_e32 v5, 0x7e00
	s_and_saveexec_b32 s13, s15
	s_cbranch_execz .LBB425_42
; %bb.41:
	v_div_scale_f32 v5, null, v3, v3, v21
	s_delay_alu instid0(VALU_DEP_1) | instskip(SKIP_2) | instid1(VALU_DEP_1)
	v_rcp_f32_e32 v7, v5
	s_waitcnt_depctr 0xfff
	v_fma_f32 v8, -v5, v7, 1.0
	v_fmac_f32_e32 v7, v8, v7
	v_div_scale_f32 v8, vcc_lo, v21, v3, v21
	s_delay_alu instid0(VALU_DEP_1) | instskip(NEXT) | instid1(VALU_DEP_1)
	v_mul_f32_e32 v9, v8, v7
	v_fma_f32 v11, -v5, v9, v8
	s_delay_alu instid0(VALU_DEP_1) | instskip(NEXT) | instid1(VALU_DEP_1)
	v_fmac_f32_e32 v9, v11, v7
	v_fma_f32 v5, -v5, v9, v8
	s_delay_alu instid0(VALU_DEP_1) | instskip(NEXT) | instid1(VALU_DEP_1)
	v_div_fmas_f32 v5, v5, v7, v9
	v_div_fixup_f32 v5, v5, v3, v21
	s_delay_alu instid0(VALU_DEP_1)
	v_cvt_f16_f32_e32 v5, v5
.LBB425_42:
	s_or_b32 exec_lo, exec_lo, s13
	global_store_b16 v[0:1], v5, off offset:128
	;; [unrolled: 28-line block ×15, first 2 shown]
.LBB425_82:
	s_nop 0
	s_sendmsg sendmsg(MSG_DEALLOC_VGPRS)
	s_endpgm
	.section	.rodata,"a",@progbits
	.p2align	6, 0x0
	.amdhsa_kernel _ZN12_GLOBAL__N_120softmax_warp_forwardIN3c104HalfES2_fLi9ELb0ELb0ELi32EEEvPT0_PKT_iiiPKbib
		.amdhsa_group_segment_fixed_size 0
		.amdhsa_private_segment_fixed_size 0
		.amdhsa_kernarg_size 304
		.amdhsa_user_sgpr_count 15
		.amdhsa_user_sgpr_dispatch_ptr 0
		.amdhsa_user_sgpr_queue_ptr 0
		.amdhsa_user_sgpr_kernarg_segment_ptr 1
		.amdhsa_user_sgpr_dispatch_id 0
		.amdhsa_user_sgpr_private_segment_size 0
		.amdhsa_wavefront_size32 1
		.amdhsa_uses_dynamic_stack 0
		.amdhsa_enable_private_segment 0
		.amdhsa_system_sgpr_workgroup_id_x 1
		.amdhsa_system_sgpr_workgroup_id_y 0
		.amdhsa_system_sgpr_workgroup_id_z 0
		.amdhsa_system_sgpr_workgroup_info 0
		.amdhsa_system_vgpr_workitem_id 1
		.amdhsa_next_free_vgpr 72
		.amdhsa_next_free_sgpr 24
		.amdhsa_reserve_vcc 1
		.amdhsa_float_round_mode_32 0
		.amdhsa_float_round_mode_16_64 0
		.amdhsa_float_denorm_mode_32 3
		.amdhsa_float_denorm_mode_16_64 3
		.amdhsa_dx10_clamp 1
		.amdhsa_ieee_mode 1
		.amdhsa_fp16_overflow 0
		.amdhsa_workgroup_processor_mode 1
		.amdhsa_memory_ordered 1
		.amdhsa_forward_progress 0
		.amdhsa_shared_vgpr_count 0
		.amdhsa_exception_fp_ieee_invalid_op 0
		.amdhsa_exception_fp_denorm_src 0
		.amdhsa_exception_fp_ieee_div_zero 0
		.amdhsa_exception_fp_ieee_overflow 0
		.amdhsa_exception_fp_ieee_underflow 0
		.amdhsa_exception_fp_ieee_inexact 0
		.amdhsa_exception_int_div_zero 0
	.end_amdhsa_kernel
	.section	.text._ZN12_GLOBAL__N_120softmax_warp_forwardIN3c104HalfES2_fLi9ELb0ELb0ELi32EEEvPT0_PKT_iiiPKbib,"axG",@progbits,_ZN12_GLOBAL__N_120softmax_warp_forwardIN3c104HalfES2_fLi9ELb0ELb0ELi32EEEvPT0_PKT_iiiPKbib,comdat
.Lfunc_end425:
	.size	_ZN12_GLOBAL__N_120softmax_warp_forwardIN3c104HalfES2_fLi9ELb0ELb0ELi32EEEvPT0_PKT_iiiPKbib, .Lfunc_end425-_ZN12_GLOBAL__N_120softmax_warp_forwardIN3c104HalfES2_fLi9ELb0ELb0ELi32EEEvPT0_PKT_iiiPKbib
                                        ; -- End function
	.section	.AMDGPU.csdata,"",@progbits
; Kernel info:
; codeLenInByte = 5808
; NumSgprs: 26
; NumVgprs: 72
; ScratchSize: 0
; MemoryBound: 0
; FloatMode: 240
; IeeeMode: 1
; LDSByteSize: 0 bytes/workgroup (compile time only)
; SGPRBlocks: 3
; VGPRBlocks: 8
; NumSGPRsForWavesPerEU: 26
; NumVGPRsForWavesPerEU: 72
; Occupancy: 16
; WaveLimiterHint : 0
; COMPUTE_PGM_RSRC2:SCRATCH_EN: 0
; COMPUTE_PGM_RSRC2:USER_SGPR: 15
; COMPUTE_PGM_RSRC2:TRAP_HANDLER: 0
; COMPUTE_PGM_RSRC2:TGID_X_EN: 1
; COMPUTE_PGM_RSRC2:TGID_Y_EN: 0
; COMPUTE_PGM_RSRC2:TGID_Z_EN: 0
; COMPUTE_PGM_RSRC2:TIDIG_COMP_CNT: 1
	.section	.text._ZN12_GLOBAL__N_120softmax_warp_forwardIN3c104HalfES2_fLi10ELb0ELb0ELi64EEEvPT0_PKT_iiiPKbib,"axG",@progbits,_ZN12_GLOBAL__N_120softmax_warp_forwardIN3c104HalfES2_fLi10ELb0ELb0ELi64EEEvPT0_PKT_iiiPKbib,comdat
	.globl	_ZN12_GLOBAL__N_120softmax_warp_forwardIN3c104HalfES2_fLi10ELb0ELb0ELi64EEEvPT0_PKT_iiiPKbib ; -- Begin function _ZN12_GLOBAL__N_120softmax_warp_forwardIN3c104HalfES2_fLi10ELb0ELb0ELi64EEEvPT0_PKT_iiiPKbib
	.p2align	8
	.type	_ZN12_GLOBAL__N_120softmax_warp_forwardIN3c104HalfES2_fLi10ELb0ELb0ELi64EEEvPT0_PKT_iiiPKbib,@function
_ZN12_GLOBAL__N_120softmax_warp_forwardIN3c104HalfES2_fLi10ELb0ELb0ELi64EEEvPT0_PKT_iiiPKbib: ; @_ZN12_GLOBAL__N_120softmax_warp_forwardIN3c104HalfES2_fLi10ELb0ELb0ELi64EEEvPT0_PKT_iiiPKbib
; %bb.0:
	s_clause 0x1
	s_load_b32 s2, s[0:1], 0x3c
	s_load_b256 s[16:23], s[0:1], 0x0
	v_bfe_u32 v1, v0, 10, 10
	v_dual_mov_b32 v6, 0xff800000 :: v_dual_mov_b32 v19, 0xff800000
	s_waitcnt lgkmcnt(0)
	s_lshr_b32 s0, s2, 16
	s_delay_alu instid0(VALU_DEP_2) | instid1(SALU_CYCLE_1)
	v_mad_u64_u32 v[3:4], null, s15, s0, v[1:2]
	v_and_b32_e32 v2, 0x3ff, v0
	s_delay_alu instid0(VALU_DEP_1) | instskip(NEXT) | instid1(VALU_DEP_3)
	v_cmp_gt_i32_e32 vcc_lo, s22, v2
	v_mad_u64_u32 v[0:1], null, v3, s21, v[2:3]
	v_sub_nc_u32_e32 v5, s20, v3
	s_delay_alu instid0(VALU_DEP_1) | instskip(NEXT) | instid1(VALU_DEP_3)
	v_cmp_lt_i32_e64 s15, 0, v5
	v_ashrrev_i32_e32 v1, 31, v0
	s_delay_alu instid0(VALU_DEP_2) | instskip(NEXT) | instid1(VALU_DEP_1)
	s_and_b32 s1, s15, vcc_lo
	v_lshlrev_b64 v[0:1], 1, v[0:1]
	s_delay_alu instid0(VALU_DEP_1) | instskip(NEXT) | instid1(VALU_DEP_1)
	v_add_co_u32 v3, s0, s18, v0
	v_add_co_ci_u32_e64 v4, s0, s19, v1, s0
	s_and_saveexec_b32 s0, s1
	s_cbranch_execz .LBB426_2
; %bb.1:
	global_load_u16 v7, v[3:4], off
	s_waitcnt vmcnt(0)
	v_cvt_f32_f16_e32 v19, v7
.LBB426_2:
	s_or_b32 exec_lo, exec_lo, s0
	v_add_nc_u32_e32 v7, 64, v2
	s_delay_alu instid0(VALU_DEP_1) | instskip(NEXT) | instid1(VALU_DEP_1)
	v_cmp_gt_i32_e64 s14, s22, v7
	s_and_b32 s1, s15, s14
	s_delay_alu instid0(SALU_CYCLE_1)
	s_and_saveexec_b32 s0, s1
	s_cbranch_execz .LBB426_4
; %bb.3:
	global_load_u16 v6, v[3:4], off offset:128
	s_waitcnt vmcnt(0)
	v_cvt_f32_f16_e32 v6, v6
.LBB426_4:
	s_or_b32 exec_lo, exec_lo, s0
	v_add_nc_u32_e32 v7, 0x80, v2
	v_dual_mov_b32 v11, 0xff800000 :: v_dual_mov_b32 v20, 0xff800000
	s_delay_alu instid0(VALU_DEP_2) | instskip(NEXT) | instid1(VALU_DEP_1)
	v_cmp_gt_i32_e64 s13, s22, v7
	s_and_b32 s1, s15, s13
	s_delay_alu instid0(SALU_CYCLE_1)
	s_and_saveexec_b32 s0, s1
	s_cbranch_execz .LBB426_6
; %bb.5:
	global_load_u16 v7, v[3:4], off offset:256
	s_waitcnt vmcnt(0)
	v_cvt_f32_f16_e32 v20, v7
.LBB426_6:
	s_or_b32 exec_lo, exec_lo, s0
	v_add_nc_u32_e32 v7, 0xc0, v2
	s_delay_alu instid0(VALU_DEP_1) | instskip(NEXT) | instid1(VALU_DEP_1)
	v_cmp_gt_i32_e64 s12, s22, v7
	s_and_b32 s1, s15, s12
	s_delay_alu instid0(SALU_CYCLE_1)
	s_and_saveexec_b32 s0, s1
	s_cbranch_execz .LBB426_8
; %bb.7:
	global_load_u16 v7, v[3:4], off offset:384
	s_waitcnt vmcnt(0)
	v_cvt_f32_f16_e32 v11, v7
.LBB426_8:
	s_or_b32 exec_lo, exec_lo, s0
	v_add_nc_u32_e32 v7, 0x100, v2
	v_mov_b32_e32 v13, 0xff800000
	v_mov_b32_e32 v21, 0xff800000
	s_delay_alu instid0(VALU_DEP_3) | instskip(NEXT) | instid1(VALU_DEP_1)
	v_cmp_gt_i32_e64 s11, s22, v7
	s_and_b32 s1, s15, s11
	s_delay_alu instid0(SALU_CYCLE_1)
	s_and_saveexec_b32 s0, s1
	s_cbranch_execz .LBB426_10
; %bb.9:
	global_load_u16 v7, v[3:4], off offset:512
	s_waitcnt vmcnt(0)
	v_cvt_f32_f16_e32 v21, v7
.LBB426_10:
	s_or_b32 exec_lo, exec_lo, s0
	v_add_nc_u32_e32 v7, 0x140, v2
	s_delay_alu instid0(VALU_DEP_1) | instskip(NEXT) | instid1(VALU_DEP_1)
	v_cmp_gt_i32_e64 s10, s22, v7
	s_and_b32 s1, s15, s10
	s_delay_alu instid0(SALU_CYCLE_1)
	s_and_saveexec_b32 s0, s1
	s_cbranch_execz .LBB426_12
; %bb.11:
	global_load_u16 v7, v[3:4], off offset:640
	s_waitcnt vmcnt(0)
	v_cvt_f32_f16_e32 v13, v7
.LBB426_12:
	s_or_b32 exec_lo, exec_lo, s0
	v_add_nc_u32_e32 v7, 0x180, v2
	v_mov_b32_e32 v14, 0xff800000
	v_mov_b32_e32 v22, 0xff800000
	s_delay_alu instid0(VALU_DEP_3) | instskip(NEXT) | instid1(VALU_DEP_1)
	v_cmp_gt_i32_e64 s9, s22, v7
	s_and_b32 s1, s15, s9
	s_delay_alu instid0(SALU_CYCLE_1)
	s_and_saveexec_b32 s0, s1
	s_cbranch_execz .LBB426_14
; %bb.13:
	global_load_u16 v7, v[3:4], off offset:768
	s_waitcnt vmcnt(0)
	v_cvt_f32_f16_e32 v22, v7
.LBB426_14:
	s_or_b32 exec_lo, exec_lo, s0
	v_add_nc_u32_e32 v7, 0x1c0, v2
	s_delay_alu instid0(VALU_DEP_1) | instskip(NEXT) | instid1(VALU_DEP_1)
	v_cmp_gt_i32_e64 s8, s22, v7
	s_and_b32 s1, s15, s8
	s_delay_alu instid0(SALU_CYCLE_1)
	s_and_saveexec_b32 s0, s1
	s_cbranch_execz .LBB426_16
; %bb.15:
	global_load_u16 v7, v[3:4], off offset:896
	s_waitcnt vmcnt(0)
	v_cvt_f32_f16_e32 v14, v7
.LBB426_16:
	s_or_b32 exec_lo, exec_lo, s0
	v_add_nc_u32_e32 v7, 0x200, v2
	v_mov_b32_e32 v15, 0xff800000
	v_mov_b32_e32 v23, 0xff800000
	s_delay_alu instid0(VALU_DEP_3) | instskip(NEXT) | instid1(VALU_DEP_1)
	v_cmp_gt_i32_e64 s7, s22, v7
	s_and_b32 s1, s15, s7
	s_delay_alu instid0(SALU_CYCLE_1)
	s_and_saveexec_b32 s0, s1
	s_cbranch_execz .LBB426_18
; %bb.17:
	global_load_u16 v7, v[3:4], off offset:1024
	s_waitcnt vmcnt(0)
	v_cvt_f32_f16_e32 v23, v7
.LBB426_18:
	s_or_b32 exec_lo, exec_lo, s0
	v_add_nc_u32_e32 v7, 0x240, v2
	s_delay_alu instid0(VALU_DEP_1) | instskip(NEXT) | instid1(VALU_DEP_1)
	v_cmp_gt_i32_e64 s6, s22, v7
	s_and_b32 s1, s15, s6
	s_delay_alu instid0(SALU_CYCLE_1)
	s_and_saveexec_b32 s0, s1
	s_cbranch_execz .LBB426_20
; %bb.19:
	global_load_u16 v7, v[3:4], off offset:1152
	s_waitcnt vmcnt(0)
	v_cvt_f32_f16_e32 v15, v7
.LBB426_20:
	s_or_b32 exec_lo, exec_lo, s0
	v_add_nc_u32_e32 v7, 0x280, v2
	v_mov_b32_e32 v16, 0xff800000
	v_mov_b32_e32 v24, 0xff800000
	s_delay_alu instid0(VALU_DEP_3) | instskip(NEXT) | instid1(VALU_DEP_1)
	v_cmp_gt_i32_e64 s5, s22, v7
	s_and_b32 s1, s15, s5
	s_delay_alu instid0(SALU_CYCLE_1)
	s_and_saveexec_b32 s0, s1
	s_cbranch_execz .LBB426_22
; %bb.21:
	global_load_u16 v7, v[3:4], off offset:1280
	s_waitcnt vmcnt(0)
	v_cvt_f32_f16_e32 v24, v7
.LBB426_22:
	s_or_b32 exec_lo, exec_lo, s0
	v_add_nc_u32_e32 v7, 0x2c0, v2
	s_delay_alu instid0(VALU_DEP_1) | instskip(NEXT) | instid1(VALU_DEP_1)
	v_cmp_gt_i32_e64 s4, s22, v7
	s_and_b32 s1, s15, s4
	s_delay_alu instid0(SALU_CYCLE_1)
	s_and_saveexec_b32 s0, s1
	s_cbranch_execz .LBB426_24
; %bb.23:
	global_load_u16 v7, v[3:4], off offset:1408
	s_waitcnt vmcnt(0)
	v_cvt_f32_f16_e32 v16, v7
.LBB426_24:
	s_or_b32 exec_lo, exec_lo, s0
	v_add_nc_u32_e32 v7, 0x300, v2
	v_mov_b32_e32 v17, 0xff800000
	v_mov_b32_e32 v25, 0xff800000
	s_delay_alu instid0(VALU_DEP_3) | instskip(NEXT) | instid1(VALU_DEP_1)
	v_cmp_gt_i32_e64 s3, s22, v7
	s_and_b32 s1, s15, s3
	s_delay_alu instid0(SALU_CYCLE_1)
	s_and_saveexec_b32 s0, s1
	s_cbranch_execz .LBB426_26
; %bb.25:
	global_load_u16 v7, v[3:4], off offset:1536
	s_waitcnt vmcnt(0)
	v_cvt_f32_f16_e32 v25, v7
.LBB426_26:
	s_or_b32 exec_lo, exec_lo, s0
	v_add_nc_u32_e32 v7, 0x340, v2
	s_delay_alu instid0(VALU_DEP_1) | instskip(NEXT) | instid1(VALU_DEP_1)
	v_cmp_gt_i32_e64 s2, s22, v7
	s_and_b32 s1, s15, s2
	s_delay_alu instid0(SALU_CYCLE_1)
	s_and_saveexec_b32 s0, s1
	s_cbranch_execz .LBB426_28
; %bb.27:
	global_load_u16 v7, v[3:4], off offset:1664
	s_waitcnt vmcnt(0)
	v_cvt_f32_f16_e32 v17, v7
.LBB426_28:
	s_or_b32 exec_lo, exec_lo, s0
	v_add_nc_u32_e32 v7, 0x380, v2
	v_mov_b32_e32 v18, 0xff800000
	v_mov_b32_e32 v26, 0xff800000
	s_delay_alu instid0(VALU_DEP_3) | instskip(NEXT) | instid1(VALU_DEP_1)
	v_cmp_gt_i32_e64 s1, s22, v7
	s_and_b32 s18, s15, s1
	s_delay_alu instid0(SALU_CYCLE_1)
	s_and_saveexec_b32 s0, s18
	s_cbranch_execz .LBB426_30
; %bb.29:
	global_load_u16 v7, v[3:4], off offset:1792
	s_waitcnt vmcnt(0)
	v_cvt_f32_f16_e32 v26, v7
.LBB426_30:
	s_or_b32 exec_lo, exec_lo, s0
	v_add_nc_u32_e32 v2, 0x3c0, v2
	s_delay_alu instid0(VALU_DEP_1) | instskip(NEXT) | instid1(VALU_DEP_1)
	v_cmp_gt_i32_e64 s0, s22, v2
	s_and_b32 s18, s15, s0
	s_delay_alu instid0(SALU_CYCLE_1)
	s_and_saveexec_b32 s15, s18
	s_cbranch_execz .LBB426_32
; %bb.31:
	global_load_u16 v2, v[3:4], off offset:1920
	s_waitcnt vmcnt(0)
	v_cvt_f32_f16_e32 v18, v2
.LBB426_32:
	s_or_b32 exec_lo, exec_lo, s15
	v_cmp_gt_f32_e64 s15, v19, v6
	v_mbcnt_lo_u32_b32 v4, -1, 0
	s_mov_b32 s18, exec_lo
	s_delay_alu instid0(VALU_DEP_2) | instskip(NEXT) | instid1(VALU_DEP_2)
	v_cndmask_b32_e64 v2, v6, v19, s15
	v_or_b32_e32 v3, 32, v4
	v_xor_b32_e32 v7, 16, v4
	s_delay_alu instid0(VALU_DEP_3) | instskip(NEXT) | instid1(VALU_DEP_1)
	v_cmp_gt_f32_e64 s15, v2, v20
	v_cndmask_b32_e64 v2, v20, v2, s15
	s_delay_alu instid0(VALU_DEP_1) | instskip(NEXT) | instid1(VALU_DEP_1)
	v_cmp_gt_f32_e64 s15, v2, v11
	v_cndmask_b32_e64 v2, v11, v2, s15
	s_delay_alu instid0(VALU_DEP_1) | instskip(NEXT) | instid1(VALU_DEP_1)
	;; [unrolled: 3-line block ×11, first 2 shown]
	v_cmp_gt_f32_e64 s15, v2, v17
	v_cndmask_b32_e64 v2, v17, v2, s15
	v_cmp_gt_i32_e64 s15, 64, v3
	s_delay_alu instid0(VALU_DEP_1) | instskip(NEXT) | instid1(VALU_DEP_3)
	v_cndmask_b32_e64 v3, v4, v3, s15
	v_cmp_gt_f32_e64 s15, v2, v26
	s_delay_alu instid0(VALU_DEP_2) | instskip(NEXT) | instid1(VALU_DEP_2)
	v_lshlrev_b32_e32 v3, 2, v3
	v_cndmask_b32_e64 v2, v26, v2, s15
	s_delay_alu instid0(VALU_DEP_1) | instskip(NEXT) | instid1(VALU_DEP_1)
	v_cmp_gt_f32_e64 s15, v2, v18
	v_cndmask_b32_e64 v2, v18, v2, s15
	v_cmp_gt_i32_e64 s15, 64, v7
	ds_bpermute_b32 v8, v3, v2
	v_cndmask_b32_e64 v7, v4, v7, s15
	s_delay_alu instid0(VALU_DEP_1) | instskip(SKIP_2) | instid1(VALU_DEP_1)
	v_lshlrev_b32_e32 v7, 2, v7
	s_waitcnt lgkmcnt(0)
	v_cmp_lt_f32_e64 s15, v2, v8
	v_cndmask_b32_e64 v2, v2, v8, s15
	v_xor_b32_e32 v8, 8, v4
	ds_bpermute_b32 v9, v7, v2
	v_cmp_gt_i32_e64 s15, 64, v8
	s_delay_alu instid0(VALU_DEP_1) | instskip(NEXT) | instid1(VALU_DEP_1)
	v_cndmask_b32_e64 v8, v4, v8, s15
	v_lshlrev_b32_e32 v8, 2, v8
	s_waitcnt lgkmcnt(0)
	v_cmp_lt_f32_e64 s15, v2, v9
	s_delay_alu instid0(VALU_DEP_1) | instskip(SKIP_3) | instid1(VALU_DEP_1)
	v_cndmask_b32_e64 v2, v2, v9, s15
	v_xor_b32_e32 v9, 4, v4
	ds_bpermute_b32 v10, v8, v2
	v_cmp_gt_i32_e64 s15, 64, v9
	v_cndmask_b32_e64 v9, v4, v9, s15
	s_delay_alu instid0(VALU_DEP_1) | instskip(SKIP_2) | instid1(VALU_DEP_1)
	v_lshlrev_b32_e32 v9, 2, v9
	s_waitcnt lgkmcnt(0)
	v_cmp_lt_f32_e64 s15, v2, v10
	v_cndmask_b32_e64 v2, v2, v10, s15
	v_xor_b32_e32 v10, 2, v4
	ds_bpermute_b32 v12, v9, v2
	v_cmp_gt_i32_e64 s15, 64, v10
	s_delay_alu instid0(VALU_DEP_1) | instskip(NEXT) | instid1(VALU_DEP_1)
	v_cndmask_b32_e64 v10, v4, v10, s15
	v_lshlrev_b32_e32 v10, 2, v10
	s_waitcnt lgkmcnt(0)
	v_cmp_lt_f32_e64 s15, v2, v12
	s_delay_alu instid0(VALU_DEP_1) | instskip(SKIP_3) | instid1(VALU_DEP_1)
	v_cndmask_b32_e64 v2, v2, v12, s15
	v_xor_b32_e32 v12, 1, v4
	ds_bpermute_b32 v27, v10, v2
	v_cmp_gt_i32_e64 s15, 64, v12
	v_cndmask_b32_e64 v4, v4, v12, s15
	s_delay_alu instid0(VALU_DEP_1) | instskip(SKIP_2) | instid1(VALU_DEP_1)
	v_lshlrev_b32_e32 v12, 2, v4
	s_waitcnt lgkmcnt(0)
	v_cmp_lt_f32_e64 s15, v2, v27
	v_cndmask_b32_e64 v2, v2, v27, s15
	ds_bpermute_b32 v4, v12, v2
	s_waitcnt lgkmcnt(0)
	v_cmp_lt_f32_e64 s15, v2, v4
	s_delay_alu instid0(VALU_DEP_1) | instskip(NEXT) | instid1(VALU_DEP_1)
	v_cndmask_b32_e64 v4, v2, v4, s15
	v_sub_f32_e32 v6, v6, v4
	v_sub_f32_e32 v2, v19, v4
	;; [unrolled: 1-line block ×5, first 2 shown]
	v_dual_mul_f32 v16, 0x3fb8aa3b, v6 :: v_dual_sub_f32 v15, v15, v4
	v_sub_f32_e32 v19, v20, v4
	v_sub_f32_e32 v11, v11, v4
	;; [unrolled: 1-line block ×6, first 2 shown]
	v_dual_mul_f32 v22, 0x3fb8aa3b, v13 :: v_dual_sub_f32 v25, v25, v4
	v_mul_f32_e32 v34, 0x3fb8aa3b, v15
	v_dual_sub_f32 v28, v23, v4 :: v_dual_mul_f32 v39, 0x3fb8aa3b, v26
	v_dual_sub_f32 v31, v17, v4 :: v_dual_mul_f32 v36, 0x3fb8aa3b, v30
	v_fma_f32 v43, 0x3fb8aa3b, v6, -v16
	v_sub_f32_e32 v32, v18, v4
	v_dual_mul_f32 v4, 0x3fb8aa3b, v2 :: v_dual_mul_f32 v21, 0x3fb8aa3b, v20
	s_delay_alu instid0(VALU_DEP_4) | instskip(SKIP_2) | instid1(VALU_DEP_4)
	v_mul_f32_e32 v38, 0x3fb8aa3b, v31
	v_mul_f32_e32 v17, 0x3fb8aa3b, v19
	v_mul_f32_e32 v37, 0x3fb8aa3b, v25
	v_fma_f32 v41, 0x3fb8aa3b, v2, -v4
	v_rndne_f32_e32 v42, v4
	v_mul_f32_e32 v33, 0x3fb8aa3b, v28
	v_rndne_f32_e32 v44, v16
	v_fma_f32 v49, 0x3fb8aa3b, v20, -v21
	v_fmac_f32_e32 v41, 0x32a5705f, v2
	v_sub_f32_e32 v4, v4, v42
	v_fma_f32 v45, 0x3fb8aa3b, v19, -v17
	v_rndne_f32_e32 v46, v17
	v_fma_f32 v57, 0x3fb8aa3b, v28, -v33
	v_dual_fmac_f32 v43, 0x32a5705f, v6 :: v_dual_sub_f32 v16, v16, v44
	s_delay_alu instid0(VALU_DEP_4) | instskip(SKIP_4) | instid1(VALU_DEP_4)
	v_fmac_f32_e32 v45, 0x32a5705f, v19
	v_dual_fmac_f32 v49, 0x32a5705f, v20 :: v_dual_add_f32 v4, v4, v41
	v_dual_mul_f32 v35, 0x3fb8aa3b, v29 :: v_dual_mul_f32 v24, 0x3fb8aa3b, v14
	v_dual_mul_f32 v40, 0x3fb8aa3b, v32 :: v_dual_sub_f32 v17, v17, v46
	v_dual_fmac_f32 v57, 0x32a5705f, v28 :: v_dual_add_f32 v16, v16, v43
	v_exp_f32_e32 v4, v4
	v_mul_f32_e32 v18, 0x3fb8aa3b, v11
	v_mul_f32_e32 v23, 0x3fb8aa3b, v27
	v_fma_f32 v51, 0x3fb8aa3b, v13, -v22
	v_fma_f32 v55, 0x3fb8aa3b, v14, -v24
	v_rndne_f32_e32 v56, v24
	v_cvt_i32_f32_e32 v42, v42
	v_add_f32_e32 v17, v17, v45
	v_exp_f32_e32 v16, v16
	v_fma_f32 v47, 0x3fb8aa3b, v11, -v18
	v_rndne_f32_e32 v48, v18
	v_fma_f32 v53, 0x3fb8aa3b, v27, -v23
	v_rndne_f32_e32 v54, v23
	;; [unrolled: 2-line block ×3, first 2 shown]
	v_cvt_i32_f32_e32 v44, v44
	v_dual_fmac_f32 v51, 0x32a5705f, v13 :: v_dual_sub_f32 v24, v24, v56
	v_fmac_f32_e32 v55, 0x32a5705f, v14
	v_exp_f32_e32 v17, v17
	v_ldexp_f32 v4, v4, v42
	v_cmp_ngt_f32_e64 s15, 0xc2ce8ed0, v2
	v_rndne_f32_e32 v60, v34
	v_fma_f32 v61, 0x3fb8aa3b, v29, -v35
	v_rndne_f32_e32 v64, v36
	v_fma_f32 v67, 0x3fb8aa3b, v31, -v38
	v_sub_f32_e32 v38, v38, v68
	v_cvt_i32_f32_e32 v46, v46
	v_dual_fmac_f32 v47, 0x32a5705f, v11 :: v_dual_sub_f32 v18, v18, v48
	v_fmac_f32_e32 v53, 0x32a5705f, v27
	v_dual_sub_f32 v23, v23, v54 :: v_dual_sub_f32 v36, v36, v64
	v_dual_fmac_f32 v63, 0x32a5705f, v30 :: v_dual_add_f32 v24, v24, v55
	v_ldexp_f32 v16, v16, v44
	v_cndmask_b32_e64 v4, 0, v4, s15
	v_cmp_ngt_f32_e64 s15, 0xc2ce8ed0, v6
	v_rndne_f32_e32 v50, v21
	v_rndne_f32_e32 v52, v22
	v_fma_f32 v59, 0x3fb8aa3b, v15, -v34
	v_dual_sub_f32 v34, v34, v60 :: v_dual_fmac_f32 v61, 0x32a5705f, v29
	v_dual_add_f32 v18, v18, v47 :: v_dual_add_f32 v23, v23, v53
	v_exp_f32_e32 v24, v24
	v_ldexp_f32 v17, v17, v46
	v_cndmask_b32_e64 v16, 0, v16, s15
	v_cmp_ngt_f32_e64 s15, 0xc2ce8ed0, v19
	v_rndne_f32_e32 v62, v35
	v_dual_sub_f32 v21, v21, v50 :: v_dual_sub_f32 v22, v22, v52
	v_cvt_i32_f32_e32 v56, v56
	v_exp_f32_e32 v18, v18
	v_exp_f32_e32 v23, v23
	v_cndmask_b32_e64 v17, 0, v17, s15
	v_cmp_nlt_f32_e64 s15, 0x42b17218, v2
	v_cvt_i32_f32_e32 v48, v48
	v_cvt_i32_f32_e32 v54, v54
	v_dual_sub_f32 v35, v35, v62 :: v_dual_add_f32 v22, v22, v51
	v_add_f32_e32 v21, v21, v49
	v_ldexp_f32 v43, v24, v56
	v_cndmask_b32_e64 v24, 0x7f800000, v4, s15
	v_cmp_nlt_f32_e64 s15, 0x42b17218, v6
	v_exp_f32_e32 v22, v22
	v_exp_f32_e32 v21, v21
	v_ldexp_f32 v18, v18, v48
	v_ldexp_f32 v42, v23, v54
	v_cndmask_b32_e64 v23, 0x7f800000, v16, s15
	v_cmp_ngt_f32_e64 s15, 0xc2ce8ed0, v11
	v_cvt_i32_f32_e32 v50, v50
	v_cvt_i32_f32_e32 v52, v52
	v_fma_f32 v71, 0x3fb8aa3b, v32, -v40
	v_add_f32_e32 v4, v24, v23
	v_cndmask_b32_e64 v2, 0, v18, s15
	v_cmp_nlt_f32_e64 s15, 0x42b17218, v19
	v_ldexp_f32 v21, v21, v50
	v_ldexp_f32 v41, v22, v52
	v_fmac_f32_e32 v71, 0x32a5705f, v32
	v_rndne_f32_e32 v58, v33
	v_cndmask_b32_e64 v22, 0x7f800000, v17, s15
	v_cmp_ngt_f32_e64 s15, 0xc2ce8ed0, v20
	v_fmac_f32_e32 v59, 0x32a5705f, v15
	v_rndne_f32_e32 v72, v40
	v_sub_f32_e32 v33, v33, v58
	v_fma_f32 v65, 0x3fb8aa3b, v25, -v37
	v_cndmask_b32_e64 v6, 0, v21, s15
	v_cmp_nlt_f32_e64 s15, 0x42b17218, v11
	s_delay_alu instid0(VALU_DEP_4) | instskip(SKIP_2) | instid1(VALU_DEP_4)
	v_dual_sub_f32 v40, v40, v72 :: v_dual_add_f32 v33, v33, v57
	v_cvt_i32_f32_e32 v58, v58
	v_cvt_i32_f32_e32 v60, v60
	v_cndmask_b32_e64 v21, 0x7f800000, v2, s15
	v_cmp_ngt_f32_e64 s15, 0xc2ce8ed0, v13
	v_add_f32_e32 v2, v4, v22
	v_exp_f32_e32 v33, v33
	v_dual_fmac_f32 v65, 0x32a5705f, v25 :: v_dual_add_f32 v34, v34, v59
	s_delay_alu instid0(VALU_DEP_3) | instskip(SKIP_2) | instid1(VALU_DEP_4)
	v_cndmask_b32_e64 v4, 0, v41, s15
	v_cmp_nlt_f32_e64 s15, 0x42b17218, v20
	v_dual_fmac_f32 v67, 0x32a5705f, v31 :: v_dual_add_f32 v2, v2, v21
	v_exp_f32_e32 v34, v34
	v_rndne_f32_e32 v66, v37
	s_delay_alu instid0(VALU_DEP_3) | instskip(SKIP_1) | instid1(TRANS32_DEP_2)
	v_cndmask_b32_e64 v20, 0x7f800000, v6, s15
	v_cmp_ngt_f32_e64 s15, 0xc2ce8ed0, v27
	v_ldexp_f32 v33, v33, v58
	v_cvt_i32_f32_e32 v62, v62
	v_dual_sub_f32 v37, v37, v66 :: v_dual_add_f32 v36, v36, v63
	s_delay_alu instid0(VALU_DEP_4)
	v_cndmask_b32_e64 v6, 0, v42, s15
	v_cmp_nlt_f32_e64 s15, 0x42b17218, v13
	v_add_f32_e32 v2, v2, v20
	v_ldexp_f32 v34, v34, v60
	v_exp_f32_e32 v36, v36
	v_cvt_i32_f32_e32 v64, v64
	v_cndmask_b32_e64 v19, 0x7f800000, v4, s15
	v_cmp_ngt_f32_e64 s15, 0xc2ce8ed0, v14
	v_fma_f32 v69, 0x3fb8aa3b, v26, -v39
	v_cvt_i32_f32_e32 v66, v66
	v_add_f32_e32 v38, v38, v67
	v_add_f32_e32 v2, v2, v19
	v_cndmask_b32_e64 v4, 0, v43, s15
	v_cmp_nlt_f32_e64 s15, 0x42b17218, v27
	v_ldexp_f32 v36, v36, v64
	v_fmac_f32_e32 v69, 0x32a5705f, v26
	v_exp_f32_e32 v38, v38
	v_cvt_i32_f32_e32 v68, v68
	v_cndmask_b32_e64 v18, 0x7f800000, v6, s15
	v_cmp_ngt_f32_e64 s15, 0xc2ce8ed0, v28
	v_rndne_f32_e32 v70, v39
	v_add_f32_e32 v40, v40, v71
	v_cvt_i32_f32_e32 v72, v72
	v_add_f32_e32 v2, v2, v18
	v_cndmask_b32_e64 v6, 0, v33, s15
	v_cmp_nlt_f32_e64 s15, 0x42b17218, v14
	v_ldexp_f32 v38, v38, v68
	v_sub_f32_e32 v39, v39, v70
	v_cvt_i32_f32_e32 v70, v70
	v_exp_f32_e32 v40, v40
	v_cndmask_b32_e64 v17, 0x7f800000, v4, s15
	v_cmp_ngt_f32_e64 s15, 0xc2ce8ed0, v15
	s_delay_alu instid0(VALU_DEP_2) | instskip(NEXT) | instid1(VALU_DEP_2)
	v_add_f32_e32 v2, v2, v17
	v_cndmask_b32_e64 v4, 0, v34, s15
	v_cmp_nlt_f32_e64 s15, 0x42b17218, v28
	s_waitcnt_depctr 0xfff
	v_ldexp_f32 v27, v40, v72
	v_cndmask_b32_e64 v16, 0x7f800000, v6, s15
	v_cmp_ngt_f32_e64 s15, 0xc2ce8ed0, v29
	s_delay_alu instid0(VALU_DEP_2) | instskip(NEXT) | instid1(VALU_DEP_1)
	v_dual_add_f32 v2, v2, v16 :: v_dual_add_f32 v35, v35, v61
	v_exp_f32_e32 v35, v35
	s_waitcnt_depctr 0xfff
	v_ldexp_f32 v35, v35, v62
	s_delay_alu instid0(VALU_DEP_1) | instskip(SKIP_1) | instid1(VALU_DEP_1)
	v_cndmask_b32_e64 v6, 0, v35, s15
	v_cmp_nlt_f32_e64 s15, 0x42b17218, v15
	v_cndmask_b32_e64 v15, 0x7f800000, v4, s15
	v_cmp_ngt_f32_e64 s15, 0xc2ce8ed0, v30
	s_delay_alu instid0(VALU_DEP_2) | instskip(NEXT) | instid1(VALU_DEP_2)
	v_add_f32_e32 v2, v2, v15
	v_cndmask_b32_e64 v4, 0, v36, s15
	v_cmp_nlt_f32_e64 s15, 0x42b17218, v29
	s_delay_alu instid0(VALU_DEP_1) | instskip(SKIP_2) | instid1(VALU_DEP_3)
	v_cndmask_b32_e64 v14, 0x7f800000, v6, s15
	v_add_f32_e32 v37, v37, v65
	v_cmp_ngt_f32_e64 s15, 0xc2ce8ed0, v25
	v_add_f32_e32 v2, v2, v14
	s_delay_alu instid0(VALU_DEP_3) | instskip(SKIP_2) | instid1(VALU_DEP_1)
	v_exp_f32_e32 v37, v37
	s_waitcnt_depctr 0xfff
	v_ldexp_f32 v37, v37, v66
	v_cndmask_b32_e64 v6, 0, v37, s15
	v_cmp_nlt_f32_e64 s15, 0x42b17218, v30
	s_delay_alu instid0(VALU_DEP_1) | instskip(SKIP_1) | instid1(VALU_DEP_2)
	v_cndmask_b32_e64 v13, 0x7f800000, v4, s15
	v_cmp_ngt_f32_e64 s15, 0xc2ce8ed0, v31
	v_add_f32_e32 v2, v2, v13
	s_delay_alu instid0(VALU_DEP_2) | instskip(SKIP_1) | instid1(VALU_DEP_1)
	v_cndmask_b32_e64 v4, 0, v38, s15
	v_cmp_nlt_f32_e64 s15, 0x42b17218, v25
	v_cndmask_b32_e64 v11, 0x7f800000, v6, s15
	v_add_f32_e32 v39, v39, v69
	v_cmp_ngt_f32_e64 s15, 0xc2ce8ed0, v26
	s_delay_alu instid0(VALU_DEP_3) | instskip(NEXT) | instid1(VALU_DEP_3)
	v_add_f32_e32 v2, v2, v11
	v_exp_f32_e32 v39, v39
	s_waitcnt_depctr 0xfff
	v_ldexp_f32 v39, v39, v70
	s_delay_alu instid0(VALU_DEP_1) | instskip(SKIP_1) | instid1(VALU_DEP_1)
	v_cndmask_b32_e64 v25, 0, v39, s15
	v_cmp_nlt_f32_e64 s15, 0x42b17218, v31
	v_cndmask_b32_e64 v6, 0x7f800000, v4, s15
	v_cmp_nlt_f32_e64 s15, 0x42b17218, v26
	s_delay_alu instid0(VALU_DEP_2) | instskip(NEXT) | instid1(VALU_DEP_2)
	v_add_f32_e32 v2, v2, v6
	v_cndmask_b32_e64 v4, 0x7f800000, v25, s15
	v_cmp_ngt_f32_e64 s15, 0xc2ce8ed0, v32
	s_delay_alu instid0(VALU_DEP_2) | instskip(NEXT) | instid1(VALU_DEP_2)
	v_add_f32_e32 v26, v2, v4
	v_cndmask_b32_e64 v25, 0, v27, s15
	v_cmp_nlt_f32_e64 s15, 0x42b17218, v32
	s_delay_alu instid0(VALU_DEP_1) | instskip(NEXT) | instid1(VALU_DEP_1)
	v_cndmask_b32_e64 v2, 0x7f800000, v25, s15
	v_add_f32_e32 v25, v26, v2
	ds_bpermute_b32 v3, v3, v25
	s_waitcnt lgkmcnt(0)
	v_add_f32_e32 v3, v25, v3
	ds_bpermute_b32 v7, v7, v3
	s_waitcnt lgkmcnt(0)
	;; [unrolled: 3-line block ×5, first 2 shown]
	v_add_f32_e32 v3, v3, v7
	ds_bpermute_b32 v7, v12, v3
	v_cmpx_lt_i32_e32 0, v5
	s_cbranch_execz .LBB426_82
; %bb.33:
	s_and_b32 exec_lo, exec_lo, vcc_lo
	s_cbranch_execz .LBB426_82
; %bb.34:
	s_waitcnt lgkmcnt(0)
	v_add_f32_e32 v3, v3, v7
	v_mov_b32_e32 v5, 0x7e00
	s_delay_alu instid0(VALU_DEP_2) | instskip(NEXT) | instid1(VALU_DEP_1)
	v_cmp_neq_f32_e64 s15, 0, v3
	s_and_saveexec_b32 s18, s15
	s_cbranch_execz .LBB426_36
; %bb.35:
	v_div_scale_f32 v5, null, v3, v3, v24
	s_delay_alu instid0(VALU_DEP_1) | instskip(SKIP_2) | instid1(VALU_DEP_1)
	v_rcp_f32_e32 v7, v5
	s_waitcnt_depctr 0xfff
	v_fma_f32 v8, -v5, v7, 1.0
	v_fmac_f32_e32 v7, v8, v7
	v_div_scale_f32 v8, vcc_lo, v24, v3, v24
	s_delay_alu instid0(VALU_DEP_1) | instskip(NEXT) | instid1(VALU_DEP_1)
	v_mul_f32_e32 v9, v8, v7
	v_fma_f32 v10, -v5, v9, v8
	s_delay_alu instid0(VALU_DEP_1) | instskip(NEXT) | instid1(VALU_DEP_1)
	v_fmac_f32_e32 v9, v10, v7
	v_fma_f32 v5, -v5, v9, v8
	s_delay_alu instid0(VALU_DEP_1) | instskip(NEXT) | instid1(VALU_DEP_1)
	v_div_fmas_f32 v5, v5, v7, v9
	v_div_fixup_f32 v5, v5, v3, v24
	s_delay_alu instid0(VALU_DEP_1)
	v_cvt_f16_f32_e32 v5, v5
.LBB426_36:
	s_or_b32 exec_lo, exec_lo, s18
	v_add_co_u32 v0, vcc_lo, s16, v0
	v_add_co_ci_u32_e32 v1, vcc_lo, s17, v1, vcc_lo
	global_store_b16 v[0:1], v5, off
	s_and_b32 exec_lo, exec_lo, s14
	s_cbranch_execz .LBB426_82
; %bb.37:
	v_mov_b32_e32 v5, 0x7e00
	s_and_saveexec_b32 s14, s15
	s_cbranch_execz .LBB426_39
; %bb.38:
	v_div_scale_f32 v5, null, v3, v3, v23
	s_delay_alu instid0(VALU_DEP_1) | instskip(SKIP_2) | instid1(VALU_DEP_1)
	v_rcp_f32_e32 v7, v5
	s_waitcnt_depctr 0xfff
	v_fma_f32 v8, -v5, v7, 1.0
	v_fmac_f32_e32 v7, v8, v7
	v_div_scale_f32 v8, vcc_lo, v23, v3, v23
	s_delay_alu instid0(VALU_DEP_1) | instskip(NEXT) | instid1(VALU_DEP_1)
	v_mul_f32_e32 v9, v8, v7
	v_fma_f32 v10, -v5, v9, v8
	s_delay_alu instid0(VALU_DEP_1) | instskip(NEXT) | instid1(VALU_DEP_1)
	v_fmac_f32_e32 v9, v10, v7
	v_fma_f32 v5, -v5, v9, v8
	s_delay_alu instid0(VALU_DEP_1) | instskip(NEXT) | instid1(VALU_DEP_1)
	v_div_fmas_f32 v5, v5, v7, v9
	v_div_fixup_f32 v5, v5, v3, v23
	s_delay_alu instid0(VALU_DEP_1)
	v_cvt_f16_f32_e32 v5, v5
.LBB426_39:
	s_or_b32 exec_lo, exec_lo, s14
	global_store_b16 v[0:1], v5, off offset:128
	s_and_b32 exec_lo, exec_lo, s13
	s_cbranch_execz .LBB426_82
; %bb.40:
	v_mov_b32_e32 v5, 0x7e00
	s_and_saveexec_b32 s13, s15
	s_cbranch_execz .LBB426_42
; %bb.41:
	v_div_scale_f32 v5, null, v3, v3, v22
	s_delay_alu instid0(VALU_DEP_1) | instskip(SKIP_2) | instid1(VALU_DEP_1)
	v_rcp_f32_e32 v7, v5
	s_waitcnt_depctr 0xfff
	v_fma_f32 v8, -v5, v7, 1.0
	v_fmac_f32_e32 v7, v8, v7
	v_div_scale_f32 v8, vcc_lo, v22, v3, v22
	s_delay_alu instid0(VALU_DEP_1) | instskip(NEXT) | instid1(VALU_DEP_1)
	v_mul_f32_e32 v9, v8, v7
	v_fma_f32 v10, -v5, v9, v8
	s_delay_alu instid0(VALU_DEP_1) | instskip(NEXT) | instid1(VALU_DEP_1)
	v_fmac_f32_e32 v9, v10, v7
	v_fma_f32 v5, -v5, v9, v8
	s_delay_alu instid0(VALU_DEP_1) | instskip(NEXT) | instid1(VALU_DEP_1)
	v_div_fmas_f32 v5, v5, v7, v9
	v_div_fixup_f32 v5, v5, v3, v22
	s_delay_alu instid0(VALU_DEP_1)
	v_cvt_f16_f32_e32 v5, v5
.LBB426_42:
	s_or_b32 exec_lo, exec_lo, s13
	global_store_b16 v[0:1], v5, off offset:256
	;; [unrolled: 28-line block ×15, first 2 shown]
.LBB426_82:
	s_nop 0
	s_sendmsg sendmsg(MSG_DEALLOC_VGPRS)
	s_endpgm
	.section	.rodata,"a",@progbits
	.p2align	6, 0x0
	.amdhsa_kernel _ZN12_GLOBAL__N_120softmax_warp_forwardIN3c104HalfES2_fLi10ELb0ELb0ELi64EEEvPT0_PKT_iiiPKbib
		.amdhsa_group_segment_fixed_size 0
		.amdhsa_private_segment_fixed_size 0
		.amdhsa_kernarg_size 304
		.amdhsa_user_sgpr_count 15
		.amdhsa_user_sgpr_dispatch_ptr 0
		.amdhsa_user_sgpr_queue_ptr 0
		.amdhsa_user_sgpr_kernarg_segment_ptr 1
		.amdhsa_user_sgpr_dispatch_id 0
		.amdhsa_user_sgpr_private_segment_size 0
		.amdhsa_wavefront_size32 1
		.amdhsa_uses_dynamic_stack 0
		.amdhsa_enable_private_segment 0
		.amdhsa_system_sgpr_workgroup_id_x 1
		.amdhsa_system_sgpr_workgroup_id_y 0
		.amdhsa_system_sgpr_workgroup_id_z 0
		.amdhsa_system_sgpr_workgroup_info 0
		.amdhsa_system_vgpr_workitem_id 1
		.amdhsa_next_free_vgpr 73
		.amdhsa_next_free_sgpr 24
		.amdhsa_reserve_vcc 1
		.amdhsa_float_round_mode_32 0
		.amdhsa_float_round_mode_16_64 0
		.amdhsa_float_denorm_mode_32 3
		.amdhsa_float_denorm_mode_16_64 3
		.amdhsa_dx10_clamp 1
		.amdhsa_ieee_mode 1
		.amdhsa_fp16_overflow 0
		.amdhsa_workgroup_processor_mode 1
		.amdhsa_memory_ordered 1
		.amdhsa_forward_progress 0
		.amdhsa_shared_vgpr_count 0
		.amdhsa_exception_fp_ieee_invalid_op 0
		.amdhsa_exception_fp_denorm_src 0
		.amdhsa_exception_fp_ieee_div_zero 0
		.amdhsa_exception_fp_ieee_overflow 0
		.amdhsa_exception_fp_ieee_underflow 0
		.amdhsa_exception_fp_ieee_inexact 0
		.amdhsa_exception_int_div_zero 0
	.end_amdhsa_kernel
	.section	.text._ZN12_GLOBAL__N_120softmax_warp_forwardIN3c104HalfES2_fLi10ELb0ELb0ELi64EEEvPT0_PKT_iiiPKbib,"axG",@progbits,_ZN12_GLOBAL__N_120softmax_warp_forwardIN3c104HalfES2_fLi10ELb0ELb0ELi64EEEvPT0_PKT_iiiPKbib,comdat
.Lfunc_end426:
	.size	_ZN12_GLOBAL__N_120softmax_warp_forwardIN3c104HalfES2_fLi10ELb0ELb0ELi64EEEvPT0_PKT_iiiPKbib, .Lfunc_end426-_ZN12_GLOBAL__N_120softmax_warp_forwardIN3c104HalfES2_fLi10ELb0ELb0ELi64EEEvPT0_PKT_iiiPKbib
                                        ; -- End function
	.section	.AMDGPU.csdata,"",@progbits
; Kernel info:
; codeLenInByte = 5896
; NumSgprs: 26
; NumVgprs: 73
; ScratchSize: 0
; MemoryBound: 0
; FloatMode: 240
; IeeeMode: 1
; LDSByteSize: 0 bytes/workgroup (compile time only)
; SGPRBlocks: 3
; VGPRBlocks: 9
; NumSGPRsForWavesPerEU: 26
; NumVGPRsForWavesPerEU: 73
; Occupancy: 16
; WaveLimiterHint : 0
; COMPUTE_PGM_RSRC2:SCRATCH_EN: 0
; COMPUTE_PGM_RSRC2:USER_SGPR: 15
; COMPUTE_PGM_RSRC2:TRAP_HANDLER: 0
; COMPUTE_PGM_RSRC2:TGID_X_EN: 1
; COMPUTE_PGM_RSRC2:TGID_Y_EN: 0
; COMPUTE_PGM_RSRC2:TGID_Z_EN: 0
; COMPUTE_PGM_RSRC2:TIDIG_COMP_CNT: 1
	.section	.text._ZN12_GLOBAL__N_120softmax_warp_forwardIN3c104HalfES2_fLi10ELb0ELb0ELi32EEEvPT0_PKT_iiiPKbib,"axG",@progbits,_ZN12_GLOBAL__N_120softmax_warp_forwardIN3c104HalfES2_fLi10ELb0ELb0ELi32EEEvPT0_PKT_iiiPKbib,comdat
	.globl	_ZN12_GLOBAL__N_120softmax_warp_forwardIN3c104HalfES2_fLi10ELb0ELb0ELi32EEEvPT0_PKT_iiiPKbib ; -- Begin function _ZN12_GLOBAL__N_120softmax_warp_forwardIN3c104HalfES2_fLi10ELb0ELb0ELi32EEEvPT0_PKT_iiiPKbib
	.p2align	8
	.type	_ZN12_GLOBAL__N_120softmax_warp_forwardIN3c104HalfES2_fLi10ELb0ELb0ELi32EEEvPT0_PKT_iiiPKbib,@function
_ZN12_GLOBAL__N_120softmax_warp_forwardIN3c104HalfES2_fLi10ELb0ELb0ELi32EEEvPT0_PKT_iiiPKbib: ; @_ZN12_GLOBAL__N_120softmax_warp_forwardIN3c104HalfES2_fLi10ELb0ELb0ELi32EEEvPT0_PKT_iiiPKbib
; %bb.0:
	s_clause 0x1
	s_load_b32 s2, s[0:1], 0x3c
	s_load_b256 s[36:43], s[0:1], 0x0
	v_bfe_u32 v1, v0, 10, 10
	v_dual_mov_b32 v14, 0xff800000 :: v_dual_mov_b32 v27, 0xff800000
	s_waitcnt lgkmcnt(0)
	s_lshr_b32 s0, s2, 16
	s_delay_alu instid0(VALU_DEP_2) | instid1(SALU_CYCLE_1)
	v_mad_u64_u32 v[3:4], null, s15, s0, v[1:2]
	v_and_b32_e32 v2, 0x3ff, v0
	s_delay_alu instid0(VALU_DEP_1) | instskip(NEXT) | instid1(VALU_DEP_3)
	v_cmp_gt_i32_e32 vcc_lo, s42, v2
	v_mad_u64_u32 v[0:1], null, v3, s41, v[2:3]
	v_sub_nc_u32_e32 v5, s40, v3
	s_delay_alu instid0(VALU_DEP_1) | instskip(NEXT) | instid1(VALU_DEP_3)
	v_cmp_lt_i32_e64 s31, 0, v5
	v_ashrrev_i32_e32 v1, 31, v0
	s_delay_alu instid0(VALU_DEP_2) | instskip(NEXT) | instid1(VALU_DEP_1)
	s_and_b32 s1, s31, vcc_lo
	v_lshlrev_b64 v[0:1], 1, v[0:1]
	s_delay_alu instid0(VALU_DEP_1) | instskip(NEXT) | instid1(VALU_DEP_1)
	v_add_co_u32 v3, s0, s38, v0
	v_add_co_ci_u32_e64 v4, s0, s39, v1, s0
	s_and_saveexec_b32 s0, s1
	s_cbranch_execz .LBB427_2
; %bb.1:
	global_load_u16 v6, v[3:4], off
	s_waitcnt vmcnt(0)
	v_cvt_f32_f16_e32 v27, v6
.LBB427_2:
	s_or_b32 exec_lo, exec_lo, s0
	v_add_nc_u32_e32 v6, 32, v2
	s_delay_alu instid0(VALU_DEP_1) | instskip(NEXT) | instid1(VALU_DEP_1)
	v_cmp_gt_i32_e64 s30, s42, v6
	s_and_b32 s1, s31, s30
	s_delay_alu instid0(SALU_CYCLE_1)
	s_and_saveexec_b32 s0, s1
	s_cbranch_execz .LBB427_4
; %bb.3:
	global_load_u16 v6, v[3:4], off offset:64
	s_waitcnt vmcnt(0)
	v_cvt_f32_f16_e32 v14, v6
.LBB427_4:
	s_or_b32 exec_lo, exec_lo, s0
	v_dual_mov_b32 v15, 0xff800000 :: v_dual_add_nc_u32 v6, 64, v2
	v_mov_b32_e32 v30, 0xff800000
	s_delay_alu instid0(VALU_DEP_2) | instskip(NEXT) | instid1(VALU_DEP_1)
	v_cmp_gt_i32_e64 s29, s42, v6
	s_and_b32 s1, s31, s29
	s_delay_alu instid0(SALU_CYCLE_1)
	s_and_saveexec_b32 s0, s1
	s_cbranch_execz .LBB427_6
; %bb.5:
	global_load_u16 v6, v[3:4], off offset:128
	s_waitcnt vmcnt(0)
	v_cvt_f32_f16_e32 v30, v6
.LBB427_6:
	s_or_b32 exec_lo, exec_lo, s0
	v_add_nc_u32_e32 v6, 0x60, v2
	s_delay_alu instid0(VALU_DEP_1) | instskip(NEXT) | instid1(VALU_DEP_1)
	v_cmp_gt_i32_e64 s28, s42, v6
	s_and_b32 s1, s31, s28
	s_delay_alu instid0(SALU_CYCLE_1)
	s_and_saveexec_b32 s0, s1
	s_cbranch_execz .LBB427_8
; %bb.7:
	global_load_u16 v6, v[3:4], off offset:192
	s_waitcnt vmcnt(0)
	v_cvt_f32_f16_e32 v15, v6
.LBB427_8:
	s_or_b32 exec_lo, exec_lo, s0
	v_add_nc_u32_e32 v6, 0x80, v2
	v_mov_b32_e32 v16, 0xff800000
	v_mov_b32_e32 v32, 0xff800000
	s_delay_alu instid0(VALU_DEP_3) | instskip(NEXT) | instid1(VALU_DEP_1)
	v_cmp_gt_i32_e64 s27, s42, v6
	s_and_b32 s1, s31, s27
	s_delay_alu instid0(SALU_CYCLE_1)
	s_and_saveexec_b32 s0, s1
	s_cbranch_execz .LBB427_10
; %bb.9:
	global_load_u16 v6, v[3:4], off offset:256
	s_waitcnt vmcnt(0)
	v_cvt_f32_f16_e32 v32, v6
.LBB427_10:
	s_or_b32 exec_lo, exec_lo, s0
	v_add_nc_u32_e32 v6, 0xa0, v2
	s_delay_alu instid0(VALU_DEP_1) | instskip(NEXT) | instid1(VALU_DEP_1)
	v_cmp_gt_i32_e64 s26, s42, v6
	s_and_b32 s1, s31, s26
	s_delay_alu instid0(SALU_CYCLE_1)
	s_and_saveexec_b32 s0, s1
	s_cbranch_execz .LBB427_12
; %bb.11:
	global_load_u16 v6, v[3:4], off offset:320
	s_waitcnt vmcnt(0)
	v_cvt_f32_f16_e32 v16, v6
.LBB427_12:
	s_or_b32 exec_lo, exec_lo, s0
	v_add_nc_u32_e32 v6, 0xc0, v2
	v_mov_b32_e32 v17, 0xff800000
	v_mov_b32_e32 v33, 0xff800000
	s_delay_alu instid0(VALU_DEP_3) | instskip(NEXT) | instid1(VALU_DEP_1)
	v_cmp_gt_i32_e64 s25, s42, v6
	s_and_b32 s1, s31, s25
	s_delay_alu instid0(SALU_CYCLE_1)
	s_and_saveexec_b32 s0, s1
	s_cbranch_execz .LBB427_14
; %bb.13:
	global_load_u16 v6, v[3:4], off offset:384
	s_waitcnt vmcnt(0)
	v_cvt_f32_f16_e32 v33, v6
.LBB427_14:
	s_or_b32 exec_lo, exec_lo, s0
	v_add_nc_u32_e32 v6, 0xe0, v2
	s_delay_alu instid0(VALU_DEP_1) | instskip(NEXT) | instid1(VALU_DEP_1)
	v_cmp_gt_i32_e64 s24, s42, v6
	s_and_b32 s1, s31, s24
	s_delay_alu instid0(SALU_CYCLE_1)
	s_and_saveexec_b32 s0, s1
	s_cbranch_execz .LBB427_16
; %bb.15:
	global_load_u16 v6, v[3:4], off offset:448
	s_waitcnt vmcnt(0)
	v_cvt_f32_f16_e32 v17, v6
.LBB427_16:
	s_or_b32 exec_lo, exec_lo, s0
	v_add_nc_u32_e32 v6, 0x100, v2
	v_dual_mov_b32 v23, 0xff800000 :: v_dual_mov_b32 v34, 0xff800000
	s_delay_alu instid0(VALU_DEP_2) | instskip(NEXT) | instid1(VALU_DEP_1)
	v_cmp_gt_i32_e64 s23, s42, v6
	s_and_b32 s1, s31, s23
	s_delay_alu instid0(SALU_CYCLE_1)
	s_and_saveexec_b32 s0, s1
	s_cbranch_execz .LBB427_18
; %bb.17:
	global_load_u16 v6, v[3:4], off offset:512
	s_waitcnt vmcnt(0)
	v_cvt_f32_f16_e32 v34, v6
.LBB427_18:
	s_or_b32 exec_lo, exec_lo, s0
	v_add_nc_u32_e32 v6, 0x120, v2
	s_delay_alu instid0(VALU_DEP_1) | instskip(NEXT) | instid1(VALU_DEP_1)
	v_cmp_gt_i32_e64 s22, s42, v6
	s_and_b32 s1, s31, s22
	s_delay_alu instid0(SALU_CYCLE_1)
	s_and_saveexec_b32 s0, s1
	s_cbranch_execz .LBB427_20
; %bb.19:
	global_load_u16 v6, v[3:4], off offset:576
	s_waitcnt vmcnt(0)
	v_cvt_f32_f16_e32 v23, v6
.LBB427_20:
	s_or_b32 exec_lo, exec_lo, s0
	v_add_nc_u32_e32 v6, 0x140, v2
	v_dual_mov_b32 v24, 0xff800000 :: v_dual_mov_b32 v35, 0xff800000
	s_delay_alu instid0(VALU_DEP_2) | instskip(NEXT) | instid1(VALU_DEP_1)
	;; [unrolled: 27-line block ×4, first 2 shown]
	v_cmp_gt_i32_e64 s17, s42, v6
	s_and_b32 s1, s31, s17
	s_delay_alu instid0(SALU_CYCLE_1)
	s_and_saveexec_b32 s0, s1
	s_cbranch_execz .LBB427_30
; %bb.29:
	global_load_u16 v6, v[3:4], off offset:896
	s_waitcnt vmcnt(0)
	v_cvt_f32_f16_e32 v37, v6
.LBB427_30:
	s_or_b32 exec_lo, exec_lo, s0
	v_add_nc_u32_e32 v6, 0x1e0, v2
	s_delay_alu instid0(VALU_DEP_1) | instskip(NEXT) | instid1(VALU_DEP_1)
	v_cmp_gt_i32_e64 s16, s42, v6
	s_and_b32 s1, s31, s16
	s_delay_alu instid0(SALU_CYCLE_1)
	s_and_saveexec_b32 s0, s1
	s_cbranch_execz .LBB427_32
; %bb.31:
	global_load_u16 v6, v[3:4], off offset:960
	s_waitcnt vmcnt(0)
	v_cvt_f32_f16_e32 v26, v6
.LBB427_32:
	s_or_b32 exec_lo, exec_lo, s0
	v_add_nc_u32_e32 v6, 0x200, v2
	v_mov_b32_e32 v28, 0xff800000
	v_mov_b32_e32 v38, 0xff800000
	s_delay_alu instid0(VALU_DEP_3) | instskip(NEXT) | instid1(VALU_DEP_1)
	v_cmp_gt_i32_e64 s15, s42, v6
	s_and_b32 s1, s31, s15
	s_delay_alu instid0(SALU_CYCLE_1)
	s_and_saveexec_b32 s0, s1
	s_cbranch_execz .LBB427_34
; %bb.33:
	global_load_u16 v6, v[3:4], off offset:1024
	s_waitcnt vmcnt(0)
	v_cvt_f32_f16_e32 v38, v6
.LBB427_34:
	s_or_b32 exec_lo, exec_lo, s0
	v_add_nc_u32_e32 v6, 0x220, v2
	s_delay_alu instid0(VALU_DEP_1) | instskip(NEXT) | instid1(VALU_DEP_1)
	v_cmp_gt_i32_e64 s14, s42, v6
	s_and_b32 s1, s31, s14
	s_delay_alu instid0(SALU_CYCLE_1)
	s_and_saveexec_b32 s0, s1
	s_cbranch_execz .LBB427_36
; %bb.35:
	global_load_u16 v6, v[3:4], off offset:1088
	s_waitcnt vmcnt(0)
	v_cvt_f32_f16_e32 v28, v6
.LBB427_36:
	s_or_b32 exec_lo, exec_lo, s0
	v_add_nc_u32_e32 v6, 0x240, v2
	v_mov_b32_e32 v29, 0xff800000
	v_mov_b32_e32 v39, 0xff800000
	s_delay_alu instid0(VALU_DEP_3) | instskip(NEXT) | instid1(VALU_DEP_1)
	v_cmp_gt_i32_e64 s13, s42, v6
	s_and_b32 s1, s31, s13
	s_delay_alu instid0(SALU_CYCLE_1)
	s_and_saveexec_b32 s0, s1
	s_cbranch_execz .LBB427_38
; %bb.37:
	global_load_u16 v6, v[3:4], off offset:1152
	s_waitcnt vmcnt(0)
	v_cvt_f32_f16_e32 v39, v6
.LBB427_38:
	s_or_b32 exec_lo, exec_lo, s0
	v_add_nc_u32_e32 v6, 0x260, v2
	s_delay_alu instid0(VALU_DEP_1) | instskip(NEXT) | instid1(VALU_DEP_1)
	v_cmp_gt_i32_e64 s12, s42, v6
	s_and_b32 s1, s31, s12
	s_delay_alu instid0(SALU_CYCLE_1)
	s_and_saveexec_b32 s0, s1
	s_cbranch_execz .LBB427_40
; %bb.39:
	global_load_u16 v6, v[3:4], off offset:1216
	s_waitcnt vmcnt(0)
	v_cvt_f32_f16_e32 v29, v6
.LBB427_40:
	s_or_b32 exec_lo, exec_lo, s0
	v_add_nc_u32_e32 v6, 0x280, v2
	v_dual_mov_b32 v31, 0xff800000 :: v_dual_mov_b32 v40, 0xff800000
	s_delay_alu instid0(VALU_DEP_2) | instskip(NEXT) | instid1(VALU_DEP_1)
	v_cmp_gt_i32_e64 s11, s42, v6
	s_and_b32 s1, s31, s11
	s_delay_alu instid0(SALU_CYCLE_1)
	s_and_saveexec_b32 s0, s1
	s_cbranch_execz .LBB427_42
; %bb.41:
	global_load_u16 v6, v[3:4], off offset:1280
	s_waitcnt vmcnt(0)
	v_cvt_f32_f16_e32 v40, v6
.LBB427_42:
	s_or_b32 exec_lo, exec_lo, s0
	v_add_nc_u32_e32 v6, 0x2a0, v2
	s_delay_alu instid0(VALU_DEP_1) | instskip(NEXT) | instid1(VALU_DEP_1)
	v_cmp_gt_i32_e64 s10, s42, v6
	s_and_b32 s1, s31, s10
	s_delay_alu instid0(SALU_CYCLE_1)
	s_and_saveexec_b32 s0, s1
	s_cbranch_execz .LBB427_44
; %bb.43:
	global_load_u16 v6, v[3:4], off offset:1344
	s_waitcnt vmcnt(0)
	v_cvt_f32_f16_e32 v31, v6
.LBB427_44:
	s_or_b32 exec_lo, exec_lo, s0
	v_add_nc_u32_e32 v6, 0x2c0, v2
	v_mov_b32_e32 v13, 0xff800000
	v_mov_b32_e32 v41, 0xff800000
	s_delay_alu instid0(VALU_DEP_3) | instskip(NEXT) | instid1(VALU_DEP_1)
	v_cmp_gt_i32_e64 s9, s42, v6
	s_and_b32 s1, s31, s9
	s_delay_alu instid0(SALU_CYCLE_1)
	s_and_saveexec_b32 s0, s1
	s_cbranch_execz .LBB427_46
; %bb.45:
	global_load_u16 v6, v[3:4], off offset:1408
	s_waitcnt vmcnt(0)
	v_cvt_f32_f16_e32 v41, v6
.LBB427_46:
	s_or_b32 exec_lo, exec_lo, s0
	v_add_nc_u32_e32 v6, 0x2e0, v2
	s_delay_alu instid0(VALU_DEP_1) | instskip(NEXT) | instid1(VALU_DEP_1)
	v_cmp_gt_i32_e64 s8, s42, v6
	s_and_b32 s1, s31, s8
	s_delay_alu instid0(SALU_CYCLE_1)
	s_and_saveexec_b32 s0, s1
	s_cbranch_execz .LBB427_48
; %bb.47:
	global_load_u16 v6, v[3:4], off offset:1472
	s_waitcnt vmcnt(0)
	v_cvt_f32_f16_e32 v13, v6
.LBB427_48:
	s_or_b32 exec_lo, exec_lo, s0
	v_add_nc_u32_e32 v6, 0x300, v2
	v_mov_b32_e32 v11, 0xff800000
	v_mov_b32_e32 v21, 0xff800000
	s_delay_alu instid0(VALU_DEP_3) | instskip(NEXT) | instid1(VALU_DEP_1)
	;; [unrolled: 28-line block ×3, first 2 shown]
	v_cmp_gt_i32_e64 s5, s42, v6
	s_and_b32 s1, s31, s5
	s_delay_alu instid0(SALU_CYCLE_1)
	s_and_saveexec_b32 s0, s1
	s_cbranch_execz .LBB427_54
; %bb.53:
	global_load_u16 v6, v[3:4], off offset:1664
	s_waitcnt vmcnt(0)
	v_cvt_f32_f16_e32 v12, v6
.LBB427_54:
	s_or_b32 exec_lo, exec_lo, s0
	v_add_nc_u32_e32 v6, 0x360, v2
	s_delay_alu instid0(VALU_DEP_1) | instskip(NEXT) | instid1(VALU_DEP_1)
	v_cmp_gt_i32_e64 s4, s42, v6
	s_and_b32 s1, s31, s4
	s_delay_alu instid0(SALU_CYCLE_1)
	s_and_saveexec_b32 s0, s1
	s_cbranch_execz .LBB427_56
; %bb.55:
	global_load_u16 v6, v[3:4], off offset:1728
	s_waitcnt vmcnt(0)
	v_cvt_f32_f16_e32 v10, v6
.LBB427_56:
	s_or_b32 exec_lo, exec_lo, s0
	v_add_nc_u32_e32 v6, 0x380, v2
	v_mov_b32_e32 v8, 0xff800000
	s_delay_alu instid0(VALU_DEP_2) | instskip(SKIP_1) | instid1(VALU_DEP_2)
	v_cmp_gt_i32_e64 s3, s42, v6
	v_mov_b32_e32 v6, 0xff800000
	s_and_b32 s1, s31, s3
	s_delay_alu instid0(SALU_CYCLE_1)
	s_and_saveexec_b32 s0, s1
	s_cbranch_execz .LBB427_58
; %bb.57:
	global_load_u16 v7, v[3:4], off offset:1792
	s_waitcnt vmcnt(0)
	v_cvt_f32_f16_e32 v8, v7
.LBB427_58:
	s_or_b32 exec_lo, exec_lo, s0
	v_add_nc_u32_e32 v7, 0x3a0, v2
	s_delay_alu instid0(VALU_DEP_1) | instskip(NEXT) | instid1(VALU_DEP_1)
	v_cmp_gt_i32_e64 s2, s42, v7
	s_and_b32 s1, s31, s2
	s_delay_alu instid0(SALU_CYCLE_1)
	s_and_saveexec_b32 s0, s1
	s_cbranch_execz .LBB427_60
; %bb.59:
	global_load_u16 v6, v[3:4], off offset:1856
	s_waitcnt vmcnt(0)
	v_cvt_f32_f16_e32 v6, v6
.LBB427_60:
	s_or_b32 exec_lo, exec_lo, s0
	v_add_nc_u32_e32 v7, 0x3c0, v2
	v_mov_b32_e32 v9, 0xff800000
	s_delay_alu instid0(VALU_DEP_2) | instskip(SKIP_1) | instid1(VALU_DEP_2)
	v_cmp_gt_i32_e64 s1, s42, v7
	v_mov_b32_e32 v7, 0xff800000
	s_and_b32 s33, s31, s1
	s_delay_alu instid0(SALU_CYCLE_1)
	s_and_saveexec_b32 s0, s33
	s_cbranch_execz .LBB427_62
; %bb.61:
	global_load_u16 v9, v[3:4], off offset:1920
	s_waitcnt vmcnt(0)
	v_cvt_f32_f16_e32 v9, v9
.LBB427_62:
	s_or_b32 exec_lo, exec_lo, s0
	v_add_nc_u32_e32 v2, 0x3e0, v2
	s_delay_alu instid0(VALU_DEP_1) | instskip(NEXT) | instid1(VALU_DEP_1)
	v_cmp_gt_i32_e64 s0, s42, v2
	s_and_b32 s33, s31, s0
	s_delay_alu instid0(SALU_CYCLE_1)
	s_and_saveexec_b32 s31, s33
	s_cbranch_execz .LBB427_64
; %bb.63:
	global_load_u16 v2, v[3:4], off offset:1984
	s_waitcnt vmcnt(0)
	v_cvt_f32_f16_e32 v7, v2
.LBB427_64:
	s_or_b32 exec_lo, exec_lo, s31
	v_cmp_gt_f32_e64 s31, v27, v14
	v_mbcnt_lo_u32_b32 v4, -1, 0
	s_mov_b32 s33, exec_lo
	s_delay_alu instid0(VALU_DEP_2) | instskip(NEXT) | instid1(VALU_DEP_2)
	v_cndmask_b32_e64 v2, v14, v27, s31
	v_xor_b32_e32 v3, 16, v4
	v_xor_b32_e32 v18, 8, v4
	s_delay_alu instid0(VALU_DEP_3) | instskip(NEXT) | instid1(VALU_DEP_1)
	v_cmp_gt_f32_e64 s31, v2, v30
	v_cndmask_b32_e64 v2, v30, v2, s31
	s_delay_alu instid0(VALU_DEP_1) | instskip(NEXT) | instid1(VALU_DEP_1)
	v_cmp_gt_f32_e64 s31, v2, v15
	v_cndmask_b32_e64 v2, v15, v2, s31
	s_delay_alu instid0(VALU_DEP_1) | instskip(NEXT) | instid1(VALU_DEP_1)
	v_cmp_gt_f32_e64 s31, v2, v32
	v_cndmask_b32_e64 v2, v32, v2, s31
	s_delay_alu instid0(VALU_DEP_1) | instskip(NEXT) | instid1(VALU_DEP_1)
	v_cmp_gt_f32_e64 s31, v2, v16
	v_cndmask_b32_e64 v2, v16, v2, s31
	s_delay_alu instid0(VALU_DEP_1) | instskip(NEXT) | instid1(VALU_DEP_1)
	v_cmp_gt_f32_e64 s31, v2, v33
	v_cndmask_b32_e64 v2, v33, v2, s31
	s_delay_alu instid0(VALU_DEP_1) | instskip(NEXT) | instid1(VALU_DEP_1)
	v_cmp_gt_f32_e64 s31, v2, v17
	v_cndmask_b32_e64 v2, v17, v2, s31
	s_delay_alu instid0(VALU_DEP_1) | instskip(NEXT) | instid1(VALU_DEP_1)
	v_cmp_gt_f32_e64 s31, v2, v34
	v_cndmask_b32_e64 v2, v34, v2, s31
	s_delay_alu instid0(VALU_DEP_1) | instskip(NEXT) | instid1(VALU_DEP_1)
	v_cmp_gt_f32_e64 s31, v2, v23
	v_cndmask_b32_e64 v2, v23, v2, s31
	s_delay_alu instid0(VALU_DEP_1) | instskip(NEXT) | instid1(VALU_DEP_1)
	v_cmp_gt_f32_e64 s31, v2, v35
	v_cndmask_b32_e64 v2, v35, v2, s31
	s_delay_alu instid0(VALU_DEP_1) | instskip(NEXT) | instid1(VALU_DEP_1)
	v_cmp_gt_f32_e64 s31, v2, v24
	v_cndmask_b32_e64 v2, v24, v2, s31
	s_delay_alu instid0(VALU_DEP_1) | instskip(NEXT) | instid1(VALU_DEP_1)
	v_cmp_gt_f32_e64 s31, v2, v36
	v_cndmask_b32_e64 v2, v36, v2, s31
	s_delay_alu instid0(VALU_DEP_1) | instskip(NEXT) | instid1(VALU_DEP_1)
	v_cmp_gt_f32_e64 s31, v2, v25
	v_cndmask_b32_e64 v2, v25, v2, s31
	s_delay_alu instid0(VALU_DEP_1) | instskip(NEXT) | instid1(VALU_DEP_1)
	v_cmp_gt_f32_e64 s31, v2, v37
	v_cndmask_b32_e64 v2, v37, v2, s31
	s_delay_alu instid0(VALU_DEP_1) | instskip(NEXT) | instid1(VALU_DEP_1)
	v_cmp_gt_f32_e64 s31, v2, v26
	v_cndmask_b32_e64 v2, v26, v2, s31
	s_delay_alu instid0(VALU_DEP_1) | instskip(NEXT) | instid1(VALU_DEP_1)
	v_cmp_gt_f32_e64 s31, v2, v38
	v_cndmask_b32_e64 v2, v38, v2, s31
	s_delay_alu instid0(VALU_DEP_1) | instskip(NEXT) | instid1(VALU_DEP_1)
	v_cmp_gt_f32_e64 s31, v2, v28
	v_cndmask_b32_e64 v2, v28, v2, s31
	s_delay_alu instid0(VALU_DEP_1) | instskip(NEXT) | instid1(VALU_DEP_1)
	v_cmp_gt_f32_e64 s31, v2, v39
	v_cndmask_b32_e64 v2, v39, v2, s31
	s_delay_alu instid0(VALU_DEP_1) | instskip(NEXT) | instid1(VALU_DEP_1)
	v_cmp_gt_f32_e64 s31, v2, v29
	v_cndmask_b32_e64 v2, v29, v2, s31
	s_delay_alu instid0(VALU_DEP_1) | instskip(NEXT) | instid1(VALU_DEP_1)
	v_cmp_gt_f32_e64 s31, v2, v40
	v_cndmask_b32_e64 v2, v40, v2, s31
	s_delay_alu instid0(VALU_DEP_1) | instskip(NEXT) | instid1(VALU_DEP_1)
	v_cmp_gt_f32_e64 s31, v2, v31
	v_cndmask_b32_e64 v2, v31, v2, s31
	s_delay_alu instid0(VALU_DEP_1) | instskip(NEXT) | instid1(VALU_DEP_1)
	v_cmp_gt_f32_e64 s31, v2, v41
	v_cndmask_b32_e64 v2, v41, v2, s31
	s_delay_alu instid0(VALU_DEP_1) | instskip(NEXT) | instid1(VALU_DEP_1)
	v_cmp_gt_f32_e64 s31, v2, v13
	v_cndmask_b32_e64 v2, v13, v2, s31
	s_delay_alu instid0(VALU_DEP_1) | instskip(NEXT) | instid1(VALU_DEP_1)
	v_cmp_gt_f32_e64 s31, v2, v21
	v_cndmask_b32_e64 v2, v21, v2, s31
	s_delay_alu instid0(VALU_DEP_1) | instskip(NEXT) | instid1(VALU_DEP_1)
	v_cmp_gt_f32_e64 s31, v2, v11
	v_cndmask_b32_e64 v2, v11, v2, s31
	s_delay_alu instid0(VALU_DEP_1) | instskip(NEXT) | instid1(VALU_DEP_1)
	v_cmp_gt_f32_e64 s31, v2, v12
	v_cndmask_b32_e64 v2, v12, v2, s31
	s_delay_alu instid0(VALU_DEP_1) | instskip(NEXT) | instid1(VALU_DEP_1)
	v_cmp_gt_f32_e64 s31, v2, v10
	v_cndmask_b32_e64 v2, v10, v2, s31
	s_delay_alu instid0(VALU_DEP_1) | instskip(NEXT) | instid1(VALU_DEP_1)
	v_cmp_gt_f32_e64 s31, v2, v8
	v_cndmask_b32_e64 v2, v8, v2, s31
	s_delay_alu instid0(VALU_DEP_1) | instskip(NEXT) | instid1(VALU_DEP_1)
	v_cmp_gt_f32_e64 s31, v2, v6
	v_cndmask_b32_e64 v2, v6, v2, s31
	v_cmp_gt_i32_e64 s31, 32, v3
	s_delay_alu instid0(VALU_DEP_1) | instskip(NEXT) | instid1(VALU_DEP_3)
	v_cndmask_b32_e64 v3, v4, v3, s31
	v_cmp_gt_f32_e64 s31, v2, v9
	s_delay_alu instid0(VALU_DEP_2) | instskip(NEXT) | instid1(VALU_DEP_2)
	v_lshlrev_b32_e32 v3, 2, v3
	v_cndmask_b32_e64 v2, v9, v2, s31
	s_delay_alu instid0(VALU_DEP_1) | instskip(NEXT) | instid1(VALU_DEP_1)
	v_cmp_gt_f32_e64 s31, v2, v7
	v_cndmask_b32_e64 v2, v7, v2, s31
	v_cmp_gt_i32_e64 s31, 32, v18
	ds_bpermute_b32 v19, v3, v2
	v_cndmask_b32_e64 v18, v4, v18, s31
	s_delay_alu instid0(VALU_DEP_1) | instskip(SKIP_2) | instid1(VALU_DEP_1)
	v_lshlrev_b32_e32 v18, 2, v18
	s_waitcnt lgkmcnt(0)
	v_cmp_lt_f32_e64 s31, v2, v19
	v_cndmask_b32_e64 v2, v2, v19, s31
	v_xor_b32_e32 v19, 4, v4
	ds_bpermute_b32 v20, v18, v2
	v_cmp_gt_i32_e64 s31, 32, v19
	s_delay_alu instid0(VALU_DEP_1) | instskip(NEXT) | instid1(VALU_DEP_1)
	v_cndmask_b32_e64 v19, v4, v19, s31
	v_lshlrev_b32_e32 v19, 2, v19
	s_waitcnt lgkmcnt(0)
	v_cmp_lt_f32_e64 s31, v2, v20
	s_delay_alu instid0(VALU_DEP_1) | instskip(SKIP_3) | instid1(VALU_DEP_1)
	v_cndmask_b32_e64 v2, v2, v20, s31
	v_xor_b32_e32 v20, 2, v4
	ds_bpermute_b32 v22, v19, v2
	v_cmp_gt_i32_e64 s31, 32, v20
	v_cndmask_b32_e64 v20, v4, v20, s31
	s_delay_alu instid0(VALU_DEP_1) | instskip(SKIP_2) | instid1(VALU_DEP_1)
	v_lshlrev_b32_e32 v20, 2, v20
	s_waitcnt lgkmcnt(0)
	v_cmp_lt_f32_e64 s31, v2, v22
	v_cndmask_b32_e64 v2, v2, v22, s31
	v_xor_b32_e32 v22, 1, v4
	ds_bpermute_b32 v42, v20, v2
	v_cmp_gt_i32_e64 s31, 32, v22
	s_delay_alu instid0(VALU_DEP_1) | instskip(NEXT) | instid1(VALU_DEP_1)
	v_cndmask_b32_e64 v4, v4, v22, s31
	v_lshlrev_b32_e32 v22, 2, v4
	s_waitcnt lgkmcnt(0)
	v_cmp_lt_f32_e64 s31, v2, v42
	s_delay_alu instid0(VALU_DEP_1) | instskip(SKIP_3) | instid1(VALU_DEP_1)
	v_cndmask_b32_e64 v2, v2, v42, s31
	ds_bpermute_b32 v4, v22, v2
	s_waitcnt lgkmcnt(0)
	v_cmp_lt_f32_e64 s31, v2, v4
	v_cndmask_b32_e64 v2, v2, v4, s31
	s_delay_alu instid0(VALU_DEP_1)
	v_sub_f32_e32 v15, v15, v2
	v_sub_f32_e32 v4, v27, v2
	;; [unrolled: 1-line block ×6, first 2 shown]
	s_delay_alu instid0(VALU_DEP_4)
	v_dual_sub_f32 v30, v32, v2 :: v_dual_mul_f32 v29, 0x3fb8aa3b, v27
	v_sub_f32_e32 v45, v37, v2
	v_sub_f32_e32 v47, v38, v2
	;; [unrolled: 1-line block ×4, first 2 shown]
	v_rndne_f32_e32 v69, v29
	v_dual_mul_f32 v55, 0x3fb8aa3b, v45 :: v_dual_sub_f32 v52, v31, v2
	v_fma_f32 v68, 0x3fb8aa3b, v27, -v29
	v_mul_f32_e32 v31, 0x3fb8aa3b, v15
	s_delay_alu instid0(VALU_DEP_4) | instskip(NEXT) | instid1(VALU_DEP_4)
	v_sub_f32_e32 v29, v29, v69
	v_dual_sub_f32 v51, v40, v2 :: v_dual_mul_f32 v62, 0x3fb8aa3b, v52
	v_sub_f32_e32 v48, v28, v2
	s_delay_alu instid0(VALU_DEP_4) | instskip(SKIP_1) | instid1(VALU_DEP_4)
	v_fma_f32 v70, 0x3fb8aa3b, v15, -v31
	v_rndne_f32_e32 v71, v31
	v_mul_f32_e32 v61, 0x3fb8aa3b, v51
	s_delay_alu instid0(VALU_DEP_4)
	v_dual_sub_f32 v49, v39, v2 :: v_dual_mul_f32 v58, 0x3fb8aa3b, v48
	v_sub_f32_e32 v46, v26, v2
	v_dual_mul_f32 v26, 0x3fb8aa3b, v4 :: v_dual_sub_f32 v43, v35, v2
	v_mul_f32_e32 v36, 0x3fb8aa3b, v17
	v_sub_f32_e32 v32, v33, v2
	v_rndne_f32_e32 v93, v55
	s_delay_alu instid0(VALU_DEP_4) | instskip(SKIP_1) | instid1(VALU_DEP_4)
	v_fma_f32 v64, 0x3fb8aa3b, v4, -v26
	v_dual_mul_f32 v39, 0x3fb8aa3b, v43 :: v_dual_sub_f32 v16, v16, v2
	v_mul_f32_e32 v35, 0x3fb8aa3b, v32
	v_rndne_f32_e32 v65, v26
	v_mul_f32_e32 v33, 0x3fb8aa3b, v30
	v_fmac_f32_e32 v64, 0x32a5705f, v4
	v_sub_f32_e32 v14, v14, v2
	v_fma_f32 v76, 0x3fb8aa3b, v32, -v35
	v_sub_f32_e32 v26, v26, v65
	v_rndne_f32_e32 v77, v35
	v_dual_sub_f32 v23, v23, v2 :: v_dual_mul_f32 v40, 0x3fb8aa3b, v24
	v_dual_mul_f32 v59, 0x3fb8aa3b, v49 :: v_dual_mul_f32 v56, 0x3fb8aa3b, v46
	v_sub_f32_e32 v31, v31, v71
	v_fma_f32 v92, 0x3fb8aa3b, v45, -v55
	v_dual_add_f32 v26, v26, v64 :: v_dual_sub_f32 v35, v35, v77
	v_dual_fmac_f32 v76, 0x32a5705f, v32 :: v_dual_sub_f32 v55, v55, v93
	v_fmac_f32_e32 v70, 0x32a5705f, v15
	v_dual_mul_f32 v57, 0x3fb8aa3b, v47 :: v_dual_sub_f32 v42, v34, v2
	v_mul_f32_e32 v53, 0x3fb8aa3b, v44
	v_dual_mul_f32 v34, 0x3fb8aa3b, v16 :: v_dual_sub_f32 v25, v25, v2
	v_dual_mul_f32 v38, 0x3fb8aa3b, v23 :: v_dual_add_f32 v35, v35, v76
	v_dual_fmac_f32 v68, 0x32a5705f, v27 :: v_dual_add_f32 v31, v31, v70
	v_mul_f32_e32 v28, 0x3fb8aa3b, v14
	s_delay_alu instid0(VALU_DEP_4) | instskip(NEXT) | instid1(VALU_DEP_4)
	v_mul_f32_e32 v54, 0x3fb8aa3b, v25
	v_fma_f32 v82, 0x3fb8aa3b, v23, -v38
	s_delay_alu instid0(VALU_DEP_4)
	v_add_f32_e32 v29, v29, v68
	v_fma_f32 v68, 0x3fb8aa3b, v47, -v57
	v_rndne_f32_e32 v67, v28
	v_mul_f32_e32 v37, 0x3fb8aa3b, v42
	v_rndne_f32_e32 v70, v57
	v_fma_f32 v66, 0x3fb8aa3b, v14, -v28
	v_fma_f32 v72, 0x3fb8aa3b, v30, -v33
	v_sub_f32_e32 v28, v28, v67
	v_rndne_f32_e32 v73, v33
	v_fma_f32 v80, 0x3fb8aa3b, v42, -v37
	v_dual_fmac_f32 v82, 0x32a5705f, v23 :: v_dual_sub_f32 v57, v57, v70
	v_fmac_f32_e32 v68, 0x32a5705f, v47
	v_dual_mul_f32 v63, 0x3fb8aa3b, v41 :: v_dual_mul_f32 v60, 0x3fb8aa3b, v50
	s_delay_alu instid0(VALU_DEP_4) | instskip(NEXT) | instid1(VALU_DEP_3)
	v_dual_sub_f32 v33, v33, v73 :: v_dual_fmac_f32 v80, 0x32a5705f, v42
	v_dual_add_f32 v57, v57, v68 :: v_dual_fmac_f32 v72, 0x32a5705f, v30
	v_fmac_f32_e32 v66, 0x32a5705f, v14
	v_rndne_f32_e32 v81, v37
	v_exp_f32_e32 v26, v26
	v_fma_f32 v86, 0x3fb8aa3b, v24, -v40
	s_delay_alu instid0(VALU_DEP_3) | instskip(NEXT) | instid1(VALU_DEP_3)
	v_dual_add_f32 v33, v33, v72 :: v_dual_add_f32 v28, v28, v66
	v_sub_f32_e32 v37, v37, v81
	v_rndne_f32_e32 v87, v40
	v_cvt_i32_f32_e32 v65, v65
	v_fma_f32 v74, 0x3fb8aa3b, v16, -v34
	v_exp_f32_e32 v28, v28
	v_rndne_f32_e32 v75, v34
	v_fma_f32 v84, 0x3fb8aa3b, v43, -v39
	v_rndne_f32_e32 v85, v39
	v_fmac_f32_e32 v86, 0x32a5705f, v24
	v_sub_f32_e32 v40, v40, v87
	v_cvt_i32_f32_e32 v67, v67
	v_exp_f32_e32 v29, v29
	v_ldexp_f32 v26, v26, v65
	v_cmp_ngt_f32_e64 s31, 0xc2ce8ed0, v4
	v_fma_f32 v78, 0x3fb8aa3b, v17, -v36
	v_rndne_f32_e32 v79, v36
	v_fma_f32 v88, 0x3fb8aa3b, v44, -v53
	v_rndne_f32_e32 v89, v53
	v_dual_fmac_f32 v74, 0x32a5705f, v16 :: v_dual_sub_f32 v39, v39, v85
	v_add_f32_e32 v40, v40, v86
	v_rndne_f32_e32 v86, v61
	v_fmac_f32_e32 v84, 0x32a5705f, v43
	v_sub_f32_e32 v34, v34, v75
	v_cvt_i32_f32_e32 v69, v69
	v_ldexp_f32 v28, v28, v67
	v_cndmask_b32_e64 v26, 0, v26, s31
	v_add_f32_e32 v39, v39, v84
	v_cmp_ngt_f32_e64 s31, 0xc2ce8ed0, v14
	v_rndne_f32_e32 v83, v38
	v_dual_add_f32 v34, v34, v74 :: v_dual_sub_f32 v53, v53, v89
	v_fma_f32 v76, 0x3fb8aa3b, v49, -v59
	v_dual_fmac_f32 v88, 0x32a5705f, v44 :: v_dual_sub_f32 v21, v21, v2
	v_fmac_f32_e32 v78, 0x32a5705f, v17
	v_fmac_f32_e32 v92, 0x32a5705f, v45
	v_sub_f32_e32 v36, v36, v79
	v_exp_f32_e32 v40, v40
	v_ldexp_f32 v29, v29, v69
	v_cndmask_b32_e64 v28, 0, v28, s31
	v_add_f32_e32 v55, v55, v92
	v_cmp_ngt_f32_e64 s31, 0xc2ce8ed0, v27
	v_add_f32_e32 v53, v53, v88
	v_cvt_i32_f32_e32 v87, v87
	v_fmac_f32_e32 v76, 0x32a5705f, v49
	v_add_f32_e32 v36, v36, v78
	v_rndne_f32_e32 v78, v59
	v_sub_f32_e32 v38, v38, v83
	v_exp_f32_e32 v31, v31
	v_exp_f32_e32 v39, v39
	v_cndmask_b32_e64 v29, 0, v29, s31
	v_sub_f32_e32 v59, v59, v78
	v_cmp_nlt_f32_e64 s31, 0x42b17218, v4
	v_add_f32_e32 v38, v38, v82
	v_cvt_i32_f32_e32 v71, v71
	v_cvt_i32_f32_e32 v85, v85
	v_ldexp_f32 v69, v40, v87
	v_cndmask_b32_e64 v40, 0x7f800000, v26, s31
	v_cmp_nlt_f32_e64 s31, 0x42b17218, v14
	v_exp_f32_e32 v33, v33
	v_exp_f32_e32 v38, v38
	v_ldexp_f32 v31, v31, v71
	v_ldexp_f32 v68, v39, v85
	v_cndmask_b32_e64 v39, 0x7f800000, v28, s31
	v_cmp_ngt_f32_e64 s31, 0xc2ce8ed0, v15
	v_add_f32_e32 v37, v37, v80
	v_cvt_i32_f32_e32 v73, v73
	v_cvt_i32_f32_e32 v83, v83
	v_exp_f32_e32 v34, v34
	v_cndmask_b32_e64 v4, 0, v31, s31
	v_cmp_nlt_f32_e64 s31, 0x42b17218, v27
	v_exp_f32_e32 v37, v37
	v_ldexp_f32 v33, v33, v73
	v_ldexp_f32 v67, v38, v83
	v_cvt_i32_f32_e32 v75, v75
	v_cndmask_b32_e64 v38, 0x7f800000, v29, s31
	v_cmp_ngt_f32_e64 s31, 0xc2ce8ed0, v30
	v_cvt_i32_f32_e32 v81, v81
	v_fma_f32 v64, 0x3fb8aa3b, v46, -v56
	v_rndne_f32_e32 v66, v56
	v_add_f32_e32 v59, v59, v76
	v_cndmask_b32_e64 v26, 0, v33, s31
	v_cmp_nlt_f32_e64 s31, 0x42b17218, v15
	v_exp_f32_e32 v35, v35
	v_exp_f32_e32 v36, v36
	v_ldexp_f32 v34, v34, v75
	v_ldexp_f32 v65, v37, v81
	v_add_f32_e32 v14, v40, v39
	v_cndmask_b32_e64 v37, 0x7f800000, v4, s31
	v_cmp_ngt_f32_e64 s31, 0xc2ce8ed0, v16
	v_cvt_i32_f32_e32 v77, v77
	v_cvt_i32_f32_e32 v79, v79
	v_fmac_f32_e32 v64, 0x32a5705f, v46
	v_sub_f32_e32 v56, v56, v66
	v_add_f32_e32 v4, v14, v38
	v_cndmask_b32_e64 v14, 0, v34, s31
	v_cmp_nlt_f32_e64 s31, 0x42b17218, v30
	v_ldexp_f32 v35, v35, v77
	v_add_f32_e32 v56, v56, v64
	v_ldexp_f32 v64, v36, v79
	v_fma_f32 v90, 0x3fb8aa3b, v25, -v54
	v_cndmask_b32_e64 v36, 0x7f800000, v26, s31
	v_cmp_ngt_f32_e64 s31, 0xc2ce8ed0, v32
	v_rndne_f32_e32 v91, v54
	v_exp_f32_e32 v53, v53
	v_fmac_f32_e32 v90, 0x32a5705f, v25
	v_cvt_i32_f32_e32 v89, v89
	v_cndmask_b32_e64 v15, 0, v35, s31
	v_cmp_nlt_f32_e64 s31, 0x42b17218, v16
	v_sub_f32_e32 v54, v54, v91
	v_cvt_i32_f32_e32 v91, v91
	v_exp_f32_e32 v55, v55
	v_cvt_i32_f32_e32 v93, v93
	v_cndmask_b32_e64 v35, 0x7f800000, v14, s31
	v_cmp_ngt_f32_e64 s31, 0xc2ce8ed0, v17
	v_add_f32_e32 v54, v54, v90
	v_ldexp_f32 v53, v53, v89
	v_exp_f32_e32 v56, v56
	v_fma_f32 v72, 0x3fb8aa3b, v48, -v58
	v_cndmask_b32_e64 v14, 0, v64, s31
	v_cmp_nlt_f32_e64 s31, 0x42b17218, v32
	v_exp_f32_e32 v54, v54
	v_ldexp_f32 v55, v55, v93
	v_rndne_f32_e32 v74, v58
	v_cvt_i32_f32_e32 v66, v66
	v_cndmask_b32_e64 v34, 0x7f800000, v15, s31
	v_cmp_ngt_f32_e64 s31, 0xc2ce8ed0, v42
	v_fmac_f32_e32 v72, 0x32a5705f, v48
	v_sub_f32_e32 v58, v58, v74
	v_exp_f32_e32 v57, v57
	v_ldexp_f32 v56, v56, v66
	v_cndmask_b32_e64 v15, 0, v65, s31
	v_cmp_nlt_f32_e64 s31, 0x42b17218, v17
	v_ldexp_f32 v54, v54, v91
	v_cvt_i32_f32_e32 v70, v70
	v_add_f32_e32 v58, v58, v72
	v_fma_f32 v80, 0x3fb8aa3b, v50, -v60
	v_cndmask_b32_e64 v33, 0x7f800000, v14, s31
	v_cmp_ngt_f32_e64 s31, 0xc2ce8ed0, v23
	v_ldexp_f32 v57, v57, v70
	v_exp_f32_e32 v58, v58
	v_rndne_f32_e32 v82, v60
	v_cvt_i32_f32_e32 v74, v74
	v_cndmask_b32_e64 v14, 0, v67, s31
	v_cmp_nlt_f32_e64 s31, 0x42b17218, v42
	v_fmac_f32_e32 v80, 0x32a5705f, v50
	v_sub_f32_e32 v60, v60, v82
	v_exp_f32_e32 v59, v59
	v_cvt_i32_f32_e32 v78, v78
	v_cndmask_b32_e64 v32, 0x7f800000, v15, s31
	v_cmp_ngt_f32_e64 s31, 0xc2ce8ed0, v43
	v_ldexp_f32 v58, v58, v74
	v_add_f32_e32 v60, v60, v80
	v_fma_f32 v84, 0x3fb8aa3b, v51, -v61
	v_cvt_i32_f32_e32 v82, v82
	v_cndmask_b32_e64 v15, 0, v68, s31
	v_cmp_nlt_f32_e64 s31, 0x42b17218, v23
	v_exp_f32_e32 v60, v60
	v_ldexp_f32 v59, v59, v78
	v_dual_fmac_f32 v84, 0x32a5705f, v51 :: v_dual_sub_f32 v61, v61, v86
	s_delay_alu instid0(VALU_DEP_3)
	v_cndmask_b32_e64 v31, 0x7f800000, v14, s31
	v_cmp_ngt_f32_e64 s31, 0xc2ce8ed0, v24
	v_fma_f32 v88, 0x3fb8aa3b, v52, -v62
	v_rndne_f32_e32 v90, v62
	v_add_f32_e32 v61, v61, v84
	v_cvt_i32_f32_e32 v86, v86
	v_cndmask_b32_e64 v14, 0, v69, s31
	v_cmp_nlt_f32_e64 s31, 0x42b17218, v43
	v_ldexp_f32 v60, v60, v82
	v_exp_f32_e32 v61, v61
	v_fmac_f32_e32 v88, 0x32a5705f, v52
	v_sub_f32_e32 v62, v62, v90
	v_cndmask_b32_e64 v30, 0x7f800000, v15, s31
	v_cmp_ngt_f32_e64 s31, 0xc2ce8ed0, v44
	v_fma_f32 v92, 0x3fb8aa3b, v41, -v63
	s_delay_alu instid0(VALU_DEP_2) | instskip(SKIP_1) | instid1(TRANS32_DEP_1)
	v_cndmask_b32_e64 v15, 0, v53, s31
	v_cmp_nlt_f32_e64 s31, 0x42b17218, v24
	v_ldexp_f32 v42, v61, v86
	s_delay_alu instid0(VALU_DEP_4) | instskip(NEXT) | instid1(VALU_DEP_3)
	v_fmac_f32_e32 v92, 0x32a5705f, v41
	v_cndmask_b32_e64 v29, 0x7f800000, v14, s31
	v_cmp_ngt_f32_e64 s31, 0xc2ce8ed0, v25
	s_delay_alu instid0(VALU_DEP_1) | instskip(SKIP_3) | instid1(VALU_DEP_3)
	v_cndmask_b32_e64 v14, 0, v54, s31
	v_cmp_nlt_f32_e64 s31, 0x42b17218, v44
	v_sub_f32_e32 v44, v13, v2
	v_cvt_i32_f32_e32 v13, v90
	v_cndmask_b32_e64 v28, 0x7f800000, v15, s31
	v_cmp_ngt_f32_e64 s31, 0xc2ce8ed0, v45
	s_delay_alu instid0(VALU_DEP_1) | instskip(SKIP_1) | instid1(VALU_DEP_1)
	v_cndmask_b32_e64 v15, 0, v55, s31
	v_cmp_nlt_f32_e64 s31, 0x42b17218, v25
	v_cndmask_b32_e64 v27, 0x7f800000, v14, s31
	v_cmp_ngt_f32_e64 s31, 0xc2ce8ed0, v46
	s_delay_alu instid0(VALU_DEP_1) | instskip(SKIP_2) | instid1(VALU_DEP_2)
	v_cndmask_b32_e64 v14, 0, v56, s31
	v_cmp_nlt_f32_e64 s31, 0x42b17218, v45
	v_mul_f32_e32 v45, 0x3fb8aa3b, v44
	v_cndmask_b32_e64 v26, 0x7f800000, v15, s31
	v_cmp_ngt_f32_e64 s31, 0xc2ce8ed0, v47
	s_delay_alu instid0(VALU_DEP_1) | instskip(SKIP_2) | instid1(VALU_DEP_2)
	v_cndmask_b32_e64 v15, 0, v57, s31
	v_cmp_nlt_f32_e64 s31, 0x42b17218, v46
	v_rndne_f32_e32 v46, v45
	v_cndmask_b32_e64 v25, 0x7f800000, v14, s31
	v_cmp_ngt_f32_e64 s31, 0xc2ce8ed0, v48
	s_delay_alu instid0(VALU_DEP_1) | instskip(SKIP_1) | instid1(VALU_DEP_1)
	v_cndmask_b32_e64 v14, 0, v58, s31
	v_cmp_nlt_f32_e64 s31, 0x42b17218, v47
	v_cndmask_b32_e64 v24, 0x7f800000, v15, s31
	v_cmp_ngt_f32_e64 s31, 0xc2ce8ed0, v49
	s_delay_alu instid0(VALU_DEP_1) | instskip(SKIP_1) | instid1(VALU_DEP_1)
	v_cndmask_b32_e64 v15, 0, v59, s31
	v_cmp_nlt_f32_e64 s31, 0x42b17218, v48
	v_cndmask_b32_e64 v23, 0x7f800000, v14, s31
	v_cmp_ngt_f32_e64 s31, 0xc2ce8ed0, v50
	s_delay_alu instid0(VALU_DEP_1) | instskip(SKIP_2) | instid1(VALU_DEP_2)
	v_cndmask_b32_e64 v14, 0, v60, s31
	v_cmp_nlt_f32_e64 s31, 0x42b17218, v49
	v_sub_f32_e32 v49, v12, v2
	v_cndmask_b32_e64 v17, 0x7f800000, v15, s31
	v_cmp_nlt_f32_e64 s31, 0x42b17218, v50
	v_add_f32_e32 v15, v62, v88
	s_delay_alu instid0(VALU_DEP_2) | instskip(SKIP_2) | instid1(VALU_DEP_4)
	v_cndmask_b32_e64 v16, 0x7f800000, v14, s31
	v_rndne_f32_e32 v14, v63
	v_cmp_ngt_f32_e64 s31, 0xc2ce8ed0, v51
	v_exp_f32_e32 v43, v15
	s_delay_alu instid0(VALU_DEP_2) | instskip(NEXT) | instid1(VALU_DEP_2)
	v_cvt_i32_f32_e32 v47, v14
	v_cndmask_b32_e64 v15, 0, v42, s31
	v_sub_f32_e32 v42, v63, v14
	v_cmp_nlt_f32_e64 s31, 0x42b17218, v51
	s_delay_alu instid0(VALU_DEP_2) | instskip(NEXT) | instid1(VALU_DEP_2)
	v_add_f32_e32 v42, v42, v92
	v_cndmask_b32_e64 v15, 0x7f800000, v15, s31
	s_delay_alu instid0(TRANS32_DEP_1) | instskip(SKIP_4) | instid1(VALU_DEP_3)
	v_ldexp_f32 v13, v43, v13
	v_fma_f32 v43, 0x3fb8aa3b, v44, -v45
	v_cmp_ngt_f32_e64 s31, 0xc2ce8ed0, v52
	v_exp_f32_e32 v42, v42
	v_sub_f32_e32 v45, v45, v46
	v_fmac_f32_e32 v43, 0x32a5705f, v44
	s_delay_alu instid0(VALU_DEP_3) | instskip(SKIP_1) | instid1(VALU_DEP_1)
	v_cndmask_b32_e64 v13, 0, v13, s31
	v_cmp_nlt_f32_e64 s31, 0x42b17218, v52
	v_cndmask_b32_e64 v14, 0x7f800000, v13, s31
	s_waitcnt_depctr 0xfff
	v_ldexp_f32 v13, v42, v47
	v_add_f32_e32 v42, v45, v43
	v_cmp_ngt_f32_e64 s31, 0xc2ce8ed0, v41
	v_mul_f32_e32 v43, 0x3fb8aa3b, v21
	v_sub_f32_e32 v45, v11, v2
	v_cvt_i32_f32_e32 v11, v46
	v_exp_f32_e32 v42, v42
	v_cndmask_b32_e64 v13, 0, v13, s31
	v_cmp_nlt_f32_e64 s31, 0x42b17218, v41
	v_fma_f32 v41, 0x3fb8aa3b, v21, -v43
	v_rndne_f32_e32 v46, v43
	v_mul_f32_e32 v47, 0x3fb8aa3b, v45
	s_delay_alu instid0(VALU_DEP_4) | instskip(NEXT) | instid1(VALU_DEP_4)
	v_cndmask_b32_e64 v13, 0x7f800000, v13, s31
	v_fmac_f32_e32 v41, 0x32a5705f, v21
	v_cmp_ngt_f32_e64 s31, 0xc2ce8ed0, v44
	s_delay_alu instid0(TRANS32_DEP_1) | instskip(SKIP_3) | instid1(VALU_DEP_4)
	v_ldexp_f32 v11, v42, v11
	v_sub_f32_e32 v42, v43, v46
	v_fma_f32 v43, 0x3fb8aa3b, v45, -v47
	v_rndne_f32_e32 v48, v47
	v_cndmask_b32_e64 v11, 0, v11, s31
	s_delay_alu instid0(VALU_DEP_4) | instskip(NEXT) | instid1(VALU_DEP_4)
	v_add_f32_e32 v12, v42, v41
	v_fmac_f32_e32 v43, 0x32a5705f, v45
	s_delay_alu instid0(VALU_DEP_4) | instskip(SKIP_1) | instid1(VALU_DEP_4)
	v_dual_sub_f32 v41, v47, v48 :: v_dual_mul_f32 v42, 0x3fb8aa3b, v49
	v_cmp_nlt_f32_e64 s31, 0x42b17218, v44
	v_exp_f32_e32 v12, v12
	v_sub_f32_e32 v47, v10, v2
	s_delay_alu instid0(VALU_DEP_3)
	v_add_f32_e32 v41, v41, v43
	v_fma_f32 v43, 0x3fb8aa3b, v49, -v42
	v_rndne_f32_e32 v44, v42
	v_cvt_i32_f32_e32 v10, v46
	v_cndmask_b32_e64 v11, 0x7f800000, v11, s31
	v_exp_f32_e32 v41, v41
	s_delay_alu instid0(VALU_DEP_3)
	v_dual_fmac_f32 v43, 0x32a5705f, v49 :: v_dual_sub_f32 v42, v42, v44
	v_mul_f32_e32 v46, 0x3fb8aa3b, v47
	v_ldexp_f32 v10, v12, v10
	v_cmp_ngt_f32_e64 s31, 0xc2ce8ed0, v21
	v_cvt_i32_f32_e32 v12, v48
	v_add_f32_e32 v42, v42, v43
	v_fma_f32 v43, 0x3fb8aa3b, v47, -v46
	v_rndne_f32_e32 v48, v46
	v_cndmask_b32_e64 v10, 0, v10, s31
	v_cmp_nlt_f32_e64 s31, 0x42b17218, v21
	v_ldexp_f32 v41, v41, v12
	v_exp_f32_e32 v42, v42
	v_dual_fmac_f32 v43, 0x32a5705f, v47 :: v_dual_sub_f32 v46, v46, v48
	s_delay_alu instid0(VALU_DEP_3) | instskip(SKIP_2) | instid1(VALU_DEP_2)
	v_cndmask_b32_e64 v12, 0x7f800000, v10, s31
	v_cmp_ngt_f32_e64 s31, 0xc2ce8ed0, v45
	v_cvt_i32_f32_e32 v10, v44
	v_cndmask_b32_e64 v21, 0, v41, s31
	v_add_f32_e32 v41, v46, v43
	v_cmp_nlt_f32_e64 s31, 0x42b17218, v45
	s_delay_alu instid0(TRANS32_DEP_1) | instid1(VALU_DEP_4)
	v_ldexp_f32 v42, v42, v10
	v_cvt_i32_f32_e32 v43, v48
	v_sub_f32_e32 v45, v6, v2
	v_sub_f32_e32 v46, v9, v2
	v_cndmask_b32_e64 v10, 0x7f800000, v21, s31
	v_exp_f32_e32 v21, v41
	v_cmp_ngt_f32_e64 s31, 0xc2ce8ed0, v49
	s_delay_alu instid0(VALU_DEP_1)
	v_cndmask_b32_e64 v41, 0, v42, s31
	v_sub_f32_e32 v42, v8, v2
	v_cmp_nlt_f32_e64 s31, 0x42b17218, v49
	v_sub_f32_e32 v2, v7, v2
	s_waitcnt_depctr 0xfff
	v_ldexp_f32 v21, v21, v43
	v_cndmask_b32_e64 v8, 0x7f800000, v41, s31
	v_mul_f32_e32 v41, 0x3fb8aa3b, v42
	v_cmp_ngt_f32_e64 s31, 0xc2ce8ed0, v47
	v_mul_f32_e32 v49, 0x3fb8aa3b, v2
	s_delay_alu instid0(VALU_DEP_3) | instskip(SKIP_1) | instid1(VALU_DEP_4)
	v_fma_f32 v43, 0x3fb8aa3b, v42, -v41
	v_rndne_f32_e32 v44, v41
	v_cndmask_b32_e64 v21, 0, v21, s31
	v_cmp_nlt_f32_e64 s31, 0x42b17218, v47
	v_mul_f32_e32 v47, 0x3fb8aa3b, v46
	v_fmac_f32_e32 v43, 0x32a5705f, v42
	v_sub_f32_e32 v41, v41, v44
	v_rndne_f32_e32 v50, v49
	v_cndmask_b32_e64 v6, 0x7f800000, v21, s31
	v_mul_f32_e32 v21, 0x3fb8aa3b, v45
	v_rndne_f32_e32 v48, v47
	v_add_f32_e32 v9, v41, v43
	v_cvt_i32_f32_e32 v44, v44
	v_cmp_ngt_f32_e64 s31, 0xc2ce8ed0, v42
	v_rndne_f32_e32 v43, v21
	v_add_f32_e32 v4, v4, v37
	v_fma_f32 v41, 0x3fb8aa3b, v45, -v21
	v_exp_f32_e32 v9, v9
	s_delay_alu instid0(VALU_DEP_2) | instskip(NEXT) | instid1(VALU_DEP_2)
	v_dual_sub_f32 v7, v21, v43 :: v_dual_add_f32 v4, v4, v36
	v_fmac_f32_e32 v41, 0x32a5705f, v45
	v_fma_f32 v21, 0x3fb8aa3b, v46, -v47
	v_cvt_i32_f32_e32 v43, v43
	s_delay_alu instid0(VALU_DEP_3) | instskip(NEXT) | instid1(VALU_DEP_3)
	v_dual_add_f32 v4, v4, v35 :: v_dual_add_f32 v7, v7, v41
	v_fmac_f32_e32 v21, 0x32a5705f, v46
	v_sub_f32_e32 v41, v47, v48
	v_fma_f32 v47, 0x3fb8aa3b, v2, -v49
	s_delay_alu instid0(VALU_DEP_4) | instskip(SKIP_3) | instid1(VALU_DEP_3)
	v_add_f32_e32 v4, v4, v34
	v_exp_f32_e32 v7, v7
	v_ldexp_f32 v9, v9, v44
	v_add_f32_e32 v21, v41, v21
	v_dual_fmac_f32 v47, 0x32a5705f, v2 :: v_dual_add_f32 v4, v4, v33
	v_sub_f32_e32 v41, v49, v50
	s_delay_alu instid0(VALU_DEP_4) | instskip(SKIP_2) | instid1(VALU_DEP_3)
	v_cndmask_b32_e64 v9, 0, v9, s31
	v_cmp_nlt_f32_e64 s31, 0x42b17218, v42
	v_exp_f32_e32 v21, v21
	v_dual_add_f32 v4, v4, v32 :: v_dual_add_f32 v41, v41, v47
	s_delay_alu instid0(TRANS32_DEP_2) | instskip(NEXT) | instid1(VALU_DEP_3)
	v_ldexp_f32 v7, v7, v43
	v_cndmask_b32_e64 v9, 0x7f800000, v9, s31
	v_cmp_ngt_f32_e64 s31, 0xc2ce8ed0, v45
	s_delay_alu instid0(VALU_DEP_4) | instskip(SKIP_2) | instid1(VALU_DEP_3)
	v_add_f32_e32 v4, v4, v31
	v_cvt_i32_f32_e32 v42, v48
	v_exp_f32_e32 v41, v41
	v_cndmask_b32_e64 v7, 0, v7, s31
	s_delay_alu instid0(VALU_DEP_3) | instskip(SKIP_3) | instid1(VALU_DEP_4)
	v_add_f32_e32 v4, v4, v30
	v_cmp_nlt_f32_e64 s31, 0x42b17218, v45
	v_ldexp_f32 v21, v21, v42
	v_cvt_i32_f32_e32 v42, v50
	v_add_f32_e32 v4, v4, v29
	s_delay_alu instid0(VALU_DEP_4)
	v_cndmask_b32_e64 v7, 0x7f800000, v7, s31
	v_cmp_ngt_f32_e64 s31, 0xc2ce8ed0, v46
	s_delay_alu instid0(TRANS32_DEP_1) | instid1(VALU_DEP_4)
	v_ldexp_f32 v41, v41, v42
	s_delay_alu instid0(VALU_DEP_4) | instskip(NEXT) | instid1(VALU_DEP_3)
	v_add_f32_e32 v4, v4, v28
	v_cndmask_b32_e64 v21, 0, v21, s31
	v_cmp_nlt_f32_e64 s31, 0x42b17218, v46
	s_delay_alu instid0(VALU_DEP_3) | instskip(NEXT) | instid1(VALU_DEP_1)
	v_add_f32_e32 v4, v4, v27
	v_add_f32_e32 v4, v4, v26
	s_delay_alu instid0(VALU_DEP_1) | instskip(NEXT) | instid1(VALU_DEP_1)
	v_add_f32_e32 v4, v4, v25
	v_add_f32_e32 v4, v4, v24
	s_delay_alu instid0(VALU_DEP_1) | instskip(NEXT) | instid1(VALU_DEP_1)
	;; [unrolled: 3-line block ×7, first 2 shown]
	v_add_f32_e32 v4, v4, v6
	v_add_f32_e32 v4, v4, v9
	s_delay_alu instid0(VALU_DEP_1) | instskip(SKIP_2) | instid1(VALU_DEP_1)
	v_add_f32_e32 v42, v4, v7
	v_cndmask_b32_e64 v4, 0x7f800000, v21, s31
	v_cmp_ngt_f32_e64 s31, 0xc2ce8ed0, v2
	v_cndmask_b32_e64 v21, 0, v41, s31
	v_cmp_nlt_f32_e64 s31, 0x42b17218, v2
	s_delay_alu instid0(VALU_DEP_4) | instskip(NEXT) | instid1(VALU_DEP_2)
	v_add_f32_e32 v41, v42, v4
	v_cndmask_b32_e64 v2, 0x7f800000, v21, s31
	s_delay_alu instid0(VALU_DEP_1)
	v_add_f32_e32 v21, v41, v2
	ds_bpermute_b32 v3, v3, v21
	s_waitcnt lgkmcnt(0)
	v_add_f32_e32 v3, v21, v3
	ds_bpermute_b32 v18, v18, v3
	s_waitcnt lgkmcnt(0)
	v_add_f32_e32 v3, v3, v18
	ds_bpermute_b32 v18, v19, v3
	s_waitcnt lgkmcnt(0)
	v_add_f32_e32 v3, v3, v18
	ds_bpermute_b32 v18, v20, v3
	s_waitcnt lgkmcnt(0)
	v_add_f32_e32 v3, v3, v18
	ds_bpermute_b32 v18, v22, v3
	v_cmpx_lt_i32_e32 0, v5
	s_cbranch_execz .LBB427_162
; %bb.65:
	s_and_b32 exec_lo, exec_lo, vcc_lo
	s_cbranch_execz .LBB427_162
; %bb.66:
	s_waitcnt lgkmcnt(0)
	v_add_f32_e32 v3, v3, v18
	v_mov_b32_e32 v5, 0x7e00
	s_delay_alu instid0(VALU_DEP_2) | instskip(NEXT) | instid1(VALU_DEP_1)
	v_cmp_neq_f32_e64 s31, 0, v3
	s_and_saveexec_b32 s33, s31
	s_cbranch_execz .LBB427_68
; %bb.67:
	v_div_scale_f32 v5, null, v3, v3, v40
	s_delay_alu instid0(VALU_DEP_1) | instskip(SKIP_2) | instid1(VALU_DEP_1)
	v_rcp_f32_e32 v18, v5
	s_waitcnt_depctr 0xfff
	v_fma_f32 v19, -v5, v18, 1.0
	v_fmac_f32_e32 v18, v19, v18
	v_div_scale_f32 v19, vcc_lo, v40, v3, v40
	s_delay_alu instid0(VALU_DEP_1) | instskip(NEXT) | instid1(VALU_DEP_1)
	v_mul_f32_e32 v20, v19, v18
	v_fma_f32 v21, -v5, v20, v19
	s_delay_alu instid0(VALU_DEP_1) | instskip(NEXT) | instid1(VALU_DEP_1)
	v_fmac_f32_e32 v20, v21, v18
	v_fma_f32 v5, -v5, v20, v19
	s_delay_alu instid0(VALU_DEP_1) | instskip(NEXT) | instid1(VALU_DEP_1)
	v_div_fmas_f32 v5, v5, v18, v20
	v_div_fixup_f32 v5, v5, v3, v40
	s_delay_alu instid0(VALU_DEP_1)
	v_cvt_f16_f32_e32 v5, v5
.LBB427_68:
	s_or_b32 exec_lo, exec_lo, s33
	v_add_co_u32 v0, vcc_lo, s36, v0
	v_add_co_ci_u32_e32 v1, vcc_lo, s37, v1, vcc_lo
	global_store_b16 v[0:1], v5, off
	s_and_b32 exec_lo, exec_lo, s30
	s_cbranch_execz .LBB427_162
; %bb.69:
	v_mov_b32_e32 v5, 0x7e00
	s_and_saveexec_b32 s30, s31
	s_cbranch_execz .LBB427_71
; %bb.70:
	v_div_scale_f32 v5, null, v3, v3, v39
	s_delay_alu instid0(VALU_DEP_1) | instskip(SKIP_2) | instid1(VALU_DEP_1)
	v_rcp_f32_e32 v18, v5
	s_waitcnt_depctr 0xfff
	v_fma_f32 v19, -v5, v18, 1.0
	v_fmac_f32_e32 v18, v19, v18
	v_div_scale_f32 v19, vcc_lo, v39, v3, v39
	s_delay_alu instid0(VALU_DEP_1) | instskip(NEXT) | instid1(VALU_DEP_1)
	v_mul_f32_e32 v20, v19, v18
	v_fma_f32 v21, -v5, v20, v19
	s_delay_alu instid0(VALU_DEP_1) | instskip(NEXT) | instid1(VALU_DEP_1)
	v_fmac_f32_e32 v20, v21, v18
	v_fma_f32 v5, -v5, v20, v19
	s_delay_alu instid0(VALU_DEP_1) | instskip(NEXT) | instid1(VALU_DEP_1)
	v_div_fmas_f32 v5, v5, v18, v20
	v_div_fixup_f32 v5, v5, v3, v39
	s_delay_alu instid0(VALU_DEP_1)
	v_cvt_f16_f32_e32 v5, v5
.LBB427_71:
	s_or_b32 exec_lo, exec_lo, s30
	global_store_b16 v[0:1], v5, off offset:64
	s_and_b32 exec_lo, exec_lo, s29
	s_cbranch_execz .LBB427_162
; %bb.72:
	v_mov_b32_e32 v5, 0x7e00
	s_and_saveexec_b32 s29, s31
	s_cbranch_execz .LBB427_74
; %bb.73:
	v_div_scale_f32 v5, null, v3, v3, v38
	s_delay_alu instid0(VALU_DEP_1) | instskip(SKIP_2) | instid1(VALU_DEP_1)
	v_rcp_f32_e32 v18, v5
	s_waitcnt_depctr 0xfff
	v_fma_f32 v19, -v5, v18, 1.0
	v_fmac_f32_e32 v18, v19, v18
	v_div_scale_f32 v19, vcc_lo, v38, v3, v38
	s_delay_alu instid0(VALU_DEP_1) | instskip(NEXT) | instid1(VALU_DEP_1)
	v_mul_f32_e32 v20, v19, v18
	v_fma_f32 v21, -v5, v20, v19
	s_delay_alu instid0(VALU_DEP_1) | instskip(NEXT) | instid1(VALU_DEP_1)
	v_fmac_f32_e32 v20, v21, v18
	v_fma_f32 v5, -v5, v20, v19
	s_delay_alu instid0(VALU_DEP_1) | instskip(NEXT) | instid1(VALU_DEP_1)
	v_div_fmas_f32 v5, v5, v18, v20
	v_div_fixup_f32 v5, v5, v3, v38
	s_delay_alu instid0(VALU_DEP_1)
	v_cvt_f16_f32_e32 v5, v5
.LBB427_74:
	s_or_b32 exec_lo, exec_lo, s29
	global_store_b16 v[0:1], v5, off offset:128
	;; [unrolled: 28-line block ×31, first 2 shown]
.LBB427_162:
	s_nop 0
	s_sendmsg sendmsg(MSG_DEALLOC_VGPRS)
	s_endpgm
	.section	.rodata,"a",@progbits
	.p2align	6, 0x0
	.amdhsa_kernel _ZN12_GLOBAL__N_120softmax_warp_forwardIN3c104HalfES2_fLi10ELb0ELb0ELi32EEEvPT0_PKT_iiiPKbib
		.amdhsa_group_segment_fixed_size 0
		.amdhsa_private_segment_fixed_size 0
		.amdhsa_kernarg_size 304
		.amdhsa_user_sgpr_count 15
		.amdhsa_user_sgpr_dispatch_ptr 0
		.amdhsa_user_sgpr_queue_ptr 0
		.amdhsa_user_sgpr_kernarg_segment_ptr 1
		.amdhsa_user_sgpr_dispatch_id 0
		.amdhsa_user_sgpr_private_segment_size 0
		.amdhsa_wavefront_size32 1
		.amdhsa_uses_dynamic_stack 0
		.amdhsa_enable_private_segment 0
		.amdhsa_system_sgpr_workgroup_id_x 1
		.amdhsa_system_sgpr_workgroup_id_y 0
		.amdhsa_system_sgpr_workgroup_id_z 0
		.amdhsa_system_sgpr_workgroup_info 0
		.amdhsa_system_vgpr_workitem_id 1
		.amdhsa_next_free_vgpr 94
		.amdhsa_next_free_sgpr 44
		.amdhsa_reserve_vcc 1
		.amdhsa_float_round_mode_32 0
		.amdhsa_float_round_mode_16_64 0
		.amdhsa_float_denorm_mode_32 3
		.amdhsa_float_denorm_mode_16_64 3
		.amdhsa_dx10_clamp 1
		.amdhsa_ieee_mode 1
		.amdhsa_fp16_overflow 0
		.amdhsa_workgroup_processor_mode 1
		.amdhsa_memory_ordered 1
		.amdhsa_forward_progress 0
		.amdhsa_shared_vgpr_count 0
		.amdhsa_exception_fp_ieee_invalid_op 0
		.amdhsa_exception_fp_denorm_src 0
		.amdhsa_exception_fp_ieee_div_zero 0
		.amdhsa_exception_fp_ieee_overflow 0
		.amdhsa_exception_fp_ieee_underflow 0
		.amdhsa_exception_fp_ieee_inexact 0
		.amdhsa_exception_int_div_zero 0
	.end_amdhsa_kernel
	.section	.text._ZN12_GLOBAL__N_120softmax_warp_forwardIN3c104HalfES2_fLi10ELb0ELb0ELi32EEEvPT0_PKT_iiiPKbib,"axG",@progbits,_ZN12_GLOBAL__N_120softmax_warp_forwardIN3c104HalfES2_fLi10ELb0ELb0ELi32EEEvPT0_PKT_iiiPKbib,comdat
.Lfunc_end427:
	.size	_ZN12_GLOBAL__N_120softmax_warp_forwardIN3c104HalfES2_fLi10ELb0ELb0ELi32EEEvPT0_PKT_iiiPKbib, .Lfunc_end427-_ZN12_GLOBAL__N_120softmax_warp_forwardIN3c104HalfES2_fLi10ELb0ELb0ELi32EEEvPT0_PKT_iiiPKbib
                                        ; -- End function
	.section	.AMDGPU.csdata,"",@progbits
; Kernel info:
; codeLenInByte = 11188
; NumSgprs: 46
; NumVgprs: 94
; ScratchSize: 0
; MemoryBound: 0
; FloatMode: 240
; IeeeMode: 1
; LDSByteSize: 0 bytes/workgroup (compile time only)
; SGPRBlocks: 5
; VGPRBlocks: 11
; NumSGPRsForWavesPerEU: 46
; NumVGPRsForWavesPerEU: 94
; Occupancy: 16
; WaveLimiterHint : 0
; COMPUTE_PGM_RSRC2:SCRATCH_EN: 0
; COMPUTE_PGM_RSRC2:USER_SGPR: 15
; COMPUTE_PGM_RSRC2:TRAP_HANDLER: 0
; COMPUTE_PGM_RSRC2:TGID_X_EN: 1
; COMPUTE_PGM_RSRC2:TGID_Y_EN: 0
; COMPUTE_PGM_RSRC2:TGID_Z_EN: 0
; COMPUTE_PGM_RSRC2:TIDIG_COMP_CNT: 1
	.section	.text._ZN12_GLOBAL__N_120softmax_warp_forwardIN3c104HalfES2_fLi11ELb0ELb0ELi64EEEvPT0_PKT_iiiPKbib,"axG",@progbits,_ZN12_GLOBAL__N_120softmax_warp_forwardIN3c104HalfES2_fLi11ELb0ELb0ELi64EEEvPT0_PKT_iiiPKbib,comdat
	.globl	_ZN12_GLOBAL__N_120softmax_warp_forwardIN3c104HalfES2_fLi11ELb0ELb0ELi64EEEvPT0_PKT_iiiPKbib ; -- Begin function _ZN12_GLOBAL__N_120softmax_warp_forwardIN3c104HalfES2_fLi11ELb0ELb0ELi64EEEvPT0_PKT_iiiPKbib
	.p2align	8
	.type	_ZN12_GLOBAL__N_120softmax_warp_forwardIN3c104HalfES2_fLi11ELb0ELb0ELi64EEEvPT0_PKT_iiiPKbib,@function
_ZN12_GLOBAL__N_120softmax_warp_forwardIN3c104HalfES2_fLi11ELb0ELb0ELi64EEEvPT0_PKT_iiiPKbib: ; @_ZN12_GLOBAL__N_120softmax_warp_forwardIN3c104HalfES2_fLi11ELb0ELb0ELi64EEEvPT0_PKT_iiiPKbib
; %bb.0:
	s_clause 0x1
	s_load_b32 s2, s[0:1], 0x3c
	s_load_b256 s[36:43], s[0:1], 0x0
	v_bfe_u32 v1, v0, 10, 10
	v_dual_mov_b32 v13, 0xff800000 :: v_dual_mov_b32 v26, 0xff800000
	s_waitcnt lgkmcnt(0)
	s_lshr_b32 s0, s2, 16
	s_delay_alu instid0(VALU_DEP_2) | instid1(SALU_CYCLE_1)
	v_mad_u64_u32 v[3:4], null, s15, s0, v[1:2]
	v_and_b32_e32 v2, 0x3ff, v0
	s_delay_alu instid0(VALU_DEP_1) | instskip(NEXT) | instid1(VALU_DEP_3)
	v_cmp_gt_i32_e32 vcc_lo, s42, v2
	v_mad_u64_u32 v[0:1], null, v3, s41, v[2:3]
	v_sub_nc_u32_e32 v5, s40, v3
	s_delay_alu instid0(VALU_DEP_1) | instskip(NEXT) | instid1(VALU_DEP_3)
	v_cmp_lt_i32_e64 s31, 0, v5
	v_ashrrev_i32_e32 v1, 31, v0
	s_delay_alu instid0(VALU_DEP_2) | instskip(NEXT) | instid1(VALU_DEP_1)
	s_and_b32 s1, s31, vcc_lo
	v_lshlrev_b64 v[0:1], 1, v[0:1]
	s_delay_alu instid0(VALU_DEP_1) | instskip(NEXT) | instid1(VALU_DEP_1)
	v_add_co_u32 v3, s0, s38, v0
	v_add_co_ci_u32_e64 v4, s0, s39, v1, s0
	s_and_saveexec_b32 s0, s1
	s_cbranch_execz .LBB428_2
; %bb.1:
	global_load_u16 v6, v[3:4], off
	s_waitcnt vmcnt(0)
	v_cvt_f32_f16_e32 v26, v6
.LBB428_2:
	s_or_b32 exec_lo, exec_lo, s0
	v_add_nc_u32_e32 v6, 64, v2
	s_delay_alu instid0(VALU_DEP_1) | instskip(NEXT) | instid1(VALU_DEP_1)
	v_cmp_gt_i32_e64 s30, s42, v6
	s_and_b32 s1, s31, s30
	s_delay_alu instid0(SALU_CYCLE_1)
	s_and_saveexec_b32 s0, s1
	s_cbranch_execz .LBB428_4
; %bb.3:
	global_load_u16 v6, v[3:4], off offset:128
	s_waitcnt vmcnt(0)
	v_cvt_f32_f16_e32 v13, v6
.LBB428_4:
	s_or_b32 exec_lo, exec_lo, s0
	v_add_nc_u32_e32 v6, 0x80, v2
	v_dual_mov_b32 v14, 0xff800000 :: v_dual_mov_b32 v29, 0xff800000
	s_delay_alu instid0(VALU_DEP_2) | instskip(NEXT) | instid1(VALU_DEP_1)
	v_cmp_gt_i32_e64 s29, s42, v6
	s_and_b32 s1, s31, s29
	s_delay_alu instid0(SALU_CYCLE_1)
	s_and_saveexec_b32 s0, s1
	s_cbranch_execz .LBB428_6
; %bb.5:
	global_load_u16 v6, v[3:4], off offset:256
	s_waitcnt vmcnt(0)
	v_cvt_f32_f16_e32 v29, v6
.LBB428_6:
	s_or_b32 exec_lo, exec_lo, s0
	v_add_nc_u32_e32 v6, 0xc0, v2
	s_delay_alu instid0(VALU_DEP_1) | instskip(NEXT) | instid1(VALU_DEP_1)
	v_cmp_gt_i32_e64 s28, s42, v6
	s_and_b32 s1, s31, s28
	s_delay_alu instid0(SALU_CYCLE_1)
	s_and_saveexec_b32 s0, s1
	s_cbranch_execz .LBB428_8
; %bb.7:
	global_load_u16 v6, v[3:4], off offset:384
	s_waitcnt vmcnt(0)
	v_cvt_f32_f16_e32 v14, v6
.LBB428_8:
	s_or_b32 exec_lo, exec_lo, s0
	v_add_nc_u32_e32 v6, 0x100, v2
	v_mov_b32_e32 v15, 0xff800000
	v_mov_b32_e32 v31, 0xff800000
	s_delay_alu instid0(VALU_DEP_3) | instskip(NEXT) | instid1(VALU_DEP_1)
	v_cmp_gt_i32_e64 s27, s42, v6
	s_and_b32 s1, s31, s27
	s_delay_alu instid0(SALU_CYCLE_1)
	s_and_saveexec_b32 s0, s1
	s_cbranch_execz .LBB428_10
; %bb.9:
	global_load_u16 v6, v[3:4], off offset:512
	s_waitcnt vmcnt(0)
	v_cvt_f32_f16_e32 v31, v6
.LBB428_10:
	s_or_b32 exec_lo, exec_lo, s0
	v_add_nc_u32_e32 v6, 0x140, v2
	s_delay_alu instid0(VALU_DEP_1) | instskip(NEXT) | instid1(VALU_DEP_1)
	v_cmp_gt_i32_e64 s26, s42, v6
	s_and_b32 s1, s31, s26
	s_delay_alu instid0(SALU_CYCLE_1)
	s_and_saveexec_b32 s0, s1
	s_cbranch_execz .LBB428_12
; %bb.11:
	global_load_u16 v6, v[3:4], off offset:640
	s_waitcnt vmcnt(0)
	v_cvt_f32_f16_e32 v15, v6
.LBB428_12:
	s_or_b32 exec_lo, exec_lo, s0
	v_add_nc_u32_e32 v6, 0x180, v2
	v_mov_b32_e32 v19, 0xff800000
	v_mov_b32_e32 v33, 0xff800000
	s_delay_alu instid0(VALU_DEP_3) | instskip(NEXT) | instid1(VALU_DEP_1)
	;; [unrolled: 28-line block ×6, first 2 shown]
	v_cmp_gt_i32_e64 s17, s42, v6
	s_and_b32 s1, s31, s17
	s_delay_alu instid0(SALU_CYCLE_1)
	s_and_saveexec_b32 s0, s1
	s_cbranch_execz .LBB428_30
; %bb.29:
	global_load_u16 v6, v[3:4], off offset:1792
	s_waitcnt vmcnt(0)
	v_cvt_f32_f16_e32 v37, v6
.LBB428_30:
	s_or_b32 exec_lo, exec_lo, s0
	v_add_nc_u32_e32 v6, 0x3c0, v2
	s_delay_alu instid0(VALU_DEP_1) | instskip(NEXT) | instid1(VALU_DEP_1)
	v_cmp_gt_i32_e64 s16, s42, v6
	s_and_b32 s1, s31, s16
	s_delay_alu instid0(SALU_CYCLE_1)
	s_and_saveexec_b32 s0, s1
	s_cbranch_execz .LBB428_32
; %bb.31:
	global_load_u16 v6, v[3:4], off offset:1920
	s_waitcnt vmcnt(0)
	v_cvt_f32_f16_e32 v25, v6
.LBB428_32:
	s_or_b32 exec_lo, exec_lo, s0
	v_or_b32_e32 v6, 0x400, v2
	v_dual_mov_b32 v27, 0xff800000 :: v_dual_mov_b32 v38, 0xff800000
	s_delay_alu instid0(VALU_DEP_2) | instskip(NEXT) | instid1(VALU_DEP_1)
	v_cmp_gt_i32_e64 s15, s42, v6
	s_and_b32 s1, s31, s15
	s_delay_alu instid0(SALU_CYCLE_1)
	s_and_saveexec_b32 s0, s1
	s_cbranch_execz .LBB428_34
; %bb.33:
	global_load_u16 v6, v[3:4], off offset:2048
	s_waitcnt vmcnt(0)
	v_cvt_f32_f16_e32 v38, v6
.LBB428_34:
	s_or_b32 exec_lo, exec_lo, s0
	v_add_nc_u32_e32 v6, 0x440, v2
	s_delay_alu instid0(VALU_DEP_1) | instskip(NEXT) | instid1(VALU_DEP_1)
	v_cmp_gt_i32_e64 s14, s42, v6
	s_and_b32 s1, s31, s14
	s_delay_alu instid0(SALU_CYCLE_1)
	s_and_saveexec_b32 s0, s1
	s_cbranch_execz .LBB428_36
; %bb.35:
	global_load_u16 v6, v[3:4], off offset:2176
	s_waitcnt vmcnt(0)
	v_cvt_f32_f16_e32 v27, v6
.LBB428_36:
	s_or_b32 exec_lo, exec_lo, s0
	v_add_nc_u32_e32 v6, 0x480, v2
	v_dual_mov_b32 v28, 0xff800000 :: v_dual_mov_b32 v39, 0xff800000
	s_delay_alu instid0(VALU_DEP_2) | instskip(NEXT) | instid1(VALU_DEP_1)
	v_cmp_gt_i32_e64 s13, s42, v6
	s_and_b32 s1, s31, s13
	s_delay_alu instid0(SALU_CYCLE_1)
	s_and_saveexec_b32 s0, s1
	s_cbranch_execz .LBB428_38
; %bb.37:
	global_load_u16 v6, v[3:4], off offset:2304
	s_waitcnt vmcnt(0)
	v_cvt_f32_f16_e32 v39, v6
.LBB428_38:
	s_or_b32 exec_lo, exec_lo, s0
	v_add_nc_u32_e32 v6, 0x4c0, v2
	s_delay_alu instid0(VALU_DEP_1) | instskip(NEXT) | instid1(VALU_DEP_1)
	v_cmp_gt_i32_e64 s12, s42, v6
	s_and_b32 s1, s31, s12
	s_delay_alu instid0(SALU_CYCLE_1)
	s_and_saveexec_b32 s0, s1
	s_cbranch_execz .LBB428_40
; %bb.39:
	global_load_u16 v6, v[3:4], off offset:2432
	s_waitcnt vmcnt(0)
	v_cvt_f32_f16_e32 v28, v6
.LBB428_40:
	s_or_b32 exec_lo, exec_lo, s0
	v_add_nc_u32_e32 v6, 0x500, v2
	v_mov_b32_e32 v30, 0xff800000
	v_mov_b32_e32 v40, 0xff800000
	s_delay_alu instid0(VALU_DEP_3) | instskip(NEXT) | instid1(VALU_DEP_1)
	v_cmp_gt_i32_e64 s11, s42, v6
	s_and_b32 s1, s31, s11
	s_delay_alu instid0(SALU_CYCLE_1)
	s_and_saveexec_b32 s0, s1
	s_cbranch_execz .LBB428_42
; %bb.41:
	global_load_u16 v6, v[3:4], off offset:2560
	s_waitcnt vmcnt(0)
	v_cvt_f32_f16_e32 v40, v6
.LBB428_42:
	s_or_b32 exec_lo, exec_lo, s0
	v_add_nc_u32_e32 v6, 0x540, v2
	s_delay_alu instid0(VALU_DEP_1) | instskip(NEXT) | instid1(VALU_DEP_1)
	v_cmp_gt_i32_e64 s10, s42, v6
	s_and_b32 s1, s31, s10
	s_delay_alu instid0(SALU_CYCLE_1)
	s_and_saveexec_b32 s0, s1
	s_cbranch_execz .LBB428_44
; %bb.43:
	global_load_u16 v6, v[3:4], off offset:2688
	s_waitcnt vmcnt(0)
	v_cvt_f32_f16_e32 v30, v6
.LBB428_44:
	s_or_b32 exec_lo, exec_lo, s0
	v_add_nc_u32_e32 v6, 0x580, v2
	v_dual_mov_b32 v32, 0xff800000 :: v_dual_mov_b32 v41, 0xff800000
	s_delay_alu instid0(VALU_DEP_2) | instskip(NEXT) | instid1(VALU_DEP_1)
	v_cmp_gt_i32_e64 s9, s42, v6
	s_and_b32 s1, s31, s9
	s_delay_alu instid0(SALU_CYCLE_1)
	s_and_saveexec_b32 s0, s1
	s_cbranch_execz .LBB428_46
; %bb.45:
	global_load_u16 v6, v[3:4], off offset:2816
	s_waitcnt vmcnt(0)
	v_cvt_f32_f16_e32 v41, v6
.LBB428_46:
	s_or_b32 exec_lo, exec_lo, s0
	v_add_nc_u32_e32 v6, 0x5c0, v2
	s_delay_alu instid0(VALU_DEP_1) | instskip(NEXT) | instid1(VALU_DEP_1)
	v_cmp_gt_i32_e64 s8, s42, v6
	s_and_b32 s1, s31, s8
	s_delay_alu instid0(SALU_CYCLE_1)
	s_and_saveexec_b32 s0, s1
	s_cbranch_execz .LBB428_48
; %bb.47:
	global_load_u16 v6, v[3:4], off offset:2944
	s_waitcnt vmcnt(0)
	v_cvt_f32_f16_e32 v32, v6
.LBB428_48:
	s_or_b32 exec_lo, exec_lo, s0
	v_add_nc_u32_e32 v6, 0x600, v2
	v_dual_mov_b32 v11, 0xff800000 :: v_dual_mov_b32 v42, 0xff800000
	s_delay_alu instid0(VALU_DEP_2) | instskip(NEXT) | instid1(VALU_DEP_1)
	v_cmp_gt_i32_e64 s7, s42, v6
	s_and_b32 s1, s31, s7
	s_delay_alu instid0(SALU_CYCLE_1)
	s_and_saveexec_b32 s0, s1
	s_cbranch_execz .LBB428_50
; %bb.49:
	global_load_u16 v6, v[3:4], off offset:3072
	s_waitcnt vmcnt(0)
	v_cvt_f32_f16_e32 v42, v6
.LBB428_50:
	s_or_b32 exec_lo, exec_lo, s0
	v_add_nc_u32_e32 v6, 0x640, v2
	s_delay_alu instid0(VALU_DEP_1) | instskip(NEXT) | instid1(VALU_DEP_1)
	v_cmp_gt_i32_e64 s6, s42, v6
	s_and_b32 s1, s31, s6
	s_delay_alu instid0(SALU_CYCLE_1)
	s_and_saveexec_b32 s0, s1
	s_cbranch_execz .LBB428_52
; %bb.51:
	global_load_u16 v6, v[3:4], off offset:3200
	s_waitcnt vmcnt(0)
	v_cvt_f32_f16_e32 v11, v6
.LBB428_52:
	s_or_b32 exec_lo, exec_lo, s0
	v_add_nc_u32_e32 v6, 0x680, v2
	v_mov_b32_e32 v10, 0xff800000
	v_mov_b32_e32 v12, 0xff800000
	s_delay_alu instid0(VALU_DEP_3) | instskip(NEXT) | instid1(VALU_DEP_1)
	v_cmp_gt_i32_e64 s5, s42, v6
	s_and_b32 s1, s31, s5
	s_delay_alu instid0(SALU_CYCLE_1)
	s_and_saveexec_b32 s0, s1
	s_cbranch_execz .LBB428_54
; %bb.53:
	global_load_u16 v6, v[3:4], off offset:3328
	s_waitcnt vmcnt(0)
	v_cvt_f32_f16_e32 v12, v6
.LBB428_54:
	s_or_b32 exec_lo, exec_lo, s0
	v_add_nc_u32_e32 v6, 0x6c0, v2
	s_delay_alu instid0(VALU_DEP_1) | instskip(NEXT) | instid1(VALU_DEP_1)
	v_cmp_gt_i32_e64 s4, s42, v6
	s_and_b32 s1, s31, s4
	s_delay_alu instid0(SALU_CYCLE_1)
	s_and_saveexec_b32 s0, s1
	s_cbranch_execz .LBB428_56
; %bb.55:
	global_load_u16 v6, v[3:4], off offset:3456
	s_waitcnt vmcnt(0)
	v_cvt_f32_f16_e32 v10, v6
.LBB428_56:
	s_or_b32 exec_lo, exec_lo, s0
	v_add_nc_u32_e32 v6, 0x700, v2
	v_mov_b32_e32 v8, 0xff800000
	s_delay_alu instid0(VALU_DEP_2) | instskip(SKIP_1) | instid1(VALU_DEP_2)
	v_cmp_gt_i32_e64 s3, s42, v6
	v_mov_b32_e32 v6, 0xff800000
	s_and_b32 s1, s31, s3
	s_delay_alu instid0(SALU_CYCLE_1)
	s_and_saveexec_b32 s0, s1
	s_cbranch_execz .LBB428_58
; %bb.57:
	global_load_u16 v7, v[3:4], off offset:3584
	s_waitcnt vmcnt(0)
	v_cvt_f32_f16_e32 v8, v7
.LBB428_58:
	s_or_b32 exec_lo, exec_lo, s0
	v_add_nc_u32_e32 v7, 0x740, v2
	s_delay_alu instid0(VALU_DEP_1) | instskip(NEXT) | instid1(VALU_DEP_1)
	v_cmp_gt_i32_e64 s2, s42, v7
	s_and_b32 s1, s31, s2
	s_delay_alu instid0(SALU_CYCLE_1)
	s_and_saveexec_b32 s0, s1
	s_cbranch_execz .LBB428_60
; %bb.59:
	global_load_u16 v6, v[3:4], off offset:3712
	s_waitcnt vmcnt(0)
	v_cvt_f32_f16_e32 v6, v6
.LBB428_60:
	s_or_b32 exec_lo, exec_lo, s0
	v_add_nc_u32_e32 v7, 0x780, v2
	v_mov_b32_e32 v9, 0xff800000
	s_delay_alu instid0(VALU_DEP_2) | instskip(SKIP_1) | instid1(VALU_DEP_2)
	v_cmp_gt_i32_e64 s1, s42, v7
	v_mov_b32_e32 v7, 0xff800000
	s_and_b32 s33, s31, s1
	s_delay_alu instid0(SALU_CYCLE_1)
	s_and_saveexec_b32 s0, s33
	s_cbranch_execz .LBB428_62
; %bb.61:
	global_load_u16 v9, v[3:4], off offset:3840
	s_waitcnt vmcnt(0)
	v_cvt_f32_f16_e32 v9, v9
.LBB428_62:
	s_or_b32 exec_lo, exec_lo, s0
	v_add_nc_u32_e32 v2, 0x7c0, v2
	s_delay_alu instid0(VALU_DEP_1) | instskip(NEXT) | instid1(VALU_DEP_1)
	v_cmp_gt_i32_e64 s0, s42, v2
	s_and_b32 s33, s31, s0
	s_delay_alu instid0(SALU_CYCLE_1)
	s_and_saveexec_b32 s31, s33
	s_cbranch_execz .LBB428_64
; %bb.63:
	global_load_u16 v2, v[3:4], off offset:3968
	s_waitcnt vmcnt(0)
	v_cvt_f32_f16_e32 v7, v2
.LBB428_64:
	s_or_b32 exec_lo, exec_lo, s31
	v_cmp_gt_f32_e64 s31, v26, v13
	v_mbcnt_lo_u32_b32 v4, -1, 0
	s_mov_b32 s33, exec_lo
	s_delay_alu instid0(VALU_DEP_2) | instskip(NEXT) | instid1(VALU_DEP_2)
	v_cndmask_b32_e64 v2, v13, v26, s31
	v_or_b32_e32 v3, 32, v4
	v_xor_b32_e32 v16, 16, v4
	s_delay_alu instid0(VALU_DEP_3) | instskip(NEXT) | instid1(VALU_DEP_1)
	v_cmp_gt_f32_e64 s31, v2, v29
	v_cndmask_b32_e64 v2, v29, v2, s31
	s_delay_alu instid0(VALU_DEP_1) | instskip(NEXT) | instid1(VALU_DEP_1)
	v_cmp_gt_f32_e64 s31, v2, v14
	v_cndmask_b32_e64 v2, v14, v2, s31
	s_delay_alu instid0(VALU_DEP_1) | instskip(NEXT) | instid1(VALU_DEP_1)
	;; [unrolled: 3-line block ×27, first 2 shown]
	v_cmp_gt_f32_e64 s31, v2, v6
	v_cndmask_b32_e64 v2, v6, v2, s31
	v_cmp_gt_i32_e64 s31, 64, v3
	s_delay_alu instid0(VALU_DEP_1) | instskip(NEXT) | instid1(VALU_DEP_3)
	v_cndmask_b32_e64 v3, v4, v3, s31
	v_cmp_gt_f32_e64 s31, v2, v9
	s_delay_alu instid0(VALU_DEP_2) | instskip(NEXT) | instid1(VALU_DEP_2)
	v_lshlrev_b32_e32 v3, 2, v3
	v_cndmask_b32_e64 v2, v9, v2, s31
	s_delay_alu instid0(VALU_DEP_1) | instskip(NEXT) | instid1(VALU_DEP_1)
	v_cmp_gt_f32_e64 s31, v2, v7
	v_cndmask_b32_e64 v2, v7, v2, s31
	v_cmp_gt_i32_e64 s31, 64, v16
	ds_bpermute_b32 v17, v3, v2
	v_cndmask_b32_e64 v16, v4, v16, s31
	s_delay_alu instid0(VALU_DEP_1) | instskip(SKIP_2) | instid1(VALU_DEP_1)
	v_lshlrev_b32_e32 v16, 2, v16
	s_waitcnt lgkmcnt(0)
	v_cmp_lt_f32_e64 s31, v2, v17
	v_cndmask_b32_e64 v2, v2, v17, s31
	v_xor_b32_e32 v17, 8, v4
	ds_bpermute_b32 v18, v16, v2
	v_cmp_gt_i32_e64 s31, 64, v17
	s_delay_alu instid0(VALU_DEP_1) | instskip(NEXT) | instid1(VALU_DEP_1)
	v_cndmask_b32_e64 v17, v4, v17, s31
	v_lshlrev_b32_e32 v17, 2, v17
	s_waitcnt lgkmcnt(0)
	v_cmp_lt_f32_e64 s31, v2, v18
	s_delay_alu instid0(VALU_DEP_1) | instskip(SKIP_3) | instid1(VALU_DEP_1)
	v_cndmask_b32_e64 v2, v2, v18, s31
	v_xor_b32_e32 v18, 4, v4
	ds_bpermute_b32 v20, v17, v2
	v_cmp_gt_i32_e64 s31, 64, v18
	v_cndmask_b32_e64 v18, v4, v18, s31
	s_delay_alu instid0(VALU_DEP_1) | instskip(SKIP_2) | instid1(VALU_DEP_1)
	v_lshlrev_b32_e32 v18, 2, v18
	s_waitcnt lgkmcnt(0)
	v_cmp_lt_f32_e64 s31, v2, v20
	v_cndmask_b32_e64 v2, v2, v20, s31
	v_xor_b32_e32 v20, 2, v4
	ds_bpermute_b32 v21, v18, v2
	v_cmp_gt_i32_e64 s31, 64, v20
	s_delay_alu instid0(VALU_DEP_1) | instskip(NEXT) | instid1(VALU_DEP_1)
	v_cndmask_b32_e64 v20, v4, v20, s31
	v_lshlrev_b32_e32 v20, 2, v20
	s_waitcnt lgkmcnt(0)
	v_cmp_lt_f32_e64 s31, v2, v21
	s_delay_alu instid0(VALU_DEP_1) | instskip(SKIP_3) | instid1(VALU_DEP_1)
	v_cndmask_b32_e64 v2, v2, v21, s31
	v_xor_b32_e32 v21, 1, v4
	ds_bpermute_b32 v43, v20, v2
	v_cmp_gt_i32_e64 s31, 64, v21
	v_cndmask_b32_e64 v4, v4, v21, s31
	s_delay_alu instid0(VALU_DEP_1) | instskip(SKIP_2) | instid1(VALU_DEP_1)
	v_lshlrev_b32_e32 v21, 2, v4
	s_waitcnt lgkmcnt(0)
	v_cmp_lt_f32_e64 s31, v2, v43
	v_cndmask_b32_e64 v2, v2, v43, s31
	ds_bpermute_b32 v4, v21, v2
	s_waitcnt lgkmcnt(0)
	v_cmp_lt_f32_e64 s31, v2, v4
	s_delay_alu instid0(VALU_DEP_1) | instskip(NEXT) | instid1(VALU_DEP_1)
	v_cndmask_b32_e64 v2, v2, v4, s31
	v_sub_f32_e32 v14, v14, v2
	v_sub_f32_e32 v4, v26, v2
	;; [unrolled: 1-line block ×6, first 2 shown]
	s_delay_alu instid0(VALU_DEP_4) | instskip(NEXT) | instid1(VALU_DEP_4)
	v_dual_sub_f32 v45, v36, v2 :: v_dual_mul_f32 v64, 0x3fb8aa3b, v53
	v_dual_sub_f32 v49, v39, v2 :: v_dual_mul_f32 v62, 0x3fb8aa3b, v51
	v_sub_f32_e32 v47, v38, v2
	s_delay_alu instid0(VALU_DEP_3) | instskip(NEXT) | instid1(VALU_DEP_3)
	v_dual_sub_f32 v23, v23, v2 :: v_dual_mul_f32 v54, 0x3fb8aa3b, v45
	v_dual_mul_f32 v60, 0x3fb8aa3b, v49 :: v_dual_sub_f32 v25, v25, v2
	s_delay_alu instid0(VALU_DEP_3) | instskip(SKIP_1) | instid1(VALU_DEP_3)
	v_mul_f32_e32 v58, 0x3fb8aa3b, v47
	v_dual_sub_f32 v48, v27, v2 :: v_dual_mul_f32 v27, 0x3fb8aa3b, v4
	v_dual_sub_f32 v26, v29, v2 :: v_dual_mul_f32 v57, 0x3fb8aa3b, v25
	s_delay_alu instid0(VALU_DEP_2)
	v_dual_sub_f32 v50, v28, v2 :: v_dual_mul_f32 v59, 0x3fb8aa3b, v48
	v_dual_mul_f32 v28, 0x3fb8aa3b, v13 :: v_dual_sub_f32 v29, v31, v2
	v_sub_f32_e32 v31, v33, v2
	v_sub_f32_e32 v44, v35, v2
	;; [unrolled: 1-line block ×3, first 2 shown]
	v_fma_f32 v66, 0x3fb8aa3b, v4, -v27
	v_rndne_f32_e32 v67, v27
	v_fma_f32 v68, 0x3fb8aa3b, v13, -v28
	v_dual_mul_f32 v40, 0x3fb8aa3b, v44 :: v_dual_sub_f32 v41, v32, v2
	v_rndne_f32_e32 v69, v28
	v_dual_sub_f32 v39, v42, v2 :: v_dual_mul_f32 v42, 0x3fb8aa3b, v23
	v_dual_sub_f32 v43, v34, v2 :: v_dual_mul_f32 v36, 0x3fb8aa3b, v19
	v_sub_f32_e32 v24, v24, v2
	v_dual_mul_f32 v32, 0x3fb8aa3b, v14 :: v_dual_sub_f32 v27, v27, v67
	s_delay_alu instid0(VALU_DEP_4)
	v_fma_f32 v88, 0x3fb8aa3b, v23, -v42
	v_rndne_f32_e32 v89, v42
	v_fmac_f32_e32 v66, 0x32a5705f, v4
	v_fmac_f32_e32 v68, 0x32a5705f, v13
	v_dual_sub_f32 v52, v30, v2 :: v_dual_mul_f32 v65, 0x3fb8aa3b, v41
	v_mul_f32_e32 v30, 0x3fb8aa3b, v26
	v_sub_f32_e32 v46, v37, v2
	v_mul_f32_e32 v34, 0x3fb8aa3b, v15
	v_mul_f32_e32 v35, 0x3fb8aa3b, v31
	;; [unrolled: 1-line block ×5, first 2 shown]
	v_fma_f32 v70, 0x3fb8aa3b, v26, -v30
	v_rndne_f32_e32 v71, v30
	v_fma_f32 v80, 0x3fb8aa3b, v19, -v36
	v_rndne_f32_e32 v81, v36
	v_fma_f32 v86, 0x3fb8aa3b, v44, -v40
	v_rndne_f32_e32 v87, v40
	v_dual_sub_f32 v28, v28, v69 :: v_dual_mul_f32 v61, 0x3fb8aa3b, v50
	v_dual_add_f32 v27, v27, v66 :: v_dual_sub_f32 v30, v30, v71
	v_fmac_f32_e32 v88, 0x32a5705f, v23
	v_sub_f32_e32 v42, v42, v89
	v_dual_sub_f32 v22, v22, v2 :: v_dual_mul_f32 v33, 0x3fb8aa3b, v29
	v_fma_f32 v72, 0x3fb8aa3b, v14, -v32
	v_fma_f32 v78, 0x3fb8aa3b, v31, -v35
	v_rndne_f32_e32 v79, v35
	v_rndne_f32_e32 v83, v37
	v_fma_f32 v92, 0x3fb8aa3b, v24, -v55
	v_rndne_f32_e32 v93, v55
	v_add_f32_e32 v28, v28, v68
	v_fmac_f32_e32 v70, 0x32a5705f, v26
	v_sub_f32_e32 v36, v36, v81
	v_fmac_f32_e32 v86, 0x32a5705f, v44
	v_sub_f32_e32 v40, v40, v87
	v_add_f32_e32 v42, v42, v88
	v_rndne_f32_e32 v88, v61
	v_fmac_f32_e32 v80, 0x32a5705f, v19
	v_exp_f32_e32 v27, v27
	v_dual_mul_f32 v56, 0x3fb8aa3b, v46 :: v_dual_sub_f32 v35, v35, v79
	v_rndne_f32_e32 v73, v32
	v_fma_f32 v74, 0x3fb8aa3b, v29, -v33
	v_rndne_f32_e32 v75, v33
	v_fma_f32 v82, 0x3fb8aa3b, v43, -v37
	v_dual_fmac_f32 v72, 0x32a5705f, v14 :: v_dual_sub_f32 v55, v55, v93
	v_dual_sub_f32 v37, v37, v83 :: v_dual_add_f32 v40, v40, v86
	v_fma_f32 v86, 0x3fb8aa3b, v50, -v61
	v_fmac_f32_e32 v92, 0x32a5705f, v24
	v_dual_add_f32 v30, v30, v70 :: v_dual_sub_f32 v61, v61, v88
	v_add_f32_e32 v36, v36, v80
	v_rndne_f32_e32 v80, v59
	v_fmac_f32_e32 v78, 0x32a5705f, v31
	v_cvt_i32_f32_e32 v67, v67
	v_exp_f32_e32 v28, v28
	v_dual_mul_f32 v38, 0x3fb8aa3b, v22 :: v_dual_sub_f32 v33, v33, v75
	s_delay_alu instid0(VALU_DEP_3) | instskip(SKIP_2) | instid1(VALU_DEP_3)
	v_dual_fmac_f32 v74, 0x32a5705f, v29 :: v_dual_add_f32 v35, v35, v78
	v_dual_sub_f32 v32, v32, v73 :: v_dual_add_f32 v55, v55, v92
	v_cvt_i32_f32_e32 v69, v69
	v_add_f32_e32 v33, v33, v74
	v_exp_f32_e32 v30, v30
	v_ldexp_f32 v27, v27, v67
	v_cmp_ngt_f32_e64 s31, 0xc2ce8ed0, v4
	v_fmac_f32_e32 v82, 0x32a5705f, v43
	v_add_f32_e32 v32, v32, v72
	v_cvt_i32_f32_e32 v71, v71
	v_ldexp_f32 v28, v28, v69
	v_cndmask_b32_e64 v27, 0, v27, s31
	v_add_f32_e32 v37, v37, v82
	v_cmp_ngt_f32_e64 s31, 0xc2ce8ed0, v13
	v_fma_f32 v76, 0x3fb8aa3b, v15, -v34
	v_fma_f32 v66, 0x3fb8aa3b, v46, -v56
	v_rndne_f32_e32 v68, v56
	v_fma_f32 v70, 0x3fb8aa3b, v25, -v57
	v_rndne_f32_e32 v72, v57
	v_exp_f32_e32 v32, v32
	v_exp_f32_e32 v42, v42
	v_ldexp_f32 v30, v30, v71
	v_cndmask_b32_e64 v28, 0, v28, s31
	v_cmp_ngt_f32_e64 s31, 0xc2ce8ed0, v26
	v_rndne_f32_e32 v77, v34
	v_dual_fmac_f32 v76, 0x32a5705f, v15 :: v_dual_sub_f32 v57, v57, v72
	v_fmac_f32_e32 v66, 0x32a5705f, v46
	v_sub_f32_e32 v56, v56, v68
	v_fmac_f32_e32 v70, 0x32a5705f, v25
	v_cvt_i32_f32_e32 v73, v73
	v_cvt_i32_f32_e32 v89, v89
	v_exp_f32_e32 v40, v40
	v_cndmask_b32_e64 v30, 0, v30, s31
	v_cmp_nlt_f32_e64 s31, 0x42b17218, v4
	v_fma_f32 v84, 0x3fb8aa3b, v22, -v38
	v_rndne_f32_e32 v85, v38
	v_dual_sub_f32 v34, v34, v77 :: v_dual_add_f32 v57, v57, v70
	v_add_f32_e32 v56, v56, v66
	v_fma_f32 v66, 0x3fb8aa3b, v52, -v63
	v_rndne_f32_e32 v70, v63
	v_cvt_i32_f32_e32 v87, v87
	v_ldexp_f32 v32, v32, v73
	v_ldexp_f32 v73, v42, v89
	v_cndmask_b32_e64 v42, 0x7f800000, v27, s31
	v_cmp_nlt_f32_e64 s31, 0x42b17218, v13
	v_dual_fmac_f32 v66, 0x32a5705f, v52 :: v_dual_sub_f32 v63, v63, v70
	v_sub_f32_e32 v38, v38, v85
	v_ldexp_f32 v71, v40, v87
	s_delay_alu instid0(VALU_DEP_4)
	v_cndmask_b32_e64 v40, 0x7f800000, v28, s31
	v_fmac_f32_e32 v84, 0x32a5705f, v22
	v_add_f32_e32 v63, v63, v66
	v_exp_f32_e32 v33, v33
	v_cmp_ngt_f32_e64 s31, 0xc2ce8ed0, v14
	v_add_f32_e32 v13, v42, v40
	v_add_f32_e32 v38, v38, v84
	v_fmac_f32_e32 v86, 0x32a5705f, v50
	v_add_f32_e32 v34, v34, v76
	v_cvt_i32_f32_e32 v75, v75
	v_cvt_i32_f32_e32 v85, v85
	v_exp_f32_e32 v38, v38
	v_add_f32_e32 v61, v61, v86
	v_cndmask_b32_e64 v4, 0, v32, s31
	v_cmp_nlt_f32_e64 s31, 0x42b17218, v26
	v_exp_f32_e32 v34, v34
	v_exp_f32_e32 v37, v37
	v_ldexp_f32 v33, v33, v75
	v_cvt_i32_f32_e32 v77, v77
	v_cvt_i32_f32_e32 v83, v83
	v_exp_f32_e32 v35, v35
	v_ldexp_f32 v69, v38, v85
	v_cndmask_b32_e64 v38, 0x7f800000, v30, s31
	v_cmp_ngt_f32_e64 s31, 0xc2ce8ed0, v29
	v_exp_f32_e32 v36, v36
	v_ldexp_f32 v34, v34, v77
	v_ldexp_f32 v67, v37, v83
	v_cvt_i32_f32_e32 v79, v79
	v_cndmask_b32_e64 v26, 0, v33, s31
	v_cmp_nlt_f32_e64 s31, 0x42b17218, v14
	v_cvt_i32_f32_e32 v81, v81
	v_fma_f32 v90, 0x3fb8aa3b, v45, -v54
	v_ldexp_f32 v35, v35, v79
	v_rndne_f32_e32 v91, v54
	v_cndmask_b32_e64 v37, 0x7f800000, v4, s31
	v_cmp_ngt_f32_e64 s31, 0xc2ce8ed0, v15
	v_add_f32_e32 v4, v13, v38
	v_ldexp_f32 v66, v36, v81
	v_fmac_f32_e32 v90, 0x32a5705f, v45
	v_sub_f32_e32 v54, v54, v91
	v_cndmask_b32_e64 v13, 0, v34, s31
	v_cmp_nlt_f32_e64 s31, 0x42b17218, v29
	v_cvt_i32_f32_e32 v91, v91
	v_exp_f32_e32 v55, v55
	v_add_f32_e32 v54, v54, v90
	v_cvt_i32_f32_e32 v93, v93
	v_cndmask_b32_e64 v36, 0x7f800000, v26, s31
	v_cmp_ngt_f32_e64 s31, 0xc2ce8ed0, v31
	v_exp_f32_e32 v56, v56
	v_exp_f32_e32 v54, v54
	v_fma_f32 v74, 0x3fb8aa3b, v47, -v58
	v_rndne_f32_e32 v76, v58
	v_cndmask_b32_e64 v14, 0, v35, s31
	v_cmp_nlt_f32_e64 s31, 0x42b17218, v15
	v_ldexp_f32 v55, v55, v93
	v_cvt_i32_f32_e32 v68, v68
	v_fmac_f32_e32 v74, 0x32a5705f, v47
	v_sub_f32_e32 v58, v58, v76
	v_cndmask_b32_e64 v35, 0x7f800000, v13, s31
	v_cmp_ngt_f32_e64 s31, 0xc2ce8ed0, v19
	v_ldexp_f32 v54, v54, v91
	v_exp_f32_e32 v57, v57
	v_ldexp_f32 v56, v56, v68
	v_fma_f32 v78, 0x3fb8aa3b, v48, -v59
	v_cndmask_b32_e64 v13, 0, v66, s31
	v_cmp_nlt_f32_e64 s31, 0x42b17218, v31
	v_add_f32_e32 v58, v58, v74
	v_cvt_i32_f32_e32 v72, v72
	v_fmac_f32_e32 v78, 0x32a5705f, v48
	v_sub_f32_e32 v59, v59, v80
	v_cndmask_b32_e64 v34, 0x7f800000, v14, s31
	v_cmp_ngt_f32_e64 s31, 0xc2ce8ed0, v43
	v_exp_f32_e32 v58, v58
	v_ldexp_f32 v57, v57, v72
	v_fma_f32 v82, 0x3fb8aa3b, v49, -v60
	v_rndne_f32_e32 v84, v60
	v_cndmask_b32_e64 v14, 0, v67, s31
	v_cmp_nlt_f32_e64 s31, 0x42b17218, v19
	v_add_f32_e32 v59, v59, v78
	v_cvt_i32_f32_e32 v76, v76
	v_fmac_f32_e32 v82, 0x32a5705f, v49
	v_sub_f32_e32 v60, v60, v84
	v_cndmask_b32_e64 v33, 0x7f800000, v13, s31
	v_cmp_ngt_f32_e64 s31, 0xc2ce8ed0, v22
	v_exp_f32_e32 v59, v59
	v_ldexp_f32 v58, v58, v76
	v_add_f32_e32 v60, v60, v82
	v_cvt_i32_f32_e32 v80, v80
	v_cndmask_b32_e64 v13, 0, v69, s31
	v_cmp_nlt_f32_e64 s31, 0x42b17218, v43
	v_fma_f32 v90, 0x3fb8aa3b, v51, -v62
	v_exp_f32_e32 v60, v60
	v_rndne_f32_e32 v92, v62
	v_cvt_i32_f32_e32 v84, v84
	v_cndmask_b32_e64 v32, 0x7f800000, v14, s31
	v_cmp_ngt_f32_e64 s31, 0xc2ce8ed0, v44
	v_ldexp_f32 v59, v59, v80
	v_fmac_f32_e32 v90, 0x32a5705f, v51
	v_sub_f32_e32 v62, v62, v92
	v_exp_f32_e32 v61, v61
	v_cndmask_b32_e64 v14, 0, v71, s31
	v_cmp_nlt_f32_e64 s31, 0x42b17218, v22
	v_ldexp_f32 v60, v60, v84
	v_cvt_i32_f32_e32 v88, v88
	v_add_f32_e32 v62, v62, v90
	v_cvt_i32_f32_e32 v92, v92
	v_cndmask_b32_e64 v31, 0x7f800000, v13, s31
	v_cmp_ngt_f32_e64 s31, 0xc2ce8ed0, v23
	v_fma_f32 v74, 0x3fb8aa3b, v53, -v64
	v_exp_f32_e32 v62, v62
	v_ldexp_f32 v61, v61, v88
	v_rndne_f32_e32 v78, v64
	v_cndmask_b32_e64 v13, 0, v73, s31
	v_cmp_nlt_f32_e64 s31, 0x42b17218, v44
	v_exp_f32_e32 v63, v63
	v_cvt_i32_f32_e32 v70, v70
	v_fmac_f32_e32 v74, 0x32a5705f, v53
	v_sub_f32_e32 v64, v64, v78
	v_cndmask_b32_e64 v30, 0x7f800000, v14, s31
	v_cmp_ngt_f32_e64 s31, 0xc2ce8ed0, v45
	v_ldexp_f32 v62, v62, v92
	v_fma_f32 v82, 0x3fb8aa3b, v41, -v65
	v_rndne_f32_e32 v86, v65
	v_add_f32_e32 v64, v64, v74
	v_cndmask_b32_e64 v14, 0, v54, s31
	v_cmp_nlt_f32_e64 s31, 0x42b17218, v23
	v_ldexp_f32 v63, v63, v70
	v_dual_fmac_f32 v82, 0x32a5705f, v41 :: v_dual_sub_f32 v65, v65, v86
	v_exp_f32_e32 v64, v64
	s_delay_alu instid0(VALU_DEP_3) | instskip(SKIP_4) | instid1(VALU_DEP_4)
	v_cndmask_b32_e64 v29, 0x7f800000, v13, s31
	v_cmp_ngt_f32_e64 s31, 0xc2ce8ed0, v24
	v_add_f32_e32 v4, v4, v37
	v_cvt_i32_f32_e32 v78, v78
	v_add_f32_e32 v43, v65, v82
	v_cndmask_b32_e64 v13, 0, v55, s31
	v_cmp_nlt_f32_e64 s31, 0x42b17218, v45
	v_add_f32_e32 v4, v4, v36
	s_delay_alu instid0(TRANS32_DEP_1)
	v_ldexp_f32 v44, v64, v78
	v_mul_f32_e32 v45, 0x3fb8aa3b, v39
	v_exp_f32_e32 v43, v43
	v_cndmask_b32_e64 v28, 0x7f800000, v14, s31
	v_cmp_ngt_f32_e64 s31, 0xc2ce8ed0, v46
	v_add_f32_e32 v4, v4, v35
	s_delay_alu instid0(VALU_DEP_2) | instskip(SKIP_1) | instid1(VALU_DEP_3)
	v_cndmask_b32_e64 v14, 0, v56, s31
	v_cmp_nlt_f32_e64 s31, 0x42b17218, v24
	v_add_f32_e32 v4, v4, v34
	s_delay_alu instid0(VALU_DEP_2) | instskip(SKIP_1) | instid1(VALU_DEP_3)
	v_cndmask_b32_e64 v27, 0x7f800000, v13, s31
	v_cmp_ngt_f32_e64 s31, 0xc2ce8ed0, v25
	v_add_f32_e32 v4, v4, v33
	s_delay_alu instid0(VALU_DEP_2) | instskip(SKIP_2) | instid1(VALU_DEP_4)
	v_cndmask_b32_e64 v13, 0, v57, s31
	v_cmp_nlt_f32_e64 s31, 0x42b17218, v46
	v_fma_f32 v46, 0x3fb8aa3b, v39, -v45
	v_add_f32_e32 v4, v4, v32
	s_delay_alu instid0(VALU_DEP_3) | instskip(SKIP_1) | instid1(VALU_DEP_4)
	v_cndmask_b32_e64 v26, 0x7f800000, v14, s31
	v_cmp_ngt_f32_e64 s31, 0xc2ce8ed0, v47
	v_fmac_f32_e32 v46, 0x32a5705f, v39
	s_delay_alu instid0(VALU_DEP_4) | instskip(NEXT) | instid1(VALU_DEP_3)
	v_add_f32_e32 v4, v4, v31
	v_cndmask_b32_e64 v14, 0, v58, s31
	v_cmp_nlt_f32_e64 s31, 0x42b17218, v25
	s_delay_alu instid0(VALU_DEP_3) | instskip(NEXT) | instid1(VALU_DEP_2)
	v_add_f32_e32 v4, v4, v30
	v_cndmask_b32_e64 v25, 0x7f800000, v13, s31
	v_cmp_ngt_f32_e64 s31, 0xc2ce8ed0, v48
	s_delay_alu instid0(VALU_DEP_3) | instskip(NEXT) | instid1(VALU_DEP_2)
	v_add_f32_e32 v4, v4, v29
	v_cndmask_b32_e64 v13, 0, v59, s31
	v_cmp_nlt_f32_e64 s31, 0x42b17218, v47
	v_rndne_f32_e32 v47, v45
	s_delay_alu instid0(VALU_DEP_4) | instskip(NEXT) | instid1(VALU_DEP_3)
	v_add_f32_e32 v4, v4, v28
	v_cndmask_b32_e64 v24, 0x7f800000, v14, s31
	v_cmp_ngt_f32_e64 s31, 0xc2ce8ed0, v49
	s_delay_alu instid0(VALU_DEP_3) | instskip(NEXT) | instid1(VALU_DEP_2)
	v_add_f32_e32 v4, v4, v27
	v_cndmask_b32_e64 v14, 0, v60, s31
	v_cmp_nlt_f32_e64 s31, 0x42b17218, v48
	s_delay_alu instid0(VALU_DEP_3) | instskip(NEXT) | instid1(VALU_DEP_2)
	v_add_f32_e32 v4, v4, v26
	v_cndmask_b32_e64 v23, 0x7f800000, v13, s31
	v_cmp_ngt_f32_e64 s31, 0xc2ce8ed0, v50
	s_delay_alu instid0(VALU_DEP_3) | instskip(NEXT) | instid1(VALU_DEP_2)
	v_add_f32_e32 v4, v4, v25
	v_cndmask_b32_e64 v13, 0, v61, s31
	v_cmp_nlt_f32_e64 s31, 0x42b17218, v49
	s_delay_alu instid0(VALU_DEP_3) | instskip(NEXT) | instid1(VALU_DEP_2)
	v_add_f32_e32 v4, v4, v24
	v_cndmask_b32_e64 v22, 0x7f800000, v14, s31
	v_cmp_ngt_f32_e64 s31, 0xc2ce8ed0, v51
	s_delay_alu instid0(VALU_DEP_3) | instskip(NEXT) | instid1(VALU_DEP_2)
	v_add_f32_e32 v4, v4, v23
	v_cndmask_b32_e64 v14, 0, v62, s31
	v_cmp_nlt_f32_e64 s31, 0x42b17218, v50
	v_sub_f32_e32 v50, v12, v2
	s_delay_alu instid0(VALU_DEP_4) | instskip(NEXT) | instid1(VALU_DEP_3)
	v_add_f32_e32 v4, v4, v22
	v_cndmask_b32_e64 v19, 0x7f800000, v13, s31
	v_cmp_ngt_f32_e64 s31, 0xc2ce8ed0, v52
	s_delay_alu instid0(VALU_DEP_2) | instskip(NEXT) | instid1(VALU_DEP_2)
	v_add_f32_e32 v4, v4, v19
	v_cndmask_b32_e64 v13, 0, v63, s31
	v_cmp_nlt_f32_e64 s31, 0x42b17218, v51
	s_delay_alu instid0(VALU_DEP_1) | instskip(SKIP_1) | instid1(VALU_DEP_2)
	v_cndmask_b32_e64 v15, 0x7f800000, v14, s31
	v_cmp_nlt_f32_e64 s31, 0x42b17218, v52
	v_add_f32_e32 v4, v4, v15
	s_delay_alu instid0(VALU_DEP_2) | instskip(SKIP_1) | instid1(VALU_DEP_2)
	v_cndmask_b32_e64 v14, 0x7f800000, v13, s31
	v_cmp_ngt_f32_e64 s31, 0xc2ce8ed0, v53
	v_add_f32_e32 v4, v4, v14
	s_delay_alu instid0(VALU_DEP_2) | instskip(SKIP_3) | instid1(VALU_DEP_3)
	v_cndmask_b32_e64 v13, 0, v44, s31
	v_sub_f32_e32 v44, v11, v2
	v_cvt_i32_f32_e32 v11, v86
	v_cmp_nlt_f32_e64 s31, 0x42b17218, v53
	v_mul_f32_e32 v48, 0x3fb8aa3b, v44
	s_delay_alu instid0(VALU_DEP_3) | instskip(SKIP_1) | instid1(VALU_DEP_4)
	v_ldexp_f32 v11, v43, v11
	v_sub_f32_e32 v43, v45, v47
	v_cndmask_b32_e64 v13, 0x7f800000, v13, s31
	v_cmp_ngt_f32_e64 s31, 0xc2ce8ed0, v41
	v_fma_f32 v45, 0x3fb8aa3b, v44, -v48
	v_rndne_f32_e32 v49, v48
	v_add_f32_e32 v12, v43, v46
	v_mul_f32_e32 v46, 0x3fb8aa3b, v50
	v_cndmask_b32_e64 v11, 0, v11, s31
	v_fmac_f32_e32 v45, 0x32a5705f, v44
	v_sub_f32_e32 v43, v48, v49
	v_exp_f32_e32 v12, v12
	v_cmp_nlt_f32_e64 s31, 0x42b17218, v41
	v_sub_f32_e32 v48, v10, v2
	v_cvt_i32_f32_e32 v10, v47
	v_add_f32_e32 v41, v43, v45
	v_fma_f32 v43, 0x3fb8aa3b, v50, -v46
	v_rndne_f32_e32 v45, v46
	v_cndmask_b32_e64 v11, 0x7f800000, v11, s31
	v_mul_f32_e32 v47, 0x3fb8aa3b, v48
	v_exp_f32_e32 v41, v41
	s_delay_alu instid0(VALU_DEP_3)
	v_dual_fmac_f32 v43, 0x32a5705f, v50 :: v_dual_sub_f32 v46, v46, v45
	v_ldexp_f32 v10, v12, v10
	v_cmp_ngt_f32_e64 s31, 0xc2ce8ed0, v39
	v_cvt_i32_f32_e32 v12, v49
	v_rndne_f32_e32 v49, v47
	v_add_f32_e32 v43, v46, v43
	v_fma_f32 v46, 0x3fb8aa3b, v48, -v47
	v_cndmask_b32_e64 v10, 0, v10, s31
	v_cmp_nlt_f32_e64 s31, 0x42b17218, v39
	v_ldexp_f32 v41, v41, v12
	v_exp_f32_e32 v43, v43
	v_dual_fmac_f32 v46, 0x32a5705f, v48 :: v_dual_sub_f32 v47, v47, v49
	s_delay_alu instid0(VALU_DEP_3) | instskip(SKIP_3) | instid1(VALU_DEP_3)
	v_cndmask_b32_e64 v12, 0x7f800000, v10, s31
	v_cmp_ngt_f32_e64 s31, 0xc2ce8ed0, v44
	v_cvt_i32_f32_e32 v10, v45
	v_add_f32_e32 v4, v4, v13
	v_cndmask_b32_e64 v39, 0, v41, s31
	v_add_f32_e32 v41, v47, v46
	v_cmp_nlt_f32_e64 s31, 0x42b17218, v44
	s_delay_alu instid0(TRANS32_DEP_1)
	v_ldexp_f32 v43, v43, v10
	v_cvt_i32_f32_e32 v44, v49
	v_sub_f32_e32 v46, v6, v2
	v_sub_f32_e32 v47, v9, v2
	v_cndmask_b32_e64 v10, 0x7f800000, v39, s31
	v_exp_f32_e32 v39, v41
	v_cmp_ngt_f32_e64 s31, 0xc2ce8ed0, v50
	v_add_f32_e32 v4, v4, v11
	s_delay_alu instid0(VALU_DEP_2) | instskip(SKIP_3) | instid1(TRANS32_DEP_1)
	v_cndmask_b32_e64 v41, 0, v43, s31
	v_sub_f32_e32 v43, v8, v2
	v_cmp_nlt_f32_e64 s31, 0x42b17218, v50
	v_sub_f32_e32 v2, v7, v2
	v_ldexp_f32 v39, v39, v44
	v_add_f32_e32 v4, v4, v12
	s_delay_alu instid0(VALU_DEP_4) | instskip(SKIP_4) | instid1(VALU_DEP_4)
	v_cndmask_b32_e64 v8, 0x7f800000, v41, s31
	v_mul_f32_e32 v41, 0x3fb8aa3b, v43
	v_cmp_ngt_f32_e64 s31, 0xc2ce8ed0, v48
	v_mul_f32_e32 v50, 0x3fb8aa3b, v2
	v_add_f32_e32 v4, v4, v10
	v_fma_f32 v44, 0x3fb8aa3b, v43, -v41
	v_rndne_f32_e32 v45, v41
	v_cndmask_b32_e64 v39, 0, v39, s31
	v_cmp_nlt_f32_e64 s31, 0x42b17218, v48
	v_mul_f32_e32 v48, 0x3fb8aa3b, v47
	s_delay_alu instid0(VALU_DEP_4) | instskip(SKIP_1) | instid1(VALU_DEP_4)
	v_dual_fmac_f32 v44, 0x32a5705f, v43 :: v_dual_sub_f32 v41, v41, v45
	v_cvt_i32_f32_e32 v45, v45
	v_cndmask_b32_e64 v6, 0x7f800000, v39, s31
	v_mul_f32_e32 v39, 0x3fb8aa3b, v46
	v_rndne_f32_e32 v49, v48
	v_add_f32_e32 v9, v41, v44
	v_cmp_ngt_f32_e64 s31, 0xc2ce8ed0, v43
	v_rndne_f32_e32 v51, v50
	v_fma_f32 v41, 0x3fb8aa3b, v46, -v39
	v_rndne_f32_e32 v44, v39
	v_exp_f32_e32 v9, v9
	s_delay_alu instid0(VALU_DEP_2) | instskip(NEXT) | instid1(VALU_DEP_2)
	v_dual_add_f32 v4, v4, v8 :: v_dual_fmac_f32 v41, 0x32a5705f, v46
	v_sub_f32_e32 v7, v39, v44
	v_fma_f32 v39, 0x3fb8aa3b, v47, -v48
	v_cvt_i32_f32_e32 v44, v44
	s_delay_alu instid0(VALU_DEP_3) | instskip(NEXT) | instid1(VALU_DEP_3)
	v_dual_add_f32 v4, v4, v6 :: v_dual_add_f32 v7, v7, v41
	v_fmac_f32_e32 v39, 0x32a5705f, v47
	v_sub_f32_e32 v41, v48, v49
	s_delay_alu instid0(TRANS32_DEP_1) | instskip(SKIP_2) | instid1(VALU_DEP_3)
	v_ldexp_f32 v9, v9, v45
	v_fma_f32 v48, 0x3fb8aa3b, v2, -v50
	v_exp_f32_e32 v7, v7
	v_add_f32_e32 v39, v41, v39
	s_delay_alu instid0(VALU_DEP_3) | instskip(SKIP_2) | instid1(VALU_DEP_4)
	v_cndmask_b32_e64 v9, 0, v9, s31
	v_cmp_nlt_f32_e64 s31, 0x42b17218, v43
	v_dual_fmac_f32 v48, 0x32a5705f, v2 :: v_dual_sub_f32 v41, v50, v51
	v_exp_f32_e32 v39, v39
	v_cvt_i32_f32_e32 v43, v49
	s_delay_alu instid0(VALU_DEP_3) | instskip(NEXT) | instid1(TRANS32_DEP_2)
	v_cndmask_b32_e64 v9, 0x7f800000, v9, s31
	v_ldexp_f32 v7, v7, v44
	v_cmp_ngt_f32_e64 s31, 0xc2ce8ed0, v46
	s_delay_alu instid0(VALU_DEP_3) | instskip(NEXT) | instid1(VALU_DEP_2)
	v_dual_add_f32 v41, v41, v48 :: v_dual_add_f32 v4, v4, v9
	v_cndmask_b32_e64 v7, 0, v7, s31
	v_cmp_nlt_f32_e64 s31, 0x42b17218, v46
	s_delay_alu instid0(VALU_DEP_3) | instskip(NEXT) | instid1(TRANS32_DEP_2)
	v_exp_f32_e32 v41, v41
	v_ldexp_f32 v39, v39, v43
	v_cvt_i32_f32_e32 v43, v51
	s_delay_alu instid0(VALU_DEP_3) | instskip(SKIP_1) | instid1(VALU_DEP_1)
	v_cndmask_b32_e64 v7, 0x7f800000, v7, s31
	v_cmp_ngt_f32_e64 s31, 0xc2ce8ed0, v47
	v_cndmask_b32_e64 v39, 0, v39, s31
	v_cmp_nlt_f32_e64 s31, 0x42b17218, v47
	s_delay_alu instid0(TRANS32_DEP_1) | instskip(SKIP_1) | instid1(VALU_DEP_3)
	v_ldexp_f32 v41, v41, v43
	v_add_f32_e32 v43, v4, v7
	v_cndmask_b32_e64 v4, 0x7f800000, v39, s31
	v_cmp_ngt_f32_e64 s31, 0xc2ce8ed0, v2
	s_delay_alu instid0(VALU_DEP_1) | instskip(SKIP_1) | instid1(VALU_DEP_4)
	v_cndmask_b32_e64 v39, 0, v41, s31
	v_cmp_nlt_f32_e64 s31, 0x42b17218, v2
	v_add_f32_e32 v41, v43, v4
	s_delay_alu instid0(VALU_DEP_2) | instskip(NEXT) | instid1(VALU_DEP_1)
	v_cndmask_b32_e64 v2, 0x7f800000, v39, s31
	v_add_f32_e32 v39, v41, v2
	ds_bpermute_b32 v3, v3, v39
	s_waitcnt lgkmcnt(0)
	v_add_f32_e32 v3, v39, v3
	ds_bpermute_b32 v16, v16, v3
	s_waitcnt lgkmcnt(0)
	v_add_f32_e32 v3, v3, v16
	ds_bpermute_b32 v16, v17, v3
	s_waitcnt lgkmcnt(0)
	v_add_f32_e32 v3, v3, v16
	ds_bpermute_b32 v16, v18, v3
	s_waitcnt lgkmcnt(0)
	v_add_f32_e32 v3, v3, v16
	ds_bpermute_b32 v16, v20, v3
	s_waitcnt lgkmcnt(0)
	v_add_f32_e32 v3, v3, v16
	ds_bpermute_b32 v16, v21, v3
	v_cmpx_lt_i32_e32 0, v5
	s_cbranch_execz .LBB428_162
; %bb.65:
	s_and_b32 exec_lo, exec_lo, vcc_lo
	s_cbranch_execz .LBB428_162
; %bb.66:
	s_waitcnt lgkmcnt(0)
	v_add_f32_e32 v3, v3, v16
	v_mov_b32_e32 v5, 0x7e00
	s_delay_alu instid0(VALU_DEP_2) | instskip(NEXT) | instid1(VALU_DEP_1)
	v_cmp_neq_f32_e64 s31, 0, v3
	s_and_saveexec_b32 s33, s31
	s_cbranch_execz .LBB428_68
; %bb.67:
	v_div_scale_f32 v5, null, v3, v3, v42
	s_delay_alu instid0(VALU_DEP_1) | instskip(SKIP_2) | instid1(VALU_DEP_1)
	v_rcp_f32_e32 v16, v5
	s_waitcnt_depctr 0xfff
	v_fma_f32 v17, -v5, v16, 1.0
	v_fmac_f32_e32 v16, v17, v16
	v_div_scale_f32 v17, vcc_lo, v42, v3, v42
	s_delay_alu instid0(VALU_DEP_1) | instskip(NEXT) | instid1(VALU_DEP_1)
	v_mul_f32_e32 v18, v17, v16
	v_fma_f32 v20, -v5, v18, v17
	s_delay_alu instid0(VALU_DEP_1) | instskip(NEXT) | instid1(VALU_DEP_1)
	v_fmac_f32_e32 v18, v20, v16
	v_fma_f32 v5, -v5, v18, v17
	s_delay_alu instid0(VALU_DEP_1) | instskip(NEXT) | instid1(VALU_DEP_1)
	v_div_fmas_f32 v5, v5, v16, v18
	v_div_fixup_f32 v5, v5, v3, v42
	s_delay_alu instid0(VALU_DEP_1)
	v_cvt_f16_f32_e32 v5, v5
.LBB428_68:
	s_or_b32 exec_lo, exec_lo, s33
	v_add_co_u32 v0, vcc_lo, s36, v0
	v_add_co_ci_u32_e32 v1, vcc_lo, s37, v1, vcc_lo
	global_store_b16 v[0:1], v5, off
	s_and_b32 exec_lo, exec_lo, s30
	s_cbranch_execz .LBB428_162
; %bb.69:
	v_mov_b32_e32 v5, 0x7e00
	s_and_saveexec_b32 s30, s31
	s_cbranch_execz .LBB428_71
; %bb.70:
	v_div_scale_f32 v5, null, v3, v3, v40
	s_delay_alu instid0(VALU_DEP_1) | instskip(SKIP_2) | instid1(VALU_DEP_1)
	v_rcp_f32_e32 v16, v5
	s_waitcnt_depctr 0xfff
	v_fma_f32 v17, -v5, v16, 1.0
	v_fmac_f32_e32 v16, v17, v16
	v_div_scale_f32 v17, vcc_lo, v40, v3, v40
	s_delay_alu instid0(VALU_DEP_1) | instskip(NEXT) | instid1(VALU_DEP_1)
	v_mul_f32_e32 v18, v17, v16
	v_fma_f32 v20, -v5, v18, v17
	s_delay_alu instid0(VALU_DEP_1) | instskip(NEXT) | instid1(VALU_DEP_1)
	v_fmac_f32_e32 v18, v20, v16
	v_fma_f32 v5, -v5, v18, v17
	s_delay_alu instid0(VALU_DEP_1) | instskip(NEXT) | instid1(VALU_DEP_1)
	v_div_fmas_f32 v5, v5, v16, v18
	v_div_fixup_f32 v5, v5, v3, v40
	s_delay_alu instid0(VALU_DEP_1)
	v_cvt_f16_f32_e32 v5, v5
.LBB428_71:
	s_or_b32 exec_lo, exec_lo, s30
	global_store_b16 v[0:1], v5, off offset:128
	s_and_b32 exec_lo, exec_lo, s29
	s_cbranch_execz .LBB428_162
; %bb.72:
	v_mov_b32_e32 v5, 0x7e00
	s_and_saveexec_b32 s29, s31
	s_cbranch_execz .LBB428_74
; %bb.73:
	v_div_scale_f32 v5, null, v3, v3, v38
	s_delay_alu instid0(VALU_DEP_1) | instskip(SKIP_2) | instid1(VALU_DEP_1)
	v_rcp_f32_e32 v16, v5
	s_waitcnt_depctr 0xfff
	v_fma_f32 v17, -v5, v16, 1.0
	v_fmac_f32_e32 v16, v17, v16
	v_div_scale_f32 v17, vcc_lo, v38, v3, v38
	s_delay_alu instid0(VALU_DEP_1) | instskip(NEXT) | instid1(VALU_DEP_1)
	v_mul_f32_e32 v18, v17, v16
	v_fma_f32 v20, -v5, v18, v17
	s_delay_alu instid0(VALU_DEP_1) | instskip(NEXT) | instid1(VALU_DEP_1)
	v_fmac_f32_e32 v18, v20, v16
	v_fma_f32 v5, -v5, v18, v17
	s_delay_alu instid0(VALU_DEP_1) | instskip(NEXT) | instid1(VALU_DEP_1)
	v_div_fmas_f32 v5, v5, v16, v18
	v_div_fixup_f32 v5, v5, v3, v38
	s_delay_alu instid0(VALU_DEP_1)
	v_cvt_f16_f32_e32 v5, v5
.LBB428_74:
	s_or_b32 exec_lo, exec_lo, s29
	global_store_b16 v[0:1], v5, off offset:256
	;; [unrolled: 28-line block ×31, first 2 shown]
.LBB428_162:
	s_nop 0
	s_sendmsg sendmsg(MSG_DEALLOC_VGPRS)
	s_endpgm
	.section	.rodata,"a",@progbits
	.p2align	6, 0x0
	.amdhsa_kernel _ZN12_GLOBAL__N_120softmax_warp_forwardIN3c104HalfES2_fLi11ELb0ELb0ELi64EEEvPT0_PKT_iiiPKbib
		.amdhsa_group_segment_fixed_size 0
		.amdhsa_private_segment_fixed_size 0
		.amdhsa_kernarg_size 304
		.amdhsa_user_sgpr_count 15
		.amdhsa_user_sgpr_dispatch_ptr 0
		.amdhsa_user_sgpr_queue_ptr 0
		.amdhsa_user_sgpr_kernarg_segment_ptr 1
		.amdhsa_user_sgpr_dispatch_id 0
		.amdhsa_user_sgpr_private_segment_size 0
		.amdhsa_wavefront_size32 1
		.amdhsa_uses_dynamic_stack 0
		.amdhsa_enable_private_segment 0
		.amdhsa_system_sgpr_workgroup_id_x 1
		.amdhsa_system_sgpr_workgroup_id_y 0
		.amdhsa_system_sgpr_workgroup_id_z 0
		.amdhsa_system_sgpr_workgroup_info 0
		.amdhsa_system_vgpr_workitem_id 1
		.amdhsa_next_free_vgpr 94
		.amdhsa_next_free_sgpr 44
		.amdhsa_reserve_vcc 1
		.amdhsa_float_round_mode_32 0
		.amdhsa_float_round_mode_16_64 0
		.amdhsa_float_denorm_mode_32 3
		.amdhsa_float_denorm_mode_16_64 3
		.amdhsa_dx10_clamp 1
		.amdhsa_ieee_mode 1
		.amdhsa_fp16_overflow 0
		.amdhsa_workgroup_processor_mode 1
		.amdhsa_memory_ordered 1
		.amdhsa_forward_progress 0
		.amdhsa_shared_vgpr_count 0
		.amdhsa_exception_fp_ieee_invalid_op 0
		.amdhsa_exception_fp_denorm_src 0
		.amdhsa_exception_fp_ieee_div_zero 0
		.amdhsa_exception_fp_ieee_overflow 0
		.amdhsa_exception_fp_ieee_underflow 0
		.amdhsa_exception_fp_ieee_inexact 0
		.amdhsa_exception_int_div_zero 0
	.end_amdhsa_kernel
	.section	.text._ZN12_GLOBAL__N_120softmax_warp_forwardIN3c104HalfES2_fLi11ELb0ELb0ELi64EEEvPT0_PKT_iiiPKbib,"axG",@progbits,_ZN12_GLOBAL__N_120softmax_warp_forwardIN3c104HalfES2_fLi11ELb0ELb0ELi64EEEvPT0_PKT_iiiPKbib,comdat
.Lfunc_end428:
	.size	_ZN12_GLOBAL__N_120softmax_warp_forwardIN3c104HalfES2_fLi11ELb0ELb0ELi64EEEvPT0_PKT_iiiPKbib, .Lfunc_end428-_ZN12_GLOBAL__N_120softmax_warp_forwardIN3c104HalfES2_fLi11ELb0ELb0ELi64EEEvPT0_PKT_iiiPKbib
                                        ; -- End function
	.section	.AMDGPU.csdata,"",@progbits
; Kernel info:
; codeLenInByte = 11224
; NumSgprs: 46
; NumVgprs: 94
; ScratchSize: 0
; MemoryBound: 0
; FloatMode: 240
; IeeeMode: 1
; LDSByteSize: 0 bytes/workgroup (compile time only)
; SGPRBlocks: 5
; VGPRBlocks: 11
; NumSGPRsForWavesPerEU: 46
; NumVGPRsForWavesPerEU: 94
; Occupancy: 16
; WaveLimiterHint : 0
; COMPUTE_PGM_RSRC2:SCRATCH_EN: 0
; COMPUTE_PGM_RSRC2:USER_SGPR: 15
; COMPUTE_PGM_RSRC2:TRAP_HANDLER: 0
; COMPUTE_PGM_RSRC2:TGID_X_EN: 1
; COMPUTE_PGM_RSRC2:TGID_Y_EN: 0
; COMPUTE_PGM_RSRC2:TGID_Z_EN: 0
; COMPUTE_PGM_RSRC2:TIDIG_COMP_CNT: 1
	.section	.text._ZN12_GLOBAL__N_120softmax_warp_forwardIN3c104HalfES2_fLi11ELb0ELb0ELi32EEEvPT0_PKT_iiiPKbib,"axG",@progbits,_ZN12_GLOBAL__N_120softmax_warp_forwardIN3c104HalfES2_fLi11ELb0ELb0ELi32EEEvPT0_PKT_iiiPKbib,comdat
	.globl	_ZN12_GLOBAL__N_120softmax_warp_forwardIN3c104HalfES2_fLi11ELb0ELb0ELi32EEEvPT0_PKT_iiiPKbib ; -- Begin function _ZN12_GLOBAL__N_120softmax_warp_forwardIN3c104HalfES2_fLi11ELb0ELb0ELi32EEEvPT0_PKT_iiiPKbib
	.p2align	8
	.type	_ZN12_GLOBAL__N_120softmax_warp_forwardIN3c104HalfES2_fLi11ELb0ELb0ELi32EEEvPT0_PKT_iiiPKbib,@function
_ZN12_GLOBAL__N_120softmax_warp_forwardIN3c104HalfES2_fLi11ELb0ELb0ELi32EEEvPT0_PKT_iiiPKbib: ; @_ZN12_GLOBAL__N_120softmax_warp_forwardIN3c104HalfES2_fLi11ELb0ELb0ELi32EEEvPT0_PKT_iiiPKbib
; %bb.0:
	s_clause 0x1
	s_load_b32 s2, s[0:1], 0x3c
	s_load_b256 s[68:75], s[0:1], 0x0
	v_bfe_u32 v1, v0, 10, 10
	v_mov_b32_e32 v35, 0xff800000
	v_mov_b32_e32 v39, 0xff800000
	s_waitcnt lgkmcnt(0)
	s_lshr_b32 s0, s2, 16
	s_delay_alu instid0(SALU_CYCLE_1) | instskip(SKIP_1) | instid1(VALU_DEP_1)
	v_mad_u64_u32 v[3:4], null, s15, s0, v[1:2]
	v_and_b32_e32 v2, 0x3ff, v0
	v_cmp_gt_i32_e32 vcc_lo, s74, v2
	s_delay_alu instid0(VALU_DEP_3) | instskip(SKIP_1) | instid1(VALU_DEP_1)
	v_mad_u64_u32 v[0:1], null, v3, s73, v[2:3]
	v_sub_nc_u32_e32 v5, s72, v3
	v_cmp_lt_i32_e64 s64, 0, v5
	s_delay_alu instid0(VALU_DEP_3) | instskip(NEXT) | instid1(VALU_DEP_2)
	v_ashrrev_i32_e32 v1, 31, v0
	s_and_b32 s1, s64, vcc_lo
	s_delay_alu instid0(VALU_DEP_1) | instskip(NEXT) | instid1(VALU_DEP_1)
	v_lshlrev_b64 v[0:1], 1, v[0:1]
	v_add_co_u32 v3, s0, s70, v0
	s_delay_alu instid0(VALU_DEP_1)
	v_add_co_ci_u32_e64 v4, s0, s71, v1, s0
	s_and_saveexec_b32 s0, s1
	s_cbranch_execz .LBB429_2
; %bb.1:
	global_load_u16 v6, v[3:4], off
	s_waitcnt vmcnt(0)
	v_cvt_f32_f16_e32 v39, v6
.LBB429_2:
	s_or_b32 exec_lo, exec_lo, s0
	v_add_nc_u32_e32 v6, 32, v2
	s_delay_alu instid0(VALU_DEP_1) | instskip(NEXT) | instid1(VALU_DEP_1)
	v_cmp_gt_i32_e64 s63, s74, v6
	s_and_b32 s1, s64, s63
	s_delay_alu instid0(SALU_CYCLE_1)
	s_and_saveexec_b32 s0, s1
	s_cbranch_execz .LBB429_4
; %bb.3:
	global_load_u16 v6, v[3:4], off offset:64
	s_waitcnt vmcnt(0)
	v_cvt_f32_f16_e32 v35, v6
.LBB429_4:
	s_or_b32 exec_lo, exec_lo, s0
	v_dual_mov_b32 v37, 0xff800000 :: v_dual_add_nc_u32 v6, 64, v2
	v_mov_b32_e32 v30, 0xff800000
	s_delay_alu instid0(VALU_DEP_2) | instskip(NEXT) | instid1(VALU_DEP_1)
	v_cmp_gt_i32_e64 s62, s74, v6
	s_and_b32 s1, s64, s62
	s_delay_alu instid0(SALU_CYCLE_1)
	s_and_saveexec_b32 s0, s1
	s_cbranch_execz .LBB429_6
; %bb.5:
	global_load_u16 v6, v[3:4], off offset:128
	s_waitcnt vmcnt(0)
	v_cvt_f32_f16_e32 v37, v6
.LBB429_6:
	s_or_b32 exec_lo, exec_lo, s0
	v_add_nc_u32_e32 v6, 0x60, v2
	s_delay_alu instid0(VALU_DEP_1) | instskip(NEXT) | instid1(VALU_DEP_1)
	v_cmp_gt_i32_e64 s61, s74, v6
	s_and_b32 s1, s64, s61
	s_delay_alu instid0(SALU_CYCLE_1)
	s_and_saveexec_b32 s0, s1
	s_cbranch_execz .LBB429_8
; %bb.7:
	global_load_u16 v6, v[3:4], off offset:192
	s_waitcnt vmcnt(0)
	v_cvt_f32_f16_e32 v30, v6
.LBB429_8:
	s_or_b32 exec_lo, exec_lo, s0
	v_add_nc_u32_e32 v6, 0x80, v2
	v_mov_b32_e32 v27, 0xff800000
	v_mov_b32_e32 v31, 0xff800000
	s_delay_alu instid0(VALU_DEP_3) | instskip(NEXT) | instid1(VALU_DEP_1)
	v_cmp_gt_i32_e64 s60, s74, v6
	s_and_b32 s1, s64, s60
	s_delay_alu instid0(SALU_CYCLE_1)
	s_and_saveexec_b32 s0, s1
	s_cbranch_execz .LBB429_10
; %bb.9:
	global_load_u16 v6, v[3:4], off offset:256
	s_waitcnt vmcnt(0)
	v_cvt_f32_f16_e32 v31, v6
.LBB429_10:
	s_or_b32 exec_lo, exec_lo, s0
	v_add_nc_u32_e32 v6, 0xa0, v2
	s_delay_alu instid0(VALU_DEP_1) | instskip(NEXT) | instid1(VALU_DEP_1)
	v_cmp_gt_i32_e64 s59, s74, v6
	s_and_b32 s1, s64, s59
	s_delay_alu instid0(SALU_CYCLE_1)
	s_and_saveexec_b32 s0, s1
	s_cbranch_execz .LBB429_12
; %bb.11:
	global_load_u16 v6, v[3:4], off offset:320
	s_waitcnt vmcnt(0)
	v_cvt_f32_f16_e32 v27, v6
.LBB429_12:
	s_or_b32 exec_lo, exec_lo, s0
	v_add_nc_u32_e32 v6, 0xc0, v2
	v_mov_b32_e32 v26, 0xff800000
	v_mov_b32_e32 v28, 0xff800000
	s_delay_alu instid0(VALU_DEP_3) | instskip(NEXT) | instid1(VALU_DEP_1)
	v_cmp_gt_i32_e64 s58, s74, v6
	s_and_b32 s1, s64, s58
	s_delay_alu instid0(SALU_CYCLE_1)
	s_and_saveexec_b32 s0, s1
	s_cbranch_execz .LBB429_14
; %bb.13:
	global_load_u16 v6, v[3:4], off offset:384
	s_waitcnt vmcnt(0)
	v_cvt_f32_f16_e32 v28, v6
.LBB429_14:
	s_or_b32 exec_lo, exec_lo, s0
	v_add_nc_u32_e32 v6, 0xe0, v2
	s_delay_alu instid0(VALU_DEP_1) | instskip(NEXT) | instid1(VALU_DEP_1)
	v_cmp_gt_i32_e64 s57, s74, v6
	s_and_b32 s1, s64, s57
	s_delay_alu instid0(SALU_CYCLE_1)
	s_and_saveexec_b32 s0, s1
	s_cbranch_execz .LBB429_16
; %bb.15:
	global_load_u16 v6, v[3:4], off offset:448
	s_waitcnt vmcnt(0)
	v_cvt_f32_f16_e32 v26, v6
.LBB429_16:
	s_or_b32 exec_lo, exec_lo, s0
	v_add_nc_u32_e32 v6, 0x100, v2
	v_dual_mov_b32 v41, 0xff800000 :: v_dual_mov_b32 v44, 0xff800000
	s_delay_alu instid0(VALU_DEP_2) | instskip(NEXT) | instid1(VALU_DEP_1)
	v_cmp_gt_i32_e64 s56, s74, v6
	s_and_b32 s1, s64, s56
	s_delay_alu instid0(SALU_CYCLE_1)
	s_and_saveexec_b32 s0, s1
	s_cbranch_execz .LBB429_18
; %bb.17:
	global_load_u16 v6, v[3:4], off offset:512
	s_waitcnt vmcnt(0)
	v_cvt_f32_f16_e32 v44, v6
.LBB429_18:
	s_or_b32 exec_lo, exec_lo, s0
	v_add_nc_u32_e32 v6, 0x120, v2
	s_delay_alu instid0(VALU_DEP_1) | instskip(NEXT) | instid1(VALU_DEP_1)
	v_cmp_gt_i32_e64 s55, s74, v6
	s_and_b32 s1, s64, s55
	s_delay_alu instid0(SALU_CYCLE_1)
	s_and_saveexec_b32 s0, s1
	s_cbranch_execz .LBB429_20
; %bb.19:
	global_load_u16 v6, v[3:4], off offset:576
	s_waitcnt vmcnt(0)
	v_cvt_f32_f16_e32 v41, v6
.LBB429_20:
	s_or_b32 exec_lo, exec_lo, s0
	v_add_nc_u32_e32 v6, 0x140, v2
	v_dual_mov_b32 v29, 0xff800000 :: v_dual_mov_b32 v38, 0xff800000
	s_delay_alu instid0(VALU_DEP_2) | instskip(NEXT) | instid1(VALU_DEP_1)
	v_cmp_gt_i32_e64 s54, s74, v6
	s_and_b32 s1, s64, s54
	s_delay_alu instid0(SALU_CYCLE_1)
	s_and_saveexec_b32 s0, s1
	s_cbranch_execz .LBB429_22
; %bb.21:
	global_load_u16 v6, v[3:4], off offset:640
	s_waitcnt vmcnt(0)
	v_cvt_f32_f16_e32 v38, v6
.LBB429_22:
	s_or_b32 exec_lo, exec_lo, s0
	v_add_nc_u32_e32 v6, 0x160, v2
	s_delay_alu instid0(VALU_DEP_1) | instskip(NEXT) | instid1(VALU_DEP_1)
	v_cmp_gt_i32_e64 s53, s74, v6
	s_and_b32 s1, s64, s53
	s_delay_alu instid0(SALU_CYCLE_1)
	s_and_saveexec_b32 s0, s1
	s_cbranch_execz .LBB429_24
; %bb.23:
	global_load_u16 v6, v[3:4], off offset:704
	s_waitcnt vmcnt(0)
	v_cvt_f32_f16_e32 v29, v6
.LBB429_24:
	s_or_b32 exec_lo, exec_lo, s0
	v_add_nc_u32_e32 v6, 0x180, v2
	v_mov_b32_e32 v24, 0xff800000
	v_mov_b32_e32 v32, 0xff800000
	s_delay_alu instid0(VALU_DEP_3) | instskip(NEXT) | instid1(VALU_DEP_1)
	v_cmp_gt_i32_e64 s52, s74, v6
	s_and_b32 s1, s64, s52
	s_delay_alu instid0(SALU_CYCLE_1)
	s_and_saveexec_b32 s0, s1
	s_cbranch_execz .LBB429_26
; %bb.25:
	global_load_u16 v6, v[3:4], off offset:768
	s_waitcnt vmcnt(0)
	v_cvt_f32_f16_e32 v32, v6
.LBB429_26:
	s_or_b32 exec_lo, exec_lo, s0
	v_add_nc_u32_e32 v6, 0x1a0, v2
	s_delay_alu instid0(VALU_DEP_1) | instskip(NEXT) | instid1(VALU_DEP_1)
	v_cmp_gt_i32_e64 s51, s74, v6
	s_and_b32 s1, s64, s51
	s_delay_alu instid0(SALU_CYCLE_1)
	s_and_saveexec_b32 s0, s1
	s_cbranch_execz .LBB429_28
; %bb.27:
	global_load_u16 v6, v[3:4], off offset:832
	s_waitcnt vmcnt(0)
	v_cvt_f32_f16_e32 v24, v6
.LBB429_28:
	s_or_b32 exec_lo, exec_lo, s0
	v_add_nc_u32_e32 v6, 0x1c0, v2
	v_dual_mov_b32 v20, 0xff800000 :: v_dual_mov_b32 v25, 0xff800000
	s_delay_alu instid0(VALU_DEP_2) | instskip(NEXT) | instid1(VALU_DEP_1)
	v_cmp_gt_i32_e64 s50, s74, v6
	s_and_b32 s1, s64, s50
	s_delay_alu instid0(SALU_CYCLE_1)
	s_and_saveexec_b32 s0, s1
	s_cbranch_execz .LBB429_30
; %bb.29:
	global_load_u16 v6, v[3:4], off offset:896
	s_waitcnt vmcnt(0)
	v_cvt_f32_f16_e32 v25, v6
.LBB429_30:
	s_or_b32 exec_lo, exec_lo, s0
	v_add_nc_u32_e32 v6, 0x1e0, v2
	s_delay_alu instid0(VALU_DEP_1) | instskip(NEXT) | instid1(VALU_DEP_1)
	v_cmp_gt_i32_e64 s49, s74, v6
	s_and_b32 s1, s64, s49
	s_delay_alu instid0(SALU_CYCLE_1)
	s_and_saveexec_b32 s0, s1
	s_cbranch_execz .LBB429_32
; %bb.31:
	global_load_u16 v6, v[3:4], off offset:960
	s_waitcnt vmcnt(0)
	v_cvt_f32_f16_e32 v20, v6
.LBB429_32:
	s_or_b32 exec_lo, exec_lo, s0
	v_add_nc_u32_e32 v6, 0x200, v2
	v_mov_b32_e32 v16, 0xff800000
	v_mov_b32_e32 v22, 0xff800000
	s_delay_alu instid0(VALU_DEP_3) | instskip(NEXT) | instid1(VALU_DEP_1)
	;; [unrolled: 55-line block ×3, first 2 shown]
	v_cmp_gt_i32_e64 s44, s74, v6
	s_and_b32 s1, s64, s44
	s_delay_alu instid0(SALU_CYCLE_1)
	s_and_saveexec_b32 s0, s1
	s_cbranch_execz .LBB429_42
; %bb.41:
	global_load_u16 v6, v[3:4], off offset:1280
	s_waitcnt vmcnt(0)
	v_cvt_f32_f16_e32 v12, v6
.LBB429_42:
	s_or_b32 exec_lo, exec_lo, s0
	v_add_nc_u32_e32 v6, 0x2a0, v2
	s_delay_alu instid0(VALU_DEP_1) | instskip(NEXT) | instid1(VALU_DEP_1)
	v_cmp_gt_i32_e64 s43, s74, v6
	s_and_b32 s1, s64, s43
	s_delay_alu instid0(SALU_CYCLE_1)
	s_and_saveexec_b32 s0, s1
	s_cbranch_execz .LBB429_44
; %bb.43:
	global_load_u16 v6, v[3:4], off offset:1344
	s_waitcnt vmcnt(0)
	v_cvt_f32_f16_e32 v8, v6
.LBB429_44:
	s_or_b32 exec_lo, exec_lo, s0
	v_add_nc_u32_e32 v6, 0x2c0, v2
	v_dual_mov_b32 v7, 0xff800000 :: v_dual_mov_b32 v10, 0xff800000
	s_delay_alu instid0(VALU_DEP_2) | instskip(NEXT) | instid1(VALU_DEP_1)
	v_cmp_gt_i32_e64 s42, s74, v6
	s_and_b32 s1, s64, s42
	s_delay_alu instid0(SALU_CYCLE_1)
	s_and_saveexec_b32 s0, s1
	s_cbranch_execz .LBB429_46
; %bb.45:
	global_load_u16 v6, v[3:4], off offset:1408
	s_waitcnt vmcnt(0)
	v_cvt_f32_f16_e32 v10, v6
.LBB429_46:
	s_or_b32 exec_lo, exec_lo, s0
	v_add_nc_u32_e32 v6, 0x2e0, v2
	s_delay_alu instid0(VALU_DEP_1) | instskip(NEXT) | instid1(VALU_DEP_1)
	v_cmp_gt_i32_e64 s41, s74, v6
	s_and_b32 s1, s64, s41
	s_delay_alu instid0(SALU_CYCLE_1)
	s_and_saveexec_b32 s0, s1
	s_cbranch_execz .LBB429_48
; %bb.47:
	global_load_u16 v6, v[3:4], off offset:1472
	s_waitcnt vmcnt(0)
	v_cvt_f32_f16_e32 v7, v6
.LBB429_48:
	s_or_b32 exec_lo, exec_lo, s0
	v_add_nc_u32_e32 v6, 0x300, v2
	v_mov_b32_e32 v76, 0xff800000
	s_delay_alu instid0(VALU_DEP_2) | instskip(SKIP_1) | instid1(VALU_DEP_2)
	v_cmp_gt_i32_e64 s40, s74, v6
	v_mov_b32_e32 v6, 0xff800000
	s_and_b32 s1, s64, s40
	s_delay_alu instid0(SALU_CYCLE_1)
	s_and_saveexec_b32 s0, s1
	s_cbranch_execz .LBB429_50
; %bb.49:
	global_load_u16 v9, v[3:4], off offset:1536
	s_waitcnt vmcnt(0)
	v_cvt_f32_f16_e32 v76, v9
.LBB429_50:
	s_or_b32 exec_lo, exec_lo, s0
	v_add_nc_u32_e32 v9, 0x320, v2
	s_delay_alu instid0(VALU_DEP_1) | instskip(NEXT) | instid1(VALU_DEP_1)
	v_cmp_gt_i32_e64 s39, s74, v9
	s_and_b32 s1, s64, s39
	s_delay_alu instid0(SALU_CYCLE_1)
	s_and_saveexec_b32 s0, s1
	s_cbranch_execz .LBB429_52
; %bb.51:
	global_load_u16 v6, v[3:4], off offset:1600
	s_waitcnt vmcnt(0)
	v_cvt_f32_f16_e32 v6, v6
.LBB429_52:
	s_or_b32 exec_lo, exec_lo, s0
	v_add_nc_u32_e32 v9, 0x340, v2
	v_mov_b32_e32 v17, 0xff800000
	v_mov_b32_e32 v75, 0xff800000
	s_delay_alu instid0(VALU_DEP_3) | instskip(NEXT) | instid1(VALU_DEP_1)
	v_cmp_gt_i32_e64 s38, s74, v9
	s_and_b32 s1, s64, s38
	s_delay_alu instid0(SALU_CYCLE_1)
	s_and_saveexec_b32 s0, s1
	s_cbranch_execz .LBB429_54
; %bb.53:
	global_load_u16 v9, v[3:4], off offset:1664
	s_waitcnt vmcnt(0)
	v_cvt_f32_f16_e32 v75, v9
.LBB429_54:
	s_or_b32 exec_lo, exec_lo, s0
	v_add_nc_u32_e32 v9, 0x360, v2
	s_delay_alu instid0(VALU_DEP_1) | instskip(NEXT) | instid1(VALU_DEP_1)
	v_cmp_gt_i32_e64 s37, s74, v9
	s_and_b32 s1, s64, s37
	s_delay_alu instid0(SALU_CYCLE_1)
	s_and_saveexec_b32 s0, s1
	s_cbranch_execz .LBB429_56
; %bb.55:
	global_load_u16 v9, v[3:4], off offset:1728
	s_waitcnt vmcnt(0)
	v_cvt_f32_f16_e32 v17, v9
.LBB429_56:
	s_or_b32 exec_lo, exec_lo, s0
	v_add_nc_u32_e32 v9, 0x380, v2
	v_mov_b32_e32 v14, 0xff800000
	v_mov_b32_e32 v74, 0xff800000
	s_delay_alu instid0(VALU_DEP_3) | instskip(NEXT) | instid1(VALU_DEP_1)
	v_cmp_gt_i32_e64 s36, s74, v9
	s_and_b32 s1, s64, s36
	s_delay_alu instid0(SALU_CYCLE_1)
	s_and_saveexec_b32 s0, s1
	s_cbranch_execz .LBB429_58
; %bb.57:
	global_load_u16 v9, v[3:4], off offset:1792
	s_waitcnt vmcnt(0)
	v_cvt_f32_f16_e32 v74, v9
.LBB429_58:
	s_or_b32 exec_lo, exec_lo, s0
	v_add_nc_u32_e32 v9, 0x3a0, v2
	s_delay_alu instid0(VALU_DEP_1) | instskip(NEXT) | instid1(VALU_DEP_1)
	v_cmp_gt_i32_e64 s35, s74, v9
	s_and_b32 s1, s64, s35
	s_delay_alu instid0(SALU_CYCLE_1)
	s_and_saveexec_b32 s0, s1
	s_cbranch_execz .LBB429_60
; %bb.59:
	global_load_u16 v9, v[3:4], off offset:1856
	s_waitcnt vmcnt(0)
	v_cvt_f32_f16_e32 v14, v9
.LBB429_60:
	s_or_b32 exec_lo, exec_lo, s0
	v_add_nc_u32_e32 v9, 0x3c0, v2
	v_dual_mov_b32 v19, 0xff800000 :: v_dual_mov_b32 v72, 0xff800000
	s_delay_alu instid0(VALU_DEP_2) | instskip(NEXT) | instid1(VALU_DEP_1)
	v_cmp_gt_i32_e64 s34, s74, v9
	s_and_b32 s1, s64, s34
	s_delay_alu instid0(SALU_CYCLE_1)
	s_and_saveexec_b32 s0, s1
	s_cbranch_execz .LBB429_62
; %bb.61:
	global_load_u16 v9, v[3:4], off offset:1920
	s_waitcnt vmcnt(0)
	v_cvt_f32_f16_e32 v72, v9
.LBB429_62:
	s_or_b32 exec_lo, exec_lo, s0
	v_add_nc_u32_e32 v9, 0x3e0, v2
	s_delay_alu instid0(VALU_DEP_1) | instskip(NEXT) | instid1(VALU_DEP_1)
	v_cmp_gt_i32_e64 s33, s74, v9
	s_and_b32 s1, s64, s33
	s_delay_alu instid0(SALU_CYCLE_1)
	s_and_saveexec_b32 s0, s1
	s_cbranch_execz .LBB429_64
; %bb.63:
	global_load_u16 v9, v[3:4], off offset:1984
	s_waitcnt vmcnt(0)
	v_cvt_f32_f16_e32 v19, v9
.LBB429_64:
	s_or_b32 exec_lo, exec_lo, s0
	v_or_b32_e32 v9, 0x400, v2
	v_mov_b32_e32 v47, 0xff800000
	v_mov_b32_e32 v45, 0xff800000
	s_delay_alu instid0(VALU_DEP_3) | instskip(NEXT) | instid1(VALU_DEP_1)
	v_cmp_gt_i32_e64 s31, s74, v9
	s_and_b32 s1, s64, s31
	s_delay_alu instid0(SALU_CYCLE_1)
	s_and_saveexec_b32 s0, s1
	s_cbranch_execz .LBB429_66
; %bb.65:
	global_load_u16 v9, v[3:4], off offset:2048
	s_waitcnt vmcnt(0)
	v_cvt_f32_f16_e32 v45, v9
.LBB429_66:
	s_or_b32 exec_lo, exec_lo, s0
	v_add_nc_u32_e32 v9, 0x420, v2
	s_delay_alu instid0(VALU_DEP_1) | instskip(NEXT) | instid1(VALU_DEP_1)
	v_cmp_gt_i32_e64 s30, s74, v9
	s_and_b32 s1, s64, s30
	s_delay_alu instid0(SALU_CYCLE_1)
	s_and_saveexec_b32 s0, s1
	s_cbranch_execz .LBB429_68
; %bb.67:
	global_load_u16 v9, v[3:4], off offset:2112
	s_waitcnt vmcnt(0)
	v_cvt_f32_f16_e32 v47, v9
.LBB429_68:
	s_or_b32 exec_lo, exec_lo, s0
	v_add_nc_u32_e32 v9, 0x440, v2
	v_mov_b32_e32 v48, 0xff800000
	v_mov_b32_e32 v50, 0xff800000
	s_delay_alu instid0(VALU_DEP_3) | instskip(NEXT) | instid1(VALU_DEP_1)
	v_cmp_gt_i32_e64 s29, s74, v9
	s_and_b32 s1, s64, s29
	s_delay_alu instid0(SALU_CYCLE_1)
	s_and_saveexec_b32 s0, s1
	s_cbranch_execz .LBB429_70
; %bb.69:
	global_load_u16 v9, v[3:4], off offset:2176
	s_waitcnt vmcnt(0)
	v_cvt_f32_f16_e32 v50, v9
.LBB429_70:
	s_or_b32 exec_lo, exec_lo, s0
	v_add_nc_u32_e32 v9, 0x460, v2
	s_delay_alu instid0(VALU_DEP_1) | instskip(NEXT) | instid1(VALU_DEP_1)
	v_cmp_gt_i32_e64 s28, s74, v9
	s_and_b32 s1, s64, s28
	s_delay_alu instid0(SALU_CYCLE_1)
	s_and_saveexec_b32 s0, s1
	s_cbranch_execz .LBB429_72
; %bb.71:
	global_load_u16 v9, v[3:4], off offset:2240
	s_waitcnt vmcnt(0)
	v_cvt_f32_f16_e32 v48, v9
.LBB429_72:
	s_or_b32 exec_lo, exec_lo, s0
	v_add_nc_u32_e32 v9, 0x480, v2
	v_dual_mov_b32 v54, 0xff800000 :: v_dual_mov_b32 v51, 0xff800000
	s_delay_alu instid0(VALU_DEP_2) | instskip(NEXT) | instid1(VALU_DEP_1)
	v_cmp_gt_i32_e64 s27, s74, v9
	s_and_b32 s1, s64, s27
	s_delay_alu instid0(SALU_CYCLE_1)
	s_and_saveexec_b32 s0, s1
	s_cbranch_execz .LBB429_74
; %bb.73:
	global_load_u16 v9, v[3:4], off offset:2304
	s_waitcnt vmcnt(0)
	v_cvt_f32_f16_e32 v51, v9
.LBB429_74:
	s_or_b32 exec_lo, exec_lo, s0
	v_add_nc_u32_e32 v9, 0x4a0, v2
	s_delay_alu instid0(VALU_DEP_1) | instskip(NEXT) | instid1(VALU_DEP_1)
	v_cmp_gt_i32_e64 s26, s74, v9
	s_and_b32 s1, s64, s26
	s_delay_alu instid0(SALU_CYCLE_1)
	s_and_saveexec_b32 s0, s1
	s_cbranch_execz .LBB429_76
; %bb.75:
	global_load_u16 v9, v[3:4], off offset:2368
	s_waitcnt vmcnt(0)
	v_cvt_f32_f16_e32 v54, v9
.LBB429_76:
	s_or_b32 exec_lo, exec_lo, s0
	v_add_nc_u32_e32 v9, 0x4c0, v2
	v_dual_mov_b32 v56, 0xff800000 :: v_dual_mov_b32 v53, 0xff800000
	s_delay_alu instid0(VALU_DEP_2) | instskip(NEXT) | instid1(VALU_DEP_1)
	v_cmp_gt_i32_e64 s25, s74, v9
	s_and_b32 s1, s64, s25
	s_delay_alu instid0(SALU_CYCLE_1)
	s_and_saveexec_b32 s0, s1
	s_cbranch_execz .LBB429_78
; %bb.77:
	global_load_u16 v9, v[3:4], off offset:2432
	s_waitcnt vmcnt(0)
	v_cvt_f32_f16_e32 v53, v9
.LBB429_78:
	s_or_b32 exec_lo, exec_lo, s0
	v_add_nc_u32_e32 v9, 0x4e0, v2
	s_delay_alu instid0(VALU_DEP_1) | instskip(NEXT) | instid1(VALU_DEP_1)
	v_cmp_gt_i32_e64 s24, s74, v9
	s_and_b32 s1, s64, s24
	s_delay_alu instid0(SALU_CYCLE_1)
	s_and_saveexec_b32 s0, s1
	s_cbranch_execz .LBB429_80
; %bb.79:
	global_load_u16 v9, v[3:4], off offset:2496
	s_waitcnt vmcnt(0)
	v_cvt_f32_f16_e32 v56, v9
.LBB429_80:
	s_or_b32 exec_lo, exec_lo, s0
	v_add_nc_u32_e32 v9, 0x500, v2
	v_dual_mov_b32 v57, 0xff800000 :: v_dual_mov_b32 v58, 0xff800000
	s_delay_alu instid0(VALU_DEP_2) | instskip(NEXT) | instid1(VALU_DEP_1)
	v_cmp_gt_i32_e64 s23, s74, v9
	s_and_b32 s1, s64, s23
	s_delay_alu instid0(SALU_CYCLE_1)
	s_and_saveexec_b32 s0, s1
	s_cbranch_execz .LBB429_82
; %bb.81:
	global_load_u16 v9, v[3:4], off offset:2560
	s_waitcnt vmcnt(0)
	v_cvt_f32_f16_e32 v58, v9
.LBB429_82:
	s_or_b32 exec_lo, exec_lo, s0
	v_add_nc_u32_e32 v9, 0x520, v2
	s_delay_alu instid0(VALU_DEP_1) | instskip(NEXT) | instid1(VALU_DEP_1)
	v_cmp_gt_i32_e64 s22, s74, v9
	s_and_b32 s1, s64, s22
	s_delay_alu instid0(SALU_CYCLE_1)
	s_and_saveexec_b32 s0, s1
	s_cbranch_execz .LBB429_84
; %bb.83:
	global_load_u16 v9, v[3:4], off offset:2624
	s_waitcnt vmcnt(0)
	v_cvt_f32_f16_e32 v57, v9
.LBB429_84:
	s_or_b32 exec_lo, exec_lo, s0
	v_add_nc_u32_e32 v9, 0x540, v2
	v_mov_b32_e32 v61, 0xff800000
	v_mov_b32_e32 v59, 0xff800000
	s_delay_alu instid0(VALU_DEP_3) | instskip(NEXT) | instid1(VALU_DEP_1)
	v_cmp_gt_i32_e64 s21, s74, v9
	s_and_b32 s1, s64, s21
	s_delay_alu instid0(SALU_CYCLE_1)
	s_and_saveexec_b32 s0, s1
	s_cbranch_execz .LBB429_86
; %bb.85:
	global_load_u16 v9, v[3:4], off offset:2688
	s_waitcnt vmcnt(0)
	v_cvt_f32_f16_e32 v59, v9
.LBB429_86:
	s_or_b32 exec_lo, exec_lo, s0
	v_add_nc_u32_e32 v9, 0x560, v2
	s_delay_alu instid0(VALU_DEP_1) | instskip(NEXT) | instid1(VALU_DEP_1)
	v_cmp_gt_i32_e64 s20, s74, v9
	s_and_b32 s1, s64, s20
	s_delay_alu instid0(SALU_CYCLE_1)
	s_and_saveexec_b32 s0, s1
	s_cbranch_execz .LBB429_88
; %bb.87:
	global_load_u16 v9, v[3:4], off offset:2752
	s_waitcnt vmcnt(0)
	v_cvt_f32_f16_e32 v61, v9
.LBB429_88:
	s_or_b32 exec_lo, exec_lo, s0
	v_add_nc_u32_e32 v9, 0x580, v2
	v_mov_b32_e32 v62, 0xff800000
	v_mov_b32_e32 v60, 0xff800000
	s_delay_alu instid0(VALU_DEP_3) | instskip(NEXT) | instid1(VALU_DEP_1)
	v_cmp_gt_i32_e64 s19, s74, v9
	s_and_b32 s1, s64, s19
	s_delay_alu instid0(SALU_CYCLE_1)
	s_and_saveexec_b32 s0, s1
	s_cbranch_execz .LBB429_90
; %bb.89:
	global_load_u16 v9, v[3:4], off offset:2816
	s_waitcnt vmcnt(0)
	v_cvt_f32_f16_e32 v60, v9
.LBB429_90:
	s_or_b32 exec_lo, exec_lo, s0
	v_add_nc_u32_e32 v9, 0x5a0, v2
	s_delay_alu instid0(VALU_DEP_1) | instskip(NEXT) | instid1(VALU_DEP_1)
	v_cmp_gt_i32_e64 s18, s74, v9
	s_and_b32 s1, s64, s18
	s_delay_alu instid0(SALU_CYCLE_1)
	s_and_saveexec_b32 s0, s1
	s_cbranch_execz .LBB429_92
; %bb.91:
	global_load_u16 v9, v[3:4], off offset:2880
	s_waitcnt vmcnt(0)
	v_cvt_f32_f16_e32 v62, v9
.LBB429_92:
	s_or_b32 exec_lo, exec_lo, s0
	v_add_nc_u32_e32 v9, 0x5c0, v2
	v_dual_mov_b32 v63, 0xff800000 :: v_dual_mov_b32 v64, 0xff800000
	s_delay_alu instid0(VALU_DEP_2) | instskip(NEXT) | instid1(VALU_DEP_1)
	v_cmp_gt_i32_e64 s17, s74, v9
	s_and_b32 s1, s64, s17
	s_delay_alu instid0(SALU_CYCLE_1)
	s_and_saveexec_b32 s0, s1
	s_cbranch_execz .LBB429_94
; %bb.93:
	global_load_u16 v9, v[3:4], off offset:2944
	s_waitcnt vmcnt(0)
	v_cvt_f32_f16_e32 v64, v9
.LBB429_94:
	s_or_b32 exec_lo, exec_lo, s0
	v_add_nc_u32_e32 v9, 0x5e0, v2
	s_delay_alu instid0(VALU_DEP_1) | instskip(NEXT) | instid1(VALU_DEP_1)
	v_cmp_gt_i32_e64 s16, s74, v9
	s_and_b32 s1, s64, s16
	s_delay_alu instid0(SALU_CYCLE_1)
	s_and_saveexec_b32 s0, s1
	s_cbranch_execz .LBB429_96
; %bb.95:
	global_load_u16 v9, v[3:4], off offset:3008
	s_waitcnt vmcnt(0)
	v_cvt_f32_f16_e32 v63, v9
.LBB429_96:
	s_or_b32 exec_lo, exec_lo, s0
	v_add_nc_u32_e32 v9, 0x600, v2
	v_mov_b32_e32 v67, 0xff800000
	v_mov_b32_e32 v65, 0xff800000
	s_delay_alu instid0(VALU_DEP_3) | instskip(NEXT) | instid1(VALU_DEP_1)
	v_cmp_gt_i32_e64 s15, s74, v9
	s_and_b32 s1, s64, s15
	s_delay_alu instid0(SALU_CYCLE_1)
	s_and_saveexec_b32 s0, s1
	s_cbranch_execz .LBB429_98
; %bb.97:
	global_load_u16 v9, v[3:4], off offset:3072
	s_waitcnt vmcnt(0)
	v_cvt_f32_f16_e32 v65, v9
.LBB429_98:
	s_or_b32 exec_lo, exec_lo, s0
	v_add_nc_u32_e32 v9, 0x620, v2
	s_delay_alu instid0(VALU_DEP_1) | instskip(NEXT) | instid1(VALU_DEP_1)
	v_cmp_gt_i32_e64 s14, s74, v9
	s_and_b32 s1, s64, s14
	s_delay_alu instid0(SALU_CYCLE_1)
	s_and_saveexec_b32 s0, s1
	s_cbranch_execz .LBB429_100
; %bb.99:
	global_load_u16 v9, v[3:4], off offset:3136
	s_waitcnt vmcnt(0)
	v_cvt_f32_f16_e32 v67, v9
.LBB429_100:
	s_or_b32 exec_lo, exec_lo, s0
	v_add_nc_u32_e32 v9, 0x640, v2
	v_mov_b32_e32 v68, 0xff800000
	v_mov_b32_e32 v66, 0xff800000
	s_delay_alu instid0(VALU_DEP_3) | instskip(NEXT) | instid1(VALU_DEP_1)
	v_cmp_gt_i32_e64 s13, s74, v9
	s_and_b32 s1, s64, s13
	s_delay_alu instid0(SALU_CYCLE_1)
	s_and_saveexec_b32 s0, s1
	s_cbranch_execz .LBB429_102
; %bb.101:
	global_load_u16 v9, v[3:4], off offset:3200
	s_waitcnt vmcnt(0)
	v_cvt_f32_f16_e32 v66, v9
.LBB429_102:
	s_or_b32 exec_lo, exec_lo, s0
	v_add_nc_u32_e32 v9, 0x660, v2
	s_delay_alu instid0(VALU_DEP_1) | instskip(NEXT) | instid1(VALU_DEP_1)
	v_cmp_gt_i32_e64 s12, s74, v9
	s_and_b32 s1, s64, s12
	s_delay_alu instid0(SALU_CYCLE_1)
	s_and_saveexec_b32 s0, s1
	s_cbranch_execz .LBB429_104
; %bb.103:
	global_load_u16 v9, v[3:4], off offset:3264
	s_waitcnt vmcnt(0)
	v_cvt_f32_f16_e32 v68, v9
.LBB429_104:
	s_or_b32 exec_lo, exec_lo, s0
	v_add_nc_u32_e32 v9, 0x680, v2
	v_dual_mov_b32 v69, 0xff800000 :: v_dual_mov_b32 v70, 0xff800000
	s_delay_alu instid0(VALU_DEP_2) | instskip(NEXT) | instid1(VALU_DEP_1)
	v_cmp_gt_i32_e64 s11, s74, v9
	s_and_b32 s1, s64, s11
	s_delay_alu instid0(SALU_CYCLE_1)
	s_and_saveexec_b32 s0, s1
	s_cbranch_execz .LBB429_106
; %bb.105:
	global_load_u16 v9, v[3:4], off offset:3328
	s_waitcnt vmcnt(0)
	v_cvt_f32_f16_e32 v70, v9
.LBB429_106:
	s_or_b32 exec_lo, exec_lo, s0
	v_add_nc_u32_e32 v9, 0x6a0, v2
	s_delay_alu instid0(VALU_DEP_1) | instskip(NEXT) | instid1(VALU_DEP_1)
	v_cmp_gt_i32_e64 s10, s74, v9
	s_and_b32 s1, s64, s10
	s_delay_alu instid0(SALU_CYCLE_1)
	s_and_saveexec_b32 s0, s1
	s_cbranch_execz .LBB429_108
; %bb.107:
	global_load_u16 v9, v[3:4], off offset:3392
	s_waitcnt vmcnt(0)
	v_cvt_f32_f16_e32 v69, v9
.LBB429_108:
	s_or_b32 exec_lo, exec_lo, s0
	v_add_nc_u32_e32 v9, 0x6c0, v2
	v_dual_mov_b32 v52, 0xff800000 :: v_dual_mov_b32 v71, 0xff800000
	s_delay_alu instid0(VALU_DEP_2) | instskip(NEXT) | instid1(VALU_DEP_1)
	;; [unrolled: 27-line block ×3, first 2 shown]
	v_cmp_gt_i32_e64 s7, s74, v9
	s_and_b32 s1, s64, s7
	s_delay_alu instid0(SALU_CYCLE_1)
	s_and_saveexec_b32 s0, s1
	s_cbranch_execz .LBB429_114
; %bb.113:
	global_load_u16 v9, v[3:4], off offset:3584
	s_waitcnt vmcnt(0)
	v_cvt_f32_f16_e32 v49, v9
.LBB429_114:
	s_or_b32 exec_lo, exec_lo, s0
	v_add_nc_u32_e32 v9, 0x720, v2
	s_delay_alu instid0(VALU_DEP_1) | instskip(NEXT) | instid1(VALU_DEP_1)
	v_cmp_gt_i32_e64 s6, s74, v9
	s_and_b32 s1, s64, s6
	s_delay_alu instid0(SALU_CYCLE_1)
	s_and_saveexec_b32 s0, s1
	s_cbranch_execz .LBB429_116
; %bb.115:
	global_load_u16 v9, v[3:4], off offset:3648
	s_waitcnt vmcnt(0)
	v_cvt_f32_f16_e32 v34, v9
.LBB429_116:
	s_or_b32 exec_lo, exec_lo, s0
	v_add_nc_u32_e32 v9, 0x740, v2
	v_mov_b32_e32 v23, 0xff800000
	v_mov_b32_e32 v33, 0xff800000
	s_delay_alu instid0(VALU_DEP_3) | instskip(NEXT) | instid1(VALU_DEP_1)
	v_cmp_gt_i32_e64 s5, s74, v9
	s_and_b32 s1, s64, s5
	s_delay_alu instid0(SALU_CYCLE_1)
	s_and_saveexec_b32 s0, s1
	s_cbranch_execz .LBB429_118
; %bb.117:
	global_load_u16 v9, v[3:4], off offset:3712
	s_waitcnt vmcnt(0)
	v_cvt_f32_f16_e32 v33, v9
.LBB429_118:
	s_or_b32 exec_lo, exec_lo, s0
	v_add_nc_u32_e32 v9, 0x760, v2
	s_delay_alu instid0(VALU_DEP_1) | instskip(NEXT) | instid1(VALU_DEP_1)
	v_cmp_gt_i32_e64 s4, s74, v9
	s_and_b32 s1, s64, s4
	s_delay_alu instid0(SALU_CYCLE_1)
	s_and_saveexec_b32 s0, s1
	s_cbranch_execz .LBB429_120
; %bb.119:
	global_load_u16 v9, v[3:4], off offset:3776
	s_waitcnt vmcnt(0)
	v_cvt_f32_f16_e32 v23, v9
.LBB429_120:
	s_or_b32 exec_lo, exec_lo, s0
	v_add_nc_u32_e32 v9, 0x780, v2
	v_mov_b32_e32 v13, 0xff800000
	v_mov_b32_e32 v21, 0xff800000
	s_delay_alu instid0(VALU_DEP_3) | instskip(NEXT) | instid1(VALU_DEP_1)
	v_cmp_gt_i32_e64 s3, s74, v9
	s_and_b32 s1, s64, s3
	s_delay_alu instid0(SALU_CYCLE_1)
	s_and_saveexec_b32 s0, s1
	s_cbranch_execz .LBB429_122
; %bb.121:
	global_load_u16 v9, v[3:4], off offset:3840
	s_waitcnt vmcnt(0)
	v_cvt_f32_f16_e32 v21, v9
.LBB429_122:
	s_or_b32 exec_lo, exec_lo, s0
	v_add_nc_u32_e32 v9, 0x7a0, v2
	s_delay_alu instid0(VALU_DEP_1) | instskip(NEXT) | instid1(VALU_DEP_1)
	v_cmp_gt_i32_e64 s2, s74, v9
	s_and_b32 s1, s64, s2
	s_delay_alu instid0(SALU_CYCLE_1)
	s_and_saveexec_b32 s0, s1
	s_cbranch_execz .LBB429_124
; %bb.123:
	global_load_u16 v9, v[3:4], off offset:3904
	s_waitcnt vmcnt(0)
	v_cvt_f32_f16_e32 v13, v9
.LBB429_124:
	s_or_b32 exec_lo, exec_lo, s0
	v_add_nc_u32_e32 v9, 0x7c0, v2
	v_mov_b32_e32 v15, 0xff800000
	s_delay_alu instid0(VALU_DEP_2) | instskip(SKIP_1) | instid1(VALU_DEP_2)
	v_cmp_gt_i32_e64 s1, s74, v9
	v_mov_b32_e32 v9, 0xff800000
	s_and_b32 s65, s64, s1
	s_delay_alu instid0(SALU_CYCLE_1)
	s_and_saveexec_b32 s0, s65
	s_cbranch_execz .LBB429_126
; %bb.125:
	global_load_u16 v15, v[3:4], off offset:3968
	s_waitcnt vmcnt(0)
	v_cvt_f32_f16_e32 v15, v15
.LBB429_126:
	s_or_b32 exec_lo, exec_lo, s0
	v_add_nc_u32_e32 v2, 0x7e0, v2
	s_delay_alu instid0(VALU_DEP_1) | instskip(NEXT) | instid1(VALU_DEP_1)
	v_cmp_gt_i32_e64 s0, s74, v2
	s_and_b32 s65, s64, s0
	s_delay_alu instid0(SALU_CYCLE_1)
	s_and_saveexec_b32 s64, s65
	s_cbranch_execz .LBB429_128
; %bb.127:
	global_load_u16 v2, v[3:4], off offset:4032
	s_waitcnt vmcnt(0)
	v_cvt_f32_f16_e32 v9, v2
.LBB429_128:
	s_or_b32 exec_lo, exec_lo, s64
	v_cmp_gt_f32_e64 s64, v39, v35
	v_mbcnt_lo_u32_b32 v3, -1, 0
	s_mov_b32 s65, exec_lo
	s_delay_alu instid0(VALU_DEP_2) | instskip(NEXT) | instid1(VALU_DEP_2)
	v_cndmask_b32_e64 v2, v35, v39, s64
	v_xor_b32_e32 v4, 16, v3
	s_delay_alu instid0(VALU_DEP_2) | instskip(NEXT) | instid1(VALU_DEP_1)
	v_cmp_gt_f32_e64 s64, v2, v37
	v_cndmask_b32_e64 v2, v37, v2, s64
	s_delay_alu instid0(VALU_DEP_1) | instskip(NEXT) | instid1(VALU_DEP_1)
	v_cmp_gt_f32_e64 s64, v2, v30
	v_cndmask_b32_e64 v2, v30, v2, s64
	s_delay_alu instid0(VALU_DEP_1) | instskip(NEXT) | instid1(VALU_DEP_1)
	v_cmp_gt_f32_e64 s64, v2, v31
	v_cndmask_b32_e64 v2, v31, v2, s64
	s_delay_alu instid0(VALU_DEP_1) | instskip(NEXT) | instid1(VALU_DEP_1)
	v_cmp_gt_f32_e64 s64, v2, v27
	v_cndmask_b32_e64 v2, v27, v2, s64
	s_delay_alu instid0(VALU_DEP_1) | instskip(NEXT) | instid1(VALU_DEP_1)
	v_cmp_gt_f32_e64 s64, v2, v28
	v_cndmask_b32_e64 v2, v28, v2, s64
	s_delay_alu instid0(VALU_DEP_1) | instskip(NEXT) | instid1(VALU_DEP_1)
	v_cmp_gt_f32_e64 s64, v2, v26
	v_cndmask_b32_e64 v2, v26, v2, s64
	s_delay_alu instid0(VALU_DEP_1) | instskip(NEXT) | instid1(VALU_DEP_1)
	v_cmp_gt_f32_e64 s64, v2, v44
	v_cndmask_b32_e64 v2, v44, v2, s64
	s_delay_alu instid0(VALU_DEP_1) | instskip(NEXT) | instid1(VALU_DEP_1)
	v_cmp_gt_f32_e64 s64, v2, v41
	v_cndmask_b32_e64 v2, v41, v2, s64
	s_delay_alu instid0(VALU_DEP_1) | instskip(NEXT) | instid1(VALU_DEP_1)
	v_cmp_gt_f32_e64 s64, v2, v38
	v_cndmask_b32_e64 v2, v38, v2, s64
	s_delay_alu instid0(VALU_DEP_1) | instskip(NEXT) | instid1(VALU_DEP_1)
	v_cmp_gt_f32_e64 s64, v2, v29
	v_cndmask_b32_e64 v2, v29, v2, s64
	s_delay_alu instid0(VALU_DEP_1) | instskip(NEXT) | instid1(VALU_DEP_1)
	v_cmp_gt_f32_e64 s64, v2, v32
	v_cndmask_b32_e64 v2, v32, v2, s64
	s_delay_alu instid0(VALU_DEP_1) | instskip(NEXT) | instid1(VALU_DEP_1)
	v_cmp_gt_f32_e64 s64, v2, v24
	v_cndmask_b32_e64 v2, v24, v2, s64
	s_delay_alu instid0(VALU_DEP_1) | instskip(NEXT) | instid1(VALU_DEP_1)
	v_cmp_gt_f32_e64 s64, v2, v25
	v_cndmask_b32_e64 v2, v25, v2, s64
	s_delay_alu instid0(VALU_DEP_1) | instskip(NEXT) | instid1(VALU_DEP_1)
	v_cmp_gt_f32_e64 s64, v2, v20
	v_cndmask_b32_e64 v2, v20, v2, s64
	s_delay_alu instid0(VALU_DEP_1) | instskip(NEXT) | instid1(VALU_DEP_1)
	v_cmp_gt_f32_e64 s64, v2, v22
	v_cndmask_b32_e64 v2, v22, v2, s64
	s_delay_alu instid0(VALU_DEP_1) | instskip(NEXT) | instid1(VALU_DEP_1)
	v_cmp_gt_f32_e64 s64, v2, v16
	v_cndmask_b32_e64 v2, v16, v2, s64
	s_delay_alu instid0(VALU_DEP_1) | instskip(NEXT) | instid1(VALU_DEP_1)
	v_cmp_gt_f32_e64 s64, v2, v18
	v_cndmask_b32_e64 v2, v18, v2, s64
	s_delay_alu instid0(VALU_DEP_1) | instskip(NEXT) | instid1(VALU_DEP_1)
	v_cmp_gt_f32_e64 s64, v2, v11
	v_cndmask_b32_e64 v2, v11, v2, s64
	s_delay_alu instid0(VALU_DEP_1) | instskip(NEXT) | instid1(VALU_DEP_1)
	v_cmp_gt_f32_e64 s64, v2, v12
	v_cndmask_b32_e64 v2, v12, v2, s64
	s_delay_alu instid0(VALU_DEP_1) | instskip(NEXT) | instid1(VALU_DEP_1)
	v_cmp_gt_f32_e64 s64, v2, v8
	v_cndmask_b32_e64 v2, v8, v2, s64
	s_delay_alu instid0(VALU_DEP_1) | instskip(NEXT) | instid1(VALU_DEP_1)
	v_cmp_gt_f32_e64 s64, v2, v10
	v_cndmask_b32_e64 v2, v10, v2, s64
	s_delay_alu instid0(VALU_DEP_1) | instskip(NEXT) | instid1(VALU_DEP_1)
	v_cmp_gt_f32_e64 s64, v2, v7
	v_cndmask_b32_e64 v2, v7, v2, s64
	s_delay_alu instid0(VALU_DEP_1) | instskip(NEXT) | instid1(VALU_DEP_1)
	v_cmp_gt_f32_e64 s64, v2, v76
	v_cndmask_b32_e64 v2, v76, v2, s64
	s_delay_alu instid0(VALU_DEP_1) | instskip(NEXT) | instid1(VALU_DEP_1)
	v_cmp_gt_f32_e64 s64, v2, v6
	v_cndmask_b32_e64 v2, v6, v2, s64
	s_delay_alu instid0(VALU_DEP_1) | instskip(NEXT) | instid1(VALU_DEP_1)
	v_cmp_gt_f32_e64 s64, v2, v75
	v_cndmask_b32_e64 v2, v75, v2, s64
	s_delay_alu instid0(VALU_DEP_1) | instskip(NEXT) | instid1(VALU_DEP_1)
	v_cmp_gt_f32_e64 s64, v2, v17
	v_cndmask_b32_e64 v2, v17, v2, s64
	s_delay_alu instid0(VALU_DEP_1) | instskip(NEXT) | instid1(VALU_DEP_1)
	v_cmp_gt_f32_e64 s64, v2, v74
	v_cndmask_b32_e64 v2, v74, v2, s64
	s_delay_alu instid0(VALU_DEP_1) | instskip(NEXT) | instid1(VALU_DEP_1)
	v_cmp_gt_f32_e64 s64, v2, v14
	v_cndmask_b32_e64 v2, v14, v2, s64
	s_delay_alu instid0(VALU_DEP_1) | instskip(NEXT) | instid1(VALU_DEP_1)
	v_cmp_gt_f32_e64 s64, v2, v72
	v_cndmask_b32_e64 v2, v72, v2, s64
	s_delay_alu instid0(VALU_DEP_1) | instskip(NEXT) | instid1(VALU_DEP_1)
	v_cmp_gt_f32_e64 s64, v2, v19
	v_cndmask_b32_e64 v2, v19, v2, s64
	s_delay_alu instid0(VALU_DEP_1) | instskip(NEXT) | instid1(VALU_DEP_1)
	v_cmp_gt_f32_e64 s64, v2, v45
	v_cndmask_b32_e64 v2, v45, v2, s64
	s_delay_alu instid0(VALU_DEP_1) | instskip(NEXT) | instid1(VALU_DEP_1)
	v_cmp_gt_f32_e64 s64, v2, v47
	v_cndmask_b32_e64 v2, v47, v2, s64
	s_delay_alu instid0(VALU_DEP_1) | instskip(NEXT) | instid1(VALU_DEP_1)
	v_cmp_gt_f32_e64 s64, v2, v50
	v_cndmask_b32_e64 v2, v50, v2, s64
	s_delay_alu instid0(VALU_DEP_1) | instskip(NEXT) | instid1(VALU_DEP_1)
	v_cmp_gt_f32_e64 s64, v2, v48
	v_cndmask_b32_e64 v2, v48, v2, s64
	s_delay_alu instid0(VALU_DEP_1) | instskip(NEXT) | instid1(VALU_DEP_1)
	v_cmp_gt_f32_e64 s64, v2, v51
	v_cndmask_b32_e64 v2, v51, v2, s64
	s_delay_alu instid0(VALU_DEP_1) | instskip(NEXT) | instid1(VALU_DEP_1)
	v_cmp_gt_f32_e64 s64, v2, v54
	v_cndmask_b32_e64 v2, v54, v2, s64
	s_delay_alu instid0(VALU_DEP_1) | instskip(NEXT) | instid1(VALU_DEP_1)
	v_cmp_gt_f32_e64 s64, v2, v53
	v_cndmask_b32_e64 v2, v53, v2, s64
	s_delay_alu instid0(VALU_DEP_1) | instskip(NEXT) | instid1(VALU_DEP_1)
	v_cmp_gt_f32_e64 s64, v2, v56
	v_cndmask_b32_e64 v2, v56, v2, s64
	s_delay_alu instid0(VALU_DEP_1) | instskip(NEXT) | instid1(VALU_DEP_1)
	v_cmp_gt_f32_e64 s64, v2, v58
	v_cndmask_b32_e64 v2, v58, v2, s64
	s_delay_alu instid0(VALU_DEP_1) | instskip(NEXT) | instid1(VALU_DEP_1)
	v_cmp_gt_f32_e64 s64, v2, v57
	v_cndmask_b32_e64 v2, v57, v2, s64
	s_delay_alu instid0(VALU_DEP_1) | instskip(NEXT) | instid1(VALU_DEP_1)
	v_cmp_gt_f32_e64 s64, v2, v59
	v_cndmask_b32_e64 v2, v59, v2, s64
	s_delay_alu instid0(VALU_DEP_1) | instskip(NEXT) | instid1(VALU_DEP_1)
	v_cmp_gt_f32_e64 s64, v2, v61
	v_cndmask_b32_e64 v2, v61, v2, s64
	s_delay_alu instid0(VALU_DEP_1) | instskip(NEXT) | instid1(VALU_DEP_1)
	v_cmp_gt_f32_e64 s64, v2, v60
	v_cndmask_b32_e64 v2, v60, v2, s64
	s_delay_alu instid0(VALU_DEP_1) | instskip(NEXT) | instid1(VALU_DEP_1)
	v_cmp_gt_f32_e64 s64, v2, v62
	v_cndmask_b32_e64 v2, v62, v2, s64
	s_delay_alu instid0(VALU_DEP_1) | instskip(NEXT) | instid1(VALU_DEP_1)
	v_cmp_gt_f32_e64 s64, v2, v64
	v_cndmask_b32_e64 v2, v64, v2, s64
	s_delay_alu instid0(VALU_DEP_1) | instskip(NEXT) | instid1(VALU_DEP_1)
	v_cmp_gt_f32_e64 s64, v2, v63
	v_cndmask_b32_e64 v2, v63, v2, s64
	s_delay_alu instid0(VALU_DEP_1) | instskip(NEXT) | instid1(VALU_DEP_1)
	v_cmp_gt_f32_e64 s64, v2, v65
	v_cndmask_b32_e64 v2, v65, v2, s64
	s_delay_alu instid0(VALU_DEP_1) | instskip(NEXT) | instid1(VALU_DEP_1)
	v_cmp_gt_f32_e64 s64, v2, v67
	v_cndmask_b32_e64 v2, v67, v2, s64
	s_delay_alu instid0(VALU_DEP_1) | instskip(NEXT) | instid1(VALU_DEP_1)
	v_cmp_gt_f32_e64 s64, v2, v66
	v_cndmask_b32_e64 v2, v66, v2, s64
	s_delay_alu instid0(VALU_DEP_1) | instskip(NEXT) | instid1(VALU_DEP_1)
	v_cmp_gt_f32_e64 s64, v2, v68
	v_cndmask_b32_e64 v2, v68, v2, s64
	s_delay_alu instid0(VALU_DEP_1) | instskip(NEXT) | instid1(VALU_DEP_1)
	v_cmp_gt_f32_e64 s64, v2, v70
	v_cndmask_b32_e64 v2, v70, v2, s64
	s_delay_alu instid0(VALU_DEP_1) | instskip(NEXT) | instid1(VALU_DEP_1)
	v_cmp_gt_f32_e64 s64, v2, v69
	v_cndmask_b32_e64 v2, v69, v2, s64
	s_delay_alu instid0(VALU_DEP_1) | instskip(NEXT) | instid1(VALU_DEP_1)
	v_cmp_gt_f32_e64 s64, v2, v71
	v_cndmask_b32_e64 v2, v71, v2, s64
	s_delay_alu instid0(VALU_DEP_1) | instskip(NEXT) | instid1(VALU_DEP_1)
	v_cmp_gt_f32_e64 s64, v2, v52
	v_cndmask_b32_e64 v2, v52, v2, s64
	s_delay_alu instid0(VALU_DEP_1) | instskip(NEXT) | instid1(VALU_DEP_1)
	v_cmp_gt_f32_e64 s64, v2, v49
	v_cndmask_b32_e64 v2, v49, v2, s64
	s_delay_alu instid0(VALU_DEP_1) | instskip(NEXT) | instid1(VALU_DEP_1)
	v_cmp_gt_f32_e64 s64, v2, v34
	v_cndmask_b32_e64 v2, v34, v2, s64
	s_delay_alu instid0(VALU_DEP_1) | instskip(NEXT) | instid1(VALU_DEP_1)
	v_cmp_gt_f32_e64 s64, v2, v33
	v_cndmask_b32_e64 v2, v33, v2, s64
	s_delay_alu instid0(VALU_DEP_1) | instskip(NEXT) | instid1(VALU_DEP_1)
	v_cmp_gt_f32_e64 s64, v2, v23
	v_cndmask_b32_e64 v2, v23, v2, s64
	s_delay_alu instid0(VALU_DEP_1) | instskip(NEXT) | instid1(VALU_DEP_1)
	v_cmp_gt_f32_e64 s64, v2, v21
	v_cndmask_b32_e64 v2, v21, v2, s64
	s_delay_alu instid0(VALU_DEP_1) | instskip(NEXT) | instid1(VALU_DEP_1)
	v_cmp_gt_f32_e64 s64, v2, v13
	v_cndmask_b32_e64 v2, v13, v2, s64
	s_delay_alu instid0(VALU_DEP_1) | instskip(NEXT) | instid1(VALU_DEP_1)
	v_cmp_gt_f32_e64 s64, v2, v15
	v_cndmask_b32_e64 v2, v15, v2, s64
	s_delay_alu instid0(VALU_DEP_1) | instskip(NEXT) | instid1(VALU_DEP_1)
	v_cmp_gt_f32_e64 s64, v2, v9
	v_cndmask_b32_e64 v2, v9, v2, s64
	v_cmp_gt_i32_e64 s64, 32, v4
	s_delay_alu instid0(VALU_DEP_1) | instskip(NEXT) | instid1(VALU_DEP_1)
	v_cndmask_b32_e64 v4, v3, v4, s64
	v_lshlrev_b32_e32 v36, 2, v4
	ds_bpermute_b32 v4, v36, v2
	s_waitcnt lgkmcnt(0)
	v_cmp_lt_f32_e64 s64, v2, v4
	s_delay_alu instid0(VALU_DEP_1) | instskip(SKIP_1) | instid1(VALU_DEP_1)
	v_cndmask_b32_e64 v2, v2, v4, s64
	v_xor_b32_e32 v4, 8, v3
	v_cmp_gt_i32_e64 s64, 32, v4
	s_delay_alu instid0(VALU_DEP_1) | instskip(NEXT) | instid1(VALU_DEP_1)
	v_cndmask_b32_e64 v4, v3, v4, s64
	v_lshlrev_b32_e32 v40, 2, v4
	ds_bpermute_b32 v4, v40, v2
	s_waitcnt lgkmcnt(0)
	v_cmp_lt_f32_e64 s64, v2, v4
	s_delay_alu instid0(VALU_DEP_1) | instskip(SKIP_1) | instid1(VALU_DEP_1)
	v_cndmask_b32_e64 v2, v2, v4, s64
	v_xor_b32_e32 v4, 4, v3
	;; [unrolled: 10-line block ×4, first 2 shown]
	v_cmp_gt_i32_e64 s64, 32, v4
	s_delay_alu instid0(VALU_DEP_1) | instskip(NEXT) | instid1(VALU_DEP_1)
	v_cndmask_b32_e64 v3, v3, v4, s64
	v_lshlrev_b32_e32 v55, 2, v3
	ds_bpermute_b32 v3, v55, v2
	s_waitcnt lgkmcnt(0)
	v_cmp_lt_f32_e64 s64, v2, v3
	s_delay_alu instid0(VALU_DEP_1) | instskip(NEXT) | instid1(VALU_DEP_1)
	v_cndmask_b32_e64 v73, v2, v3, s64
	v_sub_f32_e32 v2, v39, v73
	v_sub_f32_e32 v14, v14, v73
	;; [unrolled: 1-line block ×4, first 2 shown]
	s_delay_alu instid0(VALU_DEP_4)
	v_dual_sub_f32 v58, v58, v73 :: v_dual_mul_f32 v3, 0x3fb8aa3b, v2
	v_cmp_ngt_f32_e64 s64, 0xc2ce8ed0, v2
	v_sub_f32_e32 v56, v56, v73
	v_sub_f32_e32 v60, v60, v73
	v_sub_f32_e32 v62, v62, v73
	v_fma_f32 v4, 0x3fb8aa3b, v2, -v3
	v_rndne_f32_e32 v39, v3
	v_sub_f32_e32 v64, v64, v73
	v_sub_f32_e32 v66, v66, v73
	;; [unrolled: 1-line block ×3, first 2 shown]
	s_delay_alu instid0(VALU_DEP_4) | instskip(SKIP_3) | instid1(VALU_DEP_4)
	v_dual_fmac_f32 v4, 0x32a5705f, v2 :: v_dual_sub_f32 v3, v3, v39
	v_sub_f32_e32 v52, v52, v73
	v_sub_f32_e32 v34, v34, v73
	;; [unrolled: 1-line block ×3, first 2 shown]
	v_dual_sub_f32 v68, v68, v73 :: v_dual_add_f32 v3, v3, v4
	v_cvt_i32_f32_e32 v4, v39
	v_sub_f32_e32 v19, v19, v73
	v_sub_f32_e32 v45, v45, v73
	;; [unrolled: 1-line block ×3, first 2 shown]
	v_exp_f32_e32 v3, v3
	v_sub_f32_e32 v51, v51, v73
	v_sub_f32_e32 v53, v53, v73
	;; [unrolled: 1-line block ×9, first 2 shown]
	v_ldexp_f32 v3, v3, v4
	v_sub_f32_e32 v33, v33, v73
	v_sub_f32_e32 v21, v21, v73
	;; [unrolled: 1-line block ×4, first 2 shown]
	v_cndmask_b32_e64 v3, 0, v3, s64
	v_cmp_nlt_f32_e64 s64, 0x42b17218, v2
	v_sub_f32_e32 v2, v35, v73
	v_sub_f32_e32 v49, v49, v73
	;; [unrolled: 1-line block ×4, first 2 shown]
	v_cndmask_b32_e64 v42, 0x7f800000, v3, s64
	v_mul_f32_e32 v3, 0x3fb8aa3b, v2
	v_cmp_ngt_f32_e64 s64, 0xc2ce8ed0, v2
	s_delay_alu instid0(VALU_DEP_2) | instskip(SKIP_1) | instid1(VALU_DEP_1)
	v_fma_f32 v4, 0x3fb8aa3b, v2, -v3
	v_rndne_f32_e32 v35, v3
	v_dual_fmac_f32 v4, 0x32a5705f, v2 :: v_dual_sub_f32 v3, v3, v35
	s_delay_alu instid0(VALU_DEP_1) | instskip(SKIP_1) | instid1(VALU_DEP_2)
	v_add_f32_e32 v3, v3, v4
	v_cvt_i32_f32_e32 v4, v35
	v_exp_f32_e32 v3, v3
	s_waitcnt_depctr 0xfff
	v_ldexp_f32 v3, v3, v4
	s_delay_alu instid0(VALU_DEP_1) | instskip(SKIP_1) | instid1(VALU_DEP_1)
	v_cndmask_b32_e64 v3, 0, v3, s64
	v_cmp_nlt_f32_e64 s64, 0x42b17218, v2
	v_cndmask_b32_e64 v39, 0x7f800000, v3, s64
	s_delay_alu instid0(VALU_DEP_1) | instskip(NEXT) | instid1(VALU_DEP_1)
	v_dual_sub_f32 v3, v37, v73 :: v_dual_add_f32 v2, v42, v39
	v_mul_f32_e32 v4, 0x3fb8aa3b, v3
	s_delay_alu instid0(VALU_DEP_1) | instskip(SKIP_1) | instid1(VALU_DEP_1)
	v_fma_f32 v35, 0x3fb8aa3b, v3, -v4
	v_rndne_f32_e32 v37, v4
	v_dual_fmac_f32 v35, 0x32a5705f, v3 :: v_dual_sub_f32 v4, v4, v37
	s_delay_alu instid0(VALU_DEP_1) | instskip(SKIP_2) | instid1(VALU_DEP_3)
	v_add_f32_e32 v4, v4, v35
	v_cvt_i32_f32_e32 v35, v37
	v_cmp_ngt_f32_e64 s64, 0xc2ce8ed0, v3
	v_exp_f32_e32 v4, v4
	s_waitcnt_depctr 0xfff
	v_ldexp_f32 v4, v4, v35
	s_delay_alu instid0(VALU_DEP_1) | instskip(SKIP_2) | instid1(VALU_DEP_2)
	v_cndmask_b32_e64 v4, 0, v4, s64
	v_cmp_nlt_f32_e64 s64, 0x42b17218, v3
	v_sub_f32_e32 v3, v30, v73
	v_cndmask_b32_e64 v37, 0x7f800000, v4, s64
	s_delay_alu instid0(VALU_DEP_2) | instskip(SKIP_1) | instid1(VALU_DEP_2)
	v_mul_f32_e32 v4, 0x3fb8aa3b, v3
	v_cmp_ngt_f32_e64 s64, 0xc2ce8ed0, v3
	v_fma_f32 v30, 0x3fb8aa3b, v3, -v4
	v_rndne_f32_e32 v35, v4
	s_delay_alu instid0(VALU_DEP_2) | instskip(NEXT) | instid1(VALU_DEP_2)
	v_fmac_f32_e32 v30, 0x32a5705f, v3
	v_sub_f32_e32 v4, v4, v35
	s_delay_alu instid0(VALU_DEP_1) | instskip(SKIP_1) | instid1(VALU_DEP_2)
	v_add_f32_e32 v4, v4, v30
	v_cvt_i32_f32_e32 v30, v35
	v_exp_f32_e32 v4, v4
	s_waitcnt_depctr 0xfff
	v_ldexp_f32 v4, v4, v30
	s_delay_alu instid0(VALU_DEP_1) | instskip(SKIP_2) | instid1(VALU_DEP_2)
	v_cndmask_b32_e64 v4, 0, v4, s64
	v_cmp_nlt_f32_e64 s64, 0x42b17218, v3
	v_sub_f32_e32 v3, v31, v73
	v_cndmask_b32_e64 v35, 0x7f800000, v4, s64
	s_delay_alu instid0(VALU_DEP_2) | instskip(SKIP_1) | instid1(VALU_DEP_2)
	v_mul_f32_e32 v4, 0x3fb8aa3b, v3
	v_cmp_ngt_f32_e64 s64, 0xc2ce8ed0, v3
	v_fma_f32 v30, 0x3fb8aa3b, v3, -v4
	v_rndne_f32_e32 v31, v4
	s_delay_alu instid0(VALU_DEP_2) | instskip(NEXT) | instid1(VALU_DEP_2)
	v_fmac_f32_e32 v30, 0x32a5705f, v3
	v_sub_f32_e32 v4, v4, v31
	s_delay_alu instid0(VALU_DEP_1) | instskip(SKIP_1) | instid1(VALU_DEP_2)
	v_add_f32_e32 v4, v4, v30
	v_cvt_i32_f32_e32 v30, v31
	v_exp_f32_e32 v4, v4
	s_waitcnt_depctr 0xfff
	v_ldexp_f32 v4, v4, v30
	s_delay_alu instid0(VALU_DEP_1) | instskip(SKIP_2) | instid1(VALU_DEP_2)
	v_cndmask_b32_e64 v4, 0, v4, s64
	v_cmp_nlt_f32_e64 s64, 0x42b17218, v3
	v_sub_f32_e32 v3, v27, v73
	v_cndmask_b32_e64 v31, 0x7f800000, v4, s64
	s_delay_alu instid0(VALU_DEP_2) | instskip(SKIP_1) | instid1(VALU_DEP_2)
	v_mul_f32_e32 v4, 0x3fb8aa3b, v3
	v_cmp_ngt_f32_e64 s64, 0xc2ce8ed0, v3
	v_fma_f32 v27, 0x3fb8aa3b, v3, -v4
	v_rndne_f32_e32 v30, v4
	s_delay_alu instid0(VALU_DEP_2) | instskip(NEXT) | instid1(VALU_DEP_2)
	v_dual_add_f32 v2, v2, v37 :: v_dual_fmac_f32 v27, 0x32a5705f, v3
	v_sub_f32_e32 v4, v4, v30
	s_delay_alu instid0(VALU_DEP_2) | instskip(NEXT) | instid1(VALU_DEP_2)
	v_add_f32_e32 v2, v2, v35
	v_add_f32_e32 v4, v4, v27
	v_cvt_i32_f32_e32 v27, v30
	s_delay_alu instid0(VALU_DEP_2) | instskip(SKIP_2) | instid1(VALU_DEP_1)
	v_exp_f32_e32 v4, v4
	s_waitcnt_depctr 0xfff
	v_ldexp_f32 v4, v4, v27
	v_cndmask_b32_e64 v4, 0, v4, s64
	v_cmp_nlt_f32_e64 s64, 0x42b17218, v3
	v_dual_sub_f32 v3, v28, v73 :: v_dual_add_f32 v2, v2, v31
	s_delay_alu instid0(VALU_DEP_2) | instskip(NEXT) | instid1(VALU_DEP_2)
	v_cndmask_b32_e64 v30, 0x7f800000, v4, s64
	v_mul_f32_e32 v4, 0x3fb8aa3b, v3
	v_cmp_ngt_f32_e64 s64, 0xc2ce8ed0, v3
	s_delay_alu instid0(VALU_DEP_2) | instskip(SKIP_1) | instid1(VALU_DEP_1)
	v_fma_f32 v27, 0x3fb8aa3b, v3, -v4
	v_rndne_f32_e32 v28, v4
	v_dual_fmac_f32 v27, 0x32a5705f, v3 :: v_dual_sub_f32 v4, v4, v28
	s_delay_alu instid0(VALU_DEP_1) | instskip(SKIP_1) | instid1(VALU_DEP_2)
	v_add_f32_e32 v4, v4, v27
	v_cvt_i32_f32_e32 v27, v28
	v_exp_f32_e32 v4, v4
	s_waitcnt_depctr 0xfff
	v_ldexp_f32 v4, v4, v27
	s_delay_alu instid0(VALU_DEP_1) | instskip(SKIP_2) | instid1(VALU_DEP_2)
	v_cndmask_b32_e64 v4, 0, v4, s64
	v_cmp_nlt_f32_e64 s64, 0x42b17218, v3
	v_sub_f32_e32 v3, v26, v73
	v_cndmask_b32_e64 v28, 0x7f800000, v4, s64
	s_delay_alu instid0(VALU_DEP_2) | instskip(SKIP_1) | instid1(VALU_DEP_2)
	v_mul_f32_e32 v4, 0x3fb8aa3b, v3
	v_cmp_ngt_f32_e64 s64, 0xc2ce8ed0, v3
	v_fma_f32 v26, 0x3fb8aa3b, v3, -v4
	v_rndne_f32_e32 v27, v4
	s_delay_alu instid0(VALU_DEP_2) | instskip(NEXT) | instid1(VALU_DEP_2)
	v_fmac_f32_e32 v26, 0x32a5705f, v3
	v_sub_f32_e32 v4, v4, v27
	s_delay_alu instid0(VALU_DEP_1) | instskip(SKIP_1) | instid1(VALU_DEP_2)
	v_add_f32_e32 v4, v4, v26
	v_cvt_i32_f32_e32 v26, v27
	v_exp_f32_e32 v4, v4
	s_waitcnt_depctr 0xfff
	v_ldexp_f32 v4, v4, v26
	s_delay_alu instid0(VALU_DEP_1) | instskip(SKIP_2) | instid1(VALU_DEP_2)
	v_cndmask_b32_e64 v4, 0, v4, s64
	v_cmp_nlt_f32_e64 s64, 0x42b17218, v3
	v_sub_f32_e32 v3, v44, v73
	v_cndmask_b32_e64 v27, 0x7f800000, v4, s64
	s_delay_alu instid0(VALU_DEP_2) | instskip(SKIP_1) | instid1(VALU_DEP_2)
	v_mul_f32_e32 v4, 0x3fb8aa3b, v3
	v_cmp_ngt_f32_e64 s64, 0xc2ce8ed0, v3
	v_fma_f32 v26, 0x3fb8aa3b, v3, -v4
	v_rndne_f32_e32 v44, v4
	s_delay_alu instid0(VALU_DEP_2) | instskip(NEXT) | instid1(VALU_DEP_2)
	v_fmac_f32_e32 v26, 0x32a5705f, v3
	v_sub_f32_e32 v4, v4, v44
	s_delay_alu instid0(VALU_DEP_1) | instskip(SKIP_1) | instid1(VALU_DEP_2)
	v_add_f32_e32 v4, v4, v26
	v_cvt_i32_f32_e32 v26, v44
	v_exp_f32_e32 v4, v4
	s_waitcnt_depctr 0xfff
	v_ldexp_f32 v4, v4, v26
	s_delay_alu instid0(VALU_DEP_1) | instskip(SKIP_2) | instid1(VALU_DEP_2)
	v_cndmask_b32_e64 v4, 0, v4, s64
	v_cmp_nlt_f32_e64 s64, 0x42b17218, v3
	v_sub_f32_e32 v3, v41, v73
	v_cndmask_b32_e64 v26, 0x7f800000, v4, s64
	s_delay_alu instid0(VALU_DEP_2) | instskip(SKIP_1) | instid1(VALU_DEP_2)
	v_mul_f32_e32 v4, 0x3fb8aa3b, v3
	v_cmp_ngt_f32_e64 s64, 0xc2ce8ed0, v3
	v_fma_f32 v41, 0x3fb8aa3b, v3, -v4
	v_rndne_f32_e32 v44, v4
	s_delay_alu instid0(VALU_DEP_1) | instskip(NEXT) | instid1(VALU_DEP_1)
	v_dual_fmac_f32 v41, 0x32a5705f, v3 :: v_dual_sub_f32 v4, v4, v44
	v_add_f32_e32 v4, v4, v41
	v_cvt_i32_f32_e32 v41, v44
	s_delay_alu instid0(VALU_DEP_2) | instskip(SKIP_2) | instid1(VALU_DEP_1)
	v_exp_f32_e32 v4, v4
	s_waitcnt_depctr 0xfff
	v_ldexp_f32 v4, v4, v41
	v_cndmask_b32_e64 v4, 0, v4, s64
	v_cmp_nlt_f32_e64 s64, 0x42b17218, v3
	v_sub_f32_e32 v3, v38, v73
	s_delay_alu instid0(VALU_DEP_2) | instskip(NEXT) | instid1(VALU_DEP_2)
	v_cndmask_b32_e64 v44, 0x7f800000, v4, s64
	v_mul_f32_e32 v4, 0x3fb8aa3b, v3
	v_cmp_ngt_f32_e64 s64, 0xc2ce8ed0, v3
	s_delay_alu instid0(VALU_DEP_2) | instskip(SKIP_1) | instid1(VALU_DEP_2)
	v_fma_f32 v38, 0x3fb8aa3b, v3, -v4
	v_rndne_f32_e32 v41, v4
	v_fmac_f32_e32 v38, 0x32a5705f, v3
	s_delay_alu instid0(VALU_DEP_2) | instskip(NEXT) | instid1(VALU_DEP_1)
	v_sub_f32_e32 v4, v4, v41
	v_add_f32_e32 v4, v4, v38
	v_cvt_i32_f32_e32 v38, v41
	s_delay_alu instid0(VALU_DEP_2) | instskip(SKIP_2) | instid1(VALU_DEP_1)
	v_exp_f32_e32 v4, v4
	s_waitcnt_depctr 0xfff
	v_ldexp_f32 v4, v4, v38
	v_cndmask_b32_e64 v4, 0, v4, s64
	v_cmp_nlt_f32_e64 s64, 0x42b17218, v3
	v_sub_f32_e32 v3, v29, v73
	s_delay_alu instid0(VALU_DEP_2) | instskip(NEXT) | instid1(VALU_DEP_2)
	v_cndmask_b32_e64 v41, 0x7f800000, v4, s64
	v_mul_f32_e32 v4, 0x3fb8aa3b, v3
	v_cmp_ngt_f32_e64 s64, 0xc2ce8ed0, v3
	s_delay_alu instid0(VALU_DEP_2) | instskip(SKIP_1) | instid1(VALU_DEP_1)
	v_fma_f32 v29, 0x3fb8aa3b, v3, -v4
	v_rndne_f32_e32 v38, v4
	v_dual_fmac_f32 v29, 0x32a5705f, v3 :: v_dual_sub_f32 v4, v4, v38
	s_delay_alu instid0(VALU_DEP_1) | instskip(SKIP_1) | instid1(VALU_DEP_2)
	v_add_f32_e32 v4, v4, v29
	v_cvt_i32_f32_e32 v29, v38
	v_exp_f32_e32 v4, v4
	s_waitcnt_depctr 0xfff
	v_ldexp_f32 v4, v4, v29
	s_delay_alu instid0(VALU_DEP_1) | instskip(SKIP_2) | instid1(VALU_DEP_2)
	v_cndmask_b32_e64 v4, 0, v4, s64
	v_cmp_nlt_f32_e64 s64, 0x42b17218, v3
	v_sub_f32_e32 v3, v32, v73
	v_cndmask_b32_e64 v38, 0x7f800000, v4, s64
	s_delay_alu instid0(VALU_DEP_2) | instskip(SKIP_1) | instid1(VALU_DEP_2)
	v_mul_f32_e32 v4, 0x3fb8aa3b, v3
	v_cmp_ngt_f32_e64 s64, 0xc2ce8ed0, v3
	v_fma_f32 v29, 0x3fb8aa3b, v3, -v4
	v_rndne_f32_e32 v32, v4
	s_delay_alu instid0(VALU_DEP_2) | instskip(NEXT) | instid1(VALU_DEP_2)
	v_dual_add_f32 v2, v2, v30 :: v_dual_fmac_f32 v29, 0x32a5705f, v3
	v_sub_f32_e32 v4, v4, v32
	s_delay_alu instid0(VALU_DEP_2) | instskip(NEXT) | instid1(VALU_DEP_2)
	v_add_f32_e32 v2, v2, v28
	v_add_f32_e32 v4, v4, v29
	v_cvt_i32_f32_e32 v29, v32
	s_delay_alu instid0(VALU_DEP_2) | instskip(SKIP_2) | instid1(VALU_DEP_1)
	v_exp_f32_e32 v4, v4
	s_waitcnt_depctr 0xfff
	v_ldexp_f32 v4, v4, v29
	v_cndmask_b32_e64 v4, 0, v4, s64
	v_cmp_nlt_f32_e64 s64, 0x42b17218, v3
	v_sub_f32_e32 v3, v24, v73
	s_delay_alu instid0(VALU_DEP_2) | instskip(NEXT) | instid1(VALU_DEP_2)
	v_cndmask_b32_e64 v32, 0x7f800000, v4, s64
	v_mul_f32_e32 v4, 0x3fb8aa3b, v3
	v_cmp_ngt_f32_e64 s64, 0xc2ce8ed0, v3
	s_delay_alu instid0(VALU_DEP_2) | instskip(SKIP_1) | instid1(VALU_DEP_2)
	v_fma_f32 v24, 0x3fb8aa3b, v3, -v4
	v_rndne_f32_e32 v29, v4
	v_fmac_f32_e32 v24, 0x32a5705f, v3
	s_delay_alu instid0(VALU_DEP_2) | instskip(NEXT) | instid1(VALU_DEP_1)
	v_sub_f32_e32 v4, v4, v29
	v_add_f32_e32 v4, v4, v24
	v_cvt_i32_f32_e32 v24, v29
	s_delay_alu instid0(VALU_DEP_2) | instskip(SKIP_2) | instid1(VALU_DEP_1)
	v_exp_f32_e32 v4, v4
	s_waitcnt_depctr 0xfff
	v_ldexp_f32 v4, v4, v24
	v_cndmask_b32_e64 v4, 0, v4, s64
	v_cmp_nlt_f32_e64 s64, 0x42b17218, v3
	v_sub_f32_e32 v3, v25, v73
	s_delay_alu instid0(VALU_DEP_2) | instskip(NEXT) | instid1(VALU_DEP_2)
	v_cndmask_b32_e64 v29, 0x7f800000, v4, s64
	v_mul_f32_e32 v4, 0x3fb8aa3b, v3
	v_cmp_ngt_f32_e64 s64, 0xc2ce8ed0, v3
	s_delay_alu instid0(VALU_DEP_2) | instskip(SKIP_1) | instid1(VALU_DEP_2)
	v_fma_f32 v24, 0x3fb8aa3b, v3, -v4
	v_rndne_f32_e32 v25, v4
	v_fmac_f32_e32 v24, 0x32a5705f, v3
	s_delay_alu instid0(VALU_DEP_2) | instskip(NEXT) | instid1(VALU_DEP_1)
	v_sub_f32_e32 v4, v4, v25
	v_add_f32_e32 v4, v4, v24
	v_cvt_i32_f32_e32 v24, v25
	s_delay_alu instid0(VALU_DEP_2) | instskip(SKIP_2) | instid1(VALU_DEP_1)
	v_exp_f32_e32 v4, v4
	s_waitcnt_depctr 0xfff
	v_ldexp_f32 v4, v4, v24
	v_cndmask_b32_e64 v4, 0, v4, s64
	v_cmp_nlt_f32_e64 s64, 0x42b17218, v3
	v_dual_sub_f32 v3, v20, v73 :: v_dual_add_f32 v2, v2, v27
	s_delay_alu instid0(VALU_DEP_2) | instskip(NEXT) | instid1(VALU_DEP_2)
	v_cndmask_b32_e64 v25, 0x7f800000, v4, s64
	v_mul_f32_e32 v4, 0x3fb8aa3b, v3
	v_cmp_ngt_f32_e64 s64, 0xc2ce8ed0, v3
	s_delay_alu instid0(VALU_DEP_2) | instskip(SKIP_1) | instid1(VALU_DEP_2)
	v_fma_f32 v20, 0x3fb8aa3b, v3, -v4
	v_rndne_f32_e32 v24, v4
	v_fmac_f32_e32 v20, 0x32a5705f, v3
	s_delay_alu instid0(VALU_DEP_2) | instskip(NEXT) | instid1(VALU_DEP_1)
	v_sub_f32_e32 v4, v4, v24
	v_add_f32_e32 v4, v4, v20
	v_cvt_i32_f32_e32 v20, v24
	s_delay_alu instid0(VALU_DEP_2) | instskip(SKIP_2) | instid1(VALU_DEP_1)
	v_exp_f32_e32 v4, v4
	s_waitcnt_depctr 0xfff
	v_ldexp_f32 v4, v4, v20
	v_cndmask_b32_e64 v4, 0, v4, s64
	v_cmp_nlt_f32_e64 s64, 0x42b17218, v3
	v_sub_f32_e32 v3, v22, v73
	s_delay_alu instid0(VALU_DEP_2) | instskip(NEXT) | instid1(VALU_DEP_2)
	v_cndmask_b32_e64 v24, 0x7f800000, v4, s64
	v_mul_f32_e32 v4, 0x3fb8aa3b, v3
	v_cmp_ngt_f32_e64 s64, 0xc2ce8ed0, v3
	s_delay_alu instid0(VALU_DEP_2) | instskip(SKIP_1) | instid1(VALU_DEP_2)
	v_fma_f32 v20, 0x3fb8aa3b, v3, -v4
	v_rndne_f32_e32 v22, v4
	v_fmac_f32_e32 v20, 0x32a5705f, v3
	s_delay_alu instid0(VALU_DEP_2) | instskip(NEXT) | instid1(VALU_DEP_1)
	v_sub_f32_e32 v4, v4, v22
	v_add_f32_e32 v4, v4, v20
	v_cvt_i32_f32_e32 v20, v22
	s_delay_alu instid0(VALU_DEP_2) | instskip(SKIP_2) | instid1(VALU_DEP_1)
	v_exp_f32_e32 v4, v4
	s_waitcnt_depctr 0xfff
	v_ldexp_f32 v4, v4, v20
	v_cndmask_b32_e64 v4, 0, v4, s64
	v_cmp_nlt_f32_e64 s64, 0x42b17218, v3
	v_sub_f32_e32 v3, v16, v73
	;; [unrolled: 19-line block ×4, first 2 shown]
	s_delay_alu instid0(VALU_DEP_2) | instskip(NEXT) | instid1(VALU_DEP_2)
	v_cndmask_b32_e64 v18, 0x7f800000, v4, s64
	v_mul_f32_e32 v4, 0x3fb8aa3b, v3
	v_cmp_ngt_f32_e64 s64, 0xc2ce8ed0, v3
	s_delay_alu instid0(VALU_DEP_2) | instskip(SKIP_1) | instid1(VALU_DEP_1)
	v_fma_f32 v11, 0x3fb8aa3b, v3, -v4
	v_rndne_f32_e32 v16, v4
	v_dual_fmac_f32 v11, 0x32a5705f, v3 :: v_dual_sub_f32 v4, v4, v16
	s_delay_alu instid0(VALU_DEP_1) | instskip(SKIP_1) | instid1(VALU_DEP_2)
	v_add_f32_e32 v4, v4, v11
	v_cvt_i32_f32_e32 v11, v16
	v_exp_f32_e32 v4, v4
	s_waitcnt_depctr 0xfff
	v_ldexp_f32 v4, v4, v11
	s_delay_alu instid0(VALU_DEP_1) | instskip(SKIP_2) | instid1(VALU_DEP_2)
	v_cndmask_b32_e64 v4, 0, v4, s64
	v_cmp_nlt_f32_e64 s64, 0x42b17218, v3
	v_dual_sub_f32 v3, v12, v73 :: v_dual_add_f32 v2, v2, v26
	v_cndmask_b32_e64 v16, 0x7f800000, v4, s64
	s_delay_alu instid0(VALU_DEP_2) | instskip(SKIP_1) | instid1(VALU_DEP_2)
	v_mul_f32_e32 v4, 0x3fb8aa3b, v3
	v_cmp_ngt_f32_e64 s64, 0xc2ce8ed0, v3
	v_fma_f32 v11, 0x3fb8aa3b, v3, -v4
	v_rndne_f32_e32 v12, v4
	s_delay_alu instid0(VALU_DEP_1) | instskip(NEXT) | instid1(VALU_DEP_1)
	v_dual_fmac_f32 v11, 0x32a5705f, v3 :: v_dual_sub_f32 v4, v4, v12
	v_add_f32_e32 v4, v4, v11
	v_cvt_i32_f32_e32 v11, v12
	s_delay_alu instid0(VALU_DEP_2) | instskip(SKIP_2) | instid1(VALU_DEP_1)
	v_exp_f32_e32 v4, v4
	s_waitcnt_depctr 0xfff
	v_ldexp_f32 v4, v4, v11
	v_cndmask_b32_e64 v4, 0, v4, s64
	v_cmp_nlt_f32_e64 s64, 0x42b17218, v3
	v_sub_f32_e32 v3, v8, v73
	s_delay_alu instid0(VALU_DEP_2) | instskip(NEXT) | instid1(VALU_DEP_2)
	v_cndmask_b32_e64 v12, 0x7f800000, v4, s64
	v_mul_f32_e32 v4, 0x3fb8aa3b, v3
	v_cmp_ngt_f32_e64 s64, 0xc2ce8ed0, v3
	s_delay_alu instid0(VALU_DEP_2) | instskip(SKIP_1) | instid1(VALU_DEP_2)
	v_fma_f32 v8, 0x3fb8aa3b, v3, -v4
	v_rndne_f32_e32 v11, v4
	v_fmac_f32_e32 v8, 0x32a5705f, v3
	s_delay_alu instid0(VALU_DEP_2) | instskip(NEXT) | instid1(VALU_DEP_1)
	v_sub_f32_e32 v4, v4, v11
	v_add_f32_e32 v4, v4, v8
	v_cvt_i32_f32_e32 v8, v11
	s_delay_alu instid0(VALU_DEP_2) | instskip(SKIP_2) | instid1(VALU_DEP_1)
	v_exp_f32_e32 v4, v4
	s_waitcnt_depctr 0xfff
	v_ldexp_f32 v4, v4, v8
	v_cndmask_b32_e64 v4, 0, v4, s64
	v_cmp_nlt_f32_e64 s64, 0x42b17218, v3
	v_sub_f32_e32 v3, v10, v73
	s_delay_alu instid0(VALU_DEP_2) | instskip(NEXT) | instid1(VALU_DEP_2)
	v_cndmask_b32_e64 v11, 0x7f800000, v4, s64
	v_mul_f32_e32 v4, 0x3fb8aa3b, v3
	v_cmp_ngt_f32_e64 s64, 0xc2ce8ed0, v3
	s_delay_alu instid0(VALU_DEP_2) | instskip(SKIP_1) | instid1(VALU_DEP_2)
	v_fma_f32 v8, 0x3fb8aa3b, v3, -v4
	v_rndne_f32_e32 v10, v4
	v_fmac_f32_e32 v8, 0x32a5705f, v3
	s_delay_alu instid0(VALU_DEP_2) | instskip(NEXT) | instid1(VALU_DEP_1)
	v_sub_f32_e32 v4, v4, v10
	v_add_f32_e32 v4, v4, v8
	v_cvt_i32_f32_e32 v8, v10
	s_delay_alu instid0(VALU_DEP_2) | instskip(SKIP_2) | instid1(VALU_DEP_1)
	v_exp_f32_e32 v4, v4
	s_waitcnt_depctr 0xfff
	v_ldexp_f32 v4, v4, v8
	v_cndmask_b32_e64 v4, 0, v4, s64
	v_cmp_nlt_f32_e64 s64, 0x42b17218, v3
	v_sub_f32_e32 v3, v7, v73
	s_delay_alu instid0(VALU_DEP_2) | instskip(NEXT) | instid1(VALU_DEP_2)
	v_cndmask_b32_e64 v10, 0x7f800000, v4, s64
	v_mul_f32_e32 v4, 0x3fb8aa3b, v3
	v_cmp_ngt_f32_e64 s64, 0xc2ce8ed0, v3
	s_delay_alu instid0(VALU_DEP_2) | instskip(SKIP_1) | instid1(VALU_DEP_1)
	v_fma_f32 v7, 0x3fb8aa3b, v3, -v4
	v_rndne_f32_e32 v8, v4
	v_dual_fmac_f32 v7, 0x32a5705f, v3 :: v_dual_sub_f32 v4, v4, v8
	s_delay_alu instid0(VALU_DEP_1) | instskip(SKIP_1) | instid1(VALU_DEP_2)
	v_add_f32_e32 v4, v4, v7
	v_cvt_i32_f32_e32 v7, v8
	v_exp_f32_e32 v4, v4
	s_waitcnt_depctr 0xfff
	v_ldexp_f32 v4, v4, v7
	s_delay_alu instid0(VALU_DEP_1) | instskip(SKIP_2) | instid1(VALU_DEP_2)
	v_cndmask_b32_e64 v4, 0, v4, s64
	v_cmp_nlt_f32_e64 s64, 0x42b17218, v3
	v_dual_sub_f32 v3, v76, v73 :: v_dual_add_f32 v2, v2, v44
	v_cndmask_b32_e64 v8, 0x7f800000, v4, s64
	s_delay_alu instid0(VALU_DEP_2) | instskip(SKIP_1) | instid1(VALU_DEP_2)
	v_mul_f32_e32 v4, 0x3fb8aa3b, v3
	v_cmp_ngt_f32_e64 s64, 0xc2ce8ed0, v3
	v_fma_f32 v7, 0x3fb8aa3b, v3, -v4
	v_rndne_f32_e32 v76, v4
	s_delay_alu instid0(VALU_DEP_1) | instskip(NEXT) | instid1(VALU_DEP_1)
	v_dual_fmac_f32 v7, 0x32a5705f, v3 :: v_dual_sub_f32 v4, v4, v76
	v_add_f32_e32 v4, v4, v7
	v_cvt_i32_f32_e32 v7, v76
	s_delay_alu instid0(VALU_DEP_2) | instskip(SKIP_2) | instid1(VALU_DEP_1)
	v_exp_f32_e32 v4, v4
	s_waitcnt_depctr 0xfff
	v_ldexp_f32 v4, v4, v7
	v_cndmask_b32_e64 v4, 0, v4, s64
	v_cmp_nlt_f32_e64 s64, 0x42b17218, v3
	v_sub_f32_e32 v3, v6, v73
	s_delay_alu instid0(VALU_DEP_2) | instskip(NEXT) | instid1(VALU_DEP_2)
	v_cndmask_b32_e64 v7, 0x7f800000, v4, s64
	v_mul_f32_e32 v4, 0x3fb8aa3b, v3
	v_cmp_ngt_f32_e64 s64, 0xc2ce8ed0, v3
	s_delay_alu instid0(VALU_DEP_2) | instskip(SKIP_1) | instid1(VALU_DEP_2)
	v_fma_f32 v6, 0x3fb8aa3b, v3, -v4
	v_rndne_f32_e32 v76, v4
	v_fmac_f32_e32 v6, 0x32a5705f, v3
	s_delay_alu instid0(VALU_DEP_2) | instskip(NEXT) | instid1(VALU_DEP_1)
	v_sub_f32_e32 v4, v4, v76
	v_add_f32_e32 v4, v4, v6
	v_cvt_i32_f32_e32 v6, v76
	s_delay_alu instid0(VALU_DEP_2) | instskip(SKIP_2) | instid1(VALU_DEP_1)
	v_exp_f32_e32 v4, v4
	s_waitcnt_depctr 0xfff
	v_ldexp_f32 v4, v4, v6
	v_cndmask_b32_e64 v4, 0, v4, s64
	v_cmp_nlt_f32_e64 s64, 0x42b17218, v3
	v_sub_f32_e32 v3, v75, v73
	s_delay_alu instid0(VALU_DEP_2) | instskip(NEXT) | instid1(VALU_DEP_2)
	v_cndmask_b32_e64 v6, 0x7f800000, v4, s64
	v_mul_f32_e32 v4, 0x3fb8aa3b, v3
	v_cmp_ngt_f32_e64 s64, 0xc2ce8ed0, v3
	s_delay_alu instid0(VALU_DEP_2) | instskip(SKIP_1) | instid1(VALU_DEP_1)
	v_fma_f32 v75, 0x3fb8aa3b, v3, -v4
	v_rndne_f32_e32 v76, v4
	v_dual_fmac_f32 v75, 0x32a5705f, v3 :: v_dual_sub_f32 v4, v4, v76
	s_delay_alu instid0(VALU_DEP_1) | instskip(SKIP_1) | instid1(VALU_DEP_2)
	v_add_f32_e32 v4, v4, v75
	v_cvt_i32_f32_e32 v75, v76
	v_exp_f32_e32 v4, v4
	s_waitcnt_depctr 0xfff
	v_ldexp_f32 v4, v4, v75
	s_delay_alu instid0(VALU_DEP_1) | instskip(SKIP_2) | instid1(VALU_DEP_2)
	v_cndmask_b32_e64 v4, 0, v4, s64
	v_cmp_nlt_f32_e64 s64, 0x42b17218, v3
	v_sub_f32_e32 v3, v17, v73
	v_cndmask_b32_e64 v4, 0x7f800000, v4, s64
	s_delay_alu instid0(VALU_DEP_2) | instskip(SKIP_1) | instid1(VALU_DEP_2)
	v_mul_f32_e32 v17, 0x3fb8aa3b, v3
	v_cmp_ngt_f32_e64 s64, 0xc2ce8ed0, v3
	v_fma_f32 v75, 0x3fb8aa3b, v3, -v17
	v_rndne_f32_e32 v76, v17
	s_delay_alu instid0(VALU_DEP_2) | instskip(NEXT) | instid1(VALU_DEP_2)
	v_fmac_f32_e32 v75, 0x32a5705f, v3
	v_dual_sub_f32 v17, v17, v76 :: v_dual_add_f32 v2, v2, v41
	s_delay_alu instid0(VALU_DEP_1) | instskip(SKIP_1) | instid1(VALU_DEP_2)
	v_dual_add_f32 v17, v17, v75 :: v_dual_add_f32 v2, v2, v38
	v_cvt_i32_f32_e32 v75, v76
	v_exp_f32_e32 v17, v17
	s_delay_alu instid0(VALU_DEP_2) | instskip(NEXT) | instid1(VALU_DEP_1)
	v_add_f32_e32 v2, v2, v32
	v_add_f32_e32 v2, v2, v29
	s_waitcnt_depctr 0xfff
	v_ldexp_f32 v17, v17, v75
	v_add_f32_e32 v2, v2, v25
	s_delay_alu instid0(VALU_DEP_2) | instskip(NEXT) | instid1(VALU_DEP_2)
	v_cndmask_b32_e64 v17, 0, v17, s64
	v_add_f32_e32 v2, v2, v24
	v_cmp_nlt_f32_e64 s64, 0x42b17218, v3
	s_delay_alu instid0(VALU_DEP_2) | instskip(NEXT) | instid1(VALU_DEP_2)
	v_add_f32_e32 v2, v2, v22
	v_cndmask_b32_e64 v3, 0x7f800000, v17, s64
	s_delay_alu instid0(VALU_DEP_2) | instskip(NEXT) | instid1(VALU_DEP_1)
	v_add_f32_e32 v2, v2, v20
	v_add_f32_e32 v2, v2, v18
	s_delay_alu instid0(VALU_DEP_1) | instskip(NEXT) | instid1(VALU_DEP_1)
	v_add_f32_e32 v2, v2, v16
	v_add_f32_e32 v2, v2, v12
	s_delay_alu instid0(VALU_DEP_1) | instskip(NEXT) | instid1(VALU_DEP_1)
	v_add_f32_e32 v2, v2, v11
	v_add_f32_e32 v2, v2, v10
	s_delay_alu instid0(VALU_DEP_1) | instskip(NEXT) | instid1(VALU_DEP_1)
	v_add_f32_e32 v2, v2, v8
	v_add_f32_e32 v2, v2, v7
	s_delay_alu instid0(VALU_DEP_1) | instskip(NEXT) | instid1(VALU_DEP_1)
	v_add_f32_e32 v2, v2, v6
	v_add_f32_e32 v2, v2, v4
	s_delay_alu instid0(VALU_DEP_1) | instskip(SKIP_1) | instid1(VALU_DEP_1)
	v_add_f32_e32 v17, v2, v3
	v_sub_f32_e32 v2, v74, v73
	v_mul_f32_e32 v74, 0x3fb8aa3b, v2
	v_cmp_ngt_f32_e64 s64, 0xc2ce8ed0, v2
	s_delay_alu instid0(VALU_DEP_2) | instskip(SKIP_1) | instid1(VALU_DEP_1)
	v_fma_f32 v75, 0x3fb8aa3b, v2, -v74
	v_rndne_f32_e32 v76, v74
	v_dual_fmac_f32 v75, 0x32a5705f, v2 :: v_dual_sub_f32 v74, v74, v76
	s_delay_alu instid0(VALU_DEP_1) | instskip(SKIP_1) | instid1(VALU_DEP_2)
	v_add_f32_e32 v74, v74, v75
	v_cvt_i32_f32_e32 v75, v76
	v_exp_f32_e32 v74, v74
	s_waitcnt_depctr 0xfff
	v_ldexp_f32 v74, v74, v75
	s_delay_alu instid0(VALU_DEP_1) | instskip(SKIP_1) | instid1(VALU_DEP_1)
	v_cndmask_b32_e64 v74, 0, v74, s64
	v_cmp_nlt_f32_e64 s64, 0x42b17218, v2
	v_cndmask_b32_e64 v2, 0x7f800000, v74, s64
	v_cmp_ngt_f32_e64 s64, 0xc2ce8ed0, v14
	s_delay_alu instid0(VALU_DEP_2) | instskip(SKIP_1) | instid1(VALU_DEP_1)
	v_add_f32_e32 v74, v17, v2
	v_mul_f32_e32 v17, 0x3fb8aa3b, v14
	v_fma_f32 v75, 0x3fb8aa3b, v14, -v17
	v_rndne_f32_e32 v76, v17
	s_delay_alu instid0(VALU_DEP_2) | instskip(NEXT) | instid1(VALU_DEP_2)
	v_fmac_f32_e32 v75, 0x32a5705f, v14
	v_sub_f32_e32 v17, v17, v76
	s_delay_alu instid0(VALU_DEP_1) | instskip(SKIP_1) | instid1(VALU_DEP_2)
	v_add_f32_e32 v17, v17, v75
	v_cvt_i32_f32_e32 v75, v76
	v_exp_f32_e32 v17, v17
	s_waitcnt_depctr 0xfff
	v_ldexp_f32 v17, v17, v75
	s_delay_alu instid0(VALU_DEP_1) | instskip(SKIP_2) | instid1(VALU_DEP_2)
	v_cndmask_b32_e64 v17, 0, v17, s64
	v_cmp_nlt_f32_e64 s64, 0x42b17218, v14
	v_sub_f32_e32 v14, v72, v73
	v_cndmask_b32_e64 v17, 0x7f800000, v17, s64
	s_delay_alu instid0(VALU_DEP_2) | instskip(SKIP_1) | instid1(VALU_DEP_3)
	v_mul_f32_e32 v72, 0x3fb8aa3b, v14
	v_cmp_ngt_f32_e64 s64, 0xc2ce8ed0, v14
	v_add_f32_e32 v74, v74, v17
	s_delay_alu instid0(VALU_DEP_3) | instskip(SKIP_1) | instid1(VALU_DEP_1)
	v_fma_f32 v75, 0x3fb8aa3b, v14, -v72
	v_rndne_f32_e32 v76, v72
	v_dual_fmac_f32 v75, 0x32a5705f, v14 :: v_dual_sub_f32 v72, v72, v76
	s_delay_alu instid0(VALU_DEP_1) | instskip(SKIP_1) | instid1(VALU_DEP_2)
	v_add_f32_e32 v72, v72, v75
	v_cvt_i32_f32_e32 v75, v76
	v_exp_f32_e32 v72, v72
	s_waitcnt_depctr 0xfff
	v_ldexp_f32 v72, v72, v75
	s_delay_alu instid0(VALU_DEP_1) | instskip(SKIP_1) | instid1(VALU_DEP_1)
	v_cndmask_b32_e64 v72, 0, v72, s64
	v_cmp_nlt_f32_e64 s64, 0x42b17218, v14
	v_cndmask_b32_e64 v14, 0x7f800000, v72, s64
	v_cmp_ngt_f32_e64 s64, 0xc2ce8ed0, v19
	s_delay_alu instid0(VALU_DEP_2) | instskip(SKIP_1) | instid1(VALU_DEP_1)
	v_add_f32_e32 v72, v74, v14
	v_mul_f32_e32 v74, 0x3fb8aa3b, v19
	v_fma_f32 v75, 0x3fb8aa3b, v19, -v74
	v_rndne_f32_e32 v76, v74
	s_delay_alu instid0(VALU_DEP_1) | instskip(NEXT) | instid1(VALU_DEP_1)
	v_dual_fmac_f32 v75, 0x32a5705f, v19 :: v_dual_sub_f32 v74, v74, v76
	v_add_f32_e32 v74, v74, v75
	v_cvt_i32_f32_e32 v75, v76
	s_delay_alu instid0(VALU_DEP_2) | instskip(SKIP_2) | instid1(VALU_DEP_1)
	v_exp_f32_e32 v74, v74
	s_waitcnt_depctr 0xfff
	v_ldexp_f32 v74, v74, v75
	v_cndmask_b32_e64 v74, 0, v74, s64
	v_cmp_nlt_f32_e64 s64, 0x42b17218, v19
	s_delay_alu instid0(VALU_DEP_1) | instskip(SKIP_2) | instid1(VALU_DEP_3)
	v_cndmask_b32_e64 v19, 0x7f800000, v74, s64
	v_mul_f32_e32 v74, 0x3fb8aa3b, v45
	v_cmp_ngt_f32_e64 s64, 0xc2ce8ed0, v45
	v_add_f32_e32 v72, v72, v19
	s_delay_alu instid0(VALU_DEP_3) | instskip(SKIP_1) | instid1(VALU_DEP_1)
	v_fma_f32 v75, 0x3fb8aa3b, v45, -v74
	v_rndne_f32_e32 v76, v74
	v_dual_fmac_f32 v75, 0x32a5705f, v45 :: v_dual_sub_f32 v74, v74, v76
	s_delay_alu instid0(VALU_DEP_1) | instskip(SKIP_1) | instid1(VALU_DEP_2)
	v_add_f32_e32 v74, v74, v75
	v_cvt_i32_f32_e32 v75, v76
	v_exp_f32_e32 v74, v74
	s_waitcnt_depctr 0xfff
	v_ldexp_f32 v74, v74, v75
	s_delay_alu instid0(VALU_DEP_1) | instskip(SKIP_1) | instid1(VALU_DEP_1)
	v_cndmask_b32_e64 v74, 0, v74, s64
	v_cmp_nlt_f32_e64 s64, 0x42b17218, v45
	v_cndmask_b32_e64 v45, 0x7f800000, v74, s64
	v_mul_f32_e32 v74, 0x3fb8aa3b, v47
	v_cmp_ngt_f32_e64 s64, 0xc2ce8ed0, v47
	s_delay_alu instid0(VALU_DEP_3) | instskip(NEXT) | instid1(VALU_DEP_3)
	v_add_f32_e32 v72, v72, v45
	v_fma_f32 v75, 0x3fb8aa3b, v47, -v74
	v_rndne_f32_e32 v76, v74
	s_delay_alu instid0(VALU_DEP_1) | instskip(NEXT) | instid1(VALU_DEP_1)
	v_dual_fmac_f32 v75, 0x32a5705f, v47 :: v_dual_sub_f32 v74, v74, v76
	v_add_f32_e32 v74, v74, v75
	v_cvt_i32_f32_e32 v75, v76
	s_delay_alu instid0(VALU_DEP_2) | instskip(SKIP_2) | instid1(VALU_DEP_1)
	v_exp_f32_e32 v74, v74
	s_waitcnt_depctr 0xfff
	v_ldexp_f32 v74, v74, v75
	v_cndmask_b32_e64 v74, 0, v74, s64
	v_cmp_nlt_f32_e64 s64, 0x42b17218, v47
	s_delay_alu instid0(VALU_DEP_1) | instskip(SKIP_2) | instid1(VALU_DEP_3)
	v_cndmask_b32_e64 v47, 0x7f800000, v74, s64
	v_mul_f32_e32 v74, 0x3fb8aa3b, v50
	v_cmp_ngt_f32_e64 s64, 0xc2ce8ed0, v50
	v_add_f32_e32 v72, v72, v47
	s_delay_alu instid0(VALU_DEP_3) | instskip(SKIP_1) | instid1(VALU_DEP_1)
	v_fma_f32 v75, 0x3fb8aa3b, v50, -v74
	v_rndne_f32_e32 v76, v74
	v_dual_fmac_f32 v75, 0x32a5705f, v50 :: v_dual_sub_f32 v74, v74, v76
	s_delay_alu instid0(VALU_DEP_1) | instskip(SKIP_1) | instid1(VALU_DEP_2)
	v_add_f32_e32 v74, v74, v75
	v_cvt_i32_f32_e32 v75, v76
	v_exp_f32_e32 v74, v74
	s_waitcnt_depctr 0xfff
	v_ldexp_f32 v74, v74, v75
	s_delay_alu instid0(VALU_DEP_1) | instskip(SKIP_1) | instid1(VALU_DEP_1)
	v_cndmask_b32_e64 v74, 0, v74, s64
	v_cmp_nlt_f32_e64 s64, 0x42b17218, v50
	v_cndmask_b32_e64 v50, 0x7f800000, v74, s64
	v_mul_f32_e32 v74, 0x3fb8aa3b, v48
	v_cmp_ngt_f32_e64 s64, 0xc2ce8ed0, v48
	s_delay_alu instid0(VALU_DEP_3) | instskip(NEXT) | instid1(VALU_DEP_3)
	v_add_f32_e32 v72, v72, v50
	v_fma_f32 v75, 0x3fb8aa3b, v48, -v74
	v_rndne_f32_e32 v76, v74
	s_delay_alu instid0(VALU_DEP_2) | instskip(NEXT) | instid1(VALU_DEP_2)
	v_fmac_f32_e32 v75, 0x32a5705f, v48
	v_sub_f32_e32 v74, v74, v76
	s_delay_alu instid0(VALU_DEP_1) | instskip(SKIP_1) | instid1(VALU_DEP_2)
	v_add_f32_e32 v74, v74, v75
	v_cvt_i32_f32_e32 v75, v76
	v_exp_f32_e32 v74, v74
	s_waitcnt_depctr 0xfff
	v_ldexp_f32 v74, v74, v75
	s_delay_alu instid0(VALU_DEP_1) | instskip(SKIP_1) | instid1(VALU_DEP_1)
	v_cndmask_b32_e64 v74, 0, v74, s64
	v_cmp_nlt_f32_e64 s64, 0x42b17218, v48
	v_cndmask_b32_e64 v48, 0x7f800000, v74, s64
	v_mul_f32_e32 v74, 0x3fb8aa3b, v51
	v_cmp_ngt_f32_e64 s64, 0xc2ce8ed0, v51
	s_delay_alu instid0(VALU_DEP_3) | instskip(NEXT) | instid1(VALU_DEP_3)
	v_add_f32_e32 v72, v72, v48
	v_fma_f32 v75, 0x3fb8aa3b, v51, -v74
	v_rndne_f32_e32 v76, v74
	s_delay_alu instid0(VALU_DEP_1) | instskip(NEXT) | instid1(VALU_DEP_1)
	v_dual_fmac_f32 v75, 0x32a5705f, v51 :: v_dual_sub_f32 v74, v74, v76
	v_add_f32_e32 v74, v74, v75
	v_cvt_i32_f32_e32 v75, v76
	s_delay_alu instid0(VALU_DEP_2) | instskip(SKIP_2) | instid1(VALU_DEP_1)
	v_exp_f32_e32 v74, v74
	s_waitcnt_depctr 0xfff
	v_ldexp_f32 v74, v74, v75
	v_cndmask_b32_e64 v74, 0, v74, s64
	v_cmp_nlt_f32_e64 s64, 0x42b17218, v51
	s_delay_alu instid0(VALU_DEP_1) | instskip(SKIP_2) | instid1(VALU_DEP_3)
	v_cndmask_b32_e64 v51, 0x7f800000, v74, s64
	v_mul_f32_e32 v74, 0x3fb8aa3b, v54
	v_cmp_ngt_f32_e64 s64, 0xc2ce8ed0, v54
	v_add_f32_e32 v72, v72, v51
	s_delay_alu instid0(VALU_DEP_3) | instskip(SKIP_1) | instid1(VALU_DEP_1)
	v_fma_f32 v75, 0x3fb8aa3b, v54, -v74
	v_rndne_f32_e32 v76, v74
	v_dual_fmac_f32 v75, 0x32a5705f, v54 :: v_dual_sub_f32 v74, v74, v76
	s_delay_alu instid0(VALU_DEP_1) | instskip(SKIP_1) | instid1(VALU_DEP_2)
	v_add_f32_e32 v74, v74, v75
	v_cvt_i32_f32_e32 v75, v76
	v_exp_f32_e32 v74, v74
	s_waitcnt_depctr 0xfff
	v_ldexp_f32 v74, v74, v75
	s_delay_alu instid0(VALU_DEP_1) | instskip(SKIP_1) | instid1(VALU_DEP_1)
	v_cndmask_b32_e64 v74, 0, v74, s64
	v_cmp_nlt_f32_e64 s64, 0x42b17218, v54
	v_cndmask_b32_e64 v54, 0x7f800000, v74, s64
	v_mul_f32_e32 v74, 0x3fb8aa3b, v53
	v_cmp_ngt_f32_e64 s64, 0xc2ce8ed0, v53
	s_delay_alu instid0(VALU_DEP_3) | instskip(NEXT) | instid1(VALU_DEP_3)
	v_add_f32_e32 v72, v72, v54
	v_fma_f32 v75, 0x3fb8aa3b, v53, -v74
	v_rndne_f32_e32 v76, v74
	s_delay_alu instid0(VALU_DEP_1) | instskip(NEXT) | instid1(VALU_DEP_1)
	v_dual_fmac_f32 v75, 0x32a5705f, v53 :: v_dual_sub_f32 v74, v74, v76
	v_add_f32_e32 v74, v74, v75
	v_cvt_i32_f32_e32 v75, v76
	s_delay_alu instid0(VALU_DEP_2) | instskip(SKIP_2) | instid1(VALU_DEP_1)
	v_exp_f32_e32 v74, v74
	s_waitcnt_depctr 0xfff
	v_ldexp_f32 v74, v74, v75
	v_cndmask_b32_e64 v74, 0, v74, s64
	v_cmp_nlt_f32_e64 s64, 0x42b17218, v53
	s_delay_alu instid0(VALU_DEP_1) | instskip(SKIP_2) | instid1(VALU_DEP_3)
	v_cndmask_b32_e64 v53, 0x7f800000, v74, s64
	v_mul_f32_e32 v74, 0x3fb8aa3b, v56
	v_cmp_ngt_f32_e64 s64, 0xc2ce8ed0, v56
	v_add_f32_e32 v72, v72, v53
	s_delay_alu instid0(VALU_DEP_3) | instskip(SKIP_1) | instid1(VALU_DEP_2)
	v_fma_f32 v75, 0x3fb8aa3b, v56, -v74
	v_rndne_f32_e32 v76, v74
	v_fmac_f32_e32 v75, 0x32a5705f, v56
	s_delay_alu instid0(VALU_DEP_2) | instskip(NEXT) | instid1(VALU_DEP_1)
	v_sub_f32_e32 v74, v74, v76
	v_add_f32_e32 v74, v74, v75
	v_cvt_i32_f32_e32 v75, v76
	s_delay_alu instid0(VALU_DEP_2) | instskip(SKIP_2) | instid1(VALU_DEP_1)
	v_exp_f32_e32 v74, v74
	s_waitcnt_depctr 0xfff
	v_ldexp_f32 v74, v74, v75
	v_cndmask_b32_e64 v74, 0, v74, s64
	v_cmp_nlt_f32_e64 s64, 0x42b17218, v56
	s_delay_alu instid0(VALU_DEP_1) | instskip(SKIP_2) | instid1(VALU_DEP_3)
	v_cndmask_b32_e64 v56, 0x7f800000, v74, s64
	v_mul_f32_e32 v74, 0x3fb8aa3b, v58
	v_cmp_ngt_f32_e64 s64, 0xc2ce8ed0, v58
	v_add_f32_e32 v72, v72, v56
	s_delay_alu instid0(VALU_DEP_3) | instskip(SKIP_1) | instid1(VALU_DEP_1)
	v_fma_f32 v75, 0x3fb8aa3b, v58, -v74
	v_rndne_f32_e32 v76, v74
	v_dual_fmac_f32 v75, 0x32a5705f, v58 :: v_dual_sub_f32 v74, v74, v76
	s_delay_alu instid0(VALU_DEP_1) | instskip(SKIP_1) | instid1(VALU_DEP_2)
	v_add_f32_e32 v74, v74, v75
	v_cvt_i32_f32_e32 v75, v76
	v_exp_f32_e32 v74, v74
	s_waitcnt_depctr 0xfff
	v_ldexp_f32 v74, v74, v75
	s_delay_alu instid0(VALU_DEP_1) | instskip(SKIP_1) | instid1(VALU_DEP_1)
	v_cndmask_b32_e64 v74, 0, v74, s64
	v_cmp_nlt_f32_e64 s64, 0x42b17218, v58
	v_cndmask_b32_e64 v58, 0x7f800000, v74, s64
	v_mul_f32_e32 v74, 0x3fb8aa3b, v57
	v_cmp_ngt_f32_e64 s64, 0xc2ce8ed0, v57
	s_delay_alu instid0(VALU_DEP_3) | instskip(NEXT) | instid1(VALU_DEP_3)
	v_add_f32_e32 v72, v72, v58
	v_fma_f32 v75, 0x3fb8aa3b, v57, -v74
	v_rndne_f32_e32 v76, v74
	s_delay_alu instid0(VALU_DEP_1) | instskip(NEXT) | instid1(VALU_DEP_1)
	v_dual_fmac_f32 v75, 0x32a5705f, v57 :: v_dual_sub_f32 v74, v74, v76
	v_add_f32_e32 v74, v74, v75
	v_cvt_i32_f32_e32 v75, v76
	s_delay_alu instid0(VALU_DEP_2) | instskip(SKIP_2) | instid1(VALU_DEP_1)
	v_exp_f32_e32 v74, v74
	s_waitcnt_depctr 0xfff
	v_ldexp_f32 v74, v74, v75
	v_cndmask_b32_e64 v74, 0, v74, s64
	v_cmp_nlt_f32_e64 s64, 0x42b17218, v57
	s_delay_alu instid0(VALU_DEP_1) | instskip(SKIP_2) | instid1(VALU_DEP_3)
	v_cndmask_b32_e64 v57, 0x7f800000, v74, s64
	v_mul_f32_e32 v74, 0x3fb8aa3b, v59
	v_cmp_ngt_f32_e64 s64, 0xc2ce8ed0, v59
	v_add_f32_e32 v72, v72, v57
	s_delay_alu instid0(VALU_DEP_3) | instskip(SKIP_1) | instid1(VALU_DEP_1)
	v_fma_f32 v75, 0x3fb8aa3b, v59, -v74
	v_rndne_f32_e32 v76, v74
	v_dual_fmac_f32 v75, 0x32a5705f, v59 :: v_dual_sub_f32 v74, v74, v76
	s_delay_alu instid0(VALU_DEP_1) | instskip(SKIP_1) | instid1(VALU_DEP_2)
	v_add_f32_e32 v74, v74, v75
	v_cvt_i32_f32_e32 v75, v76
	v_exp_f32_e32 v74, v74
	s_waitcnt_depctr 0xfff
	v_ldexp_f32 v74, v74, v75
	s_delay_alu instid0(VALU_DEP_1) | instskip(SKIP_1) | instid1(VALU_DEP_1)
	v_cndmask_b32_e64 v74, 0, v74, s64
	v_cmp_nlt_f32_e64 s64, 0x42b17218, v59
	v_cndmask_b32_e64 v59, 0x7f800000, v74, s64
	v_mul_f32_e32 v74, 0x3fb8aa3b, v61
	v_cmp_ngt_f32_e64 s64, 0xc2ce8ed0, v61
	s_delay_alu instid0(VALU_DEP_3) | instskip(NEXT) | instid1(VALU_DEP_3)
	v_add_f32_e32 v72, v72, v59
	v_fma_f32 v75, 0x3fb8aa3b, v61, -v74
	v_rndne_f32_e32 v76, v74
	s_delay_alu instid0(VALU_DEP_1) | instskip(NEXT) | instid1(VALU_DEP_1)
	v_dual_fmac_f32 v75, 0x32a5705f, v61 :: v_dual_sub_f32 v74, v74, v76
	v_add_f32_e32 v74, v74, v75
	v_cvt_i32_f32_e32 v75, v76
	s_delay_alu instid0(VALU_DEP_2) | instskip(SKIP_2) | instid1(VALU_DEP_1)
	v_exp_f32_e32 v74, v74
	s_waitcnt_depctr 0xfff
	v_ldexp_f32 v74, v74, v75
	v_cndmask_b32_e64 v74, 0, v74, s64
	v_cmp_nlt_f32_e64 s64, 0x42b17218, v61
	s_delay_alu instid0(VALU_DEP_1) | instskip(SKIP_2) | instid1(VALU_DEP_3)
	v_cndmask_b32_e64 v61, 0x7f800000, v74, s64
	v_mul_f32_e32 v74, 0x3fb8aa3b, v60
	v_cmp_ngt_f32_e64 s64, 0xc2ce8ed0, v60
	v_add_f32_e32 v72, v72, v61
	s_delay_alu instid0(VALU_DEP_3) | instskip(SKIP_1) | instid1(VALU_DEP_2)
	v_fma_f32 v75, 0x3fb8aa3b, v60, -v74
	v_rndne_f32_e32 v76, v74
	v_fmac_f32_e32 v75, 0x32a5705f, v60
	s_delay_alu instid0(VALU_DEP_2) | instskip(NEXT) | instid1(VALU_DEP_1)
	v_sub_f32_e32 v74, v74, v76
	v_add_f32_e32 v74, v74, v75
	v_cvt_i32_f32_e32 v75, v76
	s_delay_alu instid0(VALU_DEP_2) | instskip(SKIP_2) | instid1(VALU_DEP_1)
	v_exp_f32_e32 v74, v74
	s_waitcnt_depctr 0xfff
	v_ldexp_f32 v74, v74, v75
	v_cndmask_b32_e64 v74, 0, v74, s64
	v_cmp_nlt_f32_e64 s64, 0x42b17218, v60
	s_delay_alu instid0(VALU_DEP_1) | instskip(SKIP_2) | instid1(VALU_DEP_3)
	v_cndmask_b32_e64 v60, 0x7f800000, v74, s64
	v_mul_f32_e32 v74, 0x3fb8aa3b, v62
	v_cmp_ngt_f32_e64 s64, 0xc2ce8ed0, v62
	v_add_f32_e32 v72, v72, v60
	s_delay_alu instid0(VALU_DEP_3) | instskip(SKIP_1) | instid1(VALU_DEP_1)
	v_fma_f32 v75, 0x3fb8aa3b, v62, -v74
	v_rndne_f32_e32 v76, v74
	v_dual_fmac_f32 v75, 0x32a5705f, v62 :: v_dual_sub_f32 v74, v74, v76
	s_delay_alu instid0(VALU_DEP_1) | instskip(SKIP_1) | instid1(VALU_DEP_2)
	v_add_f32_e32 v74, v74, v75
	v_cvt_i32_f32_e32 v75, v76
	v_exp_f32_e32 v74, v74
	s_waitcnt_depctr 0xfff
	v_ldexp_f32 v74, v74, v75
	s_delay_alu instid0(VALU_DEP_1) | instskip(SKIP_1) | instid1(VALU_DEP_1)
	v_cndmask_b32_e64 v74, 0, v74, s64
	v_cmp_nlt_f32_e64 s64, 0x42b17218, v62
	v_cndmask_b32_e64 v62, 0x7f800000, v74, s64
	v_mul_f32_e32 v74, 0x3fb8aa3b, v64
	v_cmp_ngt_f32_e64 s64, 0xc2ce8ed0, v64
	s_delay_alu instid0(VALU_DEP_3) | instskip(NEXT) | instid1(VALU_DEP_3)
	v_add_f32_e32 v72, v72, v62
	v_fma_f32 v75, 0x3fb8aa3b, v64, -v74
	v_rndne_f32_e32 v76, v74
	s_delay_alu instid0(VALU_DEP_2) | instskip(NEXT) | instid1(VALU_DEP_2)
	v_fmac_f32_e32 v75, 0x32a5705f, v64
	v_sub_f32_e32 v74, v74, v76
	s_delay_alu instid0(VALU_DEP_1) | instskip(SKIP_1) | instid1(VALU_DEP_2)
	v_add_f32_e32 v74, v74, v75
	v_cvt_i32_f32_e32 v75, v76
	v_exp_f32_e32 v74, v74
	s_waitcnt_depctr 0xfff
	v_ldexp_f32 v74, v74, v75
	s_delay_alu instid0(VALU_DEP_1) | instskip(SKIP_1) | instid1(VALU_DEP_1)
	v_cndmask_b32_e64 v74, 0, v74, s64
	v_cmp_nlt_f32_e64 s64, 0x42b17218, v64
	v_cndmask_b32_e64 v64, 0x7f800000, v74, s64
	v_mul_f32_e32 v74, 0x3fb8aa3b, v63
	v_cmp_ngt_f32_e64 s64, 0xc2ce8ed0, v63
	s_delay_alu instid0(VALU_DEP_3) | instskip(NEXT) | instid1(VALU_DEP_3)
	v_add_f32_e32 v72, v72, v64
	v_fma_f32 v75, 0x3fb8aa3b, v63, -v74
	v_rndne_f32_e32 v76, v74
	s_delay_alu instid0(VALU_DEP_1) | instskip(NEXT) | instid1(VALU_DEP_1)
	v_dual_fmac_f32 v75, 0x32a5705f, v63 :: v_dual_sub_f32 v74, v74, v76
	v_add_f32_e32 v74, v74, v75
	v_cvt_i32_f32_e32 v75, v76
	s_delay_alu instid0(VALU_DEP_2) | instskip(SKIP_2) | instid1(VALU_DEP_1)
	v_exp_f32_e32 v74, v74
	s_waitcnt_depctr 0xfff
	v_ldexp_f32 v74, v74, v75
	v_cndmask_b32_e64 v74, 0, v74, s64
	v_cmp_nlt_f32_e64 s64, 0x42b17218, v63
	s_delay_alu instid0(VALU_DEP_1) | instskip(SKIP_2) | instid1(VALU_DEP_3)
	v_cndmask_b32_e64 v63, 0x7f800000, v74, s64
	v_mul_f32_e32 v74, 0x3fb8aa3b, v65
	v_cmp_ngt_f32_e64 s64, 0xc2ce8ed0, v65
	v_add_f32_e32 v72, v72, v63
	s_delay_alu instid0(VALU_DEP_3) | instskip(SKIP_1) | instid1(VALU_DEP_1)
	v_fma_f32 v75, 0x3fb8aa3b, v65, -v74
	v_rndne_f32_e32 v76, v74
	v_dual_fmac_f32 v75, 0x32a5705f, v65 :: v_dual_sub_f32 v74, v74, v76
	s_delay_alu instid0(VALU_DEP_1) | instskip(SKIP_1) | instid1(VALU_DEP_2)
	v_add_f32_e32 v74, v74, v75
	v_cvt_i32_f32_e32 v75, v76
	v_exp_f32_e32 v74, v74
	s_waitcnt_depctr 0xfff
	v_ldexp_f32 v74, v74, v75
	s_delay_alu instid0(VALU_DEP_1) | instskip(SKIP_1) | instid1(VALU_DEP_1)
	v_cndmask_b32_e64 v74, 0, v74, s64
	v_cmp_nlt_f32_e64 s64, 0x42b17218, v65
	v_cndmask_b32_e64 v65, 0x7f800000, v74, s64
	v_mul_f32_e32 v74, 0x3fb8aa3b, v67
	v_cmp_ngt_f32_e64 s64, 0xc2ce8ed0, v67
	s_delay_alu instid0(VALU_DEP_3) | instskip(NEXT) | instid1(VALU_DEP_3)
	v_add_f32_e32 v72, v72, v65
	v_fma_f32 v75, 0x3fb8aa3b, v67, -v74
	v_rndne_f32_e32 v76, v74
	s_delay_alu instid0(VALU_DEP_1) | instskip(NEXT) | instid1(VALU_DEP_1)
	v_dual_fmac_f32 v75, 0x32a5705f, v67 :: v_dual_sub_f32 v74, v74, v76
	v_add_f32_e32 v74, v74, v75
	v_cvt_i32_f32_e32 v75, v76
	s_delay_alu instid0(VALU_DEP_2) | instskip(SKIP_2) | instid1(VALU_DEP_1)
	v_exp_f32_e32 v74, v74
	s_waitcnt_depctr 0xfff
	v_ldexp_f32 v74, v74, v75
	v_cndmask_b32_e64 v74, 0, v74, s64
	v_cmp_nlt_f32_e64 s64, 0x42b17218, v67
	s_delay_alu instid0(VALU_DEP_1) | instskip(SKIP_2) | instid1(VALU_DEP_3)
	v_cndmask_b32_e64 v67, 0x7f800000, v74, s64
	v_mul_f32_e32 v74, 0x3fb8aa3b, v66
	v_cmp_ngt_f32_e64 s64, 0xc2ce8ed0, v66
	v_add_f32_e32 v72, v72, v67
	s_delay_alu instid0(VALU_DEP_3) | instskip(SKIP_1) | instid1(VALU_DEP_1)
	v_fma_f32 v75, 0x3fb8aa3b, v66, -v74
	v_rndne_f32_e32 v76, v74
	v_dual_fmac_f32 v75, 0x32a5705f, v66 :: v_dual_sub_f32 v74, v74, v76
	s_delay_alu instid0(VALU_DEP_1) | instskip(SKIP_1) | instid1(VALU_DEP_2)
	v_add_f32_e32 v74, v74, v75
	v_cvt_i32_f32_e32 v75, v76
	v_exp_f32_e32 v74, v74
	s_waitcnt_depctr 0xfff
	v_ldexp_f32 v74, v74, v75
	s_delay_alu instid0(VALU_DEP_1) | instskip(SKIP_1) | instid1(VALU_DEP_1)
	v_cndmask_b32_e64 v74, 0, v74, s64
	v_cmp_nlt_f32_e64 s64, 0x42b17218, v66
	v_cndmask_b32_e64 v66, 0x7f800000, v74, s64
	v_mul_f32_e32 v74, 0x3fb8aa3b, v68
	v_cmp_ngt_f32_e64 s64, 0xc2ce8ed0, v68
	s_delay_alu instid0(VALU_DEP_3) | instskip(NEXT) | instid1(VALU_DEP_3)
	v_add_f32_e32 v72, v72, v66
	v_fma_f32 v75, 0x3fb8aa3b, v68, -v74
	v_rndne_f32_e32 v76, v74
	s_delay_alu instid0(VALU_DEP_2) | instskip(NEXT) | instid1(VALU_DEP_2)
	v_fmac_f32_e32 v75, 0x32a5705f, v68
	v_sub_f32_e32 v74, v74, v76
	s_delay_alu instid0(VALU_DEP_1) | instskip(SKIP_1) | instid1(VALU_DEP_2)
	v_add_f32_e32 v74, v74, v75
	v_cvt_i32_f32_e32 v75, v76
	v_exp_f32_e32 v74, v74
	s_waitcnt_depctr 0xfff
	v_ldexp_f32 v74, v74, v75
	s_delay_alu instid0(VALU_DEP_1) | instskip(SKIP_1) | instid1(VALU_DEP_1)
	v_cndmask_b32_e64 v74, 0, v74, s64
	v_cmp_nlt_f32_e64 s64, 0x42b17218, v68
	v_cndmask_b32_e64 v68, 0x7f800000, v74, s64
	v_mul_f32_e32 v74, 0x3fb8aa3b, v70
	v_cmp_ngt_f32_e64 s64, 0xc2ce8ed0, v70
	s_delay_alu instid0(VALU_DEP_3) | instskip(NEXT) | instid1(VALU_DEP_3)
	v_add_f32_e32 v72, v72, v68
	v_fma_f32 v75, 0x3fb8aa3b, v70, -v74
	v_rndne_f32_e32 v76, v74
	s_delay_alu instid0(VALU_DEP_1) | instskip(NEXT) | instid1(VALU_DEP_1)
	v_dual_fmac_f32 v75, 0x32a5705f, v70 :: v_dual_sub_f32 v74, v74, v76
	v_add_f32_e32 v74, v74, v75
	v_cvt_i32_f32_e32 v75, v76
	s_delay_alu instid0(VALU_DEP_2) | instskip(SKIP_2) | instid1(VALU_DEP_1)
	v_exp_f32_e32 v74, v74
	s_waitcnt_depctr 0xfff
	v_ldexp_f32 v74, v74, v75
	v_cndmask_b32_e64 v74, 0, v74, s64
	v_cmp_nlt_f32_e64 s64, 0x42b17218, v70
	s_delay_alu instid0(VALU_DEP_1) | instskip(SKIP_2) | instid1(VALU_DEP_3)
	v_cndmask_b32_e64 v70, 0x7f800000, v74, s64
	v_mul_f32_e32 v74, 0x3fb8aa3b, v69
	v_cmp_ngt_f32_e64 s64, 0xc2ce8ed0, v69
	v_add_f32_e32 v72, v72, v70
	s_delay_alu instid0(VALU_DEP_3) | instskip(SKIP_1) | instid1(VALU_DEP_1)
	v_fma_f32 v75, 0x3fb8aa3b, v69, -v74
	v_rndne_f32_e32 v76, v74
	v_dual_fmac_f32 v75, 0x32a5705f, v69 :: v_dual_sub_f32 v74, v74, v76
	s_delay_alu instid0(VALU_DEP_1) | instskip(SKIP_1) | instid1(VALU_DEP_2)
	v_add_f32_e32 v74, v74, v75
	v_cvt_i32_f32_e32 v75, v76
	v_exp_f32_e32 v74, v74
	s_waitcnt_depctr 0xfff
	v_ldexp_f32 v74, v74, v75
	s_delay_alu instid0(VALU_DEP_1) | instskip(SKIP_1) | instid1(VALU_DEP_1)
	v_cndmask_b32_e64 v74, 0, v74, s64
	v_cmp_nlt_f32_e64 s64, 0x42b17218, v69
	v_cndmask_b32_e64 v69, 0x7f800000, v74, s64
	v_mul_f32_e32 v74, 0x3fb8aa3b, v71
	v_cmp_ngt_f32_e64 s64, 0xc2ce8ed0, v71
	s_delay_alu instid0(VALU_DEP_3) | instskip(NEXT) | instid1(VALU_DEP_3)
	v_add_f32_e32 v72, v72, v69
	v_fma_f32 v75, 0x3fb8aa3b, v71, -v74
	v_rndne_f32_e32 v76, v74
	s_delay_alu instid0(VALU_DEP_1) | instskip(NEXT) | instid1(VALU_DEP_1)
	v_dual_fmac_f32 v75, 0x32a5705f, v71 :: v_dual_sub_f32 v74, v74, v76
	v_add_f32_e32 v74, v74, v75
	v_cvt_i32_f32_e32 v75, v76
	s_delay_alu instid0(VALU_DEP_2) | instskip(SKIP_2) | instid1(VALU_DEP_1)
	v_exp_f32_e32 v74, v74
	s_waitcnt_depctr 0xfff
	v_ldexp_f32 v74, v74, v75
	v_cndmask_b32_e64 v74, 0, v74, s64
	v_cmp_nlt_f32_e64 s64, 0x42b17218, v71
	s_delay_alu instid0(VALU_DEP_1) | instskip(SKIP_2) | instid1(VALU_DEP_3)
	v_cndmask_b32_e64 v71, 0x7f800000, v74, s64
	v_mul_f32_e32 v74, 0x3fb8aa3b, v52
	v_cmp_ngt_f32_e64 s64, 0xc2ce8ed0, v52
	v_add_f32_e32 v72, v72, v71
	s_delay_alu instid0(VALU_DEP_3) | instskip(SKIP_1) | instid1(VALU_DEP_2)
	v_fma_f32 v75, 0x3fb8aa3b, v52, -v74
	v_rndne_f32_e32 v76, v74
	v_fmac_f32_e32 v75, 0x32a5705f, v52
	s_delay_alu instid0(VALU_DEP_2) | instskip(NEXT) | instid1(VALU_DEP_1)
	v_sub_f32_e32 v74, v74, v76
	v_add_f32_e32 v74, v74, v75
	v_cvt_i32_f32_e32 v75, v76
	s_delay_alu instid0(VALU_DEP_2) | instskip(SKIP_2) | instid1(VALU_DEP_1)
	v_exp_f32_e32 v74, v74
	s_waitcnt_depctr 0xfff
	v_ldexp_f32 v74, v74, v75
	v_cndmask_b32_e64 v74, 0, v74, s64
	v_cmp_nlt_f32_e64 s64, 0x42b17218, v52
	s_delay_alu instid0(VALU_DEP_1) | instskip(SKIP_2) | instid1(VALU_DEP_3)
	v_cndmask_b32_e64 v52, 0x7f800000, v74, s64
	v_mul_f32_e32 v74, 0x3fb8aa3b, v49
	v_cmp_ngt_f32_e64 s64, 0xc2ce8ed0, v49
	v_add_f32_e32 v72, v72, v52
	s_delay_alu instid0(VALU_DEP_3) | instskip(SKIP_1) | instid1(VALU_DEP_1)
	v_fma_f32 v75, 0x3fb8aa3b, v49, -v74
	v_rndne_f32_e32 v76, v74
	v_dual_fmac_f32 v75, 0x32a5705f, v49 :: v_dual_sub_f32 v74, v74, v76
	s_delay_alu instid0(VALU_DEP_1) | instskip(SKIP_1) | instid1(VALU_DEP_2)
	v_add_f32_e32 v74, v74, v75
	v_cvt_i32_f32_e32 v75, v76
	v_exp_f32_e32 v74, v74
	s_waitcnt_depctr 0xfff
	v_ldexp_f32 v74, v74, v75
	s_delay_alu instid0(VALU_DEP_1) | instskip(SKIP_1) | instid1(VALU_DEP_1)
	v_cndmask_b32_e64 v74, 0, v74, s64
	v_cmp_nlt_f32_e64 s64, 0x42b17218, v49
	v_cndmask_b32_e64 v49, 0x7f800000, v74, s64
	v_mul_f32_e32 v74, 0x3fb8aa3b, v34
	v_cmp_ngt_f32_e64 s64, 0xc2ce8ed0, v34
	s_delay_alu instid0(VALU_DEP_3) | instskip(NEXT) | instid1(VALU_DEP_3)
	v_add_f32_e32 v72, v72, v49
	v_fma_f32 v75, 0x3fb8aa3b, v34, -v74
	v_rndne_f32_e32 v76, v74
	s_delay_alu instid0(VALU_DEP_1) | instskip(NEXT) | instid1(VALU_DEP_1)
	v_dual_fmac_f32 v75, 0x32a5705f, v34 :: v_dual_sub_f32 v74, v74, v76
	v_add_f32_e32 v74, v74, v75
	v_cvt_i32_f32_e32 v75, v76
	s_delay_alu instid0(VALU_DEP_2) | instskip(SKIP_2) | instid1(VALU_DEP_1)
	v_exp_f32_e32 v74, v74
	s_waitcnt_depctr 0xfff
	v_ldexp_f32 v74, v74, v75
	v_cndmask_b32_e64 v74, 0, v74, s64
	v_cmp_nlt_f32_e64 s64, 0x42b17218, v34
	s_delay_alu instid0(VALU_DEP_1) | instskip(SKIP_2) | instid1(VALU_DEP_3)
	v_cndmask_b32_e64 v34, 0x7f800000, v74, s64
	v_mul_f32_e32 v74, 0x3fb8aa3b, v33
	v_cmp_ngt_f32_e64 s64, 0xc2ce8ed0, v33
	v_add_f32_e32 v72, v72, v34
	s_delay_alu instid0(VALU_DEP_3) | instskip(SKIP_1) | instid1(VALU_DEP_1)
	v_fma_f32 v75, 0x3fb8aa3b, v33, -v74
	v_rndne_f32_e32 v76, v74
	v_dual_fmac_f32 v75, 0x32a5705f, v33 :: v_dual_sub_f32 v74, v74, v76
	s_delay_alu instid0(VALU_DEP_1) | instskip(SKIP_1) | instid1(VALU_DEP_2)
	v_add_f32_e32 v74, v74, v75
	v_cvt_i32_f32_e32 v75, v76
	v_exp_f32_e32 v74, v74
	s_waitcnt_depctr 0xfff
	v_ldexp_f32 v74, v74, v75
	s_delay_alu instid0(VALU_DEP_1) | instskip(SKIP_1) | instid1(VALU_DEP_1)
	v_cndmask_b32_e64 v74, 0, v74, s64
	v_cmp_nlt_f32_e64 s64, 0x42b17218, v33
	v_cndmask_b32_e64 v33, 0x7f800000, v74, s64
	v_cmp_ngt_f32_e64 s64, 0xc2ce8ed0, v23
	s_delay_alu instid0(VALU_DEP_2) | instskip(SKIP_1) | instid1(VALU_DEP_1)
	v_add_f32_e32 v74, v72, v33
	v_mul_f32_e32 v72, 0x3fb8aa3b, v23
	v_fma_f32 v75, 0x3fb8aa3b, v23, -v72
	v_rndne_f32_e32 v76, v72
	s_delay_alu instid0(VALU_DEP_1) | instskip(NEXT) | instid1(VALU_DEP_1)
	v_dual_fmac_f32 v75, 0x32a5705f, v23 :: v_dual_sub_f32 v72, v72, v76
	v_add_f32_e32 v72, v72, v75
	v_cvt_i32_f32_e32 v75, v76
	s_delay_alu instid0(VALU_DEP_2) | instskip(SKIP_2) | instid1(VALU_DEP_1)
	v_exp_f32_e32 v72, v72
	s_waitcnt_depctr 0xfff
	v_ldexp_f32 v72, v72, v75
	v_cndmask_b32_e64 v72, 0, v72, s64
	v_cmp_nlt_f32_e64 s64, 0x42b17218, v23
	v_mul_f32_e32 v23, 0x3fb8aa3b, v21
	s_delay_alu instid0(VALU_DEP_2) | instskip(NEXT) | instid1(VALU_DEP_2)
	v_cndmask_b32_e64 v72, 0x7f800000, v72, s64
	v_fma_f32 v75, 0x3fb8aa3b, v21, -v23
	v_rndne_f32_e32 v76, v23
	v_cmp_ngt_f32_e64 s64, 0xc2ce8ed0, v21
	s_delay_alu instid0(VALU_DEP_3) | instskip(NEXT) | instid1(VALU_DEP_3)
	v_dual_add_f32 v74, v74, v72 :: v_dual_fmac_f32 v75, 0x32a5705f, v21
	v_sub_f32_e32 v23, v23, v76
	s_delay_alu instid0(VALU_DEP_1) | instskip(SKIP_1) | instid1(VALU_DEP_2)
	v_add_f32_e32 v23, v23, v75
	v_cvt_i32_f32_e32 v75, v76
	v_exp_f32_e32 v23, v23
	s_waitcnt_depctr 0xfff
	v_ldexp_f32 v23, v23, v75
	s_delay_alu instid0(VALU_DEP_1) | instskip(SKIP_2) | instid1(VALU_DEP_2)
	v_cndmask_b32_e64 v23, 0, v23, s64
	v_cmp_nlt_f32_e64 s64, 0x42b17218, v21
	v_mul_f32_e32 v21, 0x3fb8aa3b, v13
	v_cndmask_b32_e64 v23, 0x7f800000, v23, s64
	s_delay_alu instid0(VALU_DEP_2) | instskip(SKIP_2) | instid1(VALU_DEP_3)
	v_fma_f32 v75, 0x3fb8aa3b, v13, -v21
	v_rndne_f32_e32 v76, v21
	v_cmp_ngt_f32_e64 s64, 0xc2ce8ed0, v13
	v_dual_add_f32 v74, v74, v23 :: v_dual_fmac_f32 v75, 0x32a5705f, v13
	s_delay_alu instid0(VALU_DEP_3) | instskip(NEXT) | instid1(VALU_DEP_1)
	v_sub_f32_e32 v21, v21, v76
	v_add_f32_e32 v21, v21, v75
	v_cvt_i32_f32_e32 v75, v76
	s_delay_alu instid0(VALU_DEP_2) | instskip(SKIP_2) | instid1(VALU_DEP_1)
	v_exp_f32_e32 v21, v21
	s_waitcnt_depctr 0xfff
	v_ldexp_f32 v21, v21, v75
	v_cndmask_b32_e64 v21, 0, v21, s64
	v_cmp_nlt_f32_e64 s64, 0x42b17218, v13
	v_sub_f32_e32 v13, v15, v73
	v_mul_f32_e32 v73, 0x3fb8aa3b, v9
	s_delay_alu instid0(VALU_DEP_3) | instskip(NEXT) | instid1(VALU_DEP_3)
	v_cndmask_b32_e64 v21, 0x7f800000, v21, s64
	v_mul_f32_e32 v15, 0x3fb8aa3b, v13
	v_cmp_ngt_f32_e64 s64, 0xc2ce8ed0, v13
	s_delay_alu instid0(VALU_DEP_3) | instskip(NEXT) | instid1(VALU_DEP_3)
	v_add_f32_e32 v74, v74, v21
	v_fma_f32 v75, 0x3fb8aa3b, v13, -v15
	v_rndne_f32_e32 v76, v15
	s_delay_alu instid0(VALU_DEP_2) | instskip(NEXT) | instid1(VALU_DEP_2)
	v_fmac_f32_e32 v75, 0x32a5705f, v13
	v_sub_f32_e32 v15, v15, v76
	s_delay_alu instid0(VALU_DEP_1) | instskip(SKIP_1) | instid1(VALU_DEP_2)
	v_add_f32_e32 v15, v15, v75
	v_cvt_i32_f32_e32 v75, v76
	v_exp_f32_e32 v15, v15
	s_waitcnt_depctr 0xfff
	v_ldexp_f32 v15, v15, v75
	v_rndne_f32_e32 v75, v73
	s_delay_alu instid0(VALU_DEP_2) | instskip(SKIP_1) | instid1(VALU_DEP_1)
	v_cndmask_b32_e64 v15, 0, v15, s64
	v_cmp_nlt_f32_e64 s64, 0x42b17218, v13
	v_cndmask_b32_e64 v13, 0x7f800000, v15, s64
	v_cmp_ngt_f32_e64 s64, 0xc2ce8ed0, v9
	s_delay_alu instid0(VALU_DEP_2) | instskip(SKIP_1) | instid1(VALU_DEP_1)
	v_add_f32_e32 v15, v74, v13
	v_fma_f32 v74, 0x3fb8aa3b, v9, -v73
	v_dual_sub_f32 v73, v73, v75 :: v_dual_fmac_f32 v74, 0x32a5705f, v9
	s_delay_alu instid0(VALU_DEP_1) | instskip(SKIP_1) | instid1(VALU_DEP_2)
	v_add_f32_e32 v73, v73, v74
	v_cvt_i32_f32_e32 v74, v75
	v_exp_f32_e32 v73, v73
	s_waitcnt_depctr 0xfff
	v_ldexp_f32 v73, v73, v74
	s_delay_alu instid0(VALU_DEP_1) | instskip(SKIP_1) | instid1(VALU_DEP_1)
	v_cndmask_b32_e64 v73, 0, v73, s64
	v_cmp_nlt_f32_e64 s64, 0x42b17218, v9
	v_cndmask_b32_e64 v9, 0x7f800000, v73, s64
	s_delay_alu instid0(VALU_DEP_1)
	v_add_f32_e32 v15, v15, v9
	ds_bpermute_b32 v36, v36, v15
	s_waitcnt lgkmcnt(0)
	v_add_f32_e32 v15, v15, v36
	ds_bpermute_b32 v36, v40, v15
	s_waitcnt lgkmcnt(0)
	;; [unrolled: 3-line block ×4, first 2 shown]
	v_add_f32_e32 v15, v15, v36
	ds_bpermute_b32 v36, v55, v15
	v_cmpx_lt_i32_e32 0, v5
	s_cbranch_execz .LBB429_322
; %bb.129:
	s_and_b32 exec_lo, exec_lo, vcc_lo
	s_cbranch_execz .LBB429_322
; %bb.130:
	s_waitcnt lgkmcnt(0)
	v_add_f32_e32 v5, v15, v36
	v_mov_b32_e32 v15, 0x7e00
	s_delay_alu instid0(VALU_DEP_2) | instskip(NEXT) | instid1(VALU_DEP_1)
	v_cmp_neq_f32_e64 s64, 0, v5
	s_and_saveexec_b32 s65, s64
	s_cbranch_execz .LBB429_132
; %bb.131:
	v_div_scale_f32 v15, null, v5, v5, v42
	s_delay_alu instid0(VALU_DEP_1) | instskip(SKIP_2) | instid1(VALU_DEP_1)
	v_rcp_f32_e32 v36, v15
	s_waitcnt_depctr 0xfff
	v_fma_f32 v40, -v15, v36, 1.0
	v_fmac_f32_e32 v36, v40, v36
	v_div_scale_f32 v40, vcc_lo, v42, v5, v42
	s_delay_alu instid0(VALU_DEP_1) | instskip(NEXT) | instid1(VALU_DEP_1)
	v_mul_f32_e32 v43, v40, v36
	v_fma_f32 v46, -v15, v43, v40
	s_delay_alu instid0(VALU_DEP_1) | instskip(NEXT) | instid1(VALU_DEP_1)
	v_fmac_f32_e32 v43, v46, v36
	v_fma_f32 v15, -v15, v43, v40
	s_delay_alu instid0(VALU_DEP_1) | instskip(NEXT) | instid1(VALU_DEP_1)
	v_div_fmas_f32 v15, v15, v36, v43
	v_div_fixup_f32 v15, v15, v5, v42
	s_delay_alu instid0(VALU_DEP_1)
	v_cvt_f16_f32_e32 v15, v15
.LBB429_132:
	s_or_b32 exec_lo, exec_lo, s65
	v_add_co_u32 v0, vcc_lo, s68, v0
	v_add_co_ci_u32_e32 v1, vcc_lo, s69, v1, vcc_lo
	global_store_b16 v[0:1], v15, off
	s_and_b32 exec_lo, exec_lo, s63
	s_cbranch_execz .LBB429_322
; %bb.133:
	v_mov_b32_e32 v15, 0x7e00
	s_and_saveexec_b32 s63, s64
	s_cbranch_execz .LBB429_135
; %bb.134:
	v_div_scale_f32 v15, null, v5, v5, v39
	s_delay_alu instid0(VALU_DEP_1) | instskip(SKIP_2) | instid1(VALU_DEP_1)
	v_rcp_f32_e32 v36, v15
	s_waitcnt_depctr 0xfff
	v_fma_f32 v40, -v15, v36, 1.0
	v_fmac_f32_e32 v36, v40, v36
	v_div_scale_f32 v40, vcc_lo, v39, v5, v39
	s_delay_alu instid0(VALU_DEP_1) | instskip(NEXT) | instid1(VALU_DEP_1)
	v_mul_f32_e32 v42, v40, v36
	v_fma_f32 v43, -v15, v42, v40
	s_delay_alu instid0(VALU_DEP_1) | instskip(NEXT) | instid1(VALU_DEP_1)
	v_fmac_f32_e32 v42, v43, v36
	v_fma_f32 v15, -v15, v42, v40
	s_delay_alu instid0(VALU_DEP_1) | instskip(NEXT) | instid1(VALU_DEP_1)
	v_div_fmas_f32 v15, v15, v36, v42
	v_div_fixup_f32 v15, v15, v5, v39
	s_delay_alu instid0(VALU_DEP_1)
	v_cvt_f16_f32_e32 v15, v15
.LBB429_135:
	s_or_b32 exec_lo, exec_lo, s63
	global_store_b16 v[0:1], v15, off offset:64
	s_and_b32 exec_lo, exec_lo, s62
	s_cbranch_execz .LBB429_322
; %bb.136:
	v_mov_b32_e32 v15, 0x7e00
	s_and_saveexec_b32 s62, s64
	s_cbranch_execz .LBB429_138
; %bb.137:
	v_div_scale_f32 v15, null, v5, v5, v37
	s_delay_alu instid0(VALU_DEP_1) | instskip(SKIP_2) | instid1(VALU_DEP_1)
	v_rcp_f32_e32 v36, v15
	s_waitcnt_depctr 0xfff
	v_fma_f32 v39, -v15, v36, 1.0
	v_fmac_f32_e32 v36, v39, v36
	v_div_scale_f32 v39, vcc_lo, v37, v5, v37
	s_delay_alu instid0(VALU_DEP_1) | instskip(NEXT) | instid1(VALU_DEP_1)
	v_mul_f32_e32 v40, v39, v36
	v_fma_f32 v42, -v15, v40, v39
	s_delay_alu instid0(VALU_DEP_1) | instskip(NEXT) | instid1(VALU_DEP_1)
	v_fmac_f32_e32 v40, v42, v36
	v_fma_f32 v15, -v15, v40, v39
	s_delay_alu instid0(VALU_DEP_1) | instskip(NEXT) | instid1(VALU_DEP_1)
	v_div_fmas_f32 v15, v15, v36, v40
	v_div_fixup_f32 v15, v15, v5, v37
	s_delay_alu instid0(VALU_DEP_1)
	v_cvt_f16_f32_e32 v15, v15
.LBB429_138:
	s_or_b32 exec_lo, exec_lo, s62
	global_store_b16 v[0:1], v15, off offset:128
	;; [unrolled: 28-line block ×63, first 2 shown]
.LBB429_322:
	s_nop 0
	s_sendmsg sendmsg(MSG_DEALLOC_VGPRS)
	s_endpgm
	.section	.rodata,"a",@progbits
	.p2align	6, 0x0
	.amdhsa_kernel _ZN12_GLOBAL__N_120softmax_warp_forwardIN3c104HalfES2_fLi11ELb0ELb0ELi32EEEvPT0_PKT_iiiPKbib
		.amdhsa_group_segment_fixed_size 0
		.amdhsa_private_segment_fixed_size 0
		.amdhsa_kernarg_size 304
		.amdhsa_user_sgpr_count 15
		.amdhsa_user_sgpr_dispatch_ptr 0
		.amdhsa_user_sgpr_queue_ptr 0
		.amdhsa_user_sgpr_kernarg_segment_ptr 1
		.amdhsa_user_sgpr_dispatch_id 0
		.amdhsa_user_sgpr_private_segment_size 0
		.amdhsa_wavefront_size32 1
		.amdhsa_uses_dynamic_stack 0
		.amdhsa_enable_private_segment 0
		.amdhsa_system_sgpr_workgroup_id_x 1
		.amdhsa_system_sgpr_workgroup_id_y 0
		.amdhsa_system_sgpr_workgroup_id_z 0
		.amdhsa_system_sgpr_workgroup_info 0
		.amdhsa_system_vgpr_workitem_id 1
		.amdhsa_next_free_vgpr 77
		.amdhsa_next_free_sgpr 76
		.amdhsa_reserve_vcc 1
		.amdhsa_float_round_mode_32 0
		.amdhsa_float_round_mode_16_64 0
		.amdhsa_float_denorm_mode_32 3
		.amdhsa_float_denorm_mode_16_64 3
		.amdhsa_dx10_clamp 1
		.amdhsa_ieee_mode 1
		.amdhsa_fp16_overflow 0
		.amdhsa_workgroup_processor_mode 1
		.amdhsa_memory_ordered 1
		.amdhsa_forward_progress 0
		.amdhsa_shared_vgpr_count 0
		.amdhsa_exception_fp_ieee_invalid_op 0
		.amdhsa_exception_fp_denorm_src 0
		.amdhsa_exception_fp_ieee_div_zero 0
		.amdhsa_exception_fp_ieee_overflow 0
		.amdhsa_exception_fp_ieee_underflow 0
		.amdhsa_exception_fp_ieee_inexact 0
		.amdhsa_exception_int_div_zero 0
	.end_amdhsa_kernel
	.section	.text._ZN12_GLOBAL__N_120softmax_warp_forwardIN3c104HalfES2_fLi11ELb0ELb0ELi32EEEvPT0_PKT_iiiPKbib,"axG",@progbits,_ZN12_GLOBAL__N_120softmax_warp_forwardIN3c104HalfES2_fLi11ELb0ELb0ELi32EEEvPT0_PKT_iiiPKbib,comdat
.Lfunc_end429:
	.size	_ZN12_GLOBAL__N_120softmax_warp_forwardIN3c104HalfES2_fLi11ELb0ELb0ELi32EEEvPT0_PKT_iiiPKbib, .Lfunc_end429-_ZN12_GLOBAL__N_120softmax_warp_forwardIN3c104HalfES2_fLi11ELb0ELb0ELi32EEEvPT0_PKT_iiiPKbib
                                        ; -- End function
	.section	.AMDGPU.csdata,"",@progbits
; Kernel info:
; codeLenInByte = 22676
; NumSgprs: 78
; NumVgprs: 77
; ScratchSize: 0
; MemoryBound: 0
; FloatMode: 240
; IeeeMode: 1
; LDSByteSize: 0 bytes/workgroup (compile time only)
; SGPRBlocks: 9
; VGPRBlocks: 9
; NumSGPRsForWavesPerEU: 78
; NumVGPRsForWavesPerEU: 77
; Occupancy: 16
; WaveLimiterHint : 0
; COMPUTE_PGM_RSRC2:SCRATCH_EN: 0
; COMPUTE_PGM_RSRC2:USER_SGPR: 15
; COMPUTE_PGM_RSRC2:TRAP_HANDLER: 0
; COMPUTE_PGM_RSRC2:TGID_X_EN: 1
; COMPUTE_PGM_RSRC2:TGID_Y_EN: 0
; COMPUTE_PGM_RSRC2:TGID_Z_EN: 0
; COMPUTE_PGM_RSRC2:TIDIG_COMP_CNT: 1
	.section	.text._ZN2at6native12_GLOBAL__N_123cunn_SoftMaxForwardGmemILi8EN3c104HalfEfS4_NS1_29SoftMaxForwardWithMulEpilogueElEEvPT2_PKT0_T4_,"axG",@progbits,_ZN2at6native12_GLOBAL__N_123cunn_SoftMaxForwardGmemILi8EN3c104HalfEfS4_NS1_29SoftMaxForwardWithMulEpilogueElEEvPT2_PKT0_T4_,comdat
	.globl	_ZN2at6native12_GLOBAL__N_123cunn_SoftMaxForwardGmemILi8EN3c104HalfEfS4_NS1_29SoftMaxForwardWithMulEpilogueElEEvPT2_PKT0_T4_ ; -- Begin function _ZN2at6native12_GLOBAL__N_123cunn_SoftMaxForwardGmemILi8EN3c104HalfEfS4_NS1_29SoftMaxForwardWithMulEpilogueElEEvPT2_PKT0_T4_
	.p2align	8
	.type	_ZN2at6native12_GLOBAL__N_123cunn_SoftMaxForwardGmemILi8EN3c104HalfEfS4_NS1_29SoftMaxForwardWithMulEpilogueElEEvPT2_PKT0_T4_,@function
_ZN2at6native12_GLOBAL__N_123cunn_SoftMaxForwardGmemILi8EN3c104HalfEfS4_NS1_29SoftMaxForwardWithMulEpilogueElEEvPT2_PKT0_T4_: ; @_ZN2at6native12_GLOBAL__N_123cunn_SoftMaxForwardGmemILi8EN3c104HalfEfS4_NS1_29SoftMaxForwardWithMulEpilogueElEEvPT2_PKT0_T4_
; %bb.0:
	s_clause 0x1
	s_load_b64 s[6:7], s[0:1], 0x10
	s_load_b128 s[8:11], s[0:1], 0x0
	v_dual_mov_b32 v1, 0 :: v_dual_lshlrev_b32 v2, 3, v0
	v_mov_b32_e32 v7, 0xff7fffff
	s_mov_b32 s5, 0
	s_delay_alu instid0(VALU_DEP_2) | instskip(SKIP_1) | instid1(VALU_DEP_1)
	v_dual_mov_b32 v3, v1 :: v_dual_lshlrev_b32 v6, 4, v0
	s_waitcnt lgkmcnt(0)
	v_cmp_gt_i64_e64 s2, s[6:7], v[2:3]
	s_mul_i32 s3, s15, s7
	s_mul_hi_u32 s4, s15, s6
	s_mul_i32 s12, s15, s6
	s_add_i32 s13, s4, s3
	s_delay_alu instid0(VALU_DEP_1)
	s_and_saveexec_b32 s4, s2
	s_cbranch_execz .LBB430_4
; %bb.1:
	s_load_b32 s3, s[0:1], 0x24
	s_lshl_b64 s[16:17], s[12:13], 1
	v_mov_b32_e32 v5, v1
	v_dual_mov_b32 v7, 0xff7fffff :: v_dual_mov_b32 v4, v0
	s_waitcnt lgkmcnt(0)
	s_and_b32 s14, s3, 0xffff
	s_add_u32 s3, s10, s16
	s_addc_u32 s15, s11, s17
	v_add_co_u32 v2, s3, s3, v6
	s_delay_alu instid0(VALU_DEP_1) | instskip(SKIP_1) | instid1(VALU_DEP_2)
	v_add_co_ci_u32_e64 v3, null, s15, 0, s3
	s_lshl_b32 s15, s14, 4
	v_add_co_u32 v2, vcc_lo, v2, 14
	s_delay_alu instid0(VALU_DEP_2)
	v_add_co_ci_u32_e32 v3, vcc_lo, 0, v3, vcc_lo
	s_set_inst_prefetch_distance 0x1
	.p2align	6
.LBB430_2:                              ; =>This Inner Loop Header: Depth=1
	global_load_b128 v[8:11], v[2:3], off offset:-14
	v_add_co_u32 v4, vcc_lo, v4, s14
	v_add_co_ci_u32_e32 v5, vcc_lo, 0, v5, vcc_lo
	v_add_co_u32 v2, s3, v2, s15
	s_delay_alu instid0(VALU_DEP_1)
	v_add_co_ci_u32_e64 v3, s3, 0, v3, s3
	s_waitcnt vmcnt(0)
	v_lshrrev_b32_e32 v12, 16, v8
	v_lshrrev_b32_e32 v13, 16, v9
	v_cvt_f32_f16_e32 v8, v8
	v_lshrrev_b32_e32 v14, 16, v10
	v_cvt_f32_f16_e32 v9, v9
	v_cvt_f32_f16_e32 v12, v12
	;; [unrolled: 1-line block ×3, first 2 shown]
	v_lshrrev_b32_e32 v15, 16, v11
	v_cvt_f32_f16_e32 v10, v10
	v_cvt_f32_f16_e32 v14, v14
	v_max3_f32 v12, v7, v8, v12
	v_lshlrev_b64 v[7:8], 3, v[4:5]
	s_delay_alu instid0(VALU_DEP_2) | instskip(NEXT) | instid1(VALU_DEP_2)
	v_max3_f32 v9, v12, v9, v13
	v_cmp_le_i64_e32 vcc_lo, s[6:7], v[7:8]
	v_cvt_f32_f16_e32 v7, v11
	v_cvt_f32_f16_e32 v8, v15
	s_delay_alu instid0(VALU_DEP_4) | instskip(SKIP_1) | instid1(VALU_DEP_1)
	v_max3_f32 v9, v9, v10, v14
	s_or_b32 s5, vcc_lo, s5
	v_max3_f32 v7, v9, v7, v8
	s_and_not1_b32 exec_lo, exec_lo, s5
	s_cbranch_execnz .LBB430_2
; %bb.3:
	s_set_inst_prefetch_distance 0x2
	s_or_b32 exec_lo, exec_lo, s5
.LBB430_4:
	s_delay_alu instid0(SALU_CYCLE_1)
	s_or_b32 exec_lo, exec_lo, s4
	v_mbcnt_lo_u32_b32 v2, -1, 0
	v_lshrrev_b32_e32 v13, 3, v0
	s_barrier
	buffer_gl0_inv
	v_cmp_gt_u32_e32 vcc_lo, 16, v2
	v_cndmask_b32_e64 v3, 0, 1, vcc_lo
	v_cmp_gt_u32_e32 vcc_lo, 24, v2
	s_delay_alu instid0(VALU_DEP_2) | instskip(SKIP_1) | instid1(VALU_DEP_2)
	v_lshlrev_b32_e32 v3, 4, v3
	v_cndmask_b32_e64 v4, 0, 1, vcc_lo
	v_add_lshl_u32 v8, v3, v2, 2
	ds_bpermute_b32 v3, v8, v7
	s_waitcnt lgkmcnt(0)
	v_cmp_lt_f32_e32 vcc_lo, v7, v3
	v_dual_cndmask_b32 v3, v7, v3 :: v_dual_lshlrev_b32 v4, 3, v4
	s_delay_alu instid0(VALU_DEP_1) | instskip(SKIP_3) | instid1(VALU_DEP_1)
	v_add_lshl_u32 v9, v4, v2, 2
	v_cmp_gt_u32_e32 vcc_lo, 28, v2
	ds_bpermute_b32 v4, v9, v3
	v_cndmask_b32_e64 v5, 0, 1, vcc_lo
	v_lshlrev_b32_e32 v5, 2, v5
	s_delay_alu instid0(VALU_DEP_1)
	v_add_lshl_u32 v10, v5, v2, 2
	s_waitcnt lgkmcnt(0)
	v_cmp_lt_f32_e32 vcc_lo, v3, v4
	v_cndmask_b32_e32 v3, v3, v4, vcc_lo
	v_cmp_gt_u32_e32 vcc_lo, 30, v2
	ds_bpermute_b32 v4, v10, v3
	v_cndmask_b32_e64 v5, 0, 1, vcc_lo
	s_delay_alu instid0(VALU_DEP_1) | instskip(NEXT) | instid1(VALU_DEP_1)
	v_lshlrev_b32_e32 v5, 1, v5
	v_add_lshl_u32 v11, v5, v2, 2
	s_waitcnt lgkmcnt(0)
	v_cmp_lt_f32_e32 vcc_lo, v3, v4
	v_cndmask_b32_e32 v3, v3, v4, vcc_lo
	v_cmp_ne_u32_e32 vcc_lo, 31, v2
	ds_bpermute_b32 v4, v11, v3
	v_add_co_ci_u32_e32 v5, vcc_lo, 0, v2, vcc_lo
	s_delay_alu instid0(VALU_DEP_1)
	v_lshlrev_b32_e32 v12, 2, v5
	s_waitcnt lgkmcnt(0)
	v_cmp_lt_f32_e32 vcc_lo, v3, v4
	v_cndmask_b32_e32 v2, v3, v4, vcc_lo
	v_and_b32_e32 v3, 31, v0
	ds_bpermute_b32 v4, v12, v2
	v_cmp_eq_u32_e32 vcc_lo, 0, v3
	s_and_saveexec_b32 s4, vcc_lo
	s_cbranch_execz .LBB430_6
; %bb.5:
	s_waitcnt lgkmcnt(0)
	v_cmp_lt_f32_e64 s3, v2, v4
	v_add_nc_u32_e32 v5, 0, v13
	s_delay_alu instid0(VALU_DEP_2)
	v_cndmask_b32_e64 v2, v2, v4, s3
	ds_store_b32 v5, v2
.LBB430_6:
	s_or_b32 exec_lo, exec_lo, s4
	s_waitcnt lgkmcnt(0)
	s_barrier
	buffer_gl0_inv
	s_load_b32 s14, s[0:1], 0x24
	v_mov_b32_e32 v2, 0xff7fffff
	v_lshl_add_u32 v14, v3, 2, 0
	s_waitcnt lgkmcnt(0)
	s_bfe_u32 s0, s14, 0xb0005
	s_delay_alu instid0(SALU_CYCLE_1) | instskip(NEXT) | instid1(VALU_DEP_1)
	v_cmp_gt_u32_e64 s0, s0, v0
	s_and_saveexec_b32 s1, s0
	s_cbranch_execnz .LBB430_24
; %bb.7:
	s_or_b32 exec_lo, exec_lo, s1
	v_cmp_gt_u32_e64 s1, 32, v0
	s_delay_alu instid0(VALU_DEP_1)
	s_and_saveexec_b32 s4, s1
	s_cbranch_execnz .LBB430_25
.LBB430_8:
	s_or_b32 exec_lo, exec_lo, s4
	v_cmp_eq_u32_e64 s3, 0, v0
	s_delay_alu instid0(VALU_DEP_1)
	s_and_saveexec_b32 s4, s3
	s_cbranch_execz .LBB430_10
.LBB430_9:
	v_mov_b32_e32 v3, 0
	s_waitcnt lgkmcnt(0)
	ds_store_b32 v3, v2
.LBB430_10:
	s_or_b32 exec_lo, exec_lo, s4
	v_mov_b32_e32 v15, 0
	s_waitcnt lgkmcnt(0)
	s_barrier
	buffer_gl0_inv
	s_mov_b32 s16, 0
	ds_load_b32 v7, v15
	s_and_saveexec_b32 s15, s2
	s_cbranch_execz .LBB430_14
; %bb.11:
	s_lshl_b64 s[4:5], s[12:13], 1
	s_and_b32 s17, s14, 0xffff
	s_add_u32 s4, s10, s4
	s_addc_u32 s5, s11, s5
	v_add_co_u32 v2, s4, s4, v6
	s_delay_alu instid0(VALU_DEP_1) | instskip(SKIP_1) | instid1(VALU_DEP_3)
	v_add_co_ci_u32_e64 v3, null, s5, 0, s4
	v_mov_b32_e32 v5, v1
	v_add_co_u32 v2, s4, v2, 14
	s_delay_alu instid0(VALU_DEP_1)
	v_add_co_ci_u32_e64 v3, s4, 0, v3, s4
	v_dual_mov_b32 v15, 0 :: v_dual_mov_b32 v4, v0
	s_lshl_b32 s18, s17, 4
.LBB430_12:                             ; =>This Inner Loop Header: Depth=1
	global_load_b128 v[16:19], v[2:3], off offset:-14
	v_add_co_u32 v4, s4, v4, s17
	s_delay_alu instid0(VALU_DEP_1) | instskip(SKIP_1) | instid1(VALU_DEP_1)
	v_add_co_ci_u32_e64 v5, s4, 0, v5, s4
	v_add_co_u32 v2, s5, v2, s18
	v_add_co_ci_u32_e64 v3, s5, 0, v3, s5
	s_waitcnt vmcnt(0)
	v_lshrrev_b32_e32 v20, 16, v16
	v_lshrrev_b32_e32 v21, 16, v17
	v_cvt_f32_f16_e32 v16, v16
	v_cvt_f32_f16_e32 v17, v17
	v_lshrrev_b32_e32 v22, 16, v18
	v_cvt_f32_f16_e32 v18, v18
	v_cvt_f32_f16_e32 v20, v20
	;; [unrolled: 1-line block ×3, first 2 shown]
	s_waitcnt lgkmcnt(0)
	v_sub_f32_e32 v17, v17, v7
	v_sub_f32_e32 v16, v16, v7
	v_lshrrev_b32_e32 v23, 16, v19
	v_cvt_f32_f16_e32 v19, v19
	v_cvt_f32_f16_e32 v22, v22
	s_delay_alu instid0(VALU_DEP_4) | instskip(NEXT) | instid1(VALU_DEP_3)
	v_dual_mul_f32 v17, 0x3fb8aa3b, v17 :: v_dual_mul_f32 v16, 0x3fb8aa3b, v16
	v_sub_f32_e32 v19, v19, v7
	s_delay_alu instid0(VALU_DEP_2) | instskip(NEXT) | instid1(VALU_DEP_2)
	v_exp_f32_e32 v17, v17
	v_exp_f32_e32 v16, v16
	v_sub_f32_e32 v18, v18, v7
	v_sub_f32_e32 v21, v21, v7
	s_waitcnt_depctr 0xfff
	v_dual_add_f32 v15, v15, v16 :: v_dual_mul_f32 v16, 0x3fb8aa3b, v18
	v_dual_sub_f32 v20, v20, v7 :: v_dual_mul_f32 v21, 0x3fb8aa3b, v21
	s_delay_alu instid0(VALU_DEP_2) | instskip(NEXT) | instid1(VALU_DEP_1)
	v_exp_f32_e32 v16, v16
	v_mul_f32_e32 v20, 0x3fb8aa3b, v20
	s_delay_alu instid0(VALU_DEP_2) | instskip(NEXT) | instid1(VALU_DEP_1)
	v_exp_f32_e32 v21, v21
	v_exp_f32_e32 v20, v20
	s_waitcnt_depctr 0xfff
	v_dual_sub_f32 v18, v22, v7 :: v_dual_add_f32 v15, v15, v20
	v_cvt_f32_f16_e32 v20, v23
	s_delay_alu instid0(VALU_DEP_2) | instskip(NEXT) | instid1(VALU_DEP_1)
	v_dual_mul_f32 v18, 0x3fb8aa3b, v18 :: v_dual_add_f32 v15, v15, v17
	v_exp_f32_e32 v18, v18
	s_delay_alu instid0(VALU_DEP_1) | instskip(SKIP_1) | instid1(VALU_DEP_2)
	v_add_f32_e32 v15, v15, v21
	v_mul_f32_e32 v17, 0x3fb8aa3b, v19
	v_dual_sub_f32 v19, v20, v7 :: v_dual_add_f32 v20, v15, v16
	s_delay_alu instid0(VALU_DEP_2) | instskip(NEXT) | instid1(VALU_DEP_1)
	v_exp_f32_e32 v17, v17
	v_mul_f32_e32 v19, 0x3fb8aa3b, v19
	v_lshlrev_b64 v[15:16], 3, v[4:5]
	s_delay_alu instid0(TRANS32_DEP_2) | instid1(VALU_DEP_3)
	v_add_f32_e32 v18, v20, v18
	s_delay_alu instid0(VALU_DEP_3) | instskip(NEXT) | instid1(VALU_DEP_2)
	v_exp_f32_e32 v19, v19
	v_cmp_le_i64_e64 s4, s[6:7], v[15:16]
	s_waitcnt_depctr 0xfff
	v_add_f32_e32 v15, v18, v17
	s_or_b32 s16, s4, s16
	s_delay_alu instid0(VALU_DEP_1)
	v_add_f32_e32 v15, v15, v19
	s_and_not1_b32 exec_lo, exec_lo, s16
	s_cbranch_execnz .LBB430_12
; %bb.13:
	s_or_b32 exec_lo, exec_lo, s16
.LBB430_14:
	s_delay_alu instid0(SALU_CYCLE_1)
	s_or_b32 exec_lo, exec_lo, s15
	ds_bpermute_b32 v2, v8, v15
	s_waitcnt lgkmcnt(0)
	s_barrier
	buffer_gl0_inv
	v_add_f32_e32 v2, v15, v2
	ds_bpermute_b32 v3, v9, v2
	s_waitcnt lgkmcnt(0)
	v_add_f32_e32 v2, v2, v3
	ds_bpermute_b32 v3, v10, v2
	s_waitcnt lgkmcnt(0)
	;; [unrolled: 3-line block ×3, first 2 shown]
	v_add_f32_e32 v2, v2, v3
	ds_bpermute_b32 v3, v12, v2
	s_and_saveexec_b32 s4, vcc_lo
	s_cbranch_execz .LBB430_16
; %bb.15:
	v_add_nc_u32_e32 v4, 0, v13
	s_waitcnt lgkmcnt(0)
	v_add_f32_e32 v2, v2, v3
	ds_store_b32 v4, v2
.LBB430_16:
	s_or_b32 exec_lo, exec_lo, s4
	v_mov_b32_e32 v2, 0
	s_waitcnt lgkmcnt(0)
	s_barrier
	buffer_gl0_inv
	s_and_saveexec_b32 s4, s0
	s_cbranch_execnz .LBB430_26
; %bb.17:
	s_or_b32 exec_lo, exec_lo, s4
	s_and_saveexec_b32 s0, s1
	s_cbranch_execnz .LBB430_27
.LBB430_18:
	s_or_b32 exec_lo, exec_lo, s0
	s_and_saveexec_b32 s0, s3
	s_cbranch_execz .LBB430_20
.LBB430_19:
	s_waitcnt lgkmcnt(0)
	v_div_scale_f32 v3, null, v2, v2, 1.0
	v_div_scale_f32 v8, vcc_lo, 1.0, v2, 1.0
	s_delay_alu instid0(VALU_DEP_2) | instskip(SKIP_2) | instid1(VALU_DEP_1)
	v_rcp_f32_e32 v4, v3
	s_waitcnt_depctr 0xfff
	v_fma_f32 v5, -v3, v4, 1.0
	v_fmac_f32_e32 v4, v5, v4
	s_delay_alu instid0(VALU_DEP_1) | instskip(NEXT) | instid1(VALU_DEP_1)
	v_mul_f32_e32 v5, v8, v4
	v_fma_f32 v9, -v3, v5, v8
	s_delay_alu instid0(VALU_DEP_1) | instskip(NEXT) | instid1(VALU_DEP_1)
	v_fmac_f32_e32 v5, v9, v4
	v_fma_f32 v3, -v3, v5, v8
	s_delay_alu instid0(VALU_DEP_1) | instskip(NEXT) | instid1(VALU_DEP_1)
	v_div_fmas_f32 v3, v3, v4, v5
	v_div_fixup_f32 v2, v3, v2, 1.0
	v_mov_b32_e32 v3, 0
	ds_store_b32 v3, v2
.LBB430_20:
	s_or_b32 exec_lo, exec_lo, s0
	s_waitcnt lgkmcnt(0)
	s_barrier
	buffer_gl0_inv
	s_and_saveexec_b32 s0, s2
	s_cbranch_execz .LBB430_23
; %bb.21:
	v_mov_b32_e32 v2, 0
	s_lshl_b64 s[2:3], s[12:13], 1
	s_mov_b32 s5, 0
	s_add_u32 s0, s10, s2
	s_addc_u32 s1, s11, s3
	ds_load_b32 v2, v2
	s_add_u32 s2, s8, s2
	s_addc_u32 s3, s9, s3
	s_and_b32 s4, s14, 0xffff
	s_delay_alu instid0(SALU_CYCLE_1)
	s_lshl_b32 s8, s4, 4
.LBB430_22:                             ; =>This Inner Loop Header: Depth=1
	v_add_co_u32 v3, s9, s0, v6
	s_delay_alu instid0(VALU_DEP_1)
	v_add_co_ci_u32_e64 v4, null, s1, 0, s9
	v_add_co_u32 v0, vcc_lo, v0, s4
	v_add_co_ci_u32_e32 v1, vcc_lo, 0, v1, vcc_lo
	global_load_b128 v[8:11], v[3:4], off
	v_add_co_u32 v3, s9, s2, v6
	s_add_u32 s0, s0, s8
	v_add_co_ci_u32_e64 v4, null, s3, 0, s9
	s_addc_u32 s1, s1, 0
	s_add_u32 s2, s2, s8
	s_addc_u32 s3, s3, 0
	s_waitcnt vmcnt(0)
	v_lshrrev_b32_e32 v5, 16, v8
	v_lshrrev_b32_e32 v14, 16, v11
	;; [unrolled: 1-line block ×4, first 2 shown]
	v_cvt_f32_f16_e32 v8, v8
	v_cvt_f32_f16_e32 v5, v5
	;; [unrolled: 1-line block ×7, first 2 shown]
	v_sub_f32_e32 v14, v14, v7
	v_sub_f32_e32 v5, v5, v7
	;; [unrolled: 1-line block ×4, first 2 shown]
	v_cvt_f32_f16_e32 v13, v13
	v_mul_f32_e32 v14, 0x3fb8aa3b, v14
	v_dual_sub_f32 v10, v10, v7 :: v_dual_mul_f32 v5, 0x3fb8aa3b, v5
	v_sub_f32_e32 v11, v11, v7
	v_dual_mul_f32 v9, 0x3fb8aa3b, v9 :: v_dual_mul_f32 v8, 0x3fb8aa3b, v8
	s_delay_alu instid0(VALU_DEP_3) | instskip(SKIP_1) | instid1(VALU_DEP_4)
	v_dual_mul_f32 v10, 0x3fb8aa3b, v10 :: v_dual_sub_f32 v13, v13, v7
	v_sub_f32_e32 v12, v12, v7
	v_mul_f32_e32 v11, 0x3fb8aa3b, v11
	s_delay_alu instid0(VALU_DEP_4) | instskip(NEXT) | instid1(VALU_DEP_3)
	v_exp_f32_e32 v9, v9
	v_exp_f32_e32 v10, v10
	s_delay_alu instid0(VALU_DEP_2) | instskip(NEXT) | instid1(VALU_DEP_2)
	v_dual_mul_f32 v13, 0x3fb8aa3b, v13 :: v_dual_mul_f32 v12, 0x3fb8aa3b, v12
	v_exp_f32_e32 v11, v11
	v_exp_f32_e32 v8, v8
	;; [unrolled: 1-line block ×6, first 2 shown]
	v_lshlrev_b64 v[12:13], 3, v[0:1]
	s_waitcnt lgkmcnt(0)
	v_fma_mixlo_f16 v10, v2, v10, 0
	v_fma_mixlo_f16 v9, v2, v9, 0
	v_fma_mixlo_f16 v11, v2, v11, 0
	v_fma_mixlo_f16 v8, v2, v8, 0
	v_cmp_le_i64_e32 vcc_lo, s[6:7], v[12:13]
	s_delay_alu instid0(TRANS32_DEP_2) | instskip(NEXT) | instid1(VALU_DEP_4)
	v_fma_mixhi_f16 v10, v2, v15, 0
	v_fma_mixhi_f16 v11, v2, v14, 0
	;; [unrolled: 1-line block ×4, first 2 shown]
	s_or_b32 s5, vcc_lo, s5
	global_store_b128 v[3:4], v[8:11], off
	s_and_not1_b32 exec_lo, exec_lo, s5
	s_cbranch_execnz .LBB430_22
.LBB430_23:
	s_nop 0
	s_sendmsg sendmsg(MSG_DEALLOC_VGPRS)
	s_endpgm
.LBB430_24:
	ds_load_b32 v2, v14
	s_or_b32 exec_lo, exec_lo, s1
	v_cmp_gt_u32_e64 s1, 32, v0
	s_delay_alu instid0(VALU_DEP_1)
	s_and_saveexec_b32 s4, s1
	s_cbranch_execz .LBB430_8
.LBB430_25:
	s_waitcnt lgkmcnt(0)
	ds_bpermute_b32 v3, v8, v2
	s_waitcnt lgkmcnt(0)
	v_cmp_lt_f32_e64 s3, v2, v3
	s_delay_alu instid0(VALU_DEP_1) | instskip(SKIP_3) | instid1(VALU_DEP_1)
	v_cndmask_b32_e64 v2, v2, v3, s3
	ds_bpermute_b32 v3, v9, v2
	s_waitcnt lgkmcnt(0)
	v_cmp_lt_f32_e64 s3, v2, v3
	v_cndmask_b32_e64 v2, v2, v3, s3
	ds_bpermute_b32 v3, v10, v2
	s_waitcnt lgkmcnt(0)
	v_cmp_lt_f32_e64 s3, v2, v3
	s_delay_alu instid0(VALU_DEP_1) | instskip(SKIP_3) | instid1(VALU_DEP_1)
	v_cndmask_b32_e64 v2, v2, v3, s3
	ds_bpermute_b32 v3, v11, v2
	s_waitcnt lgkmcnt(0)
	v_cmp_lt_f32_e64 s3, v2, v3
	v_cndmask_b32_e64 v2, v2, v3, s3
	ds_bpermute_b32 v3, v12, v2
	s_waitcnt lgkmcnt(0)
	v_cmp_lt_f32_e64 s3, v2, v3
	s_delay_alu instid0(VALU_DEP_1) | instskip(SKIP_2) | instid1(VALU_DEP_1)
	v_cndmask_b32_e64 v2, v2, v3, s3
	s_or_b32 exec_lo, exec_lo, s4
	v_cmp_eq_u32_e64 s3, 0, v0
	s_and_saveexec_b32 s4, s3
	s_cbranch_execnz .LBB430_9
	s_branch .LBB430_10
.LBB430_26:
	ds_load_b32 v2, v14
	s_or_b32 exec_lo, exec_lo, s4
	s_and_saveexec_b32 s0, s1
	s_cbranch_execz .LBB430_18
.LBB430_27:
	s_waitcnt lgkmcnt(0)
	ds_bpermute_b32 v3, v8, v2
	s_waitcnt lgkmcnt(0)
	v_add_f32_e32 v2, v2, v3
	ds_bpermute_b32 v3, v9, v2
	s_waitcnt lgkmcnt(0)
	v_add_f32_e32 v2, v2, v3
	;; [unrolled: 3-line block ×5, first 2 shown]
	s_or_b32 exec_lo, exec_lo, s0
	s_and_saveexec_b32 s0, s3
	s_cbranch_execnz .LBB430_19
	s_branch .LBB430_20
	.section	.rodata,"a",@progbits
	.p2align	6, 0x0
	.amdhsa_kernel _ZN2at6native12_GLOBAL__N_123cunn_SoftMaxForwardGmemILi8EN3c104HalfEfS4_NS1_29SoftMaxForwardWithMulEpilogueElEEvPT2_PKT0_T4_
		.amdhsa_group_segment_fixed_size 0
		.amdhsa_private_segment_fixed_size 0
		.amdhsa_kernarg_size 280
		.amdhsa_user_sgpr_count 15
		.amdhsa_user_sgpr_dispatch_ptr 0
		.amdhsa_user_sgpr_queue_ptr 0
		.amdhsa_user_sgpr_kernarg_segment_ptr 1
		.amdhsa_user_sgpr_dispatch_id 0
		.amdhsa_user_sgpr_private_segment_size 0
		.amdhsa_wavefront_size32 1
		.amdhsa_uses_dynamic_stack 0
		.amdhsa_enable_private_segment 0
		.amdhsa_system_sgpr_workgroup_id_x 1
		.amdhsa_system_sgpr_workgroup_id_y 0
		.amdhsa_system_sgpr_workgroup_id_z 0
		.amdhsa_system_sgpr_workgroup_info 0
		.amdhsa_system_vgpr_workitem_id 0
		.amdhsa_next_free_vgpr 24
		.amdhsa_next_free_sgpr 19
		.amdhsa_reserve_vcc 1
		.amdhsa_float_round_mode_32 0
		.amdhsa_float_round_mode_16_64 0
		.amdhsa_float_denorm_mode_32 3
		.amdhsa_float_denorm_mode_16_64 3
		.amdhsa_dx10_clamp 1
		.amdhsa_ieee_mode 1
		.amdhsa_fp16_overflow 0
		.amdhsa_workgroup_processor_mode 1
		.amdhsa_memory_ordered 1
		.amdhsa_forward_progress 0
		.amdhsa_shared_vgpr_count 0
		.amdhsa_exception_fp_ieee_invalid_op 0
		.amdhsa_exception_fp_denorm_src 0
		.amdhsa_exception_fp_ieee_div_zero 0
		.amdhsa_exception_fp_ieee_overflow 0
		.amdhsa_exception_fp_ieee_underflow 0
		.amdhsa_exception_fp_ieee_inexact 0
		.amdhsa_exception_int_div_zero 0
	.end_amdhsa_kernel
	.section	.text._ZN2at6native12_GLOBAL__N_123cunn_SoftMaxForwardGmemILi8EN3c104HalfEfS4_NS1_29SoftMaxForwardWithMulEpilogueElEEvPT2_PKT0_T4_,"axG",@progbits,_ZN2at6native12_GLOBAL__N_123cunn_SoftMaxForwardGmemILi8EN3c104HalfEfS4_NS1_29SoftMaxForwardWithMulEpilogueElEEvPT2_PKT0_T4_,comdat
.Lfunc_end430:
	.size	_ZN2at6native12_GLOBAL__N_123cunn_SoftMaxForwardGmemILi8EN3c104HalfEfS4_NS1_29SoftMaxForwardWithMulEpilogueElEEvPT2_PKT0_T4_, .Lfunc_end430-_ZN2at6native12_GLOBAL__N_123cunn_SoftMaxForwardGmemILi8EN3c104HalfEfS4_NS1_29SoftMaxForwardWithMulEpilogueElEEvPT2_PKT0_T4_
                                        ; -- End function
	.section	.AMDGPU.csdata,"",@progbits
; Kernel info:
; codeLenInByte = 2316
; NumSgprs: 21
; NumVgprs: 24
; ScratchSize: 0
; MemoryBound: 0
; FloatMode: 240
; IeeeMode: 1
; LDSByteSize: 0 bytes/workgroup (compile time only)
; SGPRBlocks: 2
; VGPRBlocks: 2
; NumSGPRsForWavesPerEU: 21
; NumVGPRsForWavesPerEU: 24
; Occupancy: 16
; WaveLimiterHint : 0
; COMPUTE_PGM_RSRC2:SCRATCH_EN: 0
; COMPUTE_PGM_RSRC2:USER_SGPR: 15
; COMPUTE_PGM_RSRC2:TRAP_HANDLER: 0
; COMPUTE_PGM_RSRC2:TGID_X_EN: 1
; COMPUTE_PGM_RSRC2:TGID_Y_EN: 0
; COMPUTE_PGM_RSRC2:TGID_Z_EN: 0
; COMPUTE_PGM_RSRC2:TIDIG_COMP_CNT: 0
	.section	.text._ZN2at6native12_GLOBAL__N_123cunn_SoftMaxForwardFastILi8EN3c104HalfEfS4_NS1_29SoftMaxForwardWithMulEpilogueEEEvPT2_PKT0_i,"axG",@progbits,_ZN2at6native12_GLOBAL__N_123cunn_SoftMaxForwardFastILi8EN3c104HalfEfS4_NS1_29SoftMaxForwardWithMulEpilogueEEEvPT2_PKT0_i,comdat
	.globl	_ZN2at6native12_GLOBAL__N_123cunn_SoftMaxForwardFastILi8EN3c104HalfEfS4_NS1_29SoftMaxForwardWithMulEpilogueEEEvPT2_PKT0_i ; -- Begin function _ZN2at6native12_GLOBAL__N_123cunn_SoftMaxForwardFastILi8EN3c104HalfEfS4_NS1_29SoftMaxForwardWithMulEpilogueEEEvPT2_PKT0_i
	.p2align	8
	.type	_ZN2at6native12_GLOBAL__N_123cunn_SoftMaxForwardFastILi8EN3c104HalfEfS4_NS1_29SoftMaxForwardWithMulEpilogueEEEvPT2_PKT0_i,@function
_ZN2at6native12_GLOBAL__N_123cunn_SoftMaxForwardFastILi8EN3c104HalfEfS4_NS1_29SoftMaxForwardWithMulEpilogueEEEvPT2_PKT0_i: ; @_ZN2at6native12_GLOBAL__N_123cunn_SoftMaxForwardFastILi8EN3c104HalfEfS4_NS1_29SoftMaxForwardWithMulEpilogueEEEvPT2_PKT0_i
; %bb.0:
	s_clause 0x1
	s_load_b32 s14, s[0:1], 0x10
	s_load_b128 s[8:11], s[0:1], 0x0
	s_mov_b32 s5, 0
	s_waitcnt lgkmcnt(0)
	s_ashr_i32 s2, s14, 31
	s_mul_hi_u32 s3, s14, s15
	s_mul_i32 s4, s2, s15
	s_mul_i32 s2, s14, s15
	s_add_i32 s3, s3, s4
	s_delay_alu instid0(SALU_CYCLE_1) | instskip(NEXT) | instid1(SALU_CYCLE_1)
	s_lshl_b64 s[12:13], s[2:3], 1
	s_add_u32 s6, s10, s12
	s_addc_u32 s7, s11, s13
	s_bfe_u32 s4, s6, 0x30001
	s_delay_alu instid0(SALU_CYCLE_1) | instskip(SKIP_2) | instid1(SALU_CYCLE_1)
	s_cmp_lg_u32 s4, 0
	v_cmp_le_u32_e64 s2, s4, v0
	s_cselect_b32 s19, -1, 0
	s_and_b32 vcc_lo, exec_lo, s19
	s_cbranch_vccz .LBB431_25
; %bb.1:
	s_lshl_b64 s[10:11], s[4:5], 1
	v_mov_b32_e32 v5, 0xff7fffff
	s_sub_u32 s16, s6, s10
	s_subb_u32 s17, s7, s11
	s_add_i32 s3, s4, s14
	s_delay_alu instid0(SALU_CYCLE_1) | instskip(SKIP_1) | instid1(SALU_CYCLE_1)
	v_cmp_gt_i32_e32 vcc_lo, s3, v0
	s_and_b32 s5, s2, vcc_lo
	s_and_saveexec_b32 s2, s5
	s_cbranch_execz .LBB431_3
; %bb.2:
	v_lshlrev_b32_e32 v1, 1, v0
	global_load_u16 v1, v1, s[16:17]
	s_waitcnt vmcnt(0)
	v_cvt_f32_f16_e32 v1, v1
	s_delay_alu instid0(VALU_DEP_1)
	v_max_f32_e32 v5, 0xff7fffff, v1
.LBB431_3:
	s_or_b32 exec_lo, exec_lo, s2
	s_load_b32 s2, s[0:1], 0x24
	s_add_u32 s10, s0, 24
	s_addc_u32 s11, s1, 0
	s_waitcnt lgkmcnt(0)
	s_and_b32 s2, s2, 0xffff
	s_delay_alu instid0(SALU_CYCLE_1) | instskip(SKIP_1) | instid1(SALU_CYCLE_1)
	v_sub_nc_u32_e64 v1, s3, s2 clamp
	s_lshl_b32 s2, s2, 1
	s_add_u32 s2, s16, s2
	s_addc_u32 s3, s17, 0
	s_delay_alu instid0(VALU_DEP_1)
	v_readfirstlane_b32 s5, v1
	s_branch .LBB431_5
.LBB431_4:
	v_mov_b32_e32 v5, 0xff7fffff
	s_add_u32 s10, s0, 24
	s_addc_u32 s11, s1, 0
	s_mov_b32 s5, s14
	s_mov_b64 s[2:3], s[6:7]
.LBB431_5:
	s_load_b32 s16, s[10:11], 0x0
	v_mov_b32_e32 v1, 0
	v_lshlrev_b32_e32 v11, 3, v0
	s_waitcnt lgkmcnt(0)
	s_cmp_lt_u32 s15, s16
	s_cselect_b32 s16, 12, 18
	s_delay_alu instid0(SALU_CYCLE_1) | instskip(SKIP_4) | instid1(VALU_DEP_1)
	s_add_u32 s10, s10, s16
	s_addc_u32 s11, s11, 0
	global_load_u16 v3, v1, s[10:11]
	s_waitcnt vmcnt(0)
	v_readfirstlane_b32 s10, v3
	s_lshl_b32 s10, s10, 3
	s_delay_alu instid0(SALU_CYCLE_1) | instskip(SKIP_1) | instid1(VALU_DEP_1)
	v_cvt_f32_u32_e32 v1, s10
	s_sub_i32 s16, 0, s10
	v_rcp_iflag_f32_e32 v1, v1
	s_waitcnt_depctr 0xfff
	v_mul_f32_e32 v1, 0x4f7ffffe, v1
	s_delay_alu instid0(VALU_DEP_1) | instskip(NEXT) | instid1(VALU_DEP_1)
	v_cvt_u32_f32_e32 v1, v1
	v_readfirstlane_b32 s11, v1
	s_delay_alu instid0(VALU_DEP_1) | instskip(NEXT) | instid1(SALU_CYCLE_1)
	s_mul_i32 s16, s16, s11
	s_mul_hi_u32 s16, s11, s16
	s_delay_alu instid0(SALU_CYCLE_1) | instskip(NEXT) | instid1(SALU_CYCLE_1)
	s_add_i32 s11, s11, s16
	s_mul_hi_u32 s11, s5, s11
	s_delay_alu instid0(SALU_CYCLE_1) | instskip(NEXT) | instid1(SALU_CYCLE_1)
	s_mul_i32 s11, s11, s10
	s_sub_i32 s11, s5, s11
	s_delay_alu instid0(SALU_CYCLE_1) | instskip(SKIP_2) | instid1(SALU_CYCLE_1)
	s_sub_i32 s16, s11, s10
	s_cmp_ge_u32 s11, s10
	s_cselect_b32 s11, s16, s11
	s_sub_i32 s16, s11, s10
	s_cmp_ge_u32 s11, s10
	s_cselect_b32 s10, s16, s11
	s_mov_b32 s16, 0
	s_sub_i32 s10, s5, s10
	s_mov_b32 s11, exec_lo
	v_cmpx_gt_i32_e64 s10, v11
	s_cbranch_execz .LBB431_9
; %bb.6:
	v_mov_b32_e32 v1, v0
	s_set_inst_prefetch_distance 0x1
	.p2align	6
.LBB431_7:                              ; =>This Inner Loop Header: Depth=1
	s_delay_alu instid0(VALU_DEP_1) | instskip(NEXT) | instid1(VALU_DEP_1)
	v_ashrrev_i32_e32 v2, 31, v1
	v_lshlrev_b64 v[6:7], 4, v[1:2]
	v_add_nc_u32_e32 v1, v1, v3
	s_delay_alu instid0(VALU_DEP_2) | instskip(NEXT) | instid1(VALU_DEP_3)
	v_add_co_u32 v6, vcc_lo, s2, v6
	v_add_co_ci_u32_e32 v7, vcc_lo, s3, v7, vcc_lo
	global_load_b128 v[6:9], v[6:7], off
	s_waitcnt vmcnt(0)
	v_lshrrev_b32_e32 v2, 16, v6
	v_lshrrev_b32_e32 v4, 16, v7
	v_cvt_f32_f16_e32 v6, v6
	v_lshrrev_b32_e32 v10, 16, v8
	v_cvt_f32_f16_e32 v7, v7
	v_cvt_f32_f16_e32 v2, v2
	;; [unrolled: 1-line block ×3, first 2 shown]
	s_delay_alu instid0(VALU_DEP_2) | instskip(SKIP_3) | instid1(VALU_DEP_4)
	v_max3_f32 v2, v5, v6, v2
	v_lshrrev_b32_e32 v5, 16, v9
	v_cvt_f32_f16_e32 v6, v8
	v_cvt_f32_f16_e32 v8, v10
	v_max3_f32 v2, v2, v7, v4
	v_lshlrev_b32_e32 v4, 3, v1
	v_cvt_f32_f16_e32 v7, v9
	v_cvt_f32_f16_e32 v5, v5
	s_delay_alu instid0(VALU_DEP_4) | instskip(NEXT) | instid1(VALU_DEP_4)
	v_max3_f32 v2, v2, v6, v8
	v_cmp_le_i32_e32 vcc_lo, s10, v4
	s_delay_alu instid0(VALU_DEP_2) | instskip(SKIP_1) | instid1(SALU_CYCLE_1)
	v_max3_f32 v5, v2, v7, v5
	s_or_b32 s16, vcc_lo, s16
	s_and_not1_b32 exec_lo, exec_lo, s16
	s_cbranch_execnz .LBB431_7
; %bb.8:
	s_set_inst_prefetch_distance 0x2
	s_or_b32 exec_lo, exec_lo, s16
.LBB431_9:
	s_delay_alu instid0(SALU_CYCLE_1) | instskip(SKIP_2) | instid1(VALU_DEP_1)
	s_or_b32 exec_lo, exec_lo, s11
	v_add_nc_u32_e32 v1, s10, v0
	s_mov_b32 s10, exec_lo
	v_cmpx_gt_i32_e64 s5, v1
	s_cbranch_execz .LBB431_13
; %bb.10:
	s_mov_b32 s11, 0
.LBB431_11:                             ; =>This Inner Loop Header: Depth=1
	v_ashrrev_i32_e32 v2, 31, v1
	s_delay_alu instid0(VALU_DEP_2) | instskip(NEXT) | instid1(VALU_DEP_2)
	v_max_f32_e32 v4, v5, v5
	v_lshlrev_b64 v[6:7], 1, v[1:2]
	v_add_nc_u32_e32 v1, v1, v3
	s_delay_alu instid0(VALU_DEP_2) | instskip(NEXT) | instid1(VALU_DEP_3)
	v_add_co_u32 v6, vcc_lo, s2, v6
	v_add_co_ci_u32_e32 v7, vcc_lo, s3, v7, vcc_lo
	s_delay_alu instid0(VALU_DEP_3) | instskip(SKIP_4) | instid1(VALU_DEP_1)
	v_cmp_le_i32_e32 vcc_lo, s5, v1
	global_load_u16 v2, v[6:7], off
	s_or_b32 s11, vcc_lo, s11
	s_waitcnt vmcnt(0)
	v_cvt_f32_f16_e32 v2, v2
	v_max_f32_e32 v5, v4, v2
	s_and_not1_b32 exec_lo, exec_lo, s11
	s_cbranch_execnz .LBB431_11
; %bb.12:
	s_or_b32 exec_lo, exec_lo, s11
.LBB431_13:
	s_delay_alu instid0(SALU_CYCLE_1)
	s_or_b32 exec_lo, exec_lo, s10
	v_mbcnt_lo_u32_b32 v1, -1, 0
	v_lshrrev_b32_e32 v9, 3, v0
	s_barrier
	buffer_gl0_inv
	v_cmp_gt_u32_e32 vcc_lo, 16, v1
	v_cndmask_b32_e64 v2, 0, 1, vcc_lo
	v_cmp_gt_u32_e32 vcc_lo, 24, v1
	s_delay_alu instid0(VALU_DEP_2) | instskip(SKIP_1) | instid1(VALU_DEP_2)
	v_lshlrev_b32_e32 v2, 4, v2
	v_cndmask_b32_e64 v4, 0, 1, vcc_lo
	v_add_lshl_u32 v3, v2, v1, 2
	s_delay_alu instid0(VALU_DEP_2)
	v_lshlrev_b32_e32 v4, 3, v4
	ds_bpermute_b32 v2, v3, v5
	v_add_lshl_u32 v4, v4, v1, 2
	s_waitcnt lgkmcnt(0)
	v_cmp_lt_f32_e32 vcc_lo, v5, v2
	v_cndmask_b32_e32 v2, v5, v2, vcc_lo
	v_cmp_gt_u32_e32 vcc_lo, 28, v1
	v_cndmask_b32_e64 v5, 0, 1, vcc_lo
	s_delay_alu instid0(VALU_DEP_1)
	v_lshlrev_b32_e32 v5, 2, v5
	ds_bpermute_b32 v6, v4, v2
	v_add_lshl_u32 v5, v5, v1, 2
	s_waitcnt lgkmcnt(0)
	v_cmp_lt_f32_e32 vcc_lo, v2, v6
	v_cndmask_b32_e32 v2, v2, v6, vcc_lo
	v_cmp_gt_u32_e32 vcc_lo, 30, v1
	ds_bpermute_b32 v7, v5, v2
	v_cndmask_b32_e64 v6, 0, 1, vcc_lo
	s_delay_alu instid0(VALU_DEP_1) | instskip(NEXT) | instid1(VALU_DEP_1)
	v_lshlrev_b32_e32 v6, 1, v6
	v_add_lshl_u32 v6, v6, v1, 2
	s_waitcnt lgkmcnt(0)
	v_cmp_lt_f32_e32 vcc_lo, v2, v7
	v_cndmask_b32_e32 v2, v2, v7, vcc_lo
	v_cmp_ne_u32_e32 vcc_lo, 31, v1
	ds_bpermute_b32 v7, v6, v2
	v_add_co_ci_u32_e32 v8, vcc_lo, 0, v1, vcc_lo
	s_waitcnt lgkmcnt(0)
	v_cmp_lt_f32_e32 vcc_lo, v2, v7
	v_cndmask_b32_e32 v1, v2, v7, vcc_lo
	s_delay_alu instid0(VALU_DEP_3) | instskip(SKIP_3) | instid1(VALU_DEP_1)
	v_lshlrev_b32_e32 v7, 2, v8
	v_and_b32_e32 v2, 31, v0
	ds_bpermute_b32 v8, v7, v1
	v_cmp_eq_u32_e64 s2, 0, v2
	s_and_saveexec_b32 s3, s2
	s_cbranch_execz .LBB431_15
; %bb.14:
	s_waitcnt lgkmcnt(0)
	v_cmp_lt_f32_e32 vcc_lo, v1, v8
	v_dual_cndmask_b32 v1, v1, v8 :: v_dual_add_nc_u32 v10, 0, v9
	ds_store_b32 v10, v1
.LBB431_15:
	s_or_b32 exec_lo, exec_lo, s3
	s_waitcnt lgkmcnt(0)
	s_barrier
	buffer_gl0_inv
	s_load_b32 s5, s[0:1], 0x24
	s_add_u32 s10, s0, 24
	s_addc_u32 s11, s1, 0
	v_mov_b32_e32 v1, 0xff7fffff
	v_lshl_add_u32 v10, v2, 2, 0
	s_waitcnt lgkmcnt(0)
	s_bfe_u32 s0, s5, 0xb0005
	s_delay_alu instid0(SALU_CYCLE_1) | instskip(NEXT) | instid1(VALU_DEP_1)
	v_cmp_gt_u32_e64 s0, s0, v0
	s_and_saveexec_b32 s1, s0
	s_cbranch_execnz .LBB431_23
; %bb.16:
	s_or_b32 exec_lo, exec_lo, s1
	v_cmp_gt_u32_e64 s1, 32, v0
	s_delay_alu instid0(VALU_DEP_1)
	s_and_saveexec_b32 s3, s1
	s_cbranch_execnz .LBB431_24
.LBB431_17:
	s_or_b32 exec_lo, exec_lo, s3
	v_cmp_eq_u32_e64 s3, 0, v0
	s_delay_alu instid0(VALU_DEP_1)
	s_and_saveexec_b32 s16, s3
	s_cbranch_execz .LBB431_19
.LBB431_18:
	v_mov_b32_e32 v2, 0
	s_waitcnt lgkmcnt(0)
	ds_store_b32 v2, v1
.LBB431_19:
	s_or_b32 exec_lo, exec_lo, s16
	v_mov_b32_e32 v12, 0
	s_waitcnt lgkmcnt(0)
	s_barrier
	buffer_gl0_inv
	s_and_b32 s18, s5, 0xffff
	ds_load_b32 v8, v12
	s_and_not1_b32 vcc_lo, exec_lo, s19
	s_mov_b32 s5, 0
	s_cbranch_vccnz .LBB431_26
; %bb.20:
	s_lshl_b64 s[16:17], s[4:5], 1
	v_cmp_le_u32_e32 vcc_lo, s4, v0
	s_sub_u32 s16, s6, s16
	s_subb_u32 s17, s7, s17
	s_add_i32 s5, s4, s14
	v_mov_b32_e32 v12, 0
	v_cmp_gt_i32_e64 s4, s5, v0
	s_delay_alu instid0(VALU_DEP_1) | instskip(NEXT) | instid1(SALU_CYCLE_1)
	s_and_b32 s19, vcc_lo, s4
	s_and_saveexec_b32 s4, s19
	s_cbranch_execz .LBB431_22
; %bb.21:
	v_lshlrev_b32_e32 v1, 1, v0
	global_load_u16 v1, v1, s[16:17]
	s_waitcnt vmcnt(0)
	v_cvt_f32_f16_e32 v1, v1
	s_waitcnt lgkmcnt(0)
	s_delay_alu instid0(VALU_DEP_1) | instskip(NEXT) | instid1(VALU_DEP_1)
	v_sub_f32_e32 v1, v1, v8
	v_mul_f32_e32 v1, 0x3fb8aa3b, v1
	s_delay_alu instid0(VALU_DEP_1)
	v_exp_f32_e32 v1, v1
	s_waitcnt_depctr 0xfff
	v_add_f32_e32 v12, 0, v1
.LBB431_22:
	s_or_b32 exec_lo, exec_lo, s4
	v_sub_nc_u32_e64 v1, s5, s18 clamp
	s_lshl_b32 s4, s18, 1
	s_delay_alu instid0(SALU_CYCLE_1) | instskip(SKIP_1) | instid1(VALU_DEP_1)
	s_add_u32 s4, s16, s4
	s_addc_u32 s5, s17, 0
	v_readfirstlane_b32 s19, v1
	s_branch .LBB431_27
.LBB431_23:
	ds_load_b32 v1, v10
	s_or_b32 exec_lo, exec_lo, s1
	v_cmp_gt_u32_e64 s1, 32, v0
	s_delay_alu instid0(VALU_DEP_1)
	s_and_saveexec_b32 s3, s1
	s_cbranch_execz .LBB431_17
.LBB431_24:
	s_waitcnt lgkmcnt(0)
	ds_bpermute_b32 v2, v3, v1
	s_waitcnt lgkmcnt(0)
	v_cmp_lt_f32_e32 vcc_lo, v1, v2
	v_cndmask_b32_e32 v1, v1, v2, vcc_lo
	ds_bpermute_b32 v2, v4, v1
	s_waitcnt lgkmcnt(0)
	v_cmp_lt_f32_e32 vcc_lo, v1, v2
	v_cndmask_b32_e32 v1, v1, v2, vcc_lo
	;; [unrolled: 4-line block ×5, first 2 shown]
	s_or_b32 exec_lo, exec_lo, s3
	v_cmp_eq_u32_e64 s3, 0, v0
	s_delay_alu instid0(VALU_DEP_1)
	s_and_saveexec_b32 s16, s3
	s_cbranch_execnz .LBB431_18
	s_branch .LBB431_19
.LBB431_25:
                                        ; implicit-def: $sgpr2_sgpr3
                                        ; implicit-def: $sgpr5
                                        ; implicit-def: $vgpr5
                                        ; implicit-def: $sgpr10_sgpr11
	s_cbranch_execnz .LBB431_4
	s_branch .LBB431_5
.LBB431_26:
	s_mov_b64 s[4:5], s[6:7]
	s_mov_b32 s19, s14
.LBB431_27:
	s_load_b32 s16, s[10:11], 0x0
	v_mov_b32_e32 v1, 0
	s_waitcnt lgkmcnt(0)
	s_cmp_lt_u32 s15, s16
	s_cselect_b32 s15, 12, 18
	s_delay_alu instid0(SALU_CYCLE_1) | instskip(SKIP_4) | instid1(VALU_DEP_1)
	s_add_u32 s10, s10, s15
	s_addc_u32 s11, s11, 0
	global_load_u16 v13, v1, s[10:11]
	s_waitcnt vmcnt(0)
	v_readfirstlane_b32 s10, v13
	s_lshl_b32 s10, s10, 3
	s_delay_alu instid0(SALU_CYCLE_1) | instskip(SKIP_1) | instid1(VALU_DEP_1)
	v_cvt_f32_u32_e32 v1, s10
	s_sub_i32 s15, 0, s10
	v_rcp_iflag_f32_e32 v1, v1
	s_waitcnt_depctr 0xfff
	v_mul_f32_e32 v1, 0x4f7ffffe, v1
	s_delay_alu instid0(VALU_DEP_1) | instskip(NEXT) | instid1(VALU_DEP_1)
	v_cvt_u32_f32_e32 v1, v1
	v_readfirstlane_b32 s11, v1
	s_delay_alu instid0(VALU_DEP_1) | instskip(NEXT) | instid1(SALU_CYCLE_1)
	s_mul_i32 s15, s15, s11
	s_mul_hi_u32 s15, s11, s15
	s_delay_alu instid0(SALU_CYCLE_1) | instskip(NEXT) | instid1(SALU_CYCLE_1)
	s_add_i32 s11, s11, s15
	s_mul_hi_u32 s11, s19, s11
	s_delay_alu instid0(SALU_CYCLE_1) | instskip(NEXT) | instid1(SALU_CYCLE_1)
	s_mul_i32 s11, s11, s10
	s_sub_i32 s11, s19, s11
	s_delay_alu instid0(SALU_CYCLE_1) | instskip(SKIP_2) | instid1(SALU_CYCLE_1)
	s_sub_i32 s15, s11, s10
	s_cmp_ge_u32 s11, s10
	s_cselect_b32 s11, s15, s11
	s_sub_i32 s15, s11, s10
	s_cmp_ge_u32 s11, s10
	s_cselect_b32 s10, s15, s11
	s_mov_b32 s15, 0
	s_sub_i32 s10, s19, s10
	s_mov_b32 s11, exec_lo
	v_cmpx_gt_i32_e64 s10, v11
	s_cbranch_execz .LBB431_31
; %bb.28:
	v_mov_b32_e32 v1, v0
.LBB431_29:                             ; =>This Inner Loop Header: Depth=1
	s_delay_alu instid0(VALU_DEP_1) | instskip(NEXT) | instid1(VALU_DEP_1)
	v_ashrrev_i32_e32 v2, 31, v1
	v_lshlrev_b64 v[14:15], 4, v[1:2]
	v_add_nc_u32_e32 v1, v1, v13
	s_delay_alu instid0(VALU_DEP_2) | instskip(NEXT) | instid1(VALU_DEP_3)
	v_add_co_u32 v14, vcc_lo, s4, v14
	v_add_co_ci_u32_e32 v15, vcc_lo, s5, v15, vcc_lo
	global_load_b128 v[14:17], v[14:15], off
	s_waitcnt vmcnt(0)
	v_cvt_f32_f16_e32 v2, v14
	v_lshrrev_b32_e32 v11, 16, v14
	v_cvt_f32_f16_e32 v14, v15
	v_lshrrev_b32_e32 v15, 16, v15
	v_lshrrev_b32_e32 v18, 16, v16
	v_cvt_f32_f16_e32 v16, v16
	v_cvt_f32_f16_e32 v11, v11
	v_sub_f32_e32 v14, v14, v8
	v_cvt_f32_f16_e32 v15, v15
	v_cvt_f32_f16_e32 v18, v18
	v_lshrrev_b32_e32 v19, 16, v17
	s_delay_alu instid0(VALU_DEP_4) | instskip(SKIP_2) | instid1(VALU_DEP_3)
	v_dual_sub_f32 v11, v11, v8 :: v_dual_mul_f32 v14, 0x3fb8aa3b, v14
	v_sub_f32_e32 v2, v2, v8
	v_sub_f32_e32 v15, v15, v8
	v_mul_f32_e32 v11, 0x3fb8aa3b, v11
	s_delay_alu instid0(VALU_DEP_4) | instskip(NEXT) | instid1(VALU_DEP_2)
	v_exp_f32_e32 v14, v14
	v_dual_mul_f32 v2, 0x3fb8aa3b, v2 :: v_dual_mul_f32 v15, 0x3fb8aa3b, v15
	s_delay_alu instid0(VALU_DEP_2) | instskip(NEXT) | instid1(VALU_DEP_1)
	v_exp_f32_e32 v11, v11
	v_exp_f32_e32 v2, v2
	s_delay_alu instid0(VALU_DEP_1)
	v_exp_f32_e32 v15, v15
	s_waitcnt_depctr 0xfff
	v_add_f32_e32 v2, v12, v2
	v_cvt_f32_f16_e32 v12, v17
	v_sub_f32_e32 v17, v18, v8
	v_sub_f32_e32 v16, v16, v8
	s_delay_alu instid0(VALU_DEP_3) | instskip(NEXT) | instid1(VALU_DEP_2)
	v_dual_add_f32 v2, v2, v11 :: v_dual_sub_f32 v11, v12, v8
	v_dual_mul_f32 v17, 0x3fb8aa3b, v17 :: v_dual_mul_f32 v16, 0x3fb8aa3b, v16
	v_cvt_f32_f16_e32 v12, v19
	s_delay_alu instid0(VALU_DEP_3) | instskip(NEXT) | instid1(VALU_DEP_3)
	v_dual_add_f32 v2, v2, v14 :: v_dual_mul_f32 v11, 0x3fb8aa3b, v11
	v_exp_f32_e32 v14, v17
	s_delay_alu instid0(VALU_DEP_3) | instskip(NEXT) | instid1(VALU_DEP_2)
	v_exp_f32_e32 v16, v16
	v_sub_f32_e32 v12, v12, v8
	s_delay_alu instid0(VALU_DEP_2) | instskip(SKIP_1) | instid1(VALU_DEP_2)
	v_add_f32_e32 v2, v2, v15
	v_exp_f32_e32 v11, v11
	v_mul_f32_e32 v12, 0x3fb8aa3b, v12
	s_waitcnt_depctr 0xfff
	v_add_f32_e32 v2, v2, v16
	v_exp_f32_e32 v12, v12
	s_delay_alu instid0(VALU_DEP_1) | instskip(SKIP_1) | instid1(VALU_DEP_2)
	v_add_f32_e32 v2, v2, v14
	v_lshlrev_b32_e32 v14, 3, v1
	v_add_f32_e32 v2, v2, v11
	s_delay_alu instid0(VALU_DEP_2) | instskip(SKIP_3) | instid1(SALU_CYCLE_1)
	v_cmp_le_i32_e32 vcc_lo, s10, v14
	s_waitcnt_depctr 0xfff
	v_add_f32_e32 v12, v2, v12
	s_or_b32 s15, vcc_lo, s15
	s_and_not1_b32 exec_lo, exec_lo, s15
	s_cbranch_execnz .LBB431_29
; %bb.30:
	s_or_b32 exec_lo, exec_lo, s15
.LBB431_31:
	s_delay_alu instid0(SALU_CYCLE_1) | instskip(SKIP_2) | instid1(VALU_DEP_1)
	s_or_b32 exec_lo, exec_lo, s11
	v_add_nc_u32_e32 v1, s10, v0
	s_mov_b32 s10, exec_lo
	v_cmpx_gt_i32_e64 s19, v1
	s_cbranch_execz .LBB431_35
; %bb.32:
	s_mov_b32 s11, 0
	.p2align	6
.LBB431_33:                             ; =>This Inner Loop Header: Depth=1
	v_ashrrev_i32_e32 v2, 31, v1
	s_waitcnt_depctr 0xfff
	v_lshlrev_b64 v[14:15], 1, v[1:2]
	v_add_nc_u32_e32 v1, v1, v13
	s_delay_alu instid0(VALU_DEP_2) | instskip(NEXT) | instid1(VALU_DEP_3)
	v_add_co_u32 v14, vcc_lo, s4, v14
	v_add_co_ci_u32_e32 v15, vcc_lo, s5, v15, vcc_lo
	s_delay_alu instid0(VALU_DEP_3) | instskip(SKIP_4) | instid1(VALU_DEP_1)
	v_cmp_le_i32_e32 vcc_lo, s19, v1
	global_load_u16 v2, v[14:15], off
	s_or_b32 s11, vcc_lo, s11
	s_waitcnt vmcnt(0)
	v_cvt_f32_f16_e32 v2, v2
	v_sub_f32_e32 v2, v2, v8
	s_delay_alu instid0(VALU_DEP_1) | instskip(NEXT) | instid1(VALU_DEP_1)
	v_mul_f32_e32 v2, 0x3fb8aa3b, v2
	v_exp_f32_e32 v2, v2
	s_waitcnt_depctr 0xfff
	v_add_f32_e32 v12, v12, v2
	s_and_not1_b32 exec_lo, exec_lo, s11
	s_cbranch_execnz .LBB431_33
; %bb.34:
	s_or_b32 exec_lo, exec_lo, s11
.LBB431_35:
	s_delay_alu instid0(SALU_CYCLE_1)
	s_or_b32 exec_lo, exec_lo, s10
	ds_bpermute_b32 v1, v3, v12
	s_waitcnt lgkmcnt(0)
	s_barrier
	buffer_gl0_inv
	v_add_f32_e32 v1, v12, v1
	ds_bpermute_b32 v2, v4, v1
	s_waitcnt lgkmcnt(0)
	v_add_f32_e32 v1, v1, v2
	ds_bpermute_b32 v2, v5, v1
	s_waitcnt lgkmcnt(0)
	;; [unrolled: 3-line block ×3, first 2 shown]
	v_add_f32_e32 v1, v1, v2
	ds_bpermute_b32 v2, v7, v1
	s_and_saveexec_b32 s4, s2
	s_cbranch_execz .LBB431_37
; %bb.36:
	v_add_nc_u32_e32 v9, 0, v9
	s_waitcnt lgkmcnt(0)
	v_add_f32_e32 v1, v1, v2
	ds_store_b32 v9, v1
.LBB431_37:
	s_or_b32 exec_lo, exec_lo, s4
	v_mov_b32_e32 v1, 0
	s_waitcnt lgkmcnt(0)
	s_barrier
	buffer_gl0_inv
	s_and_saveexec_b32 s2, s0
	s_cbranch_execnz .LBB431_45
; %bb.38:
	s_or_b32 exec_lo, exec_lo, s2
	s_and_saveexec_b32 s0, s1
	s_cbranch_execnz .LBB431_46
.LBB431_39:
	s_or_b32 exec_lo, exec_lo, s0
	s_and_saveexec_b32 s0, s3
	s_cbranch_execz .LBB431_41
.LBB431_40:
	s_waitcnt lgkmcnt(0)
	v_div_scale_f32 v2, null, v1, v1, 1.0
	v_div_scale_f32 v5, vcc_lo, 1.0, v1, 1.0
	s_delay_alu instid0(VALU_DEP_2) | instskip(SKIP_2) | instid1(VALU_DEP_1)
	v_rcp_f32_e32 v3, v2
	s_waitcnt_depctr 0xfff
	v_fma_f32 v4, -v2, v3, 1.0
	v_fmac_f32_e32 v3, v4, v3
	s_delay_alu instid0(VALU_DEP_1) | instskip(NEXT) | instid1(VALU_DEP_1)
	v_mul_f32_e32 v4, v5, v3
	v_fma_f32 v6, -v2, v4, v5
	s_delay_alu instid0(VALU_DEP_1) | instskip(NEXT) | instid1(VALU_DEP_1)
	v_fmac_f32_e32 v4, v6, v3
	v_fma_f32 v2, -v2, v4, v5
	s_delay_alu instid0(VALU_DEP_1) | instskip(NEXT) | instid1(VALU_DEP_1)
	v_div_fmas_f32 v2, v2, v3, v4
	v_div_fixup_f32 v1, v2, v1, 1.0
	v_mov_b32_e32 v2, 0
	ds_store_b32 v2, v1
.LBB431_41:
	s_or_b32 exec_lo, exec_lo, s0
	s_waitcnt lgkmcnt(0)
	s_barrier
	buffer_gl0_inv
	s_mov_b32 s0, exec_lo
	v_cmpx_gt_i32_e64 s14, v0
	s_cbranch_execz .LBB431_44
; %bb.42:
	v_mov_b32_e32 v1, 0
	s_add_u32 s2, s8, s12
	s_mov_b32 s1, 0
	s_addc_u32 s3, s9, s13
	ds_load_b32 v2, v1
	.p2align	6
.LBB431_43:                             ; =>This Inner Loop Header: Depth=1
	v_ashrrev_i32_e32 v1, 31, v0
	s_delay_alu instid0(VALU_DEP_1) | instskip(SKIP_1) | instid1(VALU_DEP_2)
	v_lshlrev_b64 v[3:4], 1, v[0:1]
	v_add_nc_u32_e32 v0, s18, v0
	v_add_co_u32 v5, vcc_lo, s6, v3
	s_delay_alu instid0(VALU_DEP_3) | instskip(SKIP_1) | instid1(VALU_DEP_1)
	v_add_co_ci_u32_e32 v6, vcc_lo, s7, v4, vcc_lo
	v_add_co_u32 v3, s0, s2, v3
	v_add_co_ci_u32_e64 v4, s0, s3, v4, s0
	global_load_u16 v1, v[5:6], off
	v_cmp_le_i32_e32 vcc_lo, s14, v0
	s_or_b32 s1, vcc_lo, s1
	s_waitcnt vmcnt(0)
	v_cvt_f32_f16_e32 v1, v1
	s_delay_alu instid0(VALU_DEP_1) | instskip(NEXT) | instid1(VALU_DEP_1)
	v_sub_f32_e32 v1, v1, v8
	v_mul_f32_e32 v1, 0x3fb8aa3b, v1
	s_delay_alu instid0(VALU_DEP_1)
	v_exp_f32_e32 v1, v1
	s_waitcnt lgkmcnt(0)
	s_waitcnt_depctr 0xfff
	v_fma_mixlo_f16 v1, v2, v1, 0
	global_store_b16 v[3:4], v1, off
	s_and_not1_b32 exec_lo, exec_lo, s1
	s_cbranch_execnz .LBB431_43
.LBB431_44:
	s_nop 0
	s_sendmsg sendmsg(MSG_DEALLOC_VGPRS)
	s_endpgm
.LBB431_45:
	ds_load_b32 v1, v10
	s_or_b32 exec_lo, exec_lo, s2
	s_and_saveexec_b32 s0, s1
	s_cbranch_execz .LBB431_39
.LBB431_46:
	s_waitcnt lgkmcnt(0)
	ds_bpermute_b32 v2, v3, v1
	s_waitcnt lgkmcnt(0)
	v_add_f32_e32 v1, v1, v2
	ds_bpermute_b32 v2, v4, v1
	s_waitcnt lgkmcnt(0)
	v_add_f32_e32 v1, v1, v2
	;; [unrolled: 3-line block ×5, first 2 shown]
	s_or_b32 exec_lo, exec_lo, s0
	s_and_saveexec_b32 s0, s3
	s_cbranch_execnz .LBB431_40
	s_branch .LBB431_41
	.section	.rodata,"a",@progbits
	.p2align	6, 0x0
	.amdhsa_kernel _ZN2at6native12_GLOBAL__N_123cunn_SoftMaxForwardFastILi8EN3c104HalfEfS4_NS1_29SoftMaxForwardWithMulEpilogueEEEvPT2_PKT0_i
		.amdhsa_group_segment_fixed_size 0
		.amdhsa_private_segment_fixed_size 0
		.amdhsa_kernarg_size 280
		.amdhsa_user_sgpr_count 15
		.amdhsa_user_sgpr_dispatch_ptr 0
		.amdhsa_user_sgpr_queue_ptr 0
		.amdhsa_user_sgpr_kernarg_segment_ptr 1
		.amdhsa_user_sgpr_dispatch_id 0
		.amdhsa_user_sgpr_private_segment_size 0
		.amdhsa_wavefront_size32 1
		.amdhsa_uses_dynamic_stack 0
		.amdhsa_enable_private_segment 0
		.amdhsa_system_sgpr_workgroup_id_x 1
		.amdhsa_system_sgpr_workgroup_id_y 0
		.amdhsa_system_sgpr_workgroup_id_z 0
		.amdhsa_system_sgpr_workgroup_info 0
		.amdhsa_system_vgpr_workitem_id 0
		.amdhsa_next_free_vgpr 20
		.amdhsa_next_free_sgpr 20
		.amdhsa_reserve_vcc 1
		.amdhsa_float_round_mode_32 0
		.amdhsa_float_round_mode_16_64 0
		.amdhsa_float_denorm_mode_32 3
		.amdhsa_float_denorm_mode_16_64 3
		.amdhsa_dx10_clamp 1
		.amdhsa_ieee_mode 1
		.amdhsa_fp16_overflow 0
		.amdhsa_workgroup_processor_mode 1
		.amdhsa_memory_ordered 1
		.amdhsa_forward_progress 0
		.amdhsa_shared_vgpr_count 0
		.amdhsa_exception_fp_ieee_invalid_op 0
		.amdhsa_exception_fp_denorm_src 0
		.amdhsa_exception_fp_ieee_div_zero 0
		.amdhsa_exception_fp_ieee_overflow 0
		.amdhsa_exception_fp_ieee_underflow 0
		.amdhsa_exception_fp_ieee_inexact 0
		.amdhsa_exception_int_div_zero 0
	.end_amdhsa_kernel
	.section	.text._ZN2at6native12_GLOBAL__N_123cunn_SoftMaxForwardFastILi8EN3c104HalfEfS4_NS1_29SoftMaxForwardWithMulEpilogueEEEvPT2_PKT0_i,"axG",@progbits,_ZN2at6native12_GLOBAL__N_123cunn_SoftMaxForwardFastILi8EN3c104HalfEfS4_NS1_29SoftMaxForwardWithMulEpilogueEEEvPT2_PKT0_i,comdat
.Lfunc_end431:
	.size	_ZN2at6native12_GLOBAL__N_123cunn_SoftMaxForwardFastILi8EN3c104HalfEfS4_NS1_29SoftMaxForwardWithMulEpilogueEEEvPT2_PKT0_i, .Lfunc_end431-_ZN2at6native12_GLOBAL__N_123cunn_SoftMaxForwardFastILi8EN3c104HalfEfS4_NS1_29SoftMaxForwardWithMulEpilogueEEEvPT2_PKT0_i
                                        ; -- End function
	.section	.AMDGPU.csdata,"",@progbits
; Kernel info:
; codeLenInByte = 2816
; NumSgprs: 22
; NumVgprs: 20
; ScratchSize: 0
; MemoryBound: 0
; FloatMode: 240
; IeeeMode: 1
; LDSByteSize: 0 bytes/workgroup (compile time only)
; SGPRBlocks: 2
; VGPRBlocks: 2
; NumSGPRsForWavesPerEU: 22
; NumVGPRsForWavesPerEU: 20
; Occupancy: 16
; WaveLimiterHint : 0
; COMPUTE_PGM_RSRC2:SCRATCH_EN: 0
; COMPUTE_PGM_RSRC2:USER_SGPR: 15
; COMPUTE_PGM_RSRC2:TRAP_HANDLER: 0
; COMPUTE_PGM_RSRC2:TGID_X_EN: 1
; COMPUTE_PGM_RSRC2:TGID_Y_EN: 0
; COMPUTE_PGM_RSRC2:TGID_Z_EN: 0
; COMPUTE_PGM_RSRC2:TIDIG_COMP_CNT: 0
	.section	.text._ZN12_GLOBAL__N_120softmax_warp_forwardIN3c104HalfEffLi0ELb0ELb0ELi64EEEvPT0_PKT_iiiPKbib,"axG",@progbits,_ZN12_GLOBAL__N_120softmax_warp_forwardIN3c104HalfEffLi0ELb0ELb0ELi64EEEvPT0_PKT_iiiPKbib,comdat
	.globl	_ZN12_GLOBAL__N_120softmax_warp_forwardIN3c104HalfEffLi0ELb0ELb0ELi64EEEvPT0_PKT_iiiPKbib ; -- Begin function _ZN12_GLOBAL__N_120softmax_warp_forwardIN3c104HalfEffLi0ELb0ELb0ELi64EEEvPT0_PKT_iiiPKbib
	.p2align	8
	.type	_ZN12_GLOBAL__N_120softmax_warp_forwardIN3c104HalfEffLi0ELb0ELb0ELi64EEEvPT0_PKT_iiiPKbib,@function
_ZN12_GLOBAL__N_120softmax_warp_forwardIN3c104HalfEffLi0ELb0ELb0ELi64EEEvPT0_PKT_iiiPKbib: ; @_ZN12_GLOBAL__N_120softmax_warp_forwardIN3c104HalfEffLi0ELb0ELb0ELi64EEEvPT0_PKT_iiiPKbib
; %bb.0:
	s_clause 0x1
	s_load_b32 s2, s[0:1], 0x3c
	s_load_b256 s[4:11], s[0:1], 0x0
	v_bfe_u32 v1, v0, 10, 10
	v_and_b32_e32 v2, 0x3ff, v0
	v_mov_b32_e32 v5, 0xff800000
	s_waitcnt lgkmcnt(0)
	s_lshr_b32 s0, s2, 16
	s_delay_alu instid0(SALU_CYCLE_1) | instskip(SKIP_2) | instid1(VALU_DEP_1)
	s_mul_i32 s15, s15, s0
	v_cmp_gt_i32_e64 s0, s10, v2
	v_add_lshl_u32 v3, s15, v1, 1
	v_mad_u64_u32 v[0:1], null, v3, s9, v[2:3]
	v_sub_nc_u32_e32 v4, s8, v3
	s_delay_alu instid0(VALU_DEP_1) | instskip(NEXT) | instid1(VALU_DEP_3)
	v_cmp_lt_i32_e32 vcc_lo, 0, v4
	v_ashrrev_i32_e32 v1, 31, v0
	s_and_b32 s2, s0, vcc_lo
	s_delay_alu instid0(VALU_DEP_1) | instskip(NEXT) | instid1(VALU_DEP_1)
	v_lshlrev_b64 v[6:7], 1, v[0:1]
	v_add_co_u32 v2, s1, s6, v6
	v_mov_b32_e32 v6, 0xff800000
	s_delay_alu instid0(VALU_DEP_3)
	v_add_co_ci_u32_e64 v3, s1, s7, v7, s1
	s_and_saveexec_b32 s1, s2
	s_cbranch_execz .LBB432_2
; %bb.1:
	global_load_u16 v6, v[2:3], off
	s_waitcnt vmcnt(0)
	v_cvt_f32_f16_e32 v6, v6
.LBB432_2:
	s_or_b32 exec_lo, exec_lo, s1
	v_cmp_lt_i32_e64 s1, 1, v4
	s_delay_alu instid0(VALU_DEP_1) | instskip(NEXT) | instid1(SALU_CYCLE_1)
	s_and_b32 s1, s0, s1
	s_and_saveexec_b32 s2, s1
	s_cbranch_execz .LBB432_4
; %bb.3:
	s_mov_b32 s11, 0
	s_delay_alu instid0(SALU_CYCLE_1) | instskip(NEXT) | instid1(SALU_CYCLE_1)
	s_lshl_b64 s[6:7], s[10:11], 1
	v_add_co_u32 v2, s1, v2, s6
	s_delay_alu instid0(VALU_DEP_1)
	v_add_co_ci_u32_e64 v3, s1, s7, v3, s1
	global_load_u16 v2, v[2:3], off
	s_waitcnt vmcnt(0)
	v_cvt_f32_f16_e32 v5, v2
.LBB432_4:
	s_or_b32 exec_lo, exec_lo, s2
	s_and_saveexec_b32 s1, vcc_lo
	s_cbranch_execz .LBB432_10
; %bb.5:
	v_lshlrev_b64 v[0:1], 2, v[0:1]
	s_delay_alu instid0(VALU_DEP_1) | instskip(NEXT) | instid1(VALU_DEP_2)
	v_add_co_u32 v0, vcc_lo, s4, v0
	v_add_co_ci_u32_e32 v1, vcc_lo, s5, v1, vcc_lo
	s_and_saveexec_b32 s1, s0
	s_cbranch_execz .LBB432_7
; %bb.6:
	v_sub_f32_e32 v2, v6, v6
	s_delay_alu instid0(VALU_DEP_1) | instskip(NEXT) | instid1(VALU_DEP_1)
	v_mul_f32_e32 v3, 0x3fb8aa3b, v2
	v_rndne_f32_e32 v6, v3
	v_fma_f32 v7, 0x3fb8aa3b, v2, -v3
	s_delay_alu instid0(VALU_DEP_2) | instskip(NEXT) | instid1(VALU_DEP_2)
	v_sub_f32_e32 v3, v3, v6
	v_fmamk_f32 v7, v2, 0x32a5705f, v7
	v_cvt_i32_f32_e32 v6, v6
	s_delay_alu instid0(VALU_DEP_2) | instskip(SKIP_1) | instid1(VALU_DEP_2)
	v_add_f32_e32 v3, v3, v7
	v_cmp_ngt_f32_e32 vcc_lo, 0xc2ce8ed0, v2
	v_exp_f32_e32 v3, v3
	s_waitcnt_depctr 0xfff
	v_ldexp_f32 v3, v3, v6
	s_delay_alu instid0(VALU_DEP_1) | instskip(SKIP_1) | instid1(VALU_DEP_2)
	v_cndmask_b32_e32 v3, 0, v3, vcc_lo
	v_cmp_nlt_f32_e32 vcc_lo, 0x42b17218, v2
	v_cndmask_b32_e32 v2, 0x7f800000, v3, vcc_lo
	s_delay_alu instid0(VALU_DEP_1) | instskip(NEXT) | instid1(VALU_DEP_1)
	v_div_scale_f32 v3, vcc_lo, v2, v2, v2
	v_rcp_f32_e32 v6, v3
	s_waitcnt_depctr 0xfff
	v_fma_f32 v7, -v3, v6, 1.0
	s_delay_alu instid0(VALU_DEP_1) | instskip(NEXT) | instid1(VALU_DEP_1)
	v_fmac_f32_e32 v6, v7, v6
	v_mul_f32_e32 v7, v3, v6
	s_delay_alu instid0(VALU_DEP_1) | instskip(NEXT) | instid1(VALU_DEP_1)
	v_fma_f32 v8, -v3, v7, v3
	v_fmac_f32_e32 v7, v8, v6
	s_delay_alu instid0(VALU_DEP_1) | instskip(NEXT) | instid1(VALU_DEP_1)
	v_fma_f32 v3, -v3, v7, v3
	v_div_fmas_f32 v3, v3, v6, v7
	v_cmp_neq_f32_e32 vcc_lo, 0, v2
	s_delay_alu instid0(VALU_DEP_2) | instskip(NEXT) | instid1(VALU_DEP_1)
	v_div_fixup_f32 v3, v3, v2, v2
	v_cndmask_b32_e32 v2, 0x7fc00000, v3, vcc_lo
	global_store_b32 v[0:1], v2, off
.LBB432_7:
	s_or_b32 exec_lo, exec_lo, s1
	v_cmp_ne_u32_e32 vcc_lo, 1, v4
	s_and_b32 exec_lo, exec_lo, vcc_lo
	s_cbranch_execz .LBB432_10
; %bb.8:
	s_and_b32 exec_lo, exec_lo, s0
	s_cbranch_execz .LBB432_10
; %bb.9:
	v_sub_f32_e32 v2, v5, v5
	s_mov_b32 s11, 0
	s_delay_alu instid0(SALU_CYCLE_1) | instskip(NEXT) | instid1(VALU_DEP_1)
	s_lshl_b64 s[0:1], s[10:11], 2
	v_mul_f32_e32 v3, 0x3fb8aa3b, v2
	s_delay_alu instid0(VALU_DEP_1) | instskip(SKIP_1) | instid1(VALU_DEP_2)
	v_rndne_f32_e32 v4, v3
	v_fma_f32 v5, 0x3fb8aa3b, v2, -v3
	v_sub_f32_e32 v3, v3, v4
	s_delay_alu instid0(VALU_DEP_2) | instskip(SKIP_2) | instid1(VALU_DEP_3)
	v_fmamk_f32 v5, v2, 0x32a5705f, v5
	v_cvt_i32_f32_e32 v4, v4
	v_cmp_ngt_f32_e32 vcc_lo, 0xc2ce8ed0, v2
	v_add_f32_e32 v3, v3, v5
	s_delay_alu instid0(VALU_DEP_1) | instskip(SKIP_2) | instid1(VALU_DEP_1)
	v_exp_f32_e32 v3, v3
	s_waitcnt_depctr 0xfff
	v_ldexp_f32 v3, v3, v4
	v_cndmask_b32_e32 v3, 0, v3, vcc_lo
	v_cmp_nlt_f32_e32 vcc_lo, 0x42b17218, v2
	s_delay_alu instid0(VALU_DEP_2) | instskip(NEXT) | instid1(VALU_DEP_1)
	v_cndmask_b32_e32 v2, 0x7f800000, v3, vcc_lo
	v_div_scale_f32 v3, vcc_lo, v2, v2, v2
	s_delay_alu instid0(VALU_DEP_1) | instskip(SKIP_2) | instid1(VALU_DEP_1)
	v_rcp_f32_e32 v4, v3
	s_waitcnt_depctr 0xfff
	v_fma_f32 v5, -v3, v4, 1.0
	v_fmac_f32_e32 v4, v5, v4
	s_delay_alu instid0(VALU_DEP_1) | instskip(NEXT) | instid1(VALU_DEP_1)
	v_mul_f32_e32 v5, v3, v4
	v_fma_f32 v6, -v3, v5, v3
	s_delay_alu instid0(VALU_DEP_1) | instskip(NEXT) | instid1(VALU_DEP_1)
	v_fmac_f32_e32 v5, v6, v4
	v_fma_f32 v3, -v3, v5, v3
	s_delay_alu instid0(VALU_DEP_1) | instskip(SKIP_2) | instid1(VALU_DEP_3)
	v_div_fmas_f32 v3, v3, v4, v5
	v_add_co_u32 v0, vcc_lo, v0, s0
	v_add_co_ci_u32_e32 v1, vcc_lo, s1, v1, vcc_lo
	v_div_fixup_f32 v3, v3, v2, v2
	v_cmp_neq_f32_e32 vcc_lo, 0, v2
	s_delay_alu instid0(VALU_DEP_2)
	v_cndmask_b32_e32 v2, 0x7fc00000, v3, vcc_lo
	global_store_b32 v[0:1], v2, off
.LBB432_10:
	s_nop 0
	s_sendmsg sendmsg(MSG_DEALLOC_VGPRS)
	s_endpgm
	.section	.rodata,"a",@progbits
	.p2align	6, 0x0
	.amdhsa_kernel _ZN12_GLOBAL__N_120softmax_warp_forwardIN3c104HalfEffLi0ELb0ELb0ELi64EEEvPT0_PKT_iiiPKbib
		.amdhsa_group_segment_fixed_size 0
		.amdhsa_private_segment_fixed_size 0
		.amdhsa_kernarg_size 304
		.amdhsa_user_sgpr_count 15
		.amdhsa_user_sgpr_dispatch_ptr 0
		.amdhsa_user_sgpr_queue_ptr 0
		.amdhsa_user_sgpr_kernarg_segment_ptr 1
		.amdhsa_user_sgpr_dispatch_id 0
		.amdhsa_user_sgpr_private_segment_size 0
		.amdhsa_wavefront_size32 1
		.amdhsa_uses_dynamic_stack 0
		.amdhsa_enable_private_segment 0
		.amdhsa_system_sgpr_workgroup_id_x 1
		.amdhsa_system_sgpr_workgroup_id_y 0
		.amdhsa_system_sgpr_workgroup_id_z 0
		.amdhsa_system_sgpr_workgroup_info 0
		.amdhsa_system_vgpr_workitem_id 1
		.amdhsa_next_free_vgpr 9
		.amdhsa_next_free_sgpr 16
		.amdhsa_reserve_vcc 1
		.amdhsa_float_round_mode_32 0
		.amdhsa_float_round_mode_16_64 0
		.amdhsa_float_denorm_mode_32 3
		.amdhsa_float_denorm_mode_16_64 3
		.amdhsa_dx10_clamp 1
		.amdhsa_ieee_mode 1
		.amdhsa_fp16_overflow 0
		.amdhsa_workgroup_processor_mode 1
		.amdhsa_memory_ordered 1
		.amdhsa_forward_progress 0
		.amdhsa_shared_vgpr_count 0
		.amdhsa_exception_fp_ieee_invalid_op 0
		.amdhsa_exception_fp_denorm_src 0
		.amdhsa_exception_fp_ieee_div_zero 0
		.amdhsa_exception_fp_ieee_overflow 0
		.amdhsa_exception_fp_ieee_underflow 0
		.amdhsa_exception_fp_ieee_inexact 0
		.amdhsa_exception_int_div_zero 0
	.end_amdhsa_kernel
	.section	.text._ZN12_GLOBAL__N_120softmax_warp_forwardIN3c104HalfEffLi0ELb0ELb0ELi64EEEvPT0_PKT_iiiPKbib,"axG",@progbits,_ZN12_GLOBAL__N_120softmax_warp_forwardIN3c104HalfEffLi0ELb0ELb0ELi64EEEvPT0_PKT_iiiPKbib,comdat
.Lfunc_end432:
	.size	_ZN12_GLOBAL__N_120softmax_warp_forwardIN3c104HalfEffLi0ELb0ELb0ELi64EEEvPT0_PKT_iiiPKbib, .Lfunc_end432-_ZN12_GLOBAL__N_120softmax_warp_forwardIN3c104HalfEffLi0ELb0ELb0ELi64EEEvPT0_PKT_iiiPKbib
                                        ; -- End function
	.section	.AMDGPU.csdata,"",@progbits
; Kernel info:
; codeLenInByte = 780
; NumSgprs: 18
; NumVgprs: 9
; ScratchSize: 0
; MemoryBound: 0
; FloatMode: 240
; IeeeMode: 1
; LDSByteSize: 0 bytes/workgroup (compile time only)
; SGPRBlocks: 2
; VGPRBlocks: 1
; NumSGPRsForWavesPerEU: 18
; NumVGPRsForWavesPerEU: 9
; Occupancy: 16
; WaveLimiterHint : 0
; COMPUTE_PGM_RSRC2:SCRATCH_EN: 0
; COMPUTE_PGM_RSRC2:USER_SGPR: 15
; COMPUTE_PGM_RSRC2:TRAP_HANDLER: 0
; COMPUTE_PGM_RSRC2:TGID_X_EN: 1
; COMPUTE_PGM_RSRC2:TGID_Y_EN: 0
; COMPUTE_PGM_RSRC2:TGID_Z_EN: 0
; COMPUTE_PGM_RSRC2:TIDIG_COMP_CNT: 1
	.section	.text._ZN12_GLOBAL__N_120softmax_warp_forwardIN3c104HalfEffLi0ELb0ELb0ELi32EEEvPT0_PKT_iiiPKbib,"axG",@progbits,_ZN12_GLOBAL__N_120softmax_warp_forwardIN3c104HalfEffLi0ELb0ELb0ELi32EEEvPT0_PKT_iiiPKbib,comdat
	.globl	_ZN12_GLOBAL__N_120softmax_warp_forwardIN3c104HalfEffLi0ELb0ELb0ELi32EEEvPT0_PKT_iiiPKbib ; -- Begin function _ZN12_GLOBAL__N_120softmax_warp_forwardIN3c104HalfEffLi0ELb0ELb0ELi32EEEvPT0_PKT_iiiPKbib
	.p2align	8
	.type	_ZN12_GLOBAL__N_120softmax_warp_forwardIN3c104HalfEffLi0ELb0ELb0ELi32EEEvPT0_PKT_iiiPKbib,@function
_ZN12_GLOBAL__N_120softmax_warp_forwardIN3c104HalfEffLi0ELb0ELb0ELi32EEEvPT0_PKT_iiiPKbib: ; @_ZN12_GLOBAL__N_120softmax_warp_forwardIN3c104HalfEffLi0ELb0ELb0ELi32EEEvPT0_PKT_iiiPKbib
; %bb.0:
	s_clause 0x1
	s_load_b32 s2, s[0:1], 0x3c
	s_load_b256 s[4:11], s[0:1], 0x0
	v_bfe_u32 v1, v0, 10, 10
	v_and_b32_e32 v2, 0x3ff, v0
	v_mov_b32_e32 v5, 0xff800000
	s_waitcnt lgkmcnt(0)
	s_lshr_b32 s0, s2, 16
	s_delay_alu instid0(SALU_CYCLE_1) | instskip(SKIP_2) | instid1(VALU_DEP_1)
	s_mul_i32 s15, s15, s0
	v_cmp_gt_i32_e64 s0, s10, v2
	v_add_lshl_u32 v3, s15, v1, 1
	v_mad_u64_u32 v[0:1], null, v3, s9, v[2:3]
	v_sub_nc_u32_e32 v4, s8, v3
	s_delay_alu instid0(VALU_DEP_1) | instskip(NEXT) | instid1(VALU_DEP_3)
	v_cmp_lt_i32_e32 vcc_lo, 0, v4
	v_ashrrev_i32_e32 v1, 31, v0
	s_and_b32 s2, s0, vcc_lo
	s_delay_alu instid0(VALU_DEP_1) | instskip(NEXT) | instid1(VALU_DEP_1)
	v_lshlrev_b64 v[6:7], 1, v[0:1]
	v_add_co_u32 v2, s1, s6, v6
	v_mov_b32_e32 v6, 0xff800000
	s_delay_alu instid0(VALU_DEP_3)
	v_add_co_ci_u32_e64 v3, s1, s7, v7, s1
	s_and_saveexec_b32 s1, s2
	s_cbranch_execz .LBB433_2
; %bb.1:
	global_load_u16 v6, v[2:3], off
	s_waitcnt vmcnt(0)
	v_cvt_f32_f16_e32 v6, v6
.LBB433_2:
	s_or_b32 exec_lo, exec_lo, s1
	v_cmp_lt_i32_e64 s1, 1, v4
	s_delay_alu instid0(VALU_DEP_1) | instskip(NEXT) | instid1(SALU_CYCLE_1)
	s_and_b32 s1, s0, s1
	s_and_saveexec_b32 s2, s1
	s_cbranch_execz .LBB433_4
; %bb.3:
	s_mov_b32 s11, 0
	s_delay_alu instid0(SALU_CYCLE_1) | instskip(NEXT) | instid1(SALU_CYCLE_1)
	s_lshl_b64 s[6:7], s[10:11], 1
	v_add_co_u32 v2, s1, v2, s6
	s_delay_alu instid0(VALU_DEP_1)
	v_add_co_ci_u32_e64 v3, s1, s7, v3, s1
	global_load_u16 v2, v[2:3], off
	s_waitcnt vmcnt(0)
	v_cvt_f32_f16_e32 v5, v2
.LBB433_4:
	s_or_b32 exec_lo, exec_lo, s2
	s_and_saveexec_b32 s1, vcc_lo
	s_cbranch_execz .LBB433_10
; %bb.5:
	v_lshlrev_b64 v[0:1], 2, v[0:1]
	s_delay_alu instid0(VALU_DEP_1) | instskip(NEXT) | instid1(VALU_DEP_2)
	v_add_co_u32 v0, vcc_lo, s4, v0
	v_add_co_ci_u32_e32 v1, vcc_lo, s5, v1, vcc_lo
	s_and_saveexec_b32 s1, s0
	s_cbranch_execz .LBB433_7
; %bb.6:
	v_sub_f32_e32 v2, v6, v6
	s_delay_alu instid0(VALU_DEP_1) | instskip(NEXT) | instid1(VALU_DEP_1)
	v_mul_f32_e32 v3, 0x3fb8aa3b, v2
	v_rndne_f32_e32 v6, v3
	v_fma_f32 v7, 0x3fb8aa3b, v2, -v3
	s_delay_alu instid0(VALU_DEP_2) | instskip(NEXT) | instid1(VALU_DEP_2)
	v_sub_f32_e32 v3, v3, v6
	v_fmamk_f32 v7, v2, 0x32a5705f, v7
	v_cvt_i32_f32_e32 v6, v6
	s_delay_alu instid0(VALU_DEP_2) | instskip(SKIP_1) | instid1(VALU_DEP_2)
	v_add_f32_e32 v3, v3, v7
	v_cmp_ngt_f32_e32 vcc_lo, 0xc2ce8ed0, v2
	v_exp_f32_e32 v3, v3
	s_waitcnt_depctr 0xfff
	v_ldexp_f32 v3, v3, v6
	s_delay_alu instid0(VALU_DEP_1) | instskip(SKIP_1) | instid1(VALU_DEP_2)
	v_cndmask_b32_e32 v3, 0, v3, vcc_lo
	v_cmp_nlt_f32_e32 vcc_lo, 0x42b17218, v2
	v_cndmask_b32_e32 v2, 0x7f800000, v3, vcc_lo
	s_delay_alu instid0(VALU_DEP_1) | instskip(NEXT) | instid1(VALU_DEP_1)
	v_div_scale_f32 v3, vcc_lo, v2, v2, v2
	v_rcp_f32_e32 v6, v3
	s_waitcnt_depctr 0xfff
	v_fma_f32 v7, -v3, v6, 1.0
	s_delay_alu instid0(VALU_DEP_1) | instskip(NEXT) | instid1(VALU_DEP_1)
	v_fmac_f32_e32 v6, v7, v6
	v_mul_f32_e32 v7, v3, v6
	s_delay_alu instid0(VALU_DEP_1) | instskip(NEXT) | instid1(VALU_DEP_1)
	v_fma_f32 v8, -v3, v7, v3
	v_fmac_f32_e32 v7, v8, v6
	s_delay_alu instid0(VALU_DEP_1) | instskip(NEXT) | instid1(VALU_DEP_1)
	v_fma_f32 v3, -v3, v7, v3
	v_div_fmas_f32 v3, v3, v6, v7
	v_cmp_neq_f32_e32 vcc_lo, 0, v2
	s_delay_alu instid0(VALU_DEP_2) | instskip(NEXT) | instid1(VALU_DEP_1)
	v_div_fixup_f32 v3, v3, v2, v2
	v_cndmask_b32_e32 v2, 0x7fc00000, v3, vcc_lo
	global_store_b32 v[0:1], v2, off
.LBB433_7:
	s_or_b32 exec_lo, exec_lo, s1
	v_cmp_ne_u32_e32 vcc_lo, 1, v4
	s_and_b32 exec_lo, exec_lo, vcc_lo
	s_cbranch_execz .LBB433_10
; %bb.8:
	s_and_b32 exec_lo, exec_lo, s0
	s_cbranch_execz .LBB433_10
; %bb.9:
	v_sub_f32_e32 v2, v5, v5
	s_mov_b32 s11, 0
	s_delay_alu instid0(SALU_CYCLE_1) | instskip(NEXT) | instid1(VALU_DEP_1)
	s_lshl_b64 s[0:1], s[10:11], 2
	v_mul_f32_e32 v3, 0x3fb8aa3b, v2
	s_delay_alu instid0(VALU_DEP_1) | instskip(SKIP_1) | instid1(VALU_DEP_2)
	v_rndne_f32_e32 v4, v3
	v_fma_f32 v5, 0x3fb8aa3b, v2, -v3
	v_sub_f32_e32 v3, v3, v4
	s_delay_alu instid0(VALU_DEP_2) | instskip(SKIP_2) | instid1(VALU_DEP_3)
	v_fmamk_f32 v5, v2, 0x32a5705f, v5
	v_cvt_i32_f32_e32 v4, v4
	v_cmp_ngt_f32_e32 vcc_lo, 0xc2ce8ed0, v2
	v_add_f32_e32 v3, v3, v5
	s_delay_alu instid0(VALU_DEP_1) | instskip(SKIP_2) | instid1(VALU_DEP_1)
	v_exp_f32_e32 v3, v3
	s_waitcnt_depctr 0xfff
	v_ldexp_f32 v3, v3, v4
	v_cndmask_b32_e32 v3, 0, v3, vcc_lo
	v_cmp_nlt_f32_e32 vcc_lo, 0x42b17218, v2
	s_delay_alu instid0(VALU_DEP_2) | instskip(NEXT) | instid1(VALU_DEP_1)
	v_cndmask_b32_e32 v2, 0x7f800000, v3, vcc_lo
	v_div_scale_f32 v3, vcc_lo, v2, v2, v2
	s_delay_alu instid0(VALU_DEP_1) | instskip(SKIP_2) | instid1(VALU_DEP_1)
	v_rcp_f32_e32 v4, v3
	s_waitcnt_depctr 0xfff
	v_fma_f32 v5, -v3, v4, 1.0
	v_fmac_f32_e32 v4, v5, v4
	s_delay_alu instid0(VALU_DEP_1) | instskip(NEXT) | instid1(VALU_DEP_1)
	v_mul_f32_e32 v5, v3, v4
	v_fma_f32 v6, -v3, v5, v3
	s_delay_alu instid0(VALU_DEP_1) | instskip(NEXT) | instid1(VALU_DEP_1)
	v_fmac_f32_e32 v5, v6, v4
	v_fma_f32 v3, -v3, v5, v3
	s_delay_alu instid0(VALU_DEP_1) | instskip(SKIP_2) | instid1(VALU_DEP_3)
	v_div_fmas_f32 v3, v3, v4, v5
	v_add_co_u32 v0, vcc_lo, v0, s0
	v_add_co_ci_u32_e32 v1, vcc_lo, s1, v1, vcc_lo
	v_div_fixup_f32 v3, v3, v2, v2
	v_cmp_neq_f32_e32 vcc_lo, 0, v2
	s_delay_alu instid0(VALU_DEP_2)
	v_cndmask_b32_e32 v2, 0x7fc00000, v3, vcc_lo
	global_store_b32 v[0:1], v2, off
.LBB433_10:
	s_nop 0
	s_sendmsg sendmsg(MSG_DEALLOC_VGPRS)
	s_endpgm
	.section	.rodata,"a",@progbits
	.p2align	6, 0x0
	.amdhsa_kernel _ZN12_GLOBAL__N_120softmax_warp_forwardIN3c104HalfEffLi0ELb0ELb0ELi32EEEvPT0_PKT_iiiPKbib
		.amdhsa_group_segment_fixed_size 0
		.amdhsa_private_segment_fixed_size 0
		.amdhsa_kernarg_size 304
		.amdhsa_user_sgpr_count 15
		.amdhsa_user_sgpr_dispatch_ptr 0
		.amdhsa_user_sgpr_queue_ptr 0
		.amdhsa_user_sgpr_kernarg_segment_ptr 1
		.amdhsa_user_sgpr_dispatch_id 0
		.amdhsa_user_sgpr_private_segment_size 0
		.amdhsa_wavefront_size32 1
		.amdhsa_uses_dynamic_stack 0
		.amdhsa_enable_private_segment 0
		.amdhsa_system_sgpr_workgroup_id_x 1
		.amdhsa_system_sgpr_workgroup_id_y 0
		.amdhsa_system_sgpr_workgroup_id_z 0
		.amdhsa_system_sgpr_workgroup_info 0
		.amdhsa_system_vgpr_workitem_id 1
		.amdhsa_next_free_vgpr 9
		.amdhsa_next_free_sgpr 16
		.amdhsa_reserve_vcc 1
		.amdhsa_float_round_mode_32 0
		.amdhsa_float_round_mode_16_64 0
		.amdhsa_float_denorm_mode_32 3
		.amdhsa_float_denorm_mode_16_64 3
		.amdhsa_dx10_clamp 1
		.amdhsa_ieee_mode 1
		.amdhsa_fp16_overflow 0
		.amdhsa_workgroup_processor_mode 1
		.amdhsa_memory_ordered 1
		.amdhsa_forward_progress 0
		.amdhsa_shared_vgpr_count 0
		.amdhsa_exception_fp_ieee_invalid_op 0
		.amdhsa_exception_fp_denorm_src 0
		.amdhsa_exception_fp_ieee_div_zero 0
		.amdhsa_exception_fp_ieee_overflow 0
		.amdhsa_exception_fp_ieee_underflow 0
		.amdhsa_exception_fp_ieee_inexact 0
		.amdhsa_exception_int_div_zero 0
	.end_amdhsa_kernel
	.section	.text._ZN12_GLOBAL__N_120softmax_warp_forwardIN3c104HalfEffLi0ELb0ELb0ELi32EEEvPT0_PKT_iiiPKbib,"axG",@progbits,_ZN12_GLOBAL__N_120softmax_warp_forwardIN3c104HalfEffLi0ELb0ELb0ELi32EEEvPT0_PKT_iiiPKbib,comdat
.Lfunc_end433:
	.size	_ZN12_GLOBAL__N_120softmax_warp_forwardIN3c104HalfEffLi0ELb0ELb0ELi32EEEvPT0_PKT_iiiPKbib, .Lfunc_end433-_ZN12_GLOBAL__N_120softmax_warp_forwardIN3c104HalfEffLi0ELb0ELb0ELi32EEEvPT0_PKT_iiiPKbib
                                        ; -- End function
	.section	.AMDGPU.csdata,"",@progbits
; Kernel info:
; codeLenInByte = 780
; NumSgprs: 18
; NumVgprs: 9
; ScratchSize: 0
; MemoryBound: 0
; FloatMode: 240
; IeeeMode: 1
; LDSByteSize: 0 bytes/workgroup (compile time only)
; SGPRBlocks: 2
; VGPRBlocks: 1
; NumSGPRsForWavesPerEU: 18
; NumVGPRsForWavesPerEU: 9
; Occupancy: 16
; WaveLimiterHint : 0
; COMPUTE_PGM_RSRC2:SCRATCH_EN: 0
; COMPUTE_PGM_RSRC2:USER_SGPR: 15
; COMPUTE_PGM_RSRC2:TRAP_HANDLER: 0
; COMPUTE_PGM_RSRC2:TGID_X_EN: 1
; COMPUTE_PGM_RSRC2:TGID_Y_EN: 0
; COMPUTE_PGM_RSRC2:TGID_Z_EN: 0
; COMPUTE_PGM_RSRC2:TIDIG_COMP_CNT: 1
	.section	.text._ZN12_GLOBAL__N_120softmax_warp_forwardIN3c104HalfEffLi1ELb0ELb0ELi64EEEvPT0_PKT_iiiPKbib,"axG",@progbits,_ZN12_GLOBAL__N_120softmax_warp_forwardIN3c104HalfEffLi1ELb0ELb0ELi64EEEvPT0_PKT_iiiPKbib,comdat
	.globl	_ZN12_GLOBAL__N_120softmax_warp_forwardIN3c104HalfEffLi1ELb0ELb0ELi64EEEvPT0_PKT_iiiPKbib ; -- Begin function _ZN12_GLOBAL__N_120softmax_warp_forwardIN3c104HalfEffLi1ELb0ELb0ELi64EEEvPT0_PKT_iiiPKbib
	.p2align	8
	.type	_ZN12_GLOBAL__N_120softmax_warp_forwardIN3c104HalfEffLi1ELb0ELb0ELi64EEEvPT0_PKT_iiiPKbib,@function
_ZN12_GLOBAL__N_120softmax_warp_forwardIN3c104HalfEffLi1ELb0ELb0ELi64EEEvPT0_PKT_iiiPKbib: ; @_ZN12_GLOBAL__N_120softmax_warp_forwardIN3c104HalfEffLi1ELb0ELb0ELi64EEEvPT0_PKT_iiiPKbib
; %bb.0:
	s_clause 0x1
	s_load_b32 s2, s[0:1], 0x3c
	s_load_b256 s[4:11], s[0:1], 0x0
	v_bfe_u32 v1, v0, 10, 10
	v_and_b32_e32 v2, 0x3ff, v0
	v_mov_b32_e32 v5, 0xff800000
	s_waitcnt lgkmcnt(0)
	s_lshr_b32 s0, s2, 16
	s_delay_alu instid0(SALU_CYCLE_1) | instskip(SKIP_2) | instid1(VALU_DEP_1)
	s_mul_i32 s15, s15, s0
	v_cmp_gt_i32_e64 s0, s10, v2
	v_add_lshl_u32 v3, s15, v1, 1
	v_mad_u64_u32 v[0:1], null, v3, s9, v[2:3]
	v_sub_nc_u32_e32 v4, s8, v3
	s_delay_alu instid0(VALU_DEP_1) | instskip(NEXT) | instid1(VALU_DEP_3)
	v_cmp_lt_i32_e32 vcc_lo, 0, v4
	v_ashrrev_i32_e32 v1, 31, v0
	s_and_b32 s2, s0, vcc_lo
	s_delay_alu instid0(VALU_DEP_1) | instskip(NEXT) | instid1(VALU_DEP_1)
	v_lshlrev_b64 v[6:7], 1, v[0:1]
	v_add_co_u32 v2, s1, s6, v6
	v_mov_b32_e32 v6, 0xff800000
	s_delay_alu instid0(VALU_DEP_3)
	v_add_co_ci_u32_e64 v3, s1, s7, v7, s1
	s_and_saveexec_b32 s1, s2
	s_cbranch_execz .LBB434_2
; %bb.1:
	global_load_u16 v6, v[2:3], off
	s_waitcnt vmcnt(0)
	v_cvt_f32_f16_e32 v6, v6
.LBB434_2:
	s_or_b32 exec_lo, exec_lo, s1
	v_cmp_lt_i32_e64 s1, 1, v4
	s_delay_alu instid0(VALU_DEP_1) | instskip(NEXT) | instid1(SALU_CYCLE_1)
	s_and_b32 s1, s0, s1
	s_and_saveexec_b32 s2, s1
	s_cbranch_execz .LBB434_4
; %bb.3:
	s_mov_b32 s11, 0
	s_delay_alu instid0(SALU_CYCLE_1) | instskip(NEXT) | instid1(SALU_CYCLE_1)
	s_lshl_b64 s[6:7], s[10:11], 1
	v_add_co_u32 v2, s1, v2, s6
	s_delay_alu instid0(VALU_DEP_1)
	v_add_co_ci_u32_e64 v3, s1, s7, v3, s1
	global_load_u16 v2, v[2:3], off
	s_waitcnt vmcnt(0)
	v_cvt_f32_f16_e32 v5, v2
.LBB434_4:
	s_or_b32 exec_lo, exec_lo, s2
	v_mbcnt_lo_u32_b32 v2, -1, 0
	s_delay_alu instid0(VALU_DEP_1) | instskip(SKIP_1) | instid1(VALU_DEP_2)
	v_and_b32_e32 v3, 30, v2
	v_xor_b32_e32 v7, 1, v2
	v_add_nc_u32_e32 v3, 2, v3
	s_delay_alu instid0(VALU_DEP_1) | instskip(NEXT) | instid1(VALU_DEP_1)
	v_cmp_lt_i32_e64 s1, v7, v3
	v_cndmask_b32_e64 v2, v2, v7, s1
	s_delay_alu instid0(VALU_DEP_1) | instskip(SKIP_4) | instid1(VALU_DEP_1)
	v_lshlrev_b32_e32 v3, 2, v2
	ds_bpermute_b32 v2, v3, v6
	ds_bpermute_b32 v7, v3, v5
	s_waitcnt lgkmcnt(1)
	v_cmp_lt_f32_e64 s1, v6, v2
	v_cndmask_b32_e64 v2, v6, v2, s1
	s_waitcnt lgkmcnt(0)
	v_cmp_lt_f32_e64 s1, v5, v7
	s_delay_alu instid0(VALU_DEP_2) | instskip(NEXT) | instid1(VALU_DEP_2)
	v_sub_f32_e32 v2, v6, v2
	v_cndmask_b32_e64 v7, v5, v7, s1
	s_delay_alu instid0(VALU_DEP_2) | instskip(NEXT) | instid1(VALU_DEP_2)
	v_cmp_ngt_f32_e64 s1, 0xc2ce8ed0, v2
	v_dual_sub_f32 v6, v5, v7 :: v_dual_mul_f32 v5, 0x3fb8aa3b, v2
	s_delay_alu instid0(VALU_DEP_1) | instskip(NEXT) | instid1(VALU_DEP_2)
	v_mul_f32_e32 v7, 0x3fb8aa3b, v6
	v_fma_f32 v8, 0x3fb8aa3b, v2, -v5
	v_rndne_f32_e32 v9, v5
	s_delay_alu instid0(VALU_DEP_3) | instskip(SKIP_1) | instid1(VALU_DEP_3)
	v_fma_f32 v10, 0x3fb8aa3b, v6, -v7
	v_rndne_f32_e32 v11, v7
	v_dual_fmac_f32 v8, 0x32a5705f, v2 :: v_dual_sub_f32 v5, v5, v9
	s_delay_alu instid0(VALU_DEP_2) | instskip(NEXT) | instid1(VALU_DEP_2)
	v_dual_fmac_f32 v10, 0x32a5705f, v6 :: v_dual_sub_f32 v7, v7, v11
	v_add_f32_e32 v5, v5, v8
	v_cvt_i32_f32_e32 v8, v9
	v_cvt_i32_f32_e32 v9, v11
	s_delay_alu instid0(VALU_DEP_4) | instskip(NEXT) | instid1(VALU_DEP_4)
	v_add_f32_e32 v7, v7, v10
	v_exp_f32_e32 v5, v5
	s_delay_alu instid0(VALU_DEP_1) | instskip(SKIP_3) | instid1(VALU_DEP_2)
	v_exp_f32_e32 v7, v7
	s_waitcnt_depctr 0xfff
	v_ldexp_f32 v5, v5, v8
	v_ldexp_f32 v7, v7, v9
	v_cndmask_b32_e64 v5, 0, v5, s1
	v_cmp_ngt_f32_e64 s1, 0xc2ce8ed0, v6
	s_delay_alu instid0(VALU_DEP_1) | instskip(SKIP_1) | instid1(VALU_DEP_1)
	v_cndmask_b32_e64 v7, 0, v7, s1
	v_cmp_nlt_f32_e64 s1, 0x42b17218, v2
	v_cndmask_b32_e64 v5, 0x7f800000, v5, s1
	v_cmp_nlt_f32_e64 s1, 0x42b17218, v6
	ds_bpermute_b32 v6, v3, v5
	v_cndmask_b32_e64 v2, 0x7f800000, v7, s1
	ds_bpermute_b32 v3, v3, v2
	s_and_saveexec_b32 s1, vcc_lo
	s_cbranch_execz .LBB434_10
; %bb.5:
	v_lshlrev_b64 v[0:1], 2, v[0:1]
	s_delay_alu instid0(VALU_DEP_1) | instskip(NEXT) | instid1(VALU_DEP_2)
	v_add_co_u32 v0, vcc_lo, s4, v0
	v_add_co_ci_u32_e32 v1, vcc_lo, s5, v1, vcc_lo
	s_and_saveexec_b32 s1, s0
	s_cbranch_execz .LBB434_7
; %bb.6:
	s_waitcnt lgkmcnt(1)
	v_add_f32_e32 v6, v5, v6
	s_delay_alu instid0(VALU_DEP_1) | instskip(NEXT) | instid1(VALU_DEP_1)
	v_div_scale_f32 v7, null, v6, v6, v5
	v_rcp_f32_e32 v8, v7
	s_waitcnt_depctr 0xfff
	v_fma_f32 v9, -v7, v8, 1.0
	s_delay_alu instid0(VALU_DEP_1) | instskip(SKIP_1) | instid1(VALU_DEP_1)
	v_fmac_f32_e32 v8, v9, v8
	v_div_scale_f32 v9, vcc_lo, v5, v6, v5
	v_mul_f32_e32 v10, v9, v8
	s_delay_alu instid0(VALU_DEP_1) | instskip(NEXT) | instid1(VALU_DEP_1)
	v_fma_f32 v11, -v7, v10, v9
	v_fmac_f32_e32 v10, v11, v8
	s_delay_alu instid0(VALU_DEP_1) | instskip(NEXT) | instid1(VALU_DEP_1)
	v_fma_f32 v7, -v7, v10, v9
	v_div_fmas_f32 v7, v7, v8, v10
	v_cmp_neq_f32_e32 vcc_lo, 0, v6
	s_delay_alu instid0(VALU_DEP_2) | instskip(NEXT) | instid1(VALU_DEP_1)
	v_div_fixup_f32 v5, v7, v6, v5
	v_cndmask_b32_e32 v5, 0x7fc00000, v5, vcc_lo
	global_store_b32 v[0:1], v5, off
.LBB434_7:
	s_or_b32 exec_lo, exec_lo, s1
	v_cmp_ne_u32_e32 vcc_lo, 1, v4
	s_and_b32 exec_lo, exec_lo, vcc_lo
	s_cbranch_execz .LBB434_10
; %bb.8:
	s_and_b32 exec_lo, exec_lo, s0
	s_cbranch_execz .LBB434_10
; %bb.9:
	s_waitcnt lgkmcnt(0)
	v_add_f32_e32 v3, v2, v3
	s_mov_b32 s11, 0
	s_delay_alu instid0(SALU_CYCLE_1) | instskip(NEXT) | instid1(VALU_DEP_1)
	s_lshl_b64 s[0:1], s[10:11], 2
	v_div_scale_f32 v4, null, v3, v3, v2
	v_div_scale_f32 v7, vcc_lo, v2, v3, v2
	s_delay_alu instid0(VALU_DEP_2) | instskip(SKIP_2) | instid1(VALU_DEP_1)
	v_rcp_f32_e32 v5, v4
	s_waitcnt_depctr 0xfff
	v_fma_f32 v6, -v4, v5, 1.0
	v_fmac_f32_e32 v5, v6, v5
	s_delay_alu instid0(VALU_DEP_1) | instskip(NEXT) | instid1(VALU_DEP_1)
	v_mul_f32_e32 v6, v7, v5
	v_fma_f32 v8, -v4, v6, v7
	s_delay_alu instid0(VALU_DEP_1) | instskip(NEXT) | instid1(VALU_DEP_1)
	v_fmac_f32_e32 v6, v8, v5
	v_fma_f32 v4, -v4, v6, v7
	s_delay_alu instid0(VALU_DEP_1) | instskip(SKIP_2) | instid1(VALU_DEP_3)
	v_div_fmas_f32 v4, v4, v5, v6
	v_add_co_u32 v0, vcc_lo, v0, s0
	v_add_co_ci_u32_e32 v1, vcc_lo, s1, v1, vcc_lo
	v_div_fixup_f32 v2, v4, v3, v2
	v_cmp_neq_f32_e32 vcc_lo, 0, v3
	s_delay_alu instid0(VALU_DEP_2)
	v_cndmask_b32_e32 v2, 0x7fc00000, v2, vcc_lo
	global_store_b32 v[0:1], v2, off
.LBB434_10:
	s_nop 0
	s_sendmsg sendmsg(MSG_DEALLOC_VGPRS)
	s_endpgm
	.section	.rodata,"a",@progbits
	.p2align	6, 0x0
	.amdhsa_kernel _ZN12_GLOBAL__N_120softmax_warp_forwardIN3c104HalfEffLi1ELb0ELb0ELi64EEEvPT0_PKT_iiiPKbib
		.amdhsa_group_segment_fixed_size 0
		.amdhsa_private_segment_fixed_size 0
		.amdhsa_kernarg_size 304
		.amdhsa_user_sgpr_count 15
		.amdhsa_user_sgpr_dispatch_ptr 0
		.amdhsa_user_sgpr_queue_ptr 0
		.amdhsa_user_sgpr_kernarg_segment_ptr 1
		.amdhsa_user_sgpr_dispatch_id 0
		.amdhsa_user_sgpr_private_segment_size 0
		.amdhsa_wavefront_size32 1
		.amdhsa_uses_dynamic_stack 0
		.amdhsa_enable_private_segment 0
		.amdhsa_system_sgpr_workgroup_id_x 1
		.amdhsa_system_sgpr_workgroup_id_y 0
		.amdhsa_system_sgpr_workgroup_id_z 0
		.amdhsa_system_sgpr_workgroup_info 0
		.amdhsa_system_vgpr_workitem_id 1
		.amdhsa_next_free_vgpr 12
		.amdhsa_next_free_sgpr 16
		.amdhsa_reserve_vcc 1
		.amdhsa_float_round_mode_32 0
		.amdhsa_float_round_mode_16_64 0
		.amdhsa_float_denorm_mode_32 3
		.amdhsa_float_denorm_mode_16_64 3
		.amdhsa_dx10_clamp 1
		.amdhsa_ieee_mode 1
		.amdhsa_fp16_overflow 0
		.amdhsa_workgroup_processor_mode 1
		.amdhsa_memory_ordered 1
		.amdhsa_forward_progress 0
		.amdhsa_shared_vgpr_count 0
		.amdhsa_exception_fp_ieee_invalid_op 0
		.amdhsa_exception_fp_denorm_src 0
		.amdhsa_exception_fp_ieee_div_zero 0
		.amdhsa_exception_fp_ieee_overflow 0
		.amdhsa_exception_fp_ieee_underflow 0
		.amdhsa_exception_fp_ieee_inexact 0
		.amdhsa_exception_int_div_zero 0
	.end_amdhsa_kernel
	.section	.text._ZN12_GLOBAL__N_120softmax_warp_forwardIN3c104HalfEffLi1ELb0ELb0ELi64EEEvPT0_PKT_iiiPKbib,"axG",@progbits,_ZN12_GLOBAL__N_120softmax_warp_forwardIN3c104HalfEffLi1ELb0ELb0ELi64EEEvPT0_PKT_iiiPKbib,comdat
.Lfunc_end434:
	.size	_ZN12_GLOBAL__N_120softmax_warp_forwardIN3c104HalfEffLi1ELb0ELb0ELi64EEEvPT0_PKT_iiiPKbib, .Lfunc_end434-_ZN12_GLOBAL__N_120softmax_warp_forwardIN3c104HalfEffLi1ELb0ELb0ELi64EEEvPT0_PKT_iiiPKbib
                                        ; -- End function
	.section	.AMDGPU.csdata,"",@progbits
; Kernel info:
; codeLenInByte = 964
; NumSgprs: 18
; NumVgprs: 12
; ScratchSize: 0
; MemoryBound: 0
; FloatMode: 240
; IeeeMode: 1
; LDSByteSize: 0 bytes/workgroup (compile time only)
; SGPRBlocks: 2
; VGPRBlocks: 1
; NumSGPRsForWavesPerEU: 18
; NumVGPRsForWavesPerEU: 12
; Occupancy: 16
; WaveLimiterHint : 0
; COMPUTE_PGM_RSRC2:SCRATCH_EN: 0
; COMPUTE_PGM_RSRC2:USER_SGPR: 15
; COMPUTE_PGM_RSRC2:TRAP_HANDLER: 0
; COMPUTE_PGM_RSRC2:TGID_X_EN: 1
; COMPUTE_PGM_RSRC2:TGID_Y_EN: 0
; COMPUTE_PGM_RSRC2:TGID_Z_EN: 0
; COMPUTE_PGM_RSRC2:TIDIG_COMP_CNT: 1
	.section	.text._ZN12_GLOBAL__N_120softmax_warp_forwardIN3c104HalfEffLi1ELb0ELb0ELi32EEEvPT0_PKT_iiiPKbib,"axG",@progbits,_ZN12_GLOBAL__N_120softmax_warp_forwardIN3c104HalfEffLi1ELb0ELb0ELi32EEEvPT0_PKT_iiiPKbib,comdat
	.globl	_ZN12_GLOBAL__N_120softmax_warp_forwardIN3c104HalfEffLi1ELb0ELb0ELi32EEEvPT0_PKT_iiiPKbib ; -- Begin function _ZN12_GLOBAL__N_120softmax_warp_forwardIN3c104HalfEffLi1ELb0ELb0ELi32EEEvPT0_PKT_iiiPKbib
	.p2align	8
	.type	_ZN12_GLOBAL__N_120softmax_warp_forwardIN3c104HalfEffLi1ELb0ELb0ELi32EEEvPT0_PKT_iiiPKbib,@function
_ZN12_GLOBAL__N_120softmax_warp_forwardIN3c104HalfEffLi1ELb0ELb0ELi32EEEvPT0_PKT_iiiPKbib: ; @_ZN12_GLOBAL__N_120softmax_warp_forwardIN3c104HalfEffLi1ELb0ELb0ELi32EEEvPT0_PKT_iiiPKbib
; %bb.0:
	s_clause 0x1
	s_load_b32 s2, s[0:1], 0x3c
	s_load_b256 s[4:11], s[0:1], 0x0
	v_bfe_u32 v1, v0, 10, 10
	v_and_b32_e32 v2, 0x3ff, v0
	v_mov_b32_e32 v5, 0xff800000
	s_waitcnt lgkmcnt(0)
	s_lshr_b32 s0, s2, 16
	s_delay_alu instid0(SALU_CYCLE_1) | instskip(SKIP_2) | instid1(VALU_DEP_1)
	s_mul_i32 s15, s15, s0
	v_cmp_gt_i32_e64 s0, s10, v2
	v_add_lshl_u32 v3, s15, v1, 1
	v_mad_u64_u32 v[0:1], null, v3, s9, v[2:3]
	v_sub_nc_u32_e32 v4, s8, v3
	s_delay_alu instid0(VALU_DEP_1) | instskip(NEXT) | instid1(VALU_DEP_3)
	v_cmp_lt_i32_e32 vcc_lo, 0, v4
	v_ashrrev_i32_e32 v1, 31, v0
	s_and_b32 s2, s0, vcc_lo
	s_delay_alu instid0(VALU_DEP_1) | instskip(NEXT) | instid1(VALU_DEP_1)
	v_lshlrev_b64 v[6:7], 1, v[0:1]
	v_add_co_u32 v2, s1, s6, v6
	v_mov_b32_e32 v6, 0xff800000
	s_delay_alu instid0(VALU_DEP_3)
	v_add_co_ci_u32_e64 v3, s1, s7, v7, s1
	s_and_saveexec_b32 s1, s2
	s_cbranch_execz .LBB435_2
; %bb.1:
	global_load_u16 v6, v[2:3], off
	s_waitcnt vmcnt(0)
	v_cvt_f32_f16_e32 v6, v6
.LBB435_2:
	s_or_b32 exec_lo, exec_lo, s1
	v_cmp_lt_i32_e64 s1, 1, v4
	s_delay_alu instid0(VALU_DEP_1) | instskip(NEXT) | instid1(SALU_CYCLE_1)
	s_and_b32 s1, s0, s1
	s_and_saveexec_b32 s2, s1
	s_cbranch_execz .LBB435_4
; %bb.3:
	s_mov_b32 s11, 0
	s_delay_alu instid0(SALU_CYCLE_1) | instskip(NEXT) | instid1(SALU_CYCLE_1)
	s_lshl_b64 s[6:7], s[10:11], 1
	v_add_co_u32 v2, s1, v2, s6
	s_delay_alu instid0(VALU_DEP_1)
	v_add_co_ci_u32_e64 v3, s1, s7, v3, s1
	global_load_u16 v2, v[2:3], off
	s_waitcnt vmcnt(0)
	v_cvt_f32_f16_e32 v5, v2
.LBB435_4:
	s_or_b32 exec_lo, exec_lo, s2
	v_mbcnt_lo_u32_b32 v2, -1, 0
	s_delay_alu instid0(VALU_DEP_1) | instskip(SKIP_1) | instid1(VALU_DEP_2)
	v_and_b32_e32 v3, 30, v2
	v_xor_b32_e32 v7, 1, v2
	v_add_nc_u32_e32 v3, 2, v3
	s_delay_alu instid0(VALU_DEP_1) | instskip(NEXT) | instid1(VALU_DEP_1)
	v_cmp_lt_i32_e64 s1, v7, v3
	v_cndmask_b32_e64 v2, v2, v7, s1
	s_delay_alu instid0(VALU_DEP_1) | instskip(SKIP_4) | instid1(VALU_DEP_1)
	v_lshlrev_b32_e32 v3, 2, v2
	ds_bpermute_b32 v2, v3, v6
	ds_bpermute_b32 v7, v3, v5
	s_waitcnt lgkmcnt(1)
	v_cmp_lt_f32_e64 s1, v6, v2
	v_cndmask_b32_e64 v2, v6, v2, s1
	s_waitcnt lgkmcnt(0)
	v_cmp_lt_f32_e64 s1, v5, v7
	s_delay_alu instid0(VALU_DEP_2) | instskip(NEXT) | instid1(VALU_DEP_2)
	v_sub_f32_e32 v2, v6, v2
	v_cndmask_b32_e64 v7, v5, v7, s1
	s_delay_alu instid0(VALU_DEP_2) | instskip(NEXT) | instid1(VALU_DEP_2)
	v_cmp_ngt_f32_e64 s1, 0xc2ce8ed0, v2
	v_dual_sub_f32 v6, v5, v7 :: v_dual_mul_f32 v5, 0x3fb8aa3b, v2
	s_delay_alu instid0(VALU_DEP_1) | instskip(NEXT) | instid1(VALU_DEP_2)
	v_mul_f32_e32 v7, 0x3fb8aa3b, v6
	v_fma_f32 v8, 0x3fb8aa3b, v2, -v5
	v_rndne_f32_e32 v9, v5
	s_delay_alu instid0(VALU_DEP_3) | instskip(SKIP_1) | instid1(VALU_DEP_3)
	v_fma_f32 v10, 0x3fb8aa3b, v6, -v7
	v_rndne_f32_e32 v11, v7
	v_dual_fmac_f32 v8, 0x32a5705f, v2 :: v_dual_sub_f32 v5, v5, v9
	s_delay_alu instid0(VALU_DEP_2) | instskip(NEXT) | instid1(VALU_DEP_2)
	v_dual_fmac_f32 v10, 0x32a5705f, v6 :: v_dual_sub_f32 v7, v7, v11
	v_add_f32_e32 v5, v5, v8
	v_cvt_i32_f32_e32 v8, v9
	v_cvt_i32_f32_e32 v9, v11
	s_delay_alu instid0(VALU_DEP_4) | instskip(NEXT) | instid1(VALU_DEP_4)
	v_add_f32_e32 v7, v7, v10
	v_exp_f32_e32 v5, v5
	s_delay_alu instid0(VALU_DEP_1) | instskip(SKIP_3) | instid1(VALU_DEP_2)
	v_exp_f32_e32 v7, v7
	s_waitcnt_depctr 0xfff
	v_ldexp_f32 v5, v5, v8
	v_ldexp_f32 v7, v7, v9
	v_cndmask_b32_e64 v5, 0, v5, s1
	v_cmp_ngt_f32_e64 s1, 0xc2ce8ed0, v6
	s_delay_alu instid0(VALU_DEP_1) | instskip(SKIP_1) | instid1(VALU_DEP_1)
	v_cndmask_b32_e64 v7, 0, v7, s1
	v_cmp_nlt_f32_e64 s1, 0x42b17218, v2
	v_cndmask_b32_e64 v5, 0x7f800000, v5, s1
	v_cmp_nlt_f32_e64 s1, 0x42b17218, v6
	ds_bpermute_b32 v6, v3, v5
	v_cndmask_b32_e64 v2, 0x7f800000, v7, s1
	ds_bpermute_b32 v3, v3, v2
	s_and_saveexec_b32 s1, vcc_lo
	s_cbranch_execz .LBB435_10
; %bb.5:
	v_lshlrev_b64 v[0:1], 2, v[0:1]
	s_delay_alu instid0(VALU_DEP_1) | instskip(NEXT) | instid1(VALU_DEP_2)
	v_add_co_u32 v0, vcc_lo, s4, v0
	v_add_co_ci_u32_e32 v1, vcc_lo, s5, v1, vcc_lo
	s_and_saveexec_b32 s1, s0
	s_cbranch_execz .LBB435_7
; %bb.6:
	s_waitcnt lgkmcnt(1)
	v_add_f32_e32 v6, v5, v6
	s_delay_alu instid0(VALU_DEP_1) | instskip(NEXT) | instid1(VALU_DEP_1)
	v_div_scale_f32 v7, null, v6, v6, v5
	v_rcp_f32_e32 v8, v7
	s_waitcnt_depctr 0xfff
	v_fma_f32 v9, -v7, v8, 1.0
	s_delay_alu instid0(VALU_DEP_1) | instskip(SKIP_1) | instid1(VALU_DEP_1)
	v_fmac_f32_e32 v8, v9, v8
	v_div_scale_f32 v9, vcc_lo, v5, v6, v5
	v_mul_f32_e32 v10, v9, v8
	s_delay_alu instid0(VALU_DEP_1) | instskip(NEXT) | instid1(VALU_DEP_1)
	v_fma_f32 v11, -v7, v10, v9
	v_fmac_f32_e32 v10, v11, v8
	s_delay_alu instid0(VALU_DEP_1) | instskip(NEXT) | instid1(VALU_DEP_1)
	v_fma_f32 v7, -v7, v10, v9
	v_div_fmas_f32 v7, v7, v8, v10
	v_cmp_neq_f32_e32 vcc_lo, 0, v6
	s_delay_alu instid0(VALU_DEP_2) | instskip(NEXT) | instid1(VALU_DEP_1)
	v_div_fixup_f32 v5, v7, v6, v5
	v_cndmask_b32_e32 v5, 0x7fc00000, v5, vcc_lo
	global_store_b32 v[0:1], v5, off
.LBB435_7:
	s_or_b32 exec_lo, exec_lo, s1
	v_cmp_ne_u32_e32 vcc_lo, 1, v4
	s_and_b32 exec_lo, exec_lo, vcc_lo
	s_cbranch_execz .LBB435_10
; %bb.8:
	s_and_b32 exec_lo, exec_lo, s0
	s_cbranch_execz .LBB435_10
; %bb.9:
	s_waitcnt lgkmcnt(0)
	v_add_f32_e32 v3, v2, v3
	s_mov_b32 s11, 0
	s_delay_alu instid0(SALU_CYCLE_1) | instskip(NEXT) | instid1(VALU_DEP_1)
	s_lshl_b64 s[0:1], s[10:11], 2
	v_div_scale_f32 v4, null, v3, v3, v2
	v_div_scale_f32 v7, vcc_lo, v2, v3, v2
	s_delay_alu instid0(VALU_DEP_2) | instskip(SKIP_2) | instid1(VALU_DEP_1)
	v_rcp_f32_e32 v5, v4
	s_waitcnt_depctr 0xfff
	v_fma_f32 v6, -v4, v5, 1.0
	v_fmac_f32_e32 v5, v6, v5
	s_delay_alu instid0(VALU_DEP_1) | instskip(NEXT) | instid1(VALU_DEP_1)
	v_mul_f32_e32 v6, v7, v5
	v_fma_f32 v8, -v4, v6, v7
	s_delay_alu instid0(VALU_DEP_1) | instskip(NEXT) | instid1(VALU_DEP_1)
	v_fmac_f32_e32 v6, v8, v5
	v_fma_f32 v4, -v4, v6, v7
	s_delay_alu instid0(VALU_DEP_1) | instskip(SKIP_2) | instid1(VALU_DEP_3)
	v_div_fmas_f32 v4, v4, v5, v6
	v_add_co_u32 v0, vcc_lo, v0, s0
	v_add_co_ci_u32_e32 v1, vcc_lo, s1, v1, vcc_lo
	v_div_fixup_f32 v2, v4, v3, v2
	v_cmp_neq_f32_e32 vcc_lo, 0, v3
	s_delay_alu instid0(VALU_DEP_2)
	v_cndmask_b32_e32 v2, 0x7fc00000, v2, vcc_lo
	global_store_b32 v[0:1], v2, off
.LBB435_10:
	s_nop 0
	s_sendmsg sendmsg(MSG_DEALLOC_VGPRS)
	s_endpgm
	.section	.rodata,"a",@progbits
	.p2align	6, 0x0
	.amdhsa_kernel _ZN12_GLOBAL__N_120softmax_warp_forwardIN3c104HalfEffLi1ELb0ELb0ELi32EEEvPT0_PKT_iiiPKbib
		.amdhsa_group_segment_fixed_size 0
		.amdhsa_private_segment_fixed_size 0
		.amdhsa_kernarg_size 304
		.amdhsa_user_sgpr_count 15
		.amdhsa_user_sgpr_dispatch_ptr 0
		.amdhsa_user_sgpr_queue_ptr 0
		.amdhsa_user_sgpr_kernarg_segment_ptr 1
		.amdhsa_user_sgpr_dispatch_id 0
		.amdhsa_user_sgpr_private_segment_size 0
		.amdhsa_wavefront_size32 1
		.amdhsa_uses_dynamic_stack 0
		.amdhsa_enable_private_segment 0
		.amdhsa_system_sgpr_workgroup_id_x 1
		.amdhsa_system_sgpr_workgroup_id_y 0
		.amdhsa_system_sgpr_workgroup_id_z 0
		.amdhsa_system_sgpr_workgroup_info 0
		.amdhsa_system_vgpr_workitem_id 1
		.amdhsa_next_free_vgpr 12
		.amdhsa_next_free_sgpr 16
		.amdhsa_reserve_vcc 1
		.amdhsa_float_round_mode_32 0
		.amdhsa_float_round_mode_16_64 0
		.amdhsa_float_denorm_mode_32 3
		.amdhsa_float_denorm_mode_16_64 3
		.amdhsa_dx10_clamp 1
		.amdhsa_ieee_mode 1
		.amdhsa_fp16_overflow 0
		.amdhsa_workgroup_processor_mode 1
		.amdhsa_memory_ordered 1
		.amdhsa_forward_progress 0
		.amdhsa_shared_vgpr_count 0
		.amdhsa_exception_fp_ieee_invalid_op 0
		.amdhsa_exception_fp_denorm_src 0
		.amdhsa_exception_fp_ieee_div_zero 0
		.amdhsa_exception_fp_ieee_overflow 0
		.amdhsa_exception_fp_ieee_underflow 0
		.amdhsa_exception_fp_ieee_inexact 0
		.amdhsa_exception_int_div_zero 0
	.end_amdhsa_kernel
	.section	.text._ZN12_GLOBAL__N_120softmax_warp_forwardIN3c104HalfEffLi1ELb0ELb0ELi32EEEvPT0_PKT_iiiPKbib,"axG",@progbits,_ZN12_GLOBAL__N_120softmax_warp_forwardIN3c104HalfEffLi1ELb0ELb0ELi32EEEvPT0_PKT_iiiPKbib,comdat
.Lfunc_end435:
	.size	_ZN12_GLOBAL__N_120softmax_warp_forwardIN3c104HalfEffLi1ELb0ELb0ELi32EEEvPT0_PKT_iiiPKbib, .Lfunc_end435-_ZN12_GLOBAL__N_120softmax_warp_forwardIN3c104HalfEffLi1ELb0ELb0ELi32EEEvPT0_PKT_iiiPKbib
                                        ; -- End function
	.section	.AMDGPU.csdata,"",@progbits
; Kernel info:
; codeLenInByte = 964
; NumSgprs: 18
; NumVgprs: 12
; ScratchSize: 0
; MemoryBound: 0
; FloatMode: 240
; IeeeMode: 1
; LDSByteSize: 0 bytes/workgroup (compile time only)
; SGPRBlocks: 2
; VGPRBlocks: 1
; NumSGPRsForWavesPerEU: 18
; NumVGPRsForWavesPerEU: 12
; Occupancy: 16
; WaveLimiterHint : 0
; COMPUTE_PGM_RSRC2:SCRATCH_EN: 0
; COMPUTE_PGM_RSRC2:USER_SGPR: 15
; COMPUTE_PGM_RSRC2:TRAP_HANDLER: 0
; COMPUTE_PGM_RSRC2:TGID_X_EN: 1
; COMPUTE_PGM_RSRC2:TGID_Y_EN: 0
; COMPUTE_PGM_RSRC2:TGID_Z_EN: 0
; COMPUTE_PGM_RSRC2:TIDIG_COMP_CNT: 1
	.section	.text._ZN12_GLOBAL__N_120softmax_warp_forwardIN3c104HalfEffLi2ELb0ELb0ELi64EEEvPT0_PKT_iiiPKbib,"axG",@progbits,_ZN12_GLOBAL__N_120softmax_warp_forwardIN3c104HalfEffLi2ELb0ELb0ELi64EEEvPT0_PKT_iiiPKbib,comdat
	.globl	_ZN12_GLOBAL__N_120softmax_warp_forwardIN3c104HalfEffLi2ELb0ELb0ELi64EEEvPT0_PKT_iiiPKbib ; -- Begin function _ZN12_GLOBAL__N_120softmax_warp_forwardIN3c104HalfEffLi2ELb0ELb0ELi64EEEvPT0_PKT_iiiPKbib
	.p2align	8
	.type	_ZN12_GLOBAL__N_120softmax_warp_forwardIN3c104HalfEffLi2ELb0ELb0ELi64EEEvPT0_PKT_iiiPKbib,@function
_ZN12_GLOBAL__N_120softmax_warp_forwardIN3c104HalfEffLi2ELb0ELb0ELi64EEEvPT0_PKT_iiiPKbib: ; @_ZN12_GLOBAL__N_120softmax_warp_forwardIN3c104HalfEffLi2ELb0ELb0ELi64EEEvPT0_PKT_iiiPKbib
; %bb.0:
	s_clause 0x1
	s_load_b32 s2, s[0:1], 0x3c
	s_load_b256 s[4:11], s[0:1], 0x0
	v_bfe_u32 v1, v0, 10, 10
	v_and_b32_e32 v2, 0x3ff, v0
	v_mov_b32_e32 v5, 0xff800000
	s_waitcnt lgkmcnt(0)
	s_lshr_b32 s0, s2, 16
	s_delay_alu instid0(SALU_CYCLE_1) | instskip(SKIP_2) | instid1(VALU_DEP_1)
	s_mul_i32 s15, s15, s0
	v_cmp_gt_i32_e64 s0, s10, v2
	v_add_lshl_u32 v3, s15, v1, 1
	v_mad_u64_u32 v[0:1], null, v3, s9, v[2:3]
	v_sub_nc_u32_e32 v4, s8, v3
	s_delay_alu instid0(VALU_DEP_1) | instskip(NEXT) | instid1(VALU_DEP_3)
	v_cmp_lt_i32_e32 vcc_lo, 0, v4
	v_ashrrev_i32_e32 v1, 31, v0
	s_and_b32 s2, s0, vcc_lo
	s_delay_alu instid0(VALU_DEP_1) | instskip(NEXT) | instid1(VALU_DEP_1)
	v_lshlrev_b64 v[6:7], 1, v[0:1]
	v_add_co_u32 v2, s1, s6, v6
	v_mov_b32_e32 v6, 0xff800000
	s_delay_alu instid0(VALU_DEP_3)
	v_add_co_ci_u32_e64 v3, s1, s7, v7, s1
	s_and_saveexec_b32 s1, s2
	s_cbranch_execz .LBB436_2
; %bb.1:
	global_load_u16 v6, v[2:3], off
	s_waitcnt vmcnt(0)
	v_cvt_f32_f16_e32 v6, v6
.LBB436_2:
	s_or_b32 exec_lo, exec_lo, s1
	v_cmp_lt_i32_e64 s1, 1, v4
	s_delay_alu instid0(VALU_DEP_1) | instskip(NEXT) | instid1(SALU_CYCLE_1)
	s_and_b32 s1, s0, s1
	s_and_saveexec_b32 s2, s1
	s_cbranch_execz .LBB436_4
; %bb.3:
	s_mov_b32 s11, 0
	s_delay_alu instid0(SALU_CYCLE_1) | instskip(NEXT) | instid1(SALU_CYCLE_1)
	s_lshl_b64 s[6:7], s[10:11], 1
	v_add_co_u32 v2, s1, v2, s6
	s_delay_alu instid0(VALU_DEP_1)
	v_add_co_ci_u32_e64 v3, s1, s7, v3, s1
	global_load_u16 v2, v[2:3], off
	s_waitcnt vmcnt(0)
	v_cvt_f32_f16_e32 v5, v2
.LBB436_4:
	s_or_b32 exec_lo, exec_lo, s2
	v_mbcnt_lo_u32_b32 v2, -1, 0
	s_delay_alu instid0(VALU_DEP_1) | instskip(SKIP_2) | instid1(VALU_DEP_3)
	v_and_b32_e32 v3, 28, v2
	v_xor_b32_e32 v7, 2, v2
	v_xor_b32_e32 v10, 1, v2
	v_add_nc_u32_e32 v3, 4, v3
	s_delay_alu instid0(VALU_DEP_1) | instskip(NEXT) | instid1(VALU_DEP_1)
	v_cmp_lt_i32_e64 s1, v7, v3
	v_cndmask_b32_e64 v7, v2, v7, s1
	s_delay_alu instid0(VALU_DEP_4) | instskip(NEXT) | instid1(VALU_DEP_2)
	v_cmp_lt_i32_e64 s1, v10, v3
	v_lshlrev_b32_e32 v7, 2, v7
	s_delay_alu instid0(VALU_DEP_2)
	v_cndmask_b32_e64 v2, v2, v10, s1
	ds_bpermute_b32 v8, v7, v6
	ds_bpermute_b32 v9, v7, v5
	v_lshlrev_b32_e32 v10, 2, v2
	s_waitcnt lgkmcnt(1)
	v_cmp_lt_f32_e64 s1, v6, v8
	s_delay_alu instid0(VALU_DEP_1)
	v_cndmask_b32_e64 v2, v6, v8, s1
	s_waitcnt lgkmcnt(0)
	v_cmp_lt_f32_e64 s1, v5, v9
	ds_bpermute_b32 v8, v10, v2
	v_cndmask_b32_e64 v3, v5, v9, s1
	ds_bpermute_b32 v9, v10, v3
	s_waitcnt lgkmcnt(1)
	v_cmp_lt_f32_e64 s1, v2, v8
	s_delay_alu instid0(VALU_DEP_1) | instskip(SKIP_2) | instid1(VALU_DEP_2)
	v_cndmask_b32_e64 v2, v2, v8, s1
	s_waitcnt lgkmcnt(0)
	v_cmp_lt_f32_e64 s1, v3, v9
	v_sub_f32_e32 v2, v6, v2
	s_delay_alu instid0(VALU_DEP_2) | instskip(NEXT) | instid1(VALU_DEP_2)
	v_cndmask_b32_e64 v3, v3, v9, s1
	v_cmp_ngt_f32_e64 s1, 0xc2ce8ed0, v2
	s_delay_alu instid0(VALU_DEP_2) | instskip(NEXT) | instid1(VALU_DEP_1)
	v_sub_f32_e32 v3, v5, v3
	v_dual_mul_f32 v5, 0x3fb8aa3b, v2 :: v_dual_mul_f32 v6, 0x3fb8aa3b, v3
	s_delay_alu instid0(VALU_DEP_1) | instskip(SKIP_1) | instid1(VALU_DEP_3)
	v_fma_f32 v8, 0x3fb8aa3b, v2, -v5
	v_rndne_f32_e32 v9, v5
	v_fma_f32 v11, 0x3fb8aa3b, v3, -v6
	v_rndne_f32_e32 v12, v6
	s_delay_alu instid0(VALU_DEP_2) | instskip(NEXT) | instid1(VALU_DEP_2)
	v_dual_fmac_f32 v8, 0x32a5705f, v2 :: v_dual_fmac_f32 v11, 0x32a5705f, v3
	v_dual_sub_f32 v6, v6, v12 :: v_dual_sub_f32 v5, v5, v9
	s_delay_alu instid0(VALU_DEP_1) | instskip(SKIP_2) | instid1(VALU_DEP_3)
	v_dual_add_f32 v6, v6, v11 :: v_dual_add_f32 v5, v5, v8
	v_cvt_i32_f32_e32 v8, v9
	v_cvt_i32_f32_e32 v9, v12
	v_exp_f32_e32 v6, v6
	s_delay_alu instid0(VALU_DEP_3) | instskip(SKIP_3) | instid1(VALU_DEP_1)
	v_exp_f32_e32 v5, v5
	s_waitcnt_depctr 0xfff
	v_ldexp_f32 v6, v6, v9
	v_ldexp_f32 v5, v5, v8
	v_cndmask_b32_e64 v5, 0, v5, s1
	v_cmp_ngt_f32_e64 s1, 0xc2ce8ed0, v3
	s_delay_alu instid0(VALU_DEP_1) | instskip(SKIP_1) | instid1(VALU_DEP_1)
	v_cndmask_b32_e64 v8, 0, v6, s1
	v_cmp_nlt_f32_e64 s1, 0x42b17218, v2
	v_cndmask_b32_e64 v6, 0x7f800000, v5, s1
	v_cmp_nlt_f32_e64 s1, 0x42b17218, v3
	ds_bpermute_b32 v3, v7, v6
	v_cndmask_b32_e64 v2, 0x7f800000, v8, s1
	ds_bpermute_b32 v5, v7, v2
	s_waitcnt lgkmcnt(1)
	v_add_f32_e32 v7, v6, v3
	ds_bpermute_b32 v8, v10, v7
	s_waitcnt lgkmcnt(1)
	v_add_f32_e32 v3, v2, v5
	ds_bpermute_b32 v5, v10, v3
	s_and_saveexec_b32 s1, vcc_lo
	s_cbranch_execz .LBB436_10
; %bb.5:
	v_lshlrev_b64 v[0:1], 2, v[0:1]
	s_delay_alu instid0(VALU_DEP_1) | instskip(NEXT) | instid1(VALU_DEP_2)
	v_add_co_u32 v0, vcc_lo, s4, v0
	v_add_co_ci_u32_e32 v1, vcc_lo, s5, v1, vcc_lo
	s_and_saveexec_b32 s1, s0
	s_cbranch_execz .LBB436_7
; %bb.6:
	s_waitcnt lgkmcnt(1)
	v_add_f32_e32 v7, v7, v8
	s_delay_alu instid0(VALU_DEP_1) | instskip(NEXT) | instid1(VALU_DEP_1)
	v_div_scale_f32 v8, null, v7, v7, v6
	v_rcp_f32_e32 v9, v8
	s_waitcnt_depctr 0xfff
	v_fma_f32 v10, -v8, v9, 1.0
	s_delay_alu instid0(VALU_DEP_1) | instskip(SKIP_1) | instid1(VALU_DEP_1)
	v_fmac_f32_e32 v9, v10, v9
	v_div_scale_f32 v10, vcc_lo, v6, v7, v6
	v_mul_f32_e32 v11, v10, v9
	s_delay_alu instid0(VALU_DEP_1) | instskip(NEXT) | instid1(VALU_DEP_1)
	v_fma_f32 v12, -v8, v11, v10
	v_fmac_f32_e32 v11, v12, v9
	s_delay_alu instid0(VALU_DEP_1) | instskip(NEXT) | instid1(VALU_DEP_1)
	v_fma_f32 v8, -v8, v11, v10
	v_div_fmas_f32 v8, v8, v9, v11
	v_cmp_neq_f32_e32 vcc_lo, 0, v7
	s_delay_alu instid0(VALU_DEP_2) | instskip(NEXT) | instid1(VALU_DEP_1)
	v_div_fixup_f32 v6, v8, v7, v6
	v_cndmask_b32_e32 v6, 0x7fc00000, v6, vcc_lo
	global_store_b32 v[0:1], v6, off
.LBB436_7:
	s_or_b32 exec_lo, exec_lo, s1
	v_cmp_ne_u32_e32 vcc_lo, 1, v4
	s_and_b32 exec_lo, exec_lo, vcc_lo
	s_cbranch_execz .LBB436_10
; %bb.8:
	s_and_b32 exec_lo, exec_lo, s0
	s_cbranch_execz .LBB436_10
; %bb.9:
	s_waitcnt lgkmcnt(0)
	v_add_f32_e32 v3, v3, v5
	s_mov_b32 s11, 0
	s_delay_alu instid0(SALU_CYCLE_1) | instskip(NEXT) | instid1(VALU_DEP_1)
	s_lshl_b64 s[0:1], s[10:11], 2
	v_div_scale_f32 v4, null, v3, v3, v2
	v_div_scale_f32 v7, vcc_lo, v2, v3, v2
	s_delay_alu instid0(VALU_DEP_2) | instskip(SKIP_2) | instid1(VALU_DEP_1)
	v_rcp_f32_e32 v5, v4
	s_waitcnt_depctr 0xfff
	v_fma_f32 v6, -v4, v5, 1.0
	v_fmac_f32_e32 v5, v6, v5
	s_delay_alu instid0(VALU_DEP_1) | instskip(NEXT) | instid1(VALU_DEP_1)
	v_mul_f32_e32 v6, v7, v5
	v_fma_f32 v8, -v4, v6, v7
	s_delay_alu instid0(VALU_DEP_1) | instskip(NEXT) | instid1(VALU_DEP_1)
	v_fmac_f32_e32 v6, v8, v5
	v_fma_f32 v4, -v4, v6, v7
	s_delay_alu instid0(VALU_DEP_1) | instskip(SKIP_2) | instid1(VALU_DEP_3)
	v_div_fmas_f32 v4, v4, v5, v6
	v_add_co_u32 v0, vcc_lo, v0, s0
	v_add_co_ci_u32_e32 v1, vcc_lo, s1, v1, vcc_lo
	v_div_fixup_f32 v2, v4, v3, v2
	v_cmp_neq_f32_e32 vcc_lo, 0, v3
	s_delay_alu instid0(VALU_DEP_2)
	v_cndmask_b32_e32 v2, 0x7fc00000, v2, vcc_lo
	global_store_b32 v[0:1], v2, off
.LBB436_10:
	s_nop 0
	s_sendmsg sendmsg(MSG_DEALLOC_VGPRS)
	s_endpgm
	.section	.rodata,"a",@progbits
	.p2align	6, 0x0
	.amdhsa_kernel _ZN12_GLOBAL__N_120softmax_warp_forwardIN3c104HalfEffLi2ELb0ELb0ELi64EEEvPT0_PKT_iiiPKbib
		.amdhsa_group_segment_fixed_size 0
		.amdhsa_private_segment_fixed_size 0
		.amdhsa_kernarg_size 304
		.amdhsa_user_sgpr_count 15
		.amdhsa_user_sgpr_dispatch_ptr 0
		.amdhsa_user_sgpr_queue_ptr 0
		.amdhsa_user_sgpr_kernarg_segment_ptr 1
		.amdhsa_user_sgpr_dispatch_id 0
		.amdhsa_user_sgpr_private_segment_size 0
		.amdhsa_wavefront_size32 1
		.amdhsa_uses_dynamic_stack 0
		.amdhsa_enable_private_segment 0
		.amdhsa_system_sgpr_workgroup_id_x 1
		.amdhsa_system_sgpr_workgroup_id_y 0
		.amdhsa_system_sgpr_workgroup_id_z 0
		.amdhsa_system_sgpr_workgroup_info 0
		.amdhsa_system_vgpr_workitem_id 1
		.amdhsa_next_free_vgpr 13
		.amdhsa_next_free_sgpr 16
		.amdhsa_reserve_vcc 1
		.amdhsa_float_round_mode_32 0
		.amdhsa_float_round_mode_16_64 0
		.amdhsa_float_denorm_mode_32 3
		.amdhsa_float_denorm_mode_16_64 3
		.amdhsa_dx10_clamp 1
		.amdhsa_ieee_mode 1
		.amdhsa_fp16_overflow 0
		.amdhsa_workgroup_processor_mode 1
		.amdhsa_memory_ordered 1
		.amdhsa_forward_progress 0
		.amdhsa_shared_vgpr_count 0
		.amdhsa_exception_fp_ieee_invalid_op 0
		.amdhsa_exception_fp_denorm_src 0
		.amdhsa_exception_fp_ieee_div_zero 0
		.amdhsa_exception_fp_ieee_overflow 0
		.amdhsa_exception_fp_ieee_underflow 0
		.amdhsa_exception_fp_ieee_inexact 0
		.amdhsa_exception_int_div_zero 0
	.end_amdhsa_kernel
	.section	.text._ZN12_GLOBAL__N_120softmax_warp_forwardIN3c104HalfEffLi2ELb0ELb0ELi64EEEvPT0_PKT_iiiPKbib,"axG",@progbits,_ZN12_GLOBAL__N_120softmax_warp_forwardIN3c104HalfEffLi2ELb0ELb0ELi64EEEvPT0_PKT_iiiPKbib,comdat
.Lfunc_end436:
	.size	_ZN12_GLOBAL__N_120softmax_warp_forwardIN3c104HalfEffLi2ELb0ELb0ELi64EEEvPT0_PKT_iiiPKbib, .Lfunc_end436-_ZN12_GLOBAL__N_120softmax_warp_forwardIN3c104HalfEffLi2ELb0ELb0ELi64EEEvPT0_PKT_iiiPKbib
                                        ; -- End function
	.section	.AMDGPU.csdata,"",@progbits
; Kernel info:
; codeLenInByte = 1076
; NumSgprs: 18
; NumVgprs: 13
; ScratchSize: 0
; MemoryBound: 0
; FloatMode: 240
; IeeeMode: 1
; LDSByteSize: 0 bytes/workgroup (compile time only)
; SGPRBlocks: 2
; VGPRBlocks: 1
; NumSGPRsForWavesPerEU: 18
; NumVGPRsForWavesPerEU: 13
; Occupancy: 16
; WaveLimiterHint : 0
; COMPUTE_PGM_RSRC2:SCRATCH_EN: 0
; COMPUTE_PGM_RSRC2:USER_SGPR: 15
; COMPUTE_PGM_RSRC2:TRAP_HANDLER: 0
; COMPUTE_PGM_RSRC2:TGID_X_EN: 1
; COMPUTE_PGM_RSRC2:TGID_Y_EN: 0
; COMPUTE_PGM_RSRC2:TGID_Z_EN: 0
; COMPUTE_PGM_RSRC2:TIDIG_COMP_CNT: 1
	.section	.text._ZN12_GLOBAL__N_120softmax_warp_forwardIN3c104HalfEffLi2ELb0ELb0ELi32EEEvPT0_PKT_iiiPKbib,"axG",@progbits,_ZN12_GLOBAL__N_120softmax_warp_forwardIN3c104HalfEffLi2ELb0ELb0ELi32EEEvPT0_PKT_iiiPKbib,comdat
	.globl	_ZN12_GLOBAL__N_120softmax_warp_forwardIN3c104HalfEffLi2ELb0ELb0ELi32EEEvPT0_PKT_iiiPKbib ; -- Begin function _ZN12_GLOBAL__N_120softmax_warp_forwardIN3c104HalfEffLi2ELb0ELb0ELi32EEEvPT0_PKT_iiiPKbib
	.p2align	8
	.type	_ZN12_GLOBAL__N_120softmax_warp_forwardIN3c104HalfEffLi2ELb0ELb0ELi32EEEvPT0_PKT_iiiPKbib,@function
_ZN12_GLOBAL__N_120softmax_warp_forwardIN3c104HalfEffLi2ELb0ELb0ELi32EEEvPT0_PKT_iiiPKbib: ; @_ZN12_GLOBAL__N_120softmax_warp_forwardIN3c104HalfEffLi2ELb0ELb0ELi32EEEvPT0_PKT_iiiPKbib
; %bb.0:
	s_clause 0x1
	s_load_b32 s2, s[0:1], 0x3c
	s_load_b256 s[4:11], s[0:1], 0x0
	v_bfe_u32 v1, v0, 10, 10
	v_and_b32_e32 v2, 0x3ff, v0
	v_mov_b32_e32 v5, 0xff800000
	s_waitcnt lgkmcnt(0)
	s_lshr_b32 s0, s2, 16
	s_delay_alu instid0(SALU_CYCLE_1) | instskip(SKIP_2) | instid1(VALU_DEP_1)
	s_mul_i32 s15, s15, s0
	v_cmp_gt_i32_e64 s0, s10, v2
	v_add_lshl_u32 v3, s15, v1, 1
	v_mad_u64_u32 v[0:1], null, v3, s9, v[2:3]
	v_sub_nc_u32_e32 v4, s8, v3
	s_delay_alu instid0(VALU_DEP_1) | instskip(NEXT) | instid1(VALU_DEP_3)
	v_cmp_lt_i32_e32 vcc_lo, 0, v4
	v_ashrrev_i32_e32 v1, 31, v0
	s_and_b32 s2, s0, vcc_lo
	s_delay_alu instid0(VALU_DEP_1) | instskip(NEXT) | instid1(VALU_DEP_1)
	v_lshlrev_b64 v[6:7], 1, v[0:1]
	v_add_co_u32 v2, s1, s6, v6
	v_mov_b32_e32 v6, 0xff800000
	s_delay_alu instid0(VALU_DEP_3)
	v_add_co_ci_u32_e64 v3, s1, s7, v7, s1
	s_and_saveexec_b32 s1, s2
	s_cbranch_execz .LBB437_2
; %bb.1:
	global_load_u16 v6, v[2:3], off
	s_waitcnt vmcnt(0)
	v_cvt_f32_f16_e32 v6, v6
.LBB437_2:
	s_or_b32 exec_lo, exec_lo, s1
	v_cmp_lt_i32_e64 s1, 1, v4
	s_delay_alu instid0(VALU_DEP_1) | instskip(NEXT) | instid1(SALU_CYCLE_1)
	s_and_b32 s1, s0, s1
	s_and_saveexec_b32 s2, s1
	s_cbranch_execz .LBB437_4
; %bb.3:
	s_mov_b32 s11, 0
	s_delay_alu instid0(SALU_CYCLE_1) | instskip(NEXT) | instid1(SALU_CYCLE_1)
	s_lshl_b64 s[6:7], s[10:11], 1
	v_add_co_u32 v2, s1, v2, s6
	s_delay_alu instid0(VALU_DEP_1)
	v_add_co_ci_u32_e64 v3, s1, s7, v3, s1
	global_load_u16 v2, v[2:3], off
	s_waitcnt vmcnt(0)
	v_cvt_f32_f16_e32 v5, v2
.LBB437_4:
	s_or_b32 exec_lo, exec_lo, s2
	v_mbcnt_lo_u32_b32 v2, -1, 0
	s_delay_alu instid0(VALU_DEP_1) | instskip(SKIP_2) | instid1(VALU_DEP_3)
	v_and_b32_e32 v3, 28, v2
	v_xor_b32_e32 v7, 2, v2
	v_xor_b32_e32 v10, 1, v2
	v_add_nc_u32_e32 v3, 4, v3
	s_delay_alu instid0(VALU_DEP_1) | instskip(NEXT) | instid1(VALU_DEP_1)
	v_cmp_lt_i32_e64 s1, v7, v3
	v_cndmask_b32_e64 v7, v2, v7, s1
	s_delay_alu instid0(VALU_DEP_4) | instskip(NEXT) | instid1(VALU_DEP_2)
	v_cmp_lt_i32_e64 s1, v10, v3
	v_lshlrev_b32_e32 v7, 2, v7
	s_delay_alu instid0(VALU_DEP_2)
	v_cndmask_b32_e64 v2, v2, v10, s1
	ds_bpermute_b32 v8, v7, v6
	ds_bpermute_b32 v9, v7, v5
	v_lshlrev_b32_e32 v10, 2, v2
	s_waitcnt lgkmcnt(1)
	v_cmp_lt_f32_e64 s1, v6, v8
	s_delay_alu instid0(VALU_DEP_1)
	v_cndmask_b32_e64 v2, v6, v8, s1
	s_waitcnt lgkmcnt(0)
	v_cmp_lt_f32_e64 s1, v5, v9
	ds_bpermute_b32 v8, v10, v2
	v_cndmask_b32_e64 v3, v5, v9, s1
	ds_bpermute_b32 v9, v10, v3
	s_waitcnt lgkmcnt(1)
	v_cmp_lt_f32_e64 s1, v2, v8
	s_delay_alu instid0(VALU_DEP_1) | instskip(SKIP_2) | instid1(VALU_DEP_2)
	v_cndmask_b32_e64 v2, v2, v8, s1
	s_waitcnt lgkmcnt(0)
	v_cmp_lt_f32_e64 s1, v3, v9
	v_sub_f32_e32 v2, v6, v2
	s_delay_alu instid0(VALU_DEP_2) | instskip(NEXT) | instid1(VALU_DEP_2)
	v_cndmask_b32_e64 v3, v3, v9, s1
	v_cmp_ngt_f32_e64 s1, 0xc2ce8ed0, v2
	s_delay_alu instid0(VALU_DEP_2) | instskip(NEXT) | instid1(VALU_DEP_1)
	v_sub_f32_e32 v3, v5, v3
	v_dual_mul_f32 v5, 0x3fb8aa3b, v2 :: v_dual_mul_f32 v6, 0x3fb8aa3b, v3
	s_delay_alu instid0(VALU_DEP_1) | instskip(SKIP_1) | instid1(VALU_DEP_3)
	v_fma_f32 v8, 0x3fb8aa3b, v2, -v5
	v_rndne_f32_e32 v9, v5
	v_fma_f32 v11, 0x3fb8aa3b, v3, -v6
	v_rndne_f32_e32 v12, v6
	s_delay_alu instid0(VALU_DEP_2) | instskip(NEXT) | instid1(VALU_DEP_2)
	v_dual_fmac_f32 v8, 0x32a5705f, v2 :: v_dual_fmac_f32 v11, 0x32a5705f, v3
	v_dual_sub_f32 v6, v6, v12 :: v_dual_sub_f32 v5, v5, v9
	s_delay_alu instid0(VALU_DEP_1) | instskip(SKIP_2) | instid1(VALU_DEP_3)
	v_dual_add_f32 v6, v6, v11 :: v_dual_add_f32 v5, v5, v8
	v_cvt_i32_f32_e32 v8, v9
	v_cvt_i32_f32_e32 v9, v12
	v_exp_f32_e32 v6, v6
	s_delay_alu instid0(VALU_DEP_3) | instskip(SKIP_3) | instid1(VALU_DEP_1)
	v_exp_f32_e32 v5, v5
	s_waitcnt_depctr 0xfff
	v_ldexp_f32 v6, v6, v9
	v_ldexp_f32 v5, v5, v8
	v_cndmask_b32_e64 v5, 0, v5, s1
	v_cmp_ngt_f32_e64 s1, 0xc2ce8ed0, v3
	s_delay_alu instid0(VALU_DEP_1) | instskip(SKIP_1) | instid1(VALU_DEP_1)
	v_cndmask_b32_e64 v8, 0, v6, s1
	v_cmp_nlt_f32_e64 s1, 0x42b17218, v2
	v_cndmask_b32_e64 v6, 0x7f800000, v5, s1
	v_cmp_nlt_f32_e64 s1, 0x42b17218, v3
	ds_bpermute_b32 v3, v7, v6
	v_cndmask_b32_e64 v2, 0x7f800000, v8, s1
	ds_bpermute_b32 v5, v7, v2
	s_waitcnt lgkmcnt(1)
	v_add_f32_e32 v7, v6, v3
	ds_bpermute_b32 v8, v10, v7
	s_waitcnt lgkmcnt(1)
	v_add_f32_e32 v3, v2, v5
	ds_bpermute_b32 v5, v10, v3
	s_and_saveexec_b32 s1, vcc_lo
	s_cbranch_execz .LBB437_10
; %bb.5:
	v_lshlrev_b64 v[0:1], 2, v[0:1]
	s_delay_alu instid0(VALU_DEP_1) | instskip(NEXT) | instid1(VALU_DEP_2)
	v_add_co_u32 v0, vcc_lo, s4, v0
	v_add_co_ci_u32_e32 v1, vcc_lo, s5, v1, vcc_lo
	s_and_saveexec_b32 s1, s0
	s_cbranch_execz .LBB437_7
; %bb.6:
	s_waitcnt lgkmcnt(1)
	v_add_f32_e32 v7, v7, v8
	s_delay_alu instid0(VALU_DEP_1) | instskip(NEXT) | instid1(VALU_DEP_1)
	v_div_scale_f32 v8, null, v7, v7, v6
	v_rcp_f32_e32 v9, v8
	s_waitcnt_depctr 0xfff
	v_fma_f32 v10, -v8, v9, 1.0
	s_delay_alu instid0(VALU_DEP_1) | instskip(SKIP_1) | instid1(VALU_DEP_1)
	v_fmac_f32_e32 v9, v10, v9
	v_div_scale_f32 v10, vcc_lo, v6, v7, v6
	v_mul_f32_e32 v11, v10, v9
	s_delay_alu instid0(VALU_DEP_1) | instskip(NEXT) | instid1(VALU_DEP_1)
	v_fma_f32 v12, -v8, v11, v10
	v_fmac_f32_e32 v11, v12, v9
	s_delay_alu instid0(VALU_DEP_1) | instskip(NEXT) | instid1(VALU_DEP_1)
	v_fma_f32 v8, -v8, v11, v10
	v_div_fmas_f32 v8, v8, v9, v11
	v_cmp_neq_f32_e32 vcc_lo, 0, v7
	s_delay_alu instid0(VALU_DEP_2) | instskip(NEXT) | instid1(VALU_DEP_1)
	v_div_fixup_f32 v6, v8, v7, v6
	v_cndmask_b32_e32 v6, 0x7fc00000, v6, vcc_lo
	global_store_b32 v[0:1], v6, off
.LBB437_7:
	s_or_b32 exec_lo, exec_lo, s1
	v_cmp_ne_u32_e32 vcc_lo, 1, v4
	s_and_b32 exec_lo, exec_lo, vcc_lo
	s_cbranch_execz .LBB437_10
; %bb.8:
	s_and_b32 exec_lo, exec_lo, s0
	s_cbranch_execz .LBB437_10
; %bb.9:
	s_waitcnt lgkmcnt(0)
	v_add_f32_e32 v3, v3, v5
	s_mov_b32 s11, 0
	s_delay_alu instid0(SALU_CYCLE_1) | instskip(NEXT) | instid1(VALU_DEP_1)
	s_lshl_b64 s[0:1], s[10:11], 2
	v_div_scale_f32 v4, null, v3, v3, v2
	v_div_scale_f32 v7, vcc_lo, v2, v3, v2
	s_delay_alu instid0(VALU_DEP_2) | instskip(SKIP_2) | instid1(VALU_DEP_1)
	v_rcp_f32_e32 v5, v4
	s_waitcnt_depctr 0xfff
	v_fma_f32 v6, -v4, v5, 1.0
	v_fmac_f32_e32 v5, v6, v5
	s_delay_alu instid0(VALU_DEP_1) | instskip(NEXT) | instid1(VALU_DEP_1)
	v_mul_f32_e32 v6, v7, v5
	v_fma_f32 v8, -v4, v6, v7
	s_delay_alu instid0(VALU_DEP_1) | instskip(NEXT) | instid1(VALU_DEP_1)
	v_fmac_f32_e32 v6, v8, v5
	v_fma_f32 v4, -v4, v6, v7
	s_delay_alu instid0(VALU_DEP_1) | instskip(SKIP_2) | instid1(VALU_DEP_3)
	v_div_fmas_f32 v4, v4, v5, v6
	v_add_co_u32 v0, vcc_lo, v0, s0
	v_add_co_ci_u32_e32 v1, vcc_lo, s1, v1, vcc_lo
	v_div_fixup_f32 v2, v4, v3, v2
	v_cmp_neq_f32_e32 vcc_lo, 0, v3
	s_delay_alu instid0(VALU_DEP_2)
	v_cndmask_b32_e32 v2, 0x7fc00000, v2, vcc_lo
	global_store_b32 v[0:1], v2, off
.LBB437_10:
	s_nop 0
	s_sendmsg sendmsg(MSG_DEALLOC_VGPRS)
	s_endpgm
	.section	.rodata,"a",@progbits
	.p2align	6, 0x0
	.amdhsa_kernel _ZN12_GLOBAL__N_120softmax_warp_forwardIN3c104HalfEffLi2ELb0ELb0ELi32EEEvPT0_PKT_iiiPKbib
		.amdhsa_group_segment_fixed_size 0
		.amdhsa_private_segment_fixed_size 0
		.amdhsa_kernarg_size 304
		.amdhsa_user_sgpr_count 15
		.amdhsa_user_sgpr_dispatch_ptr 0
		.amdhsa_user_sgpr_queue_ptr 0
		.amdhsa_user_sgpr_kernarg_segment_ptr 1
		.amdhsa_user_sgpr_dispatch_id 0
		.amdhsa_user_sgpr_private_segment_size 0
		.amdhsa_wavefront_size32 1
		.amdhsa_uses_dynamic_stack 0
		.amdhsa_enable_private_segment 0
		.amdhsa_system_sgpr_workgroup_id_x 1
		.amdhsa_system_sgpr_workgroup_id_y 0
		.amdhsa_system_sgpr_workgroup_id_z 0
		.amdhsa_system_sgpr_workgroup_info 0
		.amdhsa_system_vgpr_workitem_id 1
		.amdhsa_next_free_vgpr 13
		.amdhsa_next_free_sgpr 16
		.amdhsa_reserve_vcc 1
		.amdhsa_float_round_mode_32 0
		.amdhsa_float_round_mode_16_64 0
		.amdhsa_float_denorm_mode_32 3
		.amdhsa_float_denorm_mode_16_64 3
		.amdhsa_dx10_clamp 1
		.amdhsa_ieee_mode 1
		.amdhsa_fp16_overflow 0
		.amdhsa_workgroup_processor_mode 1
		.amdhsa_memory_ordered 1
		.amdhsa_forward_progress 0
		.amdhsa_shared_vgpr_count 0
		.amdhsa_exception_fp_ieee_invalid_op 0
		.amdhsa_exception_fp_denorm_src 0
		.amdhsa_exception_fp_ieee_div_zero 0
		.amdhsa_exception_fp_ieee_overflow 0
		.amdhsa_exception_fp_ieee_underflow 0
		.amdhsa_exception_fp_ieee_inexact 0
		.amdhsa_exception_int_div_zero 0
	.end_amdhsa_kernel
	.section	.text._ZN12_GLOBAL__N_120softmax_warp_forwardIN3c104HalfEffLi2ELb0ELb0ELi32EEEvPT0_PKT_iiiPKbib,"axG",@progbits,_ZN12_GLOBAL__N_120softmax_warp_forwardIN3c104HalfEffLi2ELb0ELb0ELi32EEEvPT0_PKT_iiiPKbib,comdat
.Lfunc_end437:
	.size	_ZN12_GLOBAL__N_120softmax_warp_forwardIN3c104HalfEffLi2ELb0ELb0ELi32EEEvPT0_PKT_iiiPKbib, .Lfunc_end437-_ZN12_GLOBAL__N_120softmax_warp_forwardIN3c104HalfEffLi2ELb0ELb0ELi32EEEvPT0_PKT_iiiPKbib
                                        ; -- End function
	.section	.AMDGPU.csdata,"",@progbits
; Kernel info:
; codeLenInByte = 1076
; NumSgprs: 18
; NumVgprs: 13
; ScratchSize: 0
; MemoryBound: 0
; FloatMode: 240
; IeeeMode: 1
; LDSByteSize: 0 bytes/workgroup (compile time only)
; SGPRBlocks: 2
; VGPRBlocks: 1
; NumSGPRsForWavesPerEU: 18
; NumVGPRsForWavesPerEU: 13
; Occupancy: 16
; WaveLimiterHint : 0
; COMPUTE_PGM_RSRC2:SCRATCH_EN: 0
; COMPUTE_PGM_RSRC2:USER_SGPR: 15
; COMPUTE_PGM_RSRC2:TRAP_HANDLER: 0
; COMPUTE_PGM_RSRC2:TGID_X_EN: 1
; COMPUTE_PGM_RSRC2:TGID_Y_EN: 0
; COMPUTE_PGM_RSRC2:TGID_Z_EN: 0
; COMPUTE_PGM_RSRC2:TIDIG_COMP_CNT: 1
	.section	.text._ZN12_GLOBAL__N_120softmax_warp_forwardIN3c104HalfEffLi3ELb0ELb0ELi64EEEvPT0_PKT_iiiPKbib,"axG",@progbits,_ZN12_GLOBAL__N_120softmax_warp_forwardIN3c104HalfEffLi3ELb0ELb0ELi64EEEvPT0_PKT_iiiPKbib,comdat
	.globl	_ZN12_GLOBAL__N_120softmax_warp_forwardIN3c104HalfEffLi3ELb0ELb0ELi64EEEvPT0_PKT_iiiPKbib ; -- Begin function _ZN12_GLOBAL__N_120softmax_warp_forwardIN3c104HalfEffLi3ELb0ELb0ELi64EEEvPT0_PKT_iiiPKbib
	.p2align	8
	.type	_ZN12_GLOBAL__N_120softmax_warp_forwardIN3c104HalfEffLi3ELb0ELb0ELi64EEEvPT0_PKT_iiiPKbib,@function
_ZN12_GLOBAL__N_120softmax_warp_forwardIN3c104HalfEffLi3ELb0ELb0ELi64EEEvPT0_PKT_iiiPKbib: ; @_ZN12_GLOBAL__N_120softmax_warp_forwardIN3c104HalfEffLi3ELb0ELb0ELi64EEEvPT0_PKT_iiiPKbib
; %bb.0:
	s_clause 0x1
	s_load_b32 s2, s[0:1], 0x3c
	s_load_b256 s[4:11], s[0:1], 0x0
	v_bfe_u32 v1, v0, 10, 10
	v_and_b32_e32 v2, 0x3ff, v0
	v_mov_b32_e32 v5, 0xff800000
	s_waitcnt lgkmcnt(0)
	s_lshr_b32 s0, s2, 16
	s_delay_alu instid0(SALU_CYCLE_1) | instskip(SKIP_2) | instid1(VALU_DEP_1)
	s_mul_i32 s15, s15, s0
	v_cmp_gt_i32_e64 s0, s10, v2
	v_add_lshl_u32 v3, s15, v1, 1
	v_mad_u64_u32 v[0:1], null, v3, s9, v[2:3]
	v_sub_nc_u32_e32 v4, s8, v3
	s_delay_alu instid0(VALU_DEP_1) | instskip(NEXT) | instid1(VALU_DEP_3)
	v_cmp_lt_i32_e32 vcc_lo, 0, v4
	v_ashrrev_i32_e32 v1, 31, v0
	s_and_b32 s2, s0, vcc_lo
	s_delay_alu instid0(VALU_DEP_1) | instskip(NEXT) | instid1(VALU_DEP_1)
	v_lshlrev_b64 v[6:7], 1, v[0:1]
	v_add_co_u32 v2, s1, s6, v6
	v_mov_b32_e32 v6, 0xff800000
	s_delay_alu instid0(VALU_DEP_3)
	v_add_co_ci_u32_e64 v3, s1, s7, v7, s1
	s_and_saveexec_b32 s1, s2
	s_cbranch_execz .LBB438_2
; %bb.1:
	global_load_u16 v6, v[2:3], off
	s_waitcnt vmcnt(0)
	v_cvt_f32_f16_e32 v6, v6
.LBB438_2:
	s_or_b32 exec_lo, exec_lo, s1
	v_cmp_lt_i32_e64 s1, 1, v4
	s_delay_alu instid0(VALU_DEP_1) | instskip(NEXT) | instid1(SALU_CYCLE_1)
	s_and_b32 s1, s0, s1
	s_and_saveexec_b32 s2, s1
	s_cbranch_execz .LBB438_4
; %bb.3:
	s_mov_b32 s11, 0
	s_delay_alu instid0(SALU_CYCLE_1) | instskip(NEXT) | instid1(SALU_CYCLE_1)
	s_lshl_b64 s[6:7], s[10:11], 1
	v_add_co_u32 v2, s1, v2, s6
	s_delay_alu instid0(VALU_DEP_1)
	v_add_co_ci_u32_e64 v3, s1, s7, v3, s1
	global_load_u16 v2, v[2:3], off
	s_waitcnt vmcnt(0)
	v_cvt_f32_f16_e32 v5, v2
.LBB438_4:
	s_or_b32 exec_lo, exec_lo, s2
	v_mbcnt_lo_u32_b32 v2, -1, 0
	s_delay_alu instid0(VALU_DEP_1) | instskip(SKIP_3) | instid1(VALU_DEP_4)
	v_and_b32_e32 v3, 24, v2
	v_xor_b32_e32 v7, 4, v2
	v_xor_b32_e32 v10, 2, v2
	;; [unrolled: 1-line block ×3, first 2 shown]
	v_add_nc_u32_e32 v3, 8, v3
	s_delay_alu instid0(VALU_DEP_1) | instskip(NEXT) | instid1(VALU_DEP_1)
	v_cmp_lt_i32_e64 s1, v7, v3
	v_cndmask_b32_e64 v7, v2, v7, s1
	v_cmp_lt_i32_e64 s1, v10, v3
	s_delay_alu instid0(VALU_DEP_2) | instskip(NEXT) | instid1(VALU_DEP_2)
	v_lshlrev_b32_e32 v7, 2, v7
	v_cndmask_b32_e64 v10, v2, v10, s1
	ds_bpermute_b32 v8, v7, v6
	ds_bpermute_b32 v9, v7, v5
	v_lshlrev_b32_e32 v10, 2, v10
	s_waitcnt lgkmcnt(1)
	v_cmp_lt_f32_e64 s1, v6, v8
	s_delay_alu instid0(VALU_DEP_1)
	v_cndmask_b32_e64 v8, v6, v8, s1
	s_waitcnt lgkmcnt(0)
	v_cmp_lt_f32_e64 s1, v5, v9
	ds_bpermute_b32 v11, v10, v8
	v_cndmask_b32_e64 v9, v5, v9, s1
	v_cmp_lt_i32_e64 s1, v13, v3
	ds_bpermute_b32 v12, v10, v9
	v_cndmask_b32_e64 v2, v2, v13, s1
	s_delay_alu instid0(VALU_DEP_1) | instskip(SKIP_2) | instid1(VALU_DEP_1)
	v_lshlrev_b32_e32 v13, 2, v2
	s_waitcnt lgkmcnt(1)
	v_cmp_lt_f32_e64 s1, v8, v11
	v_cndmask_b32_e64 v2, v8, v11, s1
	s_waitcnt lgkmcnt(0)
	v_cmp_lt_f32_e64 s1, v9, v12
	ds_bpermute_b32 v8, v13, v2
	v_cndmask_b32_e64 v3, v9, v12, s1
	ds_bpermute_b32 v9, v13, v3
	s_waitcnt lgkmcnt(1)
	v_cmp_lt_f32_e64 s1, v2, v8
	s_delay_alu instid0(VALU_DEP_1) | instskip(SKIP_2) | instid1(VALU_DEP_2)
	v_cndmask_b32_e64 v2, v2, v8, s1
	s_waitcnt lgkmcnt(0)
	v_cmp_lt_f32_e64 s1, v3, v9
	v_sub_f32_e32 v2, v6, v2
	s_delay_alu instid0(VALU_DEP_2) | instskip(NEXT) | instid1(VALU_DEP_2)
	v_cndmask_b32_e64 v3, v3, v9, s1
	v_cmp_ngt_f32_e64 s1, 0xc2ce8ed0, v2
	s_delay_alu instid0(VALU_DEP_2) | instskip(NEXT) | instid1(VALU_DEP_1)
	v_sub_f32_e32 v3, v5, v3
	v_mul_f32_e32 v6, 0x3fb8aa3b, v3
	s_delay_alu instid0(VALU_DEP_1) | instskip(SKIP_1) | instid1(VALU_DEP_1)
	v_fma_f32 v11, 0x3fb8aa3b, v3, -v6
	v_rndne_f32_e32 v12, v6
	v_dual_fmac_f32 v11, 0x32a5705f, v3 :: v_dual_sub_f32 v6, v6, v12
	s_delay_alu instid0(VALU_DEP_1) | instskip(NEXT) | instid1(VALU_DEP_1)
	v_dual_mul_f32 v5, 0x3fb8aa3b, v2 :: v_dual_add_f32 v6, v6, v11
	v_fma_f32 v8, 0x3fb8aa3b, v2, -v5
	v_rndne_f32_e32 v9, v5
	s_delay_alu instid0(VALU_DEP_3) | instskip(NEXT) | instid1(VALU_DEP_1)
	v_exp_f32_e32 v6, v6
	v_dual_fmac_f32 v8, 0x32a5705f, v2 :: v_dual_sub_f32 v5, v5, v9
	s_delay_alu instid0(VALU_DEP_1) | instskip(SKIP_2) | instid1(VALU_DEP_3)
	v_add_f32_e32 v5, v5, v8
	v_cvt_i32_f32_e32 v8, v9
	v_cvt_i32_f32_e32 v9, v12
	v_exp_f32_e32 v5, v5
	s_waitcnt_depctr 0xfff
	v_ldexp_f32 v6, v6, v9
	v_ldexp_f32 v5, v5, v8
	s_delay_alu instid0(VALU_DEP_1) | instskip(SKIP_1) | instid1(VALU_DEP_1)
	v_cndmask_b32_e64 v5, 0, v5, s1
	v_cmp_ngt_f32_e64 s1, 0xc2ce8ed0, v3
	v_cndmask_b32_e64 v8, 0, v6, s1
	v_cmp_nlt_f32_e64 s1, 0x42b17218, v2
	s_delay_alu instid0(VALU_DEP_1)
	v_cndmask_b32_e64 v6, 0x7f800000, v5, s1
	v_cmp_nlt_f32_e64 s1, 0x42b17218, v3
	ds_bpermute_b32 v3, v7, v6
	v_cndmask_b32_e64 v2, 0x7f800000, v8, s1
	ds_bpermute_b32 v5, v7, v2
	s_waitcnt lgkmcnt(1)
	v_add_f32_e32 v3, v6, v3
	ds_bpermute_b32 v7, v10, v3
	s_waitcnt lgkmcnt(1)
	v_add_f32_e32 v5, v2, v5
	;; [unrolled: 3-line block ×3, first 2 shown]
	s_waitcnt lgkmcnt(0)
	v_add_f32_e32 v3, v5, v8
	ds_bpermute_b32 v8, v13, v7
	ds_bpermute_b32 v5, v13, v3
	s_and_saveexec_b32 s1, vcc_lo
	s_cbranch_execz .LBB438_10
; %bb.5:
	v_lshlrev_b64 v[0:1], 2, v[0:1]
	s_delay_alu instid0(VALU_DEP_1) | instskip(NEXT) | instid1(VALU_DEP_2)
	v_add_co_u32 v0, vcc_lo, s4, v0
	v_add_co_ci_u32_e32 v1, vcc_lo, s5, v1, vcc_lo
	s_and_saveexec_b32 s1, s0
	s_cbranch_execz .LBB438_7
; %bb.6:
	s_waitcnt lgkmcnt(1)
	v_add_f32_e32 v7, v7, v8
	s_delay_alu instid0(VALU_DEP_1) | instskip(NEXT) | instid1(VALU_DEP_1)
	v_div_scale_f32 v8, null, v7, v7, v6
	v_rcp_f32_e32 v9, v8
	s_waitcnt_depctr 0xfff
	v_fma_f32 v10, -v8, v9, 1.0
	s_delay_alu instid0(VALU_DEP_1) | instskip(SKIP_1) | instid1(VALU_DEP_1)
	v_fmac_f32_e32 v9, v10, v9
	v_div_scale_f32 v10, vcc_lo, v6, v7, v6
	v_mul_f32_e32 v11, v10, v9
	s_delay_alu instid0(VALU_DEP_1) | instskip(NEXT) | instid1(VALU_DEP_1)
	v_fma_f32 v12, -v8, v11, v10
	v_fmac_f32_e32 v11, v12, v9
	s_delay_alu instid0(VALU_DEP_1) | instskip(NEXT) | instid1(VALU_DEP_1)
	v_fma_f32 v8, -v8, v11, v10
	v_div_fmas_f32 v8, v8, v9, v11
	v_cmp_neq_f32_e32 vcc_lo, 0, v7
	s_delay_alu instid0(VALU_DEP_2) | instskip(NEXT) | instid1(VALU_DEP_1)
	v_div_fixup_f32 v6, v8, v7, v6
	v_cndmask_b32_e32 v6, 0x7fc00000, v6, vcc_lo
	global_store_b32 v[0:1], v6, off
.LBB438_7:
	s_or_b32 exec_lo, exec_lo, s1
	v_cmp_ne_u32_e32 vcc_lo, 1, v4
	s_and_b32 exec_lo, exec_lo, vcc_lo
	s_cbranch_execz .LBB438_10
; %bb.8:
	s_and_b32 exec_lo, exec_lo, s0
	s_cbranch_execz .LBB438_10
; %bb.9:
	s_waitcnt lgkmcnt(0)
	v_add_f32_e32 v3, v3, v5
	s_mov_b32 s11, 0
	s_delay_alu instid0(SALU_CYCLE_1) | instskip(NEXT) | instid1(VALU_DEP_1)
	s_lshl_b64 s[0:1], s[10:11], 2
	v_div_scale_f32 v4, null, v3, v3, v2
	v_div_scale_f32 v7, vcc_lo, v2, v3, v2
	s_delay_alu instid0(VALU_DEP_2) | instskip(SKIP_2) | instid1(VALU_DEP_1)
	v_rcp_f32_e32 v5, v4
	s_waitcnt_depctr 0xfff
	v_fma_f32 v6, -v4, v5, 1.0
	v_fmac_f32_e32 v5, v6, v5
	s_delay_alu instid0(VALU_DEP_1) | instskip(NEXT) | instid1(VALU_DEP_1)
	v_mul_f32_e32 v6, v7, v5
	v_fma_f32 v8, -v4, v6, v7
	s_delay_alu instid0(VALU_DEP_1) | instskip(NEXT) | instid1(VALU_DEP_1)
	v_fmac_f32_e32 v6, v8, v5
	v_fma_f32 v4, -v4, v6, v7
	s_delay_alu instid0(VALU_DEP_1) | instskip(SKIP_2) | instid1(VALU_DEP_3)
	v_div_fmas_f32 v4, v4, v5, v6
	v_add_co_u32 v0, vcc_lo, v0, s0
	v_add_co_ci_u32_e32 v1, vcc_lo, s1, v1, vcc_lo
	v_div_fixup_f32 v2, v4, v3, v2
	v_cmp_neq_f32_e32 vcc_lo, 0, v3
	s_delay_alu instid0(VALU_DEP_2)
	v_cndmask_b32_e32 v2, 0x7fc00000, v2, vcc_lo
	global_store_b32 v[0:1], v2, off
.LBB438_10:
	s_nop 0
	s_sendmsg sendmsg(MSG_DEALLOC_VGPRS)
	s_endpgm
	.section	.rodata,"a",@progbits
	.p2align	6, 0x0
	.amdhsa_kernel _ZN12_GLOBAL__N_120softmax_warp_forwardIN3c104HalfEffLi3ELb0ELb0ELi64EEEvPT0_PKT_iiiPKbib
		.amdhsa_group_segment_fixed_size 0
		.amdhsa_private_segment_fixed_size 0
		.amdhsa_kernarg_size 304
		.amdhsa_user_sgpr_count 15
		.amdhsa_user_sgpr_dispatch_ptr 0
		.amdhsa_user_sgpr_queue_ptr 0
		.amdhsa_user_sgpr_kernarg_segment_ptr 1
		.amdhsa_user_sgpr_dispatch_id 0
		.amdhsa_user_sgpr_private_segment_size 0
		.amdhsa_wavefront_size32 1
		.amdhsa_uses_dynamic_stack 0
		.amdhsa_enable_private_segment 0
		.amdhsa_system_sgpr_workgroup_id_x 1
		.amdhsa_system_sgpr_workgroup_id_y 0
		.amdhsa_system_sgpr_workgroup_id_z 0
		.amdhsa_system_sgpr_workgroup_info 0
		.amdhsa_system_vgpr_workitem_id 1
		.amdhsa_next_free_vgpr 14
		.amdhsa_next_free_sgpr 16
		.amdhsa_reserve_vcc 1
		.amdhsa_float_round_mode_32 0
		.amdhsa_float_round_mode_16_64 0
		.amdhsa_float_denorm_mode_32 3
		.amdhsa_float_denorm_mode_16_64 3
		.amdhsa_dx10_clamp 1
		.amdhsa_ieee_mode 1
		.amdhsa_fp16_overflow 0
		.amdhsa_workgroup_processor_mode 1
		.amdhsa_memory_ordered 1
		.amdhsa_forward_progress 0
		.amdhsa_shared_vgpr_count 0
		.amdhsa_exception_fp_ieee_invalid_op 0
		.amdhsa_exception_fp_denorm_src 0
		.amdhsa_exception_fp_ieee_div_zero 0
		.amdhsa_exception_fp_ieee_overflow 0
		.amdhsa_exception_fp_ieee_underflow 0
		.amdhsa_exception_fp_ieee_inexact 0
		.amdhsa_exception_int_div_zero 0
	.end_amdhsa_kernel
	.section	.text._ZN12_GLOBAL__N_120softmax_warp_forwardIN3c104HalfEffLi3ELb0ELb0ELi64EEEvPT0_PKT_iiiPKbib,"axG",@progbits,_ZN12_GLOBAL__N_120softmax_warp_forwardIN3c104HalfEffLi3ELb0ELb0ELi64EEEvPT0_PKT_iiiPKbib,comdat
.Lfunc_end438:
	.size	_ZN12_GLOBAL__N_120softmax_warp_forwardIN3c104HalfEffLi3ELb0ELb0ELi64EEEvPT0_PKT_iiiPKbib, .Lfunc_end438-_ZN12_GLOBAL__N_120softmax_warp_forwardIN3c104HalfEffLi3ELb0ELb0ELi64EEEvPT0_PKT_iiiPKbib
                                        ; -- End function
	.section	.AMDGPU.csdata,"",@progbits
; Kernel info:
; codeLenInByte = 1200
; NumSgprs: 18
; NumVgprs: 14
; ScratchSize: 0
; MemoryBound: 0
; FloatMode: 240
; IeeeMode: 1
; LDSByteSize: 0 bytes/workgroup (compile time only)
; SGPRBlocks: 2
; VGPRBlocks: 1
; NumSGPRsForWavesPerEU: 18
; NumVGPRsForWavesPerEU: 14
; Occupancy: 16
; WaveLimiterHint : 0
; COMPUTE_PGM_RSRC2:SCRATCH_EN: 0
; COMPUTE_PGM_RSRC2:USER_SGPR: 15
; COMPUTE_PGM_RSRC2:TRAP_HANDLER: 0
; COMPUTE_PGM_RSRC2:TGID_X_EN: 1
; COMPUTE_PGM_RSRC2:TGID_Y_EN: 0
; COMPUTE_PGM_RSRC2:TGID_Z_EN: 0
; COMPUTE_PGM_RSRC2:TIDIG_COMP_CNT: 1
	.section	.text._ZN12_GLOBAL__N_120softmax_warp_forwardIN3c104HalfEffLi3ELb0ELb0ELi32EEEvPT0_PKT_iiiPKbib,"axG",@progbits,_ZN12_GLOBAL__N_120softmax_warp_forwardIN3c104HalfEffLi3ELb0ELb0ELi32EEEvPT0_PKT_iiiPKbib,comdat
	.globl	_ZN12_GLOBAL__N_120softmax_warp_forwardIN3c104HalfEffLi3ELb0ELb0ELi32EEEvPT0_PKT_iiiPKbib ; -- Begin function _ZN12_GLOBAL__N_120softmax_warp_forwardIN3c104HalfEffLi3ELb0ELb0ELi32EEEvPT0_PKT_iiiPKbib
	.p2align	8
	.type	_ZN12_GLOBAL__N_120softmax_warp_forwardIN3c104HalfEffLi3ELb0ELb0ELi32EEEvPT0_PKT_iiiPKbib,@function
_ZN12_GLOBAL__N_120softmax_warp_forwardIN3c104HalfEffLi3ELb0ELb0ELi32EEEvPT0_PKT_iiiPKbib: ; @_ZN12_GLOBAL__N_120softmax_warp_forwardIN3c104HalfEffLi3ELb0ELb0ELi32EEEvPT0_PKT_iiiPKbib
; %bb.0:
	s_clause 0x1
	s_load_b32 s2, s[0:1], 0x3c
	s_load_b256 s[4:11], s[0:1], 0x0
	v_bfe_u32 v1, v0, 10, 10
	v_and_b32_e32 v2, 0x3ff, v0
	v_mov_b32_e32 v5, 0xff800000
	s_waitcnt lgkmcnt(0)
	s_lshr_b32 s0, s2, 16
	s_delay_alu instid0(SALU_CYCLE_1) | instskip(SKIP_2) | instid1(VALU_DEP_1)
	s_mul_i32 s15, s15, s0
	v_cmp_gt_i32_e64 s0, s10, v2
	v_add_lshl_u32 v3, s15, v1, 1
	v_mad_u64_u32 v[0:1], null, v3, s9, v[2:3]
	v_sub_nc_u32_e32 v4, s8, v3
	s_delay_alu instid0(VALU_DEP_1) | instskip(NEXT) | instid1(VALU_DEP_3)
	v_cmp_lt_i32_e32 vcc_lo, 0, v4
	v_ashrrev_i32_e32 v1, 31, v0
	s_and_b32 s2, s0, vcc_lo
	s_delay_alu instid0(VALU_DEP_1) | instskip(NEXT) | instid1(VALU_DEP_1)
	v_lshlrev_b64 v[6:7], 1, v[0:1]
	v_add_co_u32 v2, s1, s6, v6
	v_mov_b32_e32 v6, 0xff800000
	s_delay_alu instid0(VALU_DEP_3)
	v_add_co_ci_u32_e64 v3, s1, s7, v7, s1
	s_and_saveexec_b32 s1, s2
	s_cbranch_execz .LBB439_2
; %bb.1:
	global_load_u16 v6, v[2:3], off
	s_waitcnt vmcnt(0)
	v_cvt_f32_f16_e32 v6, v6
.LBB439_2:
	s_or_b32 exec_lo, exec_lo, s1
	v_cmp_lt_i32_e64 s1, 1, v4
	s_delay_alu instid0(VALU_DEP_1) | instskip(NEXT) | instid1(SALU_CYCLE_1)
	s_and_b32 s1, s0, s1
	s_and_saveexec_b32 s2, s1
	s_cbranch_execz .LBB439_4
; %bb.3:
	s_mov_b32 s11, 0
	s_delay_alu instid0(SALU_CYCLE_1) | instskip(NEXT) | instid1(SALU_CYCLE_1)
	s_lshl_b64 s[6:7], s[10:11], 1
	v_add_co_u32 v2, s1, v2, s6
	s_delay_alu instid0(VALU_DEP_1)
	v_add_co_ci_u32_e64 v3, s1, s7, v3, s1
	global_load_u16 v2, v[2:3], off
	s_waitcnt vmcnt(0)
	v_cvt_f32_f16_e32 v5, v2
.LBB439_4:
	s_or_b32 exec_lo, exec_lo, s2
	v_mbcnt_lo_u32_b32 v2, -1, 0
	s_delay_alu instid0(VALU_DEP_1) | instskip(SKIP_3) | instid1(VALU_DEP_4)
	v_and_b32_e32 v3, 24, v2
	v_xor_b32_e32 v7, 4, v2
	v_xor_b32_e32 v10, 2, v2
	;; [unrolled: 1-line block ×3, first 2 shown]
	v_add_nc_u32_e32 v3, 8, v3
	s_delay_alu instid0(VALU_DEP_1) | instskip(NEXT) | instid1(VALU_DEP_1)
	v_cmp_lt_i32_e64 s1, v7, v3
	v_cndmask_b32_e64 v7, v2, v7, s1
	v_cmp_lt_i32_e64 s1, v10, v3
	s_delay_alu instid0(VALU_DEP_2) | instskip(NEXT) | instid1(VALU_DEP_2)
	v_lshlrev_b32_e32 v7, 2, v7
	v_cndmask_b32_e64 v10, v2, v10, s1
	ds_bpermute_b32 v8, v7, v6
	ds_bpermute_b32 v9, v7, v5
	v_lshlrev_b32_e32 v10, 2, v10
	s_waitcnt lgkmcnt(1)
	v_cmp_lt_f32_e64 s1, v6, v8
	s_delay_alu instid0(VALU_DEP_1)
	v_cndmask_b32_e64 v8, v6, v8, s1
	s_waitcnt lgkmcnt(0)
	v_cmp_lt_f32_e64 s1, v5, v9
	ds_bpermute_b32 v11, v10, v8
	v_cndmask_b32_e64 v9, v5, v9, s1
	v_cmp_lt_i32_e64 s1, v13, v3
	ds_bpermute_b32 v12, v10, v9
	v_cndmask_b32_e64 v2, v2, v13, s1
	s_delay_alu instid0(VALU_DEP_1) | instskip(SKIP_2) | instid1(VALU_DEP_1)
	v_lshlrev_b32_e32 v13, 2, v2
	s_waitcnt lgkmcnt(1)
	v_cmp_lt_f32_e64 s1, v8, v11
	v_cndmask_b32_e64 v2, v8, v11, s1
	s_waitcnt lgkmcnt(0)
	v_cmp_lt_f32_e64 s1, v9, v12
	ds_bpermute_b32 v8, v13, v2
	v_cndmask_b32_e64 v3, v9, v12, s1
	ds_bpermute_b32 v9, v13, v3
	s_waitcnt lgkmcnt(1)
	v_cmp_lt_f32_e64 s1, v2, v8
	s_delay_alu instid0(VALU_DEP_1) | instskip(SKIP_2) | instid1(VALU_DEP_2)
	v_cndmask_b32_e64 v2, v2, v8, s1
	s_waitcnt lgkmcnt(0)
	v_cmp_lt_f32_e64 s1, v3, v9
	v_sub_f32_e32 v2, v6, v2
	s_delay_alu instid0(VALU_DEP_2) | instskip(NEXT) | instid1(VALU_DEP_2)
	v_cndmask_b32_e64 v3, v3, v9, s1
	v_cmp_ngt_f32_e64 s1, 0xc2ce8ed0, v2
	s_delay_alu instid0(VALU_DEP_2) | instskip(NEXT) | instid1(VALU_DEP_1)
	v_sub_f32_e32 v3, v5, v3
	v_mul_f32_e32 v6, 0x3fb8aa3b, v3
	s_delay_alu instid0(VALU_DEP_1) | instskip(SKIP_1) | instid1(VALU_DEP_1)
	v_fma_f32 v11, 0x3fb8aa3b, v3, -v6
	v_rndne_f32_e32 v12, v6
	v_dual_fmac_f32 v11, 0x32a5705f, v3 :: v_dual_sub_f32 v6, v6, v12
	s_delay_alu instid0(VALU_DEP_1) | instskip(NEXT) | instid1(VALU_DEP_1)
	v_dual_mul_f32 v5, 0x3fb8aa3b, v2 :: v_dual_add_f32 v6, v6, v11
	v_fma_f32 v8, 0x3fb8aa3b, v2, -v5
	v_rndne_f32_e32 v9, v5
	s_delay_alu instid0(VALU_DEP_3) | instskip(NEXT) | instid1(VALU_DEP_1)
	v_exp_f32_e32 v6, v6
	v_dual_fmac_f32 v8, 0x32a5705f, v2 :: v_dual_sub_f32 v5, v5, v9
	s_delay_alu instid0(VALU_DEP_1) | instskip(SKIP_2) | instid1(VALU_DEP_3)
	v_add_f32_e32 v5, v5, v8
	v_cvt_i32_f32_e32 v8, v9
	v_cvt_i32_f32_e32 v9, v12
	v_exp_f32_e32 v5, v5
	s_waitcnt_depctr 0xfff
	v_ldexp_f32 v6, v6, v9
	v_ldexp_f32 v5, v5, v8
	s_delay_alu instid0(VALU_DEP_1) | instskip(SKIP_1) | instid1(VALU_DEP_1)
	v_cndmask_b32_e64 v5, 0, v5, s1
	v_cmp_ngt_f32_e64 s1, 0xc2ce8ed0, v3
	v_cndmask_b32_e64 v8, 0, v6, s1
	v_cmp_nlt_f32_e64 s1, 0x42b17218, v2
	s_delay_alu instid0(VALU_DEP_1)
	v_cndmask_b32_e64 v6, 0x7f800000, v5, s1
	v_cmp_nlt_f32_e64 s1, 0x42b17218, v3
	ds_bpermute_b32 v3, v7, v6
	v_cndmask_b32_e64 v2, 0x7f800000, v8, s1
	ds_bpermute_b32 v5, v7, v2
	s_waitcnt lgkmcnt(1)
	v_add_f32_e32 v3, v6, v3
	ds_bpermute_b32 v7, v10, v3
	s_waitcnt lgkmcnt(1)
	v_add_f32_e32 v5, v2, v5
	ds_bpermute_b32 v8, v10, v5
	s_waitcnt lgkmcnt(1)
	v_add_f32_e32 v7, v3, v7
	s_waitcnt lgkmcnt(0)
	v_add_f32_e32 v3, v5, v8
	ds_bpermute_b32 v8, v13, v7
	ds_bpermute_b32 v5, v13, v3
	s_and_saveexec_b32 s1, vcc_lo
	s_cbranch_execz .LBB439_10
; %bb.5:
	v_lshlrev_b64 v[0:1], 2, v[0:1]
	s_delay_alu instid0(VALU_DEP_1) | instskip(NEXT) | instid1(VALU_DEP_2)
	v_add_co_u32 v0, vcc_lo, s4, v0
	v_add_co_ci_u32_e32 v1, vcc_lo, s5, v1, vcc_lo
	s_and_saveexec_b32 s1, s0
	s_cbranch_execz .LBB439_7
; %bb.6:
	s_waitcnt lgkmcnt(1)
	v_add_f32_e32 v7, v7, v8
	s_delay_alu instid0(VALU_DEP_1) | instskip(NEXT) | instid1(VALU_DEP_1)
	v_div_scale_f32 v8, null, v7, v7, v6
	v_rcp_f32_e32 v9, v8
	s_waitcnt_depctr 0xfff
	v_fma_f32 v10, -v8, v9, 1.0
	s_delay_alu instid0(VALU_DEP_1) | instskip(SKIP_1) | instid1(VALU_DEP_1)
	v_fmac_f32_e32 v9, v10, v9
	v_div_scale_f32 v10, vcc_lo, v6, v7, v6
	v_mul_f32_e32 v11, v10, v9
	s_delay_alu instid0(VALU_DEP_1) | instskip(NEXT) | instid1(VALU_DEP_1)
	v_fma_f32 v12, -v8, v11, v10
	v_fmac_f32_e32 v11, v12, v9
	s_delay_alu instid0(VALU_DEP_1) | instskip(NEXT) | instid1(VALU_DEP_1)
	v_fma_f32 v8, -v8, v11, v10
	v_div_fmas_f32 v8, v8, v9, v11
	v_cmp_neq_f32_e32 vcc_lo, 0, v7
	s_delay_alu instid0(VALU_DEP_2) | instskip(NEXT) | instid1(VALU_DEP_1)
	v_div_fixup_f32 v6, v8, v7, v6
	v_cndmask_b32_e32 v6, 0x7fc00000, v6, vcc_lo
	global_store_b32 v[0:1], v6, off
.LBB439_7:
	s_or_b32 exec_lo, exec_lo, s1
	v_cmp_ne_u32_e32 vcc_lo, 1, v4
	s_and_b32 exec_lo, exec_lo, vcc_lo
	s_cbranch_execz .LBB439_10
; %bb.8:
	s_and_b32 exec_lo, exec_lo, s0
	s_cbranch_execz .LBB439_10
; %bb.9:
	s_waitcnt lgkmcnt(0)
	v_add_f32_e32 v3, v3, v5
	s_mov_b32 s11, 0
	s_delay_alu instid0(SALU_CYCLE_1) | instskip(NEXT) | instid1(VALU_DEP_1)
	s_lshl_b64 s[0:1], s[10:11], 2
	v_div_scale_f32 v4, null, v3, v3, v2
	v_div_scale_f32 v7, vcc_lo, v2, v3, v2
	s_delay_alu instid0(VALU_DEP_2) | instskip(SKIP_2) | instid1(VALU_DEP_1)
	v_rcp_f32_e32 v5, v4
	s_waitcnt_depctr 0xfff
	v_fma_f32 v6, -v4, v5, 1.0
	v_fmac_f32_e32 v5, v6, v5
	s_delay_alu instid0(VALU_DEP_1) | instskip(NEXT) | instid1(VALU_DEP_1)
	v_mul_f32_e32 v6, v7, v5
	v_fma_f32 v8, -v4, v6, v7
	s_delay_alu instid0(VALU_DEP_1) | instskip(NEXT) | instid1(VALU_DEP_1)
	v_fmac_f32_e32 v6, v8, v5
	v_fma_f32 v4, -v4, v6, v7
	s_delay_alu instid0(VALU_DEP_1) | instskip(SKIP_2) | instid1(VALU_DEP_3)
	v_div_fmas_f32 v4, v4, v5, v6
	v_add_co_u32 v0, vcc_lo, v0, s0
	v_add_co_ci_u32_e32 v1, vcc_lo, s1, v1, vcc_lo
	v_div_fixup_f32 v2, v4, v3, v2
	v_cmp_neq_f32_e32 vcc_lo, 0, v3
	s_delay_alu instid0(VALU_DEP_2)
	v_cndmask_b32_e32 v2, 0x7fc00000, v2, vcc_lo
	global_store_b32 v[0:1], v2, off
.LBB439_10:
	s_nop 0
	s_sendmsg sendmsg(MSG_DEALLOC_VGPRS)
	s_endpgm
	.section	.rodata,"a",@progbits
	.p2align	6, 0x0
	.amdhsa_kernel _ZN12_GLOBAL__N_120softmax_warp_forwardIN3c104HalfEffLi3ELb0ELb0ELi32EEEvPT0_PKT_iiiPKbib
		.amdhsa_group_segment_fixed_size 0
		.amdhsa_private_segment_fixed_size 0
		.amdhsa_kernarg_size 304
		.amdhsa_user_sgpr_count 15
		.amdhsa_user_sgpr_dispatch_ptr 0
		.amdhsa_user_sgpr_queue_ptr 0
		.amdhsa_user_sgpr_kernarg_segment_ptr 1
		.amdhsa_user_sgpr_dispatch_id 0
		.amdhsa_user_sgpr_private_segment_size 0
		.amdhsa_wavefront_size32 1
		.amdhsa_uses_dynamic_stack 0
		.amdhsa_enable_private_segment 0
		.amdhsa_system_sgpr_workgroup_id_x 1
		.amdhsa_system_sgpr_workgroup_id_y 0
		.amdhsa_system_sgpr_workgroup_id_z 0
		.amdhsa_system_sgpr_workgroup_info 0
		.amdhsa_system_vgpr_workitem_id 1
		.amdhsa_next_free_vgpr 14
		.amdhsa_next_free_sgpr 16
		.amdhsa_reserve_vcc 1
		.amdhsa_float_round_mode_32 0
		.amdhsa_float_round_mode_16_64 0
		.amdhsa_float_denorm_mode_32 3
		.amdhsa_float_denorm_mode_16_64 3
		.amdhsa_dx10_clamp 1
		.amdhsa_ieee_mode 1
		.amdhsa_fp16_overflow 0
		.amdhsa_workgroup_processor_mode 1
		.amdhsa_memory_ordered 1
		.amdhsa_forward_progress 0
		.amdhsa_shared_vgpr_count 0
		.amdhsa_exception_fp_ieee_invalid_op 0
		.amdhsa_exception_fp_denorm_src 0
		.amdhsa_exception_fp_ieee_div_zero 0
		.amdhsa_exception_fp_ieee_overflow 0
		.amdhsa_exception_fp_ieee_underflow 0
		.amdhsa_exception_fp_ieee_inexact 0
		.amdhsa_exception_int_div_zero 0
	.end_amdhsa_kernel
	.section	.text._ZN12_GLOBAL__N_120softmax_warp_forwardIN3c104HalfEffLi3ELb0ELb0ELi32EEEvPT0_PKT_iiiPKbib,"axG",@progbits,_ZN12_GLOBAL__N_120softmax_warp_forwardIN3c104HalfEffLi3ELb0ELb0ELi32EEEvPT0_PKT_iiiPKbib,comdat
.Lfunc_end439:
	.size	_ZN12_GLOBAL__N_120softmax_warp_forwardIN3c104HalfEffLi3ELb0ELb0ELi32EEEvPT0_PKT_iiiPKbib, .Lfunc_end439-_ZN12_GLOBAL__N_120softmax_warp_forwardIN3c104HalfEffLi3ELb0ELb0ELi32EEEvPT0_PKT_iiiPKbib
                                        ; -- End function
	.section	.AMDGPU.csdata,"",@progbits
; Kernel info:
; codeLenInByte = 1200
; NumSgprs: 18
; NumVgprs: 14
; ScratchSize: 0
; MemoryBound: 0
; FloatMode: 240
; IeeeMode: 1
; LDSByteSize: 0 bytes/workgroup (compile time only)
; SGPRBlocks: 2
; VGPRBlocks: 1
; NumSGPRsForWavesPerEU: 18
; NumVGPRsForWavesPerEU: 14
; Occupancy: 16
; WaveLimiterHint : 0
; COMPUTE_PGM_RSRC2:SCRATCH_EN: 0
; COMPUTE_PGM_RSRC2:USER_SGPR: 15
; COMPUTE_PGM_RSRC2:TRAP_HANDLER: 0
; COMPUTE_PGM_RSRC2:TGID_X_EN: 1
; COMPUTE_PGM_RSRC2:TGID_Y_EN: 0
; COMPUTE_PGM_RSRC2:TGID_Z_EN: 0
; COMPUTE_PGM_RSRC2:TIDIG_COMP_CNT: 1
	.section	.text._ZN12_GLOBAL__N_120softmax_warp_forwardIN3c104HalfEffLi4ELb0ELb0ELi64EEEvPT0_PKT_iiiPKbib,"axG",@progbits,_ZN12_GLOBAL__N_120softmax_warp_forwardIN3c104HalfEffLi4ELb0ELb0ELi64EEEvPT0_PKT_iiiPKbib,comdat
	.globl	_ZN12_GLOBAL__N_120softmax_warp_forwardIN3c104HalfEffLi4ELb0ELb0ELi64EEEvPT0_PKT_iiiPKbib ; -- Begin function _ZN12_GLOBAL__N_120softmax_warp_forwardIN3c104HalfEffLi4ELb0ELb0ELi64EEEvPT0_PKT_iiiPKbib
	.p2align	8
	.type	_ZN12_GLOBAL__N_120softmax_warp_forwardIN3c104HalfEffLi4ELb0ELb0ELi64EEEvPT0_PKT_iiiPKbib,@function
_ZN12_GLOBAL__N_120softmax_warp_forwardIN3c104HalfEffLi4ELb0ELb0ELi64EEEvPT0_PKT_iiiPKbib: ; @_ZN12_GLOBAL__N_120softmax_warp_forwardIN3c104HalfEffLi4ELb0ELb0ELi64EEEvPT0_PKT_iiiPKbib
; %bb.0:
	s_clause 0x1
	s_load_b32 s2, s[0:1], 0x3c
	s_load_b256 s[4:11], s[0:1], 0x0
	v_bfe_u32 v1, v0, 10, 10
	v_and_b32_e32 v2, 0x3ff, v0
	v_mov_b32_e32 v5, 0xff800000
	s_waitcnt lgkmcnt(0)
	s_lshr_b32 s0, s2, 16
	s_delay_alu instid0(SALU_CYCLE_1) | instskip(SKIP_2) | instid1(VALU_DEP_1)
	s_mul_i32 s15, s15, s0
	v_cmp_gt_i32_e64 s0, s10, v2
	v_add_lshl_u32 v3, s15, v1, 1
	v_mad_u64_u32 v[0:1], null, v3, s9, v[2:3]
	v_sub_nc_u32_e32 v4, s8, v3
	s_delay_alu instid0(VALU_DEP_1) | instskip(NEXT) | instid1(VALU_DEP_3)
	v_cmp_lt_i32_e32 vcc_lo, 0, v4
	v_ashrrev_i32_e32 v1, 31, v0
	s_and_b32 s2, s0, vcc_lo
	s_delay_alu instid0(VALU_DEP_1) | instskip(NEXT) | instid1(VALU_DEP_1)
	v_lshlrev_b64 v[6:7], 1, v[0:1]
	v_add_co_u32 v2, s1, s6, v6
	v_mov_b32_e32 v6, 0xff800000
	s_delay_alu instid0(VALU_DEP_3)
	v_add_co_ci_u32_e64 v3, s1, s7, v7, s1
	s_and_saveexec_b32 s1, s2
	s_cbranch_execz .LBB440_2
; %bb.1:
	global_load_u16 v6, v[2:3], off
	s_waitcnt vmcnt(0)
	v_cvt_f32_f16_e32 v6, v6
.LBB440_2:
	s_or_b32 exec_lo, exec_lo, s1
	v_cmp_lt_i32_e64 s1, 1, v4
	s_delay_alu instid0(VALU_DEP_1) | instskip(NEXT) | instid1(SALU_CYCLE_1)
	s_and_b32 s1, s0, s1
	s_and_saveexec_b32 s2, s1
	s_cbranch_execz .LBB440_4
; %bb.3:
	s_mov_b32 s11, 0
	s_delay_alu instid0(SALU_CYCLE_1) | instskip(NEXT) | instid1(SALU_CYCLE_1)
	s_lshl_b64 s[6:7], s[10:11], 1
	v_add_co_u32 v2, s1, v2, s6
	s_delay_alu instid0(VALU_DEP_1)
	v_add_co_ci_u32_e64 v3, s1, s7, v3, s1
	global_load_u16 v2, v[2:3], off
	s_waitcnt vmcnt(0)
	v_cvt_f32_f16_e32 v5, v2
.LBB440_4:
	s_or_b32 exec_lo, exec_lo, s2
	v_mbcnt_lo_u32_b32 v2, -1, 0
	s_delay_alu instid0(VALU_DEP_1)
	v_and_b32_e32 v3, 16, v2
	v_xor_b32_e32 v7, 8, v2
	v_xor_b32_e32 v10, 4, v2
	v_xor_b32_e32 v13, 2, v2
	v_xor_b32_e32 v14, 1, v2
	v_add_nc_u32_e32 v3, 16, v3
	s_delay_alu instid0(VALU_DEP_1) | instskip(NEXT) | instid1(VALU_DEP_1)
	v_cmp_lt_i32_e64 s1, v7, v3
	v_cndmask_b32_e64 v7, v2, v7, s1
	v_cmp_lt_i32_e64 s1, v10, v3
	s_delay_alu instid0(VALU_DEP_2) | instskip(NEXT) | instid1(VALU_DEP_2)
	v_lshlrev_b32_e32 v7, 2, v7
	v_cndmask_b32_e64 v10, v2, v10, s1
	ds_bpermute_b32 v8, v7, v6
	ds_bpermute_b32 v9, v7, v5
	v_lshlrev_b32_e32 v10, 2, v10
	s_waitcnt lgkmcnt(1)
	v_cmp_lt_f32_e64 s1, v6, v8
	s_delay_alu instid0(VALU_DEP_1)
	v_cndmask_b32_e64 v8, v6, v8, s1
	s_waitcnt lgkmcnt(0)
	v_cmp_lt_f32_e64 s1, v5, v9
	ds_bpermute_b32 v11, v10, v8
	v_cndmask_b32_e64 v9, v5, v9, s1
	v_cmp_lt_i32_e64 s1, v13, v3
	ds_bpermute_b32 v12, v10, v9
	v_cndmask_b32_e64 v13, v2, v13, s1
	s_delay_alu instid0(VALU_DEP_1) | instskip(SKIP_2) | instid1(VALU_DEP_1)
	v_lshlrev_b32_e32 v13, 2, v13
	s_waitcnt lgkmcnt(1)
	v_cmp_lt_f32_e64 s1, v8, v11
	v_cndmask_b32_e64 v8, v8, v11, s1
	s_waitcnt lgkmcnt(0)
	v_cmp_lt_f32_e64 s1, v9, v12
	ds_bpermute_b32 v11, v13, v8
	v_cndmask_b32_e64 v9, v9, v12, s1
	v_cmp_lt_i32_e64 s1, v14, v3
	ds_bpermute_b32 v12, v13, v9
	v_cndmask_b32_e64 v2, v2, v14, s1
	s_delay_alu instid0(VALU_DEP_1) | instskip(SKIP_2) | instid1(VALU_DEP_1)
	v_lshlrev_b32_e32 v14, 2, v2
	s_waitcnt lgkmcnt(1)
	v_cmp_lt_f32_e64 s1, v8, v11
	v_cndmask_b32_e64 v2, v8, v11, s1
	s_waitcnt lgkmcnt(0)
	v_cmp_lt_f32_e64 s1, v9, v12
	ds_bpermute_b32 v8, v14, v2
	v_cndmask_b32_e64 v3, v9, v12, s1
	ds_bpermute_b32 v9, v14, v3
	s_waitcnt lgkmcnt(1)
	v_cmp_lt_f32_e64 s1, v2, v8
	s_delay_alu instid0(VALU_DEP_1) | instskip(SKIP_2) | instid1(VALU_DEP_2)
	v_cndmask_b32_e64 v2, v2, v8, s1
	s_waitcnt lgkmcnt(0)
	v_cmp_lt_f32_e64 s1, v3, v9
	v_sub_f32_e32 v2, v6, v2
	s_delay_alu instid0(VALU_DEP_2) | instskip(NEXT) | instid1(VALU_DEP_2)
	v_cndmask_b32_e64 v3, v3, v9, s1
	v_cmp_ngt_f32_e64 s1, 0xc2ce8ed0, v2
	s_delay_alu instid0(VALU_DEP_2) | instskip(NEXT) | instid1(VALU_DEP_1)
	v_sub_f32_e32 v3, v5, v3
	v_mul_f32_e32 v6, 0x3fb8aa3b, v3
	s_delay_alu instid0(VALU_DEP_1) | instskip(SKIP_1) | instid1(VALU_DEP_1)
	v_fma_f32 v11, 0x3fb8aa3b, v3, -v6
	v_rndne_f32_e32 v12, v6
	v_dual_fmac_f32 v11, 0x32a5705f, v3 :: v_dual_sub_f32 v6, v6, v12
	s_delay_alu instid0(VALU_DEP_1) | instskip(NEXT) | instid1(VALU_DEP_1)
	v_dual_mul_f32 v5, 0x3fb8aa3b, v2 :: v_dual_add_f32 v6, v6, v11
	v_fma_f32 v8, 0x3fb8aa3b, v2, -v5
	v_rndne_f32_e32 v9, v5
	s_delay_alu instid0(VALU_DEP_3) | instskip(NEXT) | instid1(VALU_DEP_1)
	v_exp_f32_e32 v6, v6
	v_dual_fmac_f32 v8, 0x32a5705f, v2 :: v_dual_sub_f32 v5, v5, v9
	s_delay_alu instid0(VALU_DEP_1) | instskip(SKIP_2) | instid1(VALU_DEP_3)
	v_add_f32_e32 v5, v5, v8
	v_cvt_i32_f32_e32 v8, v9
	v_cvt_i32_f32_e32 v9, v12
	v_exp_f32_e32 v5, v5
	s_waitcnt_depctr 0xfff
	v_ldexp_f32 v6, v6, v9
	v_ldexp_f32 v5, v5, v8
	s_delay_alu instid0(VALU_DEP_1) | instskip(SKIP_1) | instid1(VALU_DEP_1)
	v_cndmask_b32_e64 v5, 0, v5, s1
	v_cmp_ngt_f32_e64 s1, 0xc2ce8ed0, v3
	v_cndmask_b32_e64 v8, 0, v6, s1
	v_cmp_nlt_f32_e64 s1, 0x42b17218, v2
	s_delay_alu instid0(VALU_DEP_1)
	v_cndmask_b32_e64 v6, 0x7f800000, v5, s1
	v_cmp_nlt_f32_e64 s1, 0x42b17218, v3
	ds_bpermute_b32 v3, v7, v6
	v_cndmask_b32_e64 v2, 0x7f800000, v8, s1
	ds_bpermute_b32 v5, v7, v2
	s_waitcnt lgkmcnt(1)
	v_add_f32_e32 v3, v6, v3
	ds_bpermute_b32 v7, v10, v3
	s_waitcnt lgkmcnt(1)
	v_add_f32_e32 v5, v2, v5
	ds_bpermute_b32 v8, v10, v5
	s_waitcnt lgkmcnt(1)
	v_add_f32_e32 v3, v3, v7
	ds_bpermute_b32 v7, v13, v3
	s_waitcnt lgkmcnt(1)
	v_add_f32_e32 v5, v5, v8
	ds_bpermute_b32 v8, v13, v5
	s_waitcnt lgkmcnt(1)
	v_add_f32_e32 v7, v3, v7
	s_waitcnt lgkmcnt(0)
	v_add_f32_e32 v3, v5, v8
	ds_bpermute_b32 v8, v14, v7
	ds_bpermute_b32 v5, v14, v3
	s_and_saveexec_b32 s1, vcc_lo
	s_cbranch_execz .LBB440_10
; %bb.5:
	v_lshlrev_b64 v[0:1], 2, v[0:1]
	s_delay_alu instid0(VALU_DEP_1) | instskip(NEXT) | instid1(VALU_DEP_2)
	v_add_co_u32 v0, vcc_lo, s4, v0
	v_add_co_ci_u32_e32 v1, vcc_lo, s5, v1, vcc_lo
	s_and_saveexec_b32 s1, s0
	s_cbranch_execz .LBB440_7
; %bb.6:
	s_waitcnt lgkmcnt(1)
	v_add_f32_e32 v7, v7, v8
	s_delay_alu instid0(VALU_DEP_1) | instskip(NEXT) | instid1(VALU_DEP_1)
	v_div_scale_f32 v8, null, v7, v7, v6
	v_rcp_f32_e32 v9, v8
	s_waitcnt_depctr 0xfff
	v_fma_f32 v10, -v8, v9, 1.0
	s_delay_alu instid0(VALU_DEP_1) | instskip(SKIP_1) | instid1(VALU_DEP_1)
	v_fmac_f32_e32 v9, v10, v9
	v_div_scale_f32 v10, vcc_lo, v6, v7, v6
	v_mul_f32_e32 v11, v10, v9
	s_delay_alu instid0(VALU_DEP_1) | instskip(NEXT) | instid1(VALU_DEP_1)
	v_fma_f32 v12, -v8, v11, v10
	v_fmac_f32_e32 v11, v12, v9
	s_delay_alu instid0(VALU_DEP_1) | instskip(NEXT) | instid1(VALU_DEP_1)
	v_fma_f32 v8, -v8, v11, v10
	v_div_fmas_f32 v8, v8, v9, v11
	v_cmp_neq_f32_e32 vcc_lo, 0, v7
	s_delay_alu instid0(VALU_DEP_2) | instskip(NEXT) | instid1(VALU_DEP_1)
	v_div_fixup_f32 v6, v8, v7, v6
	v_cndmask_b32_e32 v6, 0x7fc00000, v6, vcc_lo
	global_store_b32 v[0:1], v6, off
.LBB440_7:
	s_or_b32 exec_lo, exec_lo, s1
	v_cmp_ne_u32_e32 vcc_lo, 1, v4
	s_and_b32 exec_lo, exec_lo, vcc_lo
	s_cbranch_execz .LBB440_10
; %bb.8:
	s_and_b32 exec_lo, exec_lo, s0
	s_cbranch_execz .LBB440_10
; %bb.9:
	s_waitcnt lgkmcnt(0)
	v_add_f32_e32 v3, v3, v5
	s_mov_b32 s11, 0
	s_delay_alu instid0(SALU_CYCLE_1) | instskip(NEXT) | instid1(VALU_DEP_1)
	s_lshl_b64 s[0:1], s[10:11], 2
	v_div_scale_f32 v4, null, v3, v3, v2
	v_div_scale_f32 v7, vcc_lo, v2, v3, v2
	s_delay_alu instid0(VALU_DEP_2) | instskip(SKIP_2) | instid1(VALU_DEP_1)
	v_rcp_f32_e32 v5, v4
	s_waitcnt_depctr 0xfff
	v_fma_f32 v6, -v4, v5, 1.0
	v_fmac_f32_e32 v5, v6, v5
	s_delay_alu instid0(VALU_DEP_1) | instskip(NEXT) | instid1(VALU_DEP_1)
	v_mul_f32_e32 v6, v7, v5
	v_fma_f32 v8, -v4, v6, v7
	s_delay_alu instid0(VALU_DEP_1) | instskip(NEXT) | instid1(VALU_DEP_1)
	v_fmac_f32_e32 v6, v8, v5
	v_fma_f32 v4, -v4, v6, v7
	s_delay_alu instid0(VALU_DEP_1) | instskip(SKIP_2) | instid1(VALU_DEP_3)
	v_div_fmas_f32 v4, v4, v5, v6
	v_add_co_u32 v0, vcc_lo, v0, s0
	v_add_co_ci_u32_e32 v1, vcc_lo, s1, v1, vcc_lo
	v_div_fixup_f32 v2, v4, v3, v2
	v_cmp_neq_f32_e32 vcc_lo, 0, v3
	s_delay_alu instid0(VALU_DEP_2)
	v_cndmask_b32_e32 v2, 0x7fc00000, v2, vcc_lo
	global_store_b32 v[0:1], v2, off
.LBB440_10:
	s_nop 0
	s_sendmsg sendmsg(MSG_DEALLOC_VGPRS)
	s_endpgm
	.section	.rodata,"a",@progbits
	.p2align	6, 0x0
	.amdhsa_kernel _ZN12_GLOBAL__N_120softmax_warp_forwardIN3c104HalfEffLi4ELb0ELb0ELi64EEEvPT0_PKT_iiiPKbib
		.amdhsa_group_segment_fixed_size 0
		.amdhsa_private_segment_fixed_size 0
		.amdhsa_kernarg_size 304
		.amdhsa_user_sgpr_count 15
		.amdhsa_user_sgpr_dispatch_ptr 0
		.amdhsa_user_sgpr_queue_ptr 0
		.amdhsa_user_sgpr_kernarg_segment_ptr 1
		.amdhsa_user_sgpr_dispatch_id 0
		.amdhsa_user_sgpr_private_segment_size 0
		.amdhsa_wavefront_size32 1
		.amdhsa_uses_dynamic_stack 0
		.amdhsa_enable_private_segment 0
		.amdhsa_system_sgpr_workgroup_id_x 1
		.amdhsa_system_sgpr_workgroup_id_y 0
		.amdhsa_system_sgpr_workgroup_id_z 0
		.amdhsa_system_sgpr_workgroup_info 0
		.amdhsa_system_vgpr_workitem_id 1
		.amdhsa_next_free_vgpr 15
		.amdhsa_next_free_sgpr 16
		.amdhsa_reserve_vcc 1
		.amdhsa_float_round_mode_32 0
		.amdhsa_float_round_mode_16_64 0
		.amdhsa_float_denorm_mode_32 3
		.amdhsa_float_denorm_mode_16_64 3
		.amdhsa_dx10_clamp 1
		.amdhsa_ieee_mode 1
		.amdhsa_fp16_overflow 0
		.amdhsa_workgroup_processor_mode 1
		.amdhsa_memory_ordered 1
		.amdhsa_forward_progress 0
		.amdhsa_shared_vgpr_count 0
		.amdhsa_exception_fp_ieee_invalid_op 0
		.amdhsa_exception_fp_denorm_src 0
		.amdhsa_exception_fp_ieee_div_zero 0
		.amdhsa_exception_fp_ieee_overflow 0
		.amdhsa_exception_fp_ieee_underflow 0
		.amdhsa_exception_fp_ieee_inexact 0
		.amdhsa_exception_int_div_zero 0
	.end_amdhsa_kernel
	.section	.text._ZN12_GLOBAL__N_120softmax_warp_forwardIN3c104HalfEffLi4ELb0ELb0ELi64EEEvPT0_PKT_iiiPKbib,"axG",@progbits,_ZN12_GLOBAL__N_120softmax_warp_forwardIN3c104HalfEffLi4ELb0ELb0ELi64EEEvPT0_PKT_iiiPKbib,comdat
.Lfunc_end440:
	.size	_ZN12_GLOBAL__N_120softmax_warp_forwardIN3c104HalfEffLi4ELb0ELb0ELi64EEEvPT0_PKT_iiiPKbib, .Lfunc_end440-_ZN12_GLOBAL__N_120softmax_warp_forwardIN3c104HalfEffLi4ELb0ELb0ELi64EEEvPT0_PKT_iiiPKbib
                                        ; -- End function
	.section	.AMDGPU.csdata,"",@progbits
; Kernel info:
; codeLenInByte = 1316
; NumSgprs: 18
; NumVgprs: 15
; ScratchSize: 0
; MemoryBound: 0
; FloatMode: 240
; IeeeMode: 1
; LDSByteSize: 0 bytes/workgroup (compile time only)
; SGPRBlocks: 2
; VGPRBlocks: 1
; NumSGPRsForWavesPerEU: 18
; NumVGPRsForWavesPerEU: 15
; Occupancy: 16
; WaveLimiterHint : 0
; COMPUTE_PGM_RSRC2:SCRATCH_EN: 0
; COMPUTE_PGM_RSRC2:USER_SGPR: 15
; COMPUTE_PGM_RSRC2:TRAP_HANDLER: 0
; COMPUTE_PGM_RSRC2:TGID_X_EN: 1
; COMPUTE_PGM_RSRC2:TGID_Y_EN: 0
; COMPUTE_PGM_RSRC2:TGID_Z_EN: 0
; COMPUTE_PGM_RSRC2:TIDIG_COMP_CNT: 1
	.section	.text._ZN12_GLOBAL__N_120softmax_warp_forwardIN3c104HalfEffLi4ELb0ELb0ELi32EEEvPT0_PKT_iiiPKbib,"axG",@progbits,_ZN12_GLOBAL__N_120softmax_warp_forwardIN3c104HalfEffLi4ELb0ELb0ELi32EEEvPT0_PKT_iiiPKbib,comdat
	.globl	_ZN12_GLOBAL__N_120softmax_warp_forwardIN3c104HalfEffLi4ELb0ELb0ELi32EEEvPT0_PKT_iiiPKbib ; -- Begin function _ZN12_GLOBAL__N_120softmax_warp_forwardIN3c104HalfEffLi4ELb0ELb0ELi32EEEvPT0_PKT_iiiPKbib
	.p2align	8
	.type	_ZN12_GLOBAL__N_120softmax_warp_forwardIN3c104HalfEffLi4ELb0ELb0ELi32EEEvPT0_PKT_iiiPKbib,@function
_ZN12_GLOBAL__N_120softmax_warp_forwardIN3c104HalfEffLi4ELb0ELb0ELi32EEEvPT0_PKT_iiiPKbib: ; @_ZN12_GLOBAL__N_120softmax_warp_forwardIN3c104HalfEffLi4ELb0ELb0ELi32EEEvPT0_PKT_iiiPKbib
; %bb.0:
	s_clause 0x1
	s_load_b32 s2, s[0:1], 0x3c
	s_load_b256 s[4:11], s[0:1], 0x0
	v_bfe_u32 v1, v0, 10, 10
	v_and_b32_e32 v2, 0x3ff, v0
	v_mov_b32_e32 v5, 0xff800000
	s_waitcnt lgkmcnt(0)
	s_lshr_b32 s0, s2, 16
	s_delay_alu instid0(SALU_CYCLE_1) | instskip(SKIP_2) | instid1(VALU_DEP_1)
	s_mul_i32 s15, s15, s0
	v_cmp_gt_i32_e64 s0, s10, v2
	v_add_lshl_u32 v3, s15, v1, 1
	v_mad_u64_u32 v[0:1], null, v3, s9, v[2:3]
	v_sub_nc_u32_e32 v4, s8, v3
	s_delay_alu instid0(VALU_DEP_1) | instskip(NEXT) | instid1(VALU_DEP_3)
	v_cmp_lt_i32_e32 vcc_lo, 0, v4
	v_ashrrev_i32_e32 v1, 31, v0
	s_and_b32 s2, s0, vcc_lo
	s_delay_alu instid0(VALU_DEP_1) | instskip(NEXT) | instid1(VALU_DEP_1)
	v_lshlrev_b64 v[6:7], 1, v[0:1]
	v_add_co_u32 v2, s1, s6, v6
	v_mov_b32_e32 v6, 0xff800000
	s_delay_alu instid0(VALU_DEP_3)
	v_add_co_ci_u32_e64 v3, s1, s7, v7, s1
	s_and_saveexec_b32 s1, s2
	s_cbranch_execz .LBB441_2
; %bb.1:
	global_load_u16 v6, v[2:3], off
	s_waitcnt vmcnt(0)
	v_cvt_f32_f16_e32 v6, v6
.LBB441_2:
	s_or_b32 exec_lo, exec_lo, s1
	v_cmp_lt_i32_e64 s1, 1, v4
	s_delay_alu instid0(VALU_DEP_1) | instskip(NEXT) | instid1(SALU_CYCLE_1)
	s_and_b32 s1, s0, s1
	s_and_saveexec_b32 s2, s1
	s_cbranch_execz .LBB441_4
; %bb.3:
	s_mov_b32 s11, 0
	s_delay_alu instid0(SALU_CYCLE_1) | instskip(NEXT) | instid1(SALU_CYCLE_1)
	s_lshl_b64 s[6:7], s[10:11], 1
	v_add_co_u32 v2, s1, v2, s6
	s_delay_alu instid0(VALU_DEP_1)
	v_add_co_ci_u32_e64 v3, s1, s7, v3, s1
	global_load_u16 v2, v[2:3], off
	s_waitcnt vmcnt(0)
	v_cvt_f32_f16_e32 v5, v2
.LBB441_4:
	s_or_b32 exec_lo, exec_lo, s2
	v_mbcnt_lo_u32_b32 v2, -1, 0
	s_delay_alu instid0(VALU_DEP_1)
	v_and_b32_e32 v3, 16, v2
	v_xor_b32_e32 v7, 8, v2
	v_xor_b32_e32 v10, 4, v2
	;; [unrolled: 1-line block ×4, first 2 shown]
	v_add_nc_u32_e32 v3, 16, v3
	s_delay_alu instid0(VALU_DEP_1) | instskip(NEXT) | instid1(VALU_DEP_1)
	v_cmp_lt_i32_e64 s1, v7, v3
	v_cndmask_b32_e64 v7, v2, v7, s1
	v_cmp_lt_i32_e64 s1, v10, v3
	s_delay_alu instid0(VALU_DEP_2) | instskip(NEXT) | instid1(VALU_DEP_2)
	v_lshlrev_b32_e32 v7, 2, v7
	v_cndmask_b32_e64 v10, v2, v10, s1
	ds_bpermute_b32 v8, v7, v6
	ds_bpermute_b32 v9, v7, v5
	v_lshlrev_b32_e32 v10, 2, v10
	s_waitcnt lgkmcnt(1)
	v_cmp_lt_f32_e64 s1, v6, v8
	s_delay_alu instid0(VALU_DEP_1)
	v_cndmask_b32_e64 v8, v6, v8, s1
	s_waitcnt lgkmcnt(0)
	v_cmp_lt_f32_e64 s1, v5, v9
	ds_bpermute_b32 v11, v10, v8
	v_cndmask_b32_e64 v9, v5, v9, s1
	v_cmp_lt_i32_e64 s1, v13, v3
	ds_bpermute_b32 v12, v10, v9
	v_cndmask_b32_e64 v13, v2, v13, s1
	s_delay_alu instid0(VALU_DEP_1) | instskip(SKIP_2) | instid1(VALU_DEP_1)
	v_lshlrev_b32_e32 v13, 2, v13
	s_waitcnt lgkmcnt(1)
	v_cmp_lt_f32_e64 s1, v8, v11
	v_cndmask_b32_e64 v8, v8, v11, s1
	s_waitcnt lgkmcnt(0)
	v_cmp_lt_f32_e64 s1, v9, v12
	ds_bpermute_b32 v11, v13, v8
	v_cndmask_b32_e64 v9, v9, v12, s1
	v_cmp_lt_i32_e64 s1, v14, v3
	ds_bpermute_b32 v12, v13, v9
	v_cndmask_b32_e64 v2, v2, v14, s1
	s_delay_alu instid0(VALU_DEP_1) | instskip(SKIP_2) | instid1(VALU_DEP_1)
	v_lshlrev_b32_e32 v14, 2, v2
	s_waitcnt lgkmcnt(1)
	v_cmp_lt_f32_e64 s1, v8, v11
	v_cndmask_b32_e64 v2, v8, v11, s1
	s_waitcnt lgkmcnt(0)
	v_cmp_lt_f32_e64 s1, v9, v12
	ds_bpermute_b32 v8, v14, v2
	v_cndmask_b32_e64 v3, v9, v12, s1
	ds_bpermute_b32 v9, v14, v3
	s_waitcnt lgkmcnt(1)
	v_cmp_lt_f32_e64 s1, v2, v8
	s_delay_alu instid0(VALU_DEP_1) | instskip(SKIP_2) | instid1(VALU_DEP_2)
	v_cndmask_b32_e64 v2, v2, v8, s1
	s_waitcnt lgkmcnt(0)
	v_cmp_lt_f32_e64 s1, v3, v9
	v_sub_f32_e32 v2, v6, v2
	s_delay_alu instid0(VALU_DEP_2) | instskip(NEXT) | instid1(VALU_DEP_2)
	v_cndmask_b32_e64 v3, v3, v9, s1
	v_cmp_ngt_f32_e64 s1, 0xc2ce8ed0, v2
	s_delay_alu instid0(VALU_DEP_2) | instskip(NEXT) | instid1(VALU_DEP_1)
	v_sub_f32_e32 v3, v5, v3
	v_mul_f32_e32 v6, 0x3fb8aa3b, v3
	s_delay_alu instid0(VALU_DEP_1) | instskip(SKIP_1) | instid1(VALU_DEP_1)
	v_fma_f32 v11, 0x3fb8aa3b, v3, -v6
	v_rndne_f32_e32 v12, v6
	v_dual_fmac_f32 v11, 0x32a5705f, v3 :: v_dual_sub_f32 v6, v6, v12
	s_delay_alu instid0(VALU_DEP_1) | instskip(NEXT) | instid1(VALU_DEP_1)
	v_dual_mul_f32 v5, 0x3fb8aa3b, v2 :: v_dual_add_f32 v6, v6, v11
	v_fma_f32 v8, 0x3fb8aa3b, v2, -v5
	v_rndne_f32_e32 v9, v5
	s_delay_alu instid0(VALU_DEP_3) | instskip(NEXT) | instid1(VALU_DEP_1)
	v_exp_f32_e32 v6, v6
	v_dual_fmac_f32 v8, 0x32a5705f, v2 :: v_dual_sub_f32 v5, v5, v9
	s_delay_alu instid0(VALU_DEP_1) | instskip(SKIP_2) | instid1(VALU_DEP_3)
	v_add_f32_e32 v5, v5, v8
	v_cvt_i32_f32_e32 v8, v9
	v_cvt_i32_f32_e32 v9, v12
	v_exp_f32_e32 v5, v5
	s_waitcnt_depctr 0xfff
	v_ldexp_f32 v6, v6, v9
	v_ldexp_f32 v5, v5, v8
	s_delay_alu instid0(VALU_DEP_1) | instskip(SKIP_1) | instid1(VALU_DEP_1)
	v_cndmask_b32_e64 v5, 0, v5, s1
	v_cmp_ngt_f32_e64 s1, 0xc2ce8ed0, v3
	v_cndmask_b32_e64 v8, 0, v6, s1
	v_cmp_nlt_f32_e64 s1, 0x42b17218, v2
	s_delay_alu instid0(VALU_DEP_1)
	v_cndmask_b32_e64 v6, 0x7f800000, v5, s1
	v_cmp_nlt_f32_e64 s1, 0x42b17218, v3
	ds_bpermute_b32 v3, v7, v6
	v_cndmask_b32_e64 v2, 0x7f800000, v8, s1
	ds_bpermute_b32 v5, v7, v2
	s_waitcnt lgkmcnt(1)
	v_add_f32_e32 v3, v6, v3
	ds_bpermute_b32 v7, v10, v3
	s_waitcnt lgkmcnt(1)
	v_add_f32_e32 v5, v2, v5
	;; [unrolled: 3-line block ×5, first 2 shown]
	s_waitcnt lgkmcnt(0)
	v_add_f32_e32 v3, v5, v8
	ds_bpermute_b32 v8, v14, v7
	ds_bpermute_b32 v5, v14, v3
	s_and_saveexec_b32 s1, vcc_lo
	s_cbranch_execz .LBB441_10
; %bb.5:
	v_lshlrev_b64 v[0:1], 2, v[0:1]
	s_delay_alu instid0(VALU_DEP_1) | instskip(NEXT) | instid1(VALU_DEP_2)
	v_add_co_u32 v0, vcc_lo, s4, v0
	v_add_co_ci_u32_e32 v1, vcc_lo, s5, v1, vcc_lo
	s_and_saveexec_b32 s1, s0
	s_cbranch_execz .LBB441_7
; %bb.6:
	s_waitcnt lgkmcnt(1)
	v_add_f32_e32 v7, v7, v8
	s_delay_alu instid0(VALU_DEP_1) | instskip(NEXT) | instid1(VALU_DEP_1)
	v_div_scale_f32 v8, null, v7, v7, v6
	v_rcp_f32_e32 v9, v8
	s_waitcnt_depctr 0xfff
	v_fma_f32 v10, -v8, v9, 1.0
	s_delay_alu instid0(VALU_DEP_1) | instskip(SKIP_1) | instid1(VALU_DEP_1)
	v_fmac_f32_e32 v9, v10, v9
	v_div_scale_f32 v10, vcc_lo, v6, v7, v6
	v_mul_f32_e32 v11, v10, v9
	s_delay_alu instid0(VALU_DEP_1) | instskip(NEXT) | instid1(VALU_DEP_1)
	v_fma_f32 v12, -v8, v11, v10
	v_fmac_f32_e32 v11, v12, v9
	s_delay_alu instid0(VALU_DEP_1) | instskip(NEXT) | instid1(VALU_DEP_1)
	v_fma_f32 v8, -v8, v11, v10
	v_div_fmas_f32 v8, v8, v9, v11
	v_cmp_neq_f32_e32 vcc_lo, 0, v7
	s_delay_alu instid0(VALU_DEP_2) | instskip(NEXT) | instid1(VALU_DEP_1)
	v_div_fixup_f32 v6, v8, v7, v6
	v_cndmask_b32_e32 v6, 0x7fc00000, v6, vcc_lo
	global_store_b32 v[0:1], v6, off
.LBB441_7:
	s_or_b32 exec_lo, exec_lo, s1
	v_cmp_ne_u32_e32 vcc_lo, 1, v4
	s_and_b32 exec_lo, exec_lo, vcc_lo
	s_cbranch_execz .LBB441_10
; %bb.8:
	s_and_b32 exec_lo, exec_lo, s0
	s_cbranch_execz .LBB441_10
; %bb.9:
	s_waitcnt lgkmcnt(0)
	v_add_f32_e32 v3, v3, v5
	s_mov_b32 s11, 0
	s_delay_alu instid0(SALU_CYCLE_1) | instskip(NEXT) | instid1(VALU_DEP_1)
	s_lshl_b64 s[0:1], s[10:11], 2
	v_div_scale_f32 v4, null, v3, v3, v2
	v_div_scale_f32 v7, vcc_lo, v2, v3, v2
	s_delay_alu instid0(VALU_DEP_2) | instskip(SKIP_2) | instid1(VALU_DEP_1)
	v_rcp_f32_e32 v5, v4
	s_waitcnt_depctr 0xfff
	v_fma_f32 v6, -v4, v5, 1.0
	v_fmac_f32_e32 v5, v6, v5
	s_delay_alu instid0(VALU_DEP_1) | instskip(NEXT) | instid1(VALU_DEP_1)
	v_mul_f32_e32 v6, v7, v5
	v_fma_f32 v8, -v4, v6, v7
	s_delay_alu instid0(VALU_DEP_1) | instskip(NEXT) | instid1(VALU_DEP_1)
	v_fmac_f32_e32 v6, v8, v5
	v_fma_f32 v4, -v4, v6, v7
	s_delay_alu instid0(VALU_DEP_1) | instskip(SKIP_2) | instid1(VALU_DEP_3)
	v_div_fmas_f32 v4, v4, v5, v6
	v_add_co_u32 v0, vcc_lo, v0, s0
	v_add_co_ci_u32_e32 v1, vcc_lo, s1, v1, vcc_lo
	v_div_fixup_f32 v2, v4, v3, v2
	v_cmp_neq_f32_e32 vcc_lo, 0, v3
	s_delay_alu instid0(VALU_DEP_2)
	v_cndmask_b32_e32 v2, 0x7fc00000, v2, vcc_lo
	global_store_b32 v[0:1], v2, off
.LBB441_10:
	s_nop 0
	s_sendmsg sendmsg(MSG_DEALLOC_VGPRS)
	s_endpgm
	.section	.rodata,"a",@progbits
	.p2align	6, 0x0
	.amdhsa_kernel _ZN12_GLOBAL__N_120softmax_warp_forwardIN3c104HalfEffLi4ELb0ELb0ELi32EEEvPT0_PKT_iiiPKbib
		.amdhsa_group_segment_fixed_size 0
		.amdhsa_private_segment_fixed_size 0
		.amdhsa_kernarg_size 304
		.amdhsa_user_sgpr_count 15
		.amdhsa_user_sgpr_dispatch_ptr 0
		.amdhsa_user_sgpr_queue_ptr 0
		.amdhsa_user_sgpr_kernarg_segment_ptr 1
		.amdhsa_user_sgpr_dispatch_id 0
		.amdhsa_user_sgpr_private_segment_size 0
		.amdhsa_wavefront_size32 1
		.amdhsa_uses_dynamic_stack 0
		.amdhsa_enable_private_segment 0
		.amdhsa_system_sgpr_workgroup_id_x 1
		.amdhsa_system_sgpr_workgroup_id_y 0
		.amdhsa_system_sgpr_workgroup_id_z 0
		.amdhsa_system_sgpr_workgroup_info 0
		.amdhsa_system_vgpr_workitem_id 1
		.amdhsa_next_free_vgpr 15
		.amdhsa_next_free_sgpr 16
		.amdhsa_reserve_vcc 1
		.amdhsa_float_round_mode_32 0
		.amdhsa_float_round_mode_16_64 0
		.amdhsa_float_denorm_mode_32 3
		.amdhsa_float_denorm_mode_16_64 3
		.amdhsa_dx10_clamp 1
		.amdhsa_ieee_mode 1
		.amdhsa_fp16_overflow 0
		.amdhsa_workgroup_processor_mode 1
		.amdhsa_memory_ordered 1
		.amdhsa_forward_progress 0
		.amdhsa_shared_vgpr_count 0
		.amdhsa_exception_fp_ieee_invalid_op 0
		.amdhsa_exception_fp_denorm_src 0
		.amdhsa_exception_fp_ieee_div_zero 0
		.amdhsa_exception_fp_ieee_overflow 0
		.amdhsa_exception_fp_ieee_underflow 0
		.amdhsa_exception_fp_ieee_inexact 0
		.amdhsa_exception_int_div_zero 0
	.end_amdhsa_kernel
	.section	.text._ZN12_GLOBAL__N_120softmax_warp_forwardIN3c104HalfEffLi4ELb0ELb0ELi32EEEvPT0_PKT_iiiPKbib,"axG",@progbits,_ZN12_GLOBAL__N_120softmax_warp_forwardIN3c104HalfEffLi4ELb0ELb0ELi32EEEvPT0_PKT_iiiPKbib,comdat
.Lfunc_end441:
	.size	_ZN12_GLOBAL__N_120softmax_warp_forwardIN3c104HalfEffLi4ELb0ELb0ELi32EEEvPT0_PKT_iiiPKbib, .Lfunc_end441-_ZN12_GLOBAL__N_120softmax_warp_forwardIN3c104HalfEffLi4ELb0ELb0ELi32EEEvPT0_PKT_iiiPKbib
                                        ; -- End function
	.section	.AMDGPU.csdata,"",@progbits
; Kernel info:
; codeLenInByte = 1316
; NumSgprs: 18
; NumVgprs: 15
; ScratchSize: 0
; MemoryBound: 0
; FloatMode: 240
; IeeeMode: 1
; LDSByteSize: 0 bytes/workgroup (compile time only)
; SGPRBlocks: 2
; VGPRBlocks: 1
; NumSGPRsForWavesPerEU: 18
; NumVGPRsForWavesPerEU: 15
; Occupancy: 16
; WaveLimiterHint : 0
; COMPUTE_PGM_RSRC2:SCRATCH_EN: 0
; COMPUTE_PGM_RSRC2:USER_SGPR: 15
; COMPUTE_PGM_RSRC2:TRAP_HANDLER: 0
; COMPUTE_PGM_RSRC2:TGID_X_EN: 1
; COMPUTE_PGM_RSRC2:TGID_Y_EN: 0
; COMPUTE_PGM_RSRC2:TGID_Z_EN: 0
; COMPUTE_PGM_RSRC2:TIDIG_COMP_CNT: 1
	.section	.text._ZN12_GLOBAL__N_120softmax_warp_forwardIN3c104HalfEffLi5ELb0ELb0ELi64EEEvPT0_PKT_iiiPKbib,"axG",@progbits,_ZN12_GLOBAL__N_120softmax_warp_forwardIN3c104HalfEffLi5ELb0ELb0ELi64EEEvPT0_PKT_iiiPKbib,comdat
	.globl	_ZN12_GLOBAL__N_120softmax_warp_forwardIN3c104HalfEffLi5ELb0ELb0ELi64EEEvPT0_PKT_iiiPKbib ; -- Begin function _ZN12_GLOBAL__N_120softmax_warp_forwardIN3c104HalfEffLi5ELb0ELb0ELi64EEEvPT0_PKT_iiiPKbib
	.p2align	8
	.type	_ZN12_GLOBAL__N_120softmax_warp_forwardIN3c104HalfEffLi5ELb0ELb0ELi64EEEvPT0_PKT_iiiPKbib,@function
_ZN12_GLOBAL__N_120softmax_warp_forwardIN3c104HalfEffLi5ELb0ELb0ELi64EEEvPT0_PKT_iiiPKbib: ; @_ZN12_GLOBAL__N_120softmax_warp_forwardIN3c104HalfEffLi5ELb0ELb0ELi64EEEvPT0_PKT_iiiPKbib
; %bb.0:
	s_clause 0x1
	s_load_b32 s2, s[0:1], 0x3c
	s_load_b256 s[4:11], s[0:1], 0x0
	v_bfe_u32 v1, v0, 10, 10
	v_and_b32_e32 v2, 0x3ff, v0
	v_mov_b32_e32 v5, 0xff800000
	s_waitcnt lgkmcnt(0)
	s_lshr_b32 s0, s2, 16
	s_delay_alu instid0(SALU_CYCLE_1) | instskip(SKIP_2) | instid1(VALU_DEP_1)
	s_mul_i32 s15, s15, s0
	v_cmp_gt_i32_e64 s0, s10, v2
	v_add_lshl_u32 v3, s15, v1, 1
	v_mad_u64_u32 v[0:1], null, v3, s9, v[2:3]
	v_sub_nc_u32_e32 v4, s8, v3
	s_delay_alu instid0(VALU_DEP_1) | instskip(NEXT) | instid1(VALU_DEP_3)
	v_cmp_lt_i32_e32 vcc_lo, 0, v4
	v_ashrrev_i32_e32 v1, 31, v0
	s_and_b32 s2, s0, vcc_lo
	s_delay_alu instid0(VALU_DEP_1) | instskip(NEXT) | instid1(VALU_DEP_1)
	v_lshlrev_b64 v[6:7], 1, v[0:1]
	v_add_co_u32 v2, s1, s6, v6
	v_mov_b32_e32 v6, 0xff800000
	s_delay_alu instid0(VALU_DEP_3)
	v_add_co_ci_u32_e64 v3, s1, s7, v7, s1
	s_and_saveexec_b32 s1, s2
	s_cbranch_execz .LBB442_2
; %bb.1:
	global_load_u16 v6, v[2:3], off
	s_waitcnt vmcnt(0)
	v_cvt_f32_f16_e32 v6, v6
.LBB442_2:
	s_or_b32 exec_lo, exec_lo, s1
	v_cmp_lt_i32_e64 s1, 1, v4
	s_delay_alu instid0(VALU_DEP_1) | instskip(NEXT) | instid1(SALU_CYCLE_1)
	s_and_b32 s1, s0, s1
	s_and_saveexec_b32 s2, s1
	s_cbranch_execz .LBB442_4
; %bb.3:
	s_mov_b32 s11, 0
	s_delay_alu instid0(SALU_CYCLE_1) | instskip(NEXT) | instid1(SALU_CYCLE_1)
	s_lshl_b64 s[6:7], s[10:11], 1
	v_add_co_u32 v2, s1, v2, s6
	s_delay_alu instid0(VALU_DEP_1)
	v_add_co_ci_u32_e64 v3, s1, s7, v3, s1
	global_load_u16 v2, v[2:3], off
	s_waitcnt vmcnt(0)
	v_cvt_f32_f16_e32 v5, v2
.LBB442_4:
	s_or_b32 exec_lo, exec_lo, s2
	v_mbcnt_lo_u32_b32 v2, -1, 0
	s_delay_alu instid0(VALU_DEP_1)
	v_xor_b32_e32 v3, 16, v2
	v_xor_b32_e32 v9, 8, v2
	;; [unrolled: 1-line block ×5, first 2 shown]
	v_cmp_gt_i32_e64 s1, 32, v3
	s_delay_alu instid0(VALU_DEP_1) | instskip(SKIP_1) | instid1(VALU_DEP_2)
	v_cndmask_b32_e64 v3, v2, v3, s1
	v_cmp_gt_i32_e64 s1, 32, v9
	v_lshlrev_b32_e32 v7, 2, v3
	s_delay_alu instid0(VALU_DEP_2)
	v_cndmask_b32_e64 v9, v2, v9, s1
	ds_bpermute_b32 v3, v7, v6
	ds_bpermute_b32 v8, v7, v5
	v_lshlrev_b32_e32 v9, 2, v9
	s_waitcnt lgkmcnt(1)
	v_cmp_lt_f32_e64 s1, v6, v3
	s_delay_alu instid0(VALU_DEP_1)
	v_cndmask_b32_e64 v3, v6, v3, s1
	s_waitcnt lgkmcnt(0)
	v_cmp_lt_f32_e64 s1, v5, v8
	ds_bpermute_b32 v10, v9, v3
	v_cndmask_b32_e64 v8, v5, v8, s1
	v_cmp_gt_i32_e64 s1, 32, v12
	ds_bpermute_b32 v11, v9, v8
	v_cndmask_b32_e64 v12, v2, v12, s1
	s_delay_alu instid0(VALU_DEP_1) | instskip(SKIP_2) | instid1(VALU_DEP_1)
	v_lshlrev_b32_e32 v12, 2, v12
	s_waitcnt lgkmcnt(1)
	v_cmp_lt_f32_e64 s1, v3, v10
	v_cndmask_b32_e64 v3, v3, v10, s1
	s_waitcnt lgkmcnt(0)
	v_cmp_lt_f32_e64 s1, v8, v11
	ds_bpermute_b32 v10, v12, v3
	v_cndmask_b32_e64 v8, v8, v11, s1
	v_cmp_gt_i32_e64 s1, 32, v13
	ds_bpermute_b32 v11, v12, v8
	v_cndmask_b32_e64 v13, v2, v13, s1
	s_delay_alu instid0(VALU_DEP_1) | instskip(SKIP_2) | instid1(VALU_DEP_1)
	v_lshlrev_b32_e32 v13, 2, v13
	s_waitcnt lgkmcnt(1)
	v_cmp_lt_f32_e64 s1, v3, v10
	;; [unrolled: 12-line block ×3, first 2 shown]
	v_cndmask_b32_e64 v2, v3, v10, s1
	s_waitcnt lgkmcnt(0)
	v_cmp_lt_f32_e64 s1, v8, v11
	s_delay_alu instid0(VALU_DEP_1) | instskip(SKIP_4) | instid1(VALU_DEP_1)
	v_cndmask_b32_e64 v3, v8, v11, s1
	ds_bpermute_b32 v8, v14, v2
	ds_bpermute_b32 v10, v14, v3
	s_waitcnt lgkmcnt(1)
	v_cmp_lt_f32_e64 s1, v2, v8
	v_cndmask_b32_e64 v2, v2, v8, s1
	s_waitcnt lgkmcnt(0)
	v_cmp_lt_f32_e64 s1, v3, v10
	s_delay_alu instid0(VALU_DEP_2) | instskip(NEXT) | instid1(VALU_DEP_2)
	v_sub_f32_e32 v2, v6, v2
	v_cndmask_b32_e64 v3, v3, v10, s1
	s_delay_alu instid0(VALU_DEP_2) | instskip(NEXT) | instid1(VALU_DEP_2)
	v_cmp_ngt_f32_e64 s1, 0xc2ce8ed0, v2
	v_sub_f32_e32 v5, v5, v3
	s_delay_alu instid0(VALU_DEP_1) | instskip(NEXT) | instid1(VALU_DEP_1)
	v_dual_mul_f32 v3, 0x3fb8aa3b, v2 :: v_dual_mul_f32 v6, 0x3fb8aa3b, v5
	v_fma_f32 v8, 0x3fb8aa3b, v2, -v3
	v_rndne_f32_e32 v10, v3
	s_delay_alu instid0(VALU_DEP_3) | instskip(SKIP_1) | instid1(VALU_DEP_2)
	v_fma_f32 v11, 0x3fb8aa3b, v5, -v6
	v_rndne_f32_e32 v15, v6
	v_dual_fmac_f32 v8, 0x32a5705f, v2 :: v_dual_fmac_f32 v11, 0x32a5705f, v5
	s_delay_alu instid0(VALU_DEP_2) | instskip(NEXT) | instid1(VALU_DEP_1)
	v_dual_sub_f32 v6, v6, v15 :: v_dual_sub_f32 v3, v3, v10
	v_dual_add_f32 v6, v6, v11 :: v_dual_add_f32 v3, v3, v8
	v_cvt_i32_f32_e32 v8, v10
	v_cvt_i32_f32_e32 v10, v15
	s_delay_alu instid0(VALU_DEP_3) | instskip(NEXT) | instid1(VALU_DEP_3)
	v_exp_f32_e32 v6, v6
	v_exp_f32_e32 v3, v3
	s_waitcnt_depctr 0xfff
	v_ldexp_f32 v6, v6, v10
	v_ldexp_f32 v3, v3, v8
	s_delay_alu instid0(VALU_DEP_1) | instskip(SKIP_1) | instid1(VALU_DEP_1)
	v_cndmask_b32_e64 v3, 0, v3, s1
	v_cmp_ngt_f32_e64 s1, 0xc2ce8ed0, v5
	v_cndmask_b32_e64 v6, 0, v6, s1
	v_cmp_nlt_f32_e64 s1, 0x42b17218, v2
	s_delay_alu instid0(VALU_DEP_1)
	v_cndmask_b32_e64 v3, 0x7f800000, v3, s1
	v_cmp_nlt_f32_e64 s1, 0x42b17218, v5
	ds_bpermute_b32 v5, v7, v3
	v_cndmask_b32_e64 v2, 0x7f800000, v6, s1
	ds_bpermute_b32 v6, v7, v2
	s_waitcnt lgkmcnt(0)
	v_add_f32_e32 v6, v2, v6
	ds_bpermute_b32 v8, v9, v6
	s_waitcnt lgkmcnt(0)
	v_dual_add_f32 v5, v3, v5 :: v_dual_add_f32 v6, v6, v8
	ds_bpermute_b32 v7, v9, v5
	ds_bpermute_b32 v8, v12, v6
	s_waitcnt lgkmcnt(0)
	v_dual_add_f32 v5, v5, v7 :: v_dual_add_f32 v6, v6, v8
	ds_bpermute_b32 v7, v12, v5
	ds_bpermute_b32 v8, v13, v6
	s_waitcnt lgkmcnt(1)
	v_add_f32_e32 v5, v5, v7
	ds_bpermute_b32 v7, v13, v5
	s_waitcnt lgkmcnt(0)
	v_add_f32_e32 v7, v5, v7
	v_add_f32_e32 v5, v6, v8
	ds_bpermute_b32 v8, v14, v7
	ds_bpermute_b32 v6, v14, v5
	s_and_saveexec_b32 s1, vcc_lo
	s_cbranch_execz .LBB442_10
; %bb.5:
	v_lshlrev_b64 v[0:1], 2, v[0:1]
	s_delay_alu instid0(VALU_DEP_1) | instskip(NEXT) | instid1(VALU_DEP_2)
	v_add_co_u32 v0, vcc_lo, s4, v0
	v_add_co_ci_u32_e32 v1, vcc_lo, s5, v1, vcc_lo
	s_and_saveexec_b32 s1, s0
	s_cbranch_execz .LBB442_7
; %bb.6:
	s_waitcnt lgkmcnt(1)
	v_add_f32_e32 v7, v7, v8
	s_delay_alu instid0(VALU_DEP_1) | instskip(NEXT) | instid1(VALU_DEP_1)
	v_div_scale_f32 v8, null, v7, v7, v3
	v_rcp_f32_e32 v9, v8
	s_waitcnt_depctr 0xfff
	v_fma_f32 v10, -v8, v9, 1.0
	s_delay_alu instid0(VALU_DEP_1) | instskip(SKIP_1) | instid1(VALU_DEP_1)
	v_fmac_f32_e32 v9, v10, v9
	v_div_scale_f32 v10, vcc_lo, v3, v7, v3
	v_mul_f32_e32 v11, v10, v9
	s_delay_alu instid0(VALU_DEP_1) | instskip(NEXT) | instid1(VALU_DEP_1)
	v_fma_f32 v12, -v8, v11, v10
	v_fmac_f32_e32 v11, v12, v9
	s_delay_alu instid0(VALU_DEP_1) | instskip(NEXT) | instid1(VALU_DEP_1)
	v_fma_f32 v8, -v8, v11, v10
	v_div_fmas_f32 v8, v8, v9, v11
	v_cmp_neq_f32_e32 vcc_lo, 0, v7
	s_delay_alu instid0(VALU_DEP_2) | instskip(NEXT) | instid1(VALU_DEP_1)
	v_div_fixup_f32 v3, v8, v7, v3
	v_cndmask_b32_e32 v3, 0x7fc00000, v3, vcc_lo
	global_store_b32 v[0:1], v3, off
.LBB442_7:
	s_or_b32 exec_lo, exec_lo, s1
	v_cmp_ne_u32_e32 vcc_lo, 1, v4
	s_and_b32 exec_lo, exec_lo, vcc_lo
	s_cbranch_execz .LBB442_10
; %bb.8:
	s_and_b32 exec_lo, exec_lo, s0
	s_cbranch_execz .LBB442_10
; %bb.9:
	s_waitcnt lgkmcnt(0)
	v_add_f32_e32 v3, v5, v6
	s_mov_b32 s11, 0
	s_delay_alu instid0(SALU_CYCLE_1) | instskip(NEXT) | instid1(VALU_DEP_1)
	s_lshl_b64 s[0:1], s[10:11], 2
	v_div_scale_f32 v4, null, v3, v3, v2
	v_div_scale_f32 v7, vcc_lo, v2, v3, v2
	s_delay_alu instid0(VALU_DEP_2) | instskip(SKIP_2) | instid1(VALU_DEP_1)
	v_rcp_f32_e32 v5, v4
	s_waitcnt_depctr 0xfff
	v_fma_f32 v6, -v4, v5, 1.0
	v_fmac_f32_e32 v5, v6, v5
	s_delay_alu instid0(VALU_DEP_1) | instskip(NEXT) | instid1(VALU_DEP_1)
	v_mul_f32_e32 v6, v7, v5
	v_fma_f32 v8, -v4, v6, v7
	s_delay_alu instid0(VALU_DEP_1) | instskip(NEXT) | instid1(VALU_DEP_1)
	v_fmac_f32_e32 v6, v8, v5
	v_fma_f32 v4, -v4, v6, v7
	s_delay_alu instid0(VALU_DEP_1) | instskip(SKIP_2) | instid1(VALU_DEP_3)
	v_div_fmas_f32 v4, v4, v5, v6
	v_add_co_u32 v0, vcc_lo, v0, s0
	v_add_co_ci_u32_e32 v1, vcc_lo, s1, v1, vcc_lo
	v_div_fixup_f32 v2, v4, v3, v2
	v_cmp_neq_f32_e32 vcc_lo, 0, v3
	s_delay_alu instid0(VALU_DEP_2)
	v_cndmask_b32_e32 v2, 0x7fc00000, v2, vcc_lo
	global_store_b32 v[0:1], v2, off
.LBB442_10:
	s_nop 0
	s_sendmsg sendmsg(MSG_DEALLOC_VGPRS)
	s_endpgm
	.section	.rodata,"a",@progbits
	.p2align	6, 0x0
	.amdhsa_kernel _ZN12_GLOBAL__N_120softmax_warp_forwardIN3c104HalfEffLi5ELb0ELb0ELi64EEEvPT0_PKT_iiiPKbib
		.amdhsa_group_segment_fixed_size 0
		.amdhsa_private_segment_fixed_size 0
		.amdhsa_kernarg_size 304
		.amdhsa_user_sgpr_count 15
		.amdhsa_user_sgpr_dispatch_ptr 0
		.amdhsa_user_sgpr_queue_ptr 0
		.amdhsa_user_sgpr_kernarg_segment_ptr 1
		.amdhsa_user_sgpr_dispatch_id 0
		.amdhsa_user_sgpr_private_segment_size 0
		.amdhsa_wavefront_size32 1
		.amdhsa_uses_dynamic_stack 0
		.amdhsa_enable_private_segment 0
		.amdhsa_system_sgpr_workgroup_id_x 1
		.amdhsa_system_sgpr_workgroup_id_y 0
		.amdhsa_system_sgpr_workgroup_id_z 0
		.amdhsa_system_sgpr_workgroup_info 0
		.amdhsa_system_vgpr_workitem_id 1
		.amdhsa_next_free_vgpr 16
		.amdhsa_next_free_sgpr 16
		.amdhsa_reserve_vcc 1
		.amdhsa_float_round_mode_32 0
		.amdhsa_float_round_mode_16_64 0
		.amdhsa_float_denorm_mode_32 3
		.amdhsa_float_denorm_mode_16_64 3
		.amdhsa_dx10_clamp 1
		.amdhsa_ieee_mode 1
		.amdhsa_fp16_overflow 0
		.amdhsa_workgroup_processor_mode 1
		.amdhsa_memory_ordered 1
		.amdhsa_forward_progress 0
		.amdhsa_shared_vgpr_count 0
		.amdhsa_exception_fp_ieee_invalid_op 0
		.amdhsa_exception_fp_denorm_src 0
		.amdhsa_exception_fp_ieee_div_zero 0
		.amdhsa_exception_fp_ieee_overflow 0
		.amdhsa_exception_fp_ieee_underflow 0
		.amdhsa_exception_fp_ieee_inexact 0
		.amdhsa_exception_int_div_zero 0
	.end_amdhsa_kernel
	.section	.text._ZN12_GLOBAL__N_120softmax_warp_forwardIN3c104HalfEffLi5ELb0ELb0ELi64EEEvPT0_PKT_iiiPKbib,"axG",@progbits,_ZN12_GLOBAL__N_120softmax_warp_forwardIN3c104HalfEffLi5ELb0ELb0ELi64EEEvPT0_PKT_iiiPKbib,comdat
.Lfunc_end442:
	.size	_ZN12_GLOBAL__N_120softmax_warp_forwardIN3c104HalfEffLi5ELb0ELb0ELi64EEEvPT0_PKT_iiiPKbib, .Lfunc_end442-_ZN12_GLOBAL__N_120softmax_warp_forwardIN3c104HalfEffLi5ELb0ELb0ELi64EEEvPT0_PKT_iiiPKbib
                                        ; -- End function
	.section	.AMDGPU.csdata,"",@progbits
; Kernel info:
; codeLenInByte = 1404
; NumSgprs: 18
; NumVgprs: 16
; ScratchSize: 0
; MemoryBound: 0
; FloatMode: 240
; IeeeMode: 1
; LDSByteSize: 0 bytes/workgroup (compile time only)
; SGPRBlocks: 2
; VGPRBlocks: 1
; NumSGPRsForWavesPerEU: 18
; NumVGPRsForWavesPerEU: 16
; Occupancy: 16
; WaveLimiterHint : 0
; COMPUTE_PGM_RSRC2:SCRATCH_EN: 0
; COMPUTE_PGM_RSRC2:USER_SGPR: 15
; COMPUTE_PGM_RSRC2:TRAP_HANDLER: 0
; COMPUTE_PGM_RSRC2:TGID_X_EN: 1
; COMPUTE_PGM_RSRC2:TGID_Y_EN: 0
; COMPUTE_PGM_RSRC2:TGID_Z_EN: 0
; COMPUTE_PGM_RSRC2:TIDIG_COMP_CNT: 1
	.section	.text._ZN12_GLOBAL__N_120softmax_warp_forwardIN3c104HalfEffLi5ELb0ELb0ELi32EEEvPT0_PKT_iiiPKbib,"axG",@progbits,_ZN12_GLOBAL__N_120softmax_warp_forwardIN3c104HalfEffLi5ELb0ELb0ELi32EEEvPT0_PKT_iiiPKbib,comdat
	.globl	_ZN12_GLOBAL__N_120softmax_warp_forwardIN3c104HalfEffLi5ELb0ELb0ELi32EEEvPT0_PKT_iiiPKbib ; -- Begin function _ZN12_GLOBAL__N_120softmax_warp_forwardIN3c104HalfEffLi5ELb0ELb0ELi32EEEvPT0_PKT_iiiPKbib
	.p2align	8
	.type	_ZN12_GLOBAL__N_120softmax_warp_forwardIN3c104HalfEffLi5ELb0ELb0ELi32EEEvPT0_PKT_iiiPKbib,@function
_ZN12_GLOBAL__N_120softmax_warp_forwardIN3c104HalfEffLi5ELb0ELb0ELi32EEEvPT0_PKT_iiiPKbib: ; @_ZN12_GLOBAL__N_120softmax_warp_forwardIN3c104HalfEffLi5ELb0ELb0ELi32EEEvPT0_PKT_iiiPKbib
; %bb.0:
	s_clause 0x1
	s_load_b32 s2, s[0:1], 0x3c
	s_load_b256 s[4:11], s[0:1], 0x0
	v_bfe_u32 v1, v0, 10, 10
	v_and_b32_e32 v2, 0x3ff, v0
	v_mov_b32_e32 v5, 0xff800000
	s_waitcnt lgkmcnt(0)
	s_lshr_b32 s0, s2, 16
	s_delay_alu instid0(SALU_CYCLE_1) | instskip(SKIP_2) | instid1(VALU_DEP_1)
	s_mul_i32 s15, s15, s0
	v_cmp_gt_i32_e64 s0, s10, v2
	v_add_lshl_u32 v3, s15, v1, 1
	v_mad_u64_u32 v[0:1], null, v3, s9, v[2:3]
	v_sub_nc_u32_e32 v4, s8, v3
	s_delay_alu instid0(VALU_DEP_1) | instskip(NEXT) | instid1(VALU_DEP_3)
	v_cmp_lt_i32_e32 vcc_lo, 0, v4
	v_ashrrev_i32_e32 v1, 31, v0
	s_and_b32 s2, s0, vcc_lo
	s_delay_alu instid0(VALU_DEP_1) | instskip(NEXT) | instid1(VALU_DEP_1)
	v_lshlrev_b64 v[6:7], 1, v[0:1]
	v_add_co_u32 v2, s1, s6, v6
	v_mov_b32_e32 v6, 0xff800000
	s_delay_alu instid0(VALU_DEP_3)
	v_add_co_ci_u32_e64 v3, s1, s7, v7, s1
	s_and_saveexec_b32 s1, s2
	s_cbranch_execz .LBB443_2
; %bb.1:
	global_load_u16 v6, v[2:3], off
	s_waitcnt vmcnt(0)
	v_cvt_f32_f16_e32 v6, v6
.LBB443_2:
	s_or_b32 exec_lo, exec_lo, s1
	v_cmp_lt_i32_e64 s1, 1, v4
	s_delay_alu instid0(VALU_DEP_1) | instskip(NEXT) | instid1(SALU_CYCLE_1)
	s_and_b32 s1, s0, s1
	s_and_saveexec_b32 s2, s1
	s_cbranch_execz .LBB443_4
; %bb.3:
	s_mov_b32 s11, 0
	s_delay_alu instid0(SALU_CYCLE_1) | instskip(NEXT) | instid1(SALU_CYCLE_1)
	s_lshl_b64 s[6:7], s[10:11], 1
	v_add_co_u32 v2, s1, v2, s6
	s_delay_alu instid0(VALU_DEP_1)
	v_add_co_ci_u32_e64 v3, s1, s7, v3, s1
	global_load_u16 v2, v[2:3], off
	s_waitcnt vmcnt(0)
	v_cvt_f32_f16_e32 v5, v2
.LBB443_4:
	s_or_b32 exec_lo, exec_lo, s2
	v_mbcnt_lo_u32_b32 v2, -1, 0
	s_delay_alu instid0(VALU_DEP_1)
	v_xor_b32_e32 v3, 16, v2
	v_xor_b32_e32 v9, 8, v2
	;; [unrolled: 1-line block ×5, first 2 shown]
	v_cmp_gt_i32_e64 s1, 32, v3
	s_delay_alu instid0(VALU_DEP_1) | instskip(SKIP_1) | instid1(VALU_DEP_2)
	v_cndmask_b32_e64 v3, v2, v3, s1
	v_cmp_gt_i32_e64 s1, 32, v9
	v_lshlrev_b32_e32 v7, 2, v3
	s_delay_alu instid0(VALU_DEP_2)
	v_cndmask_b32_e64 v9, v2, v9, s1
	ds_bpermute_b32 v3, v7, v6
	ds_bpermute_b32 v8, v7, v5
	v_lshlrev_b32_e32 v9, 2, v9
	s_waitcnt lgkmcnt(1)
	v_cmp_lt_f32_e64 s1, v6, v3
	s_delay_alu instid0(VALU_DEP_1)
	v_cndmask_b32_e64 v3, v6, v3, s1
	s_waitcnt lgkmcnt(0)
	v_cmp_lt_f32_e64 s1, v5, v8
	ds_bpermute_b32 v10, v9, v3
	v_cndmask_b32_e64 v8, v5, v8, s1
	v_cmp_gt_i32_e64 s1, 32, v12
	ds_bpermute_b32 v11, v9, v8
	v_cndmask_b32_e64 v12, v2, v12, s1
	s_delay_alu instid0(VALU_DEP_1) | instskip(SKIP_2) | instid1(VALU_DEP_1)
	v_lshlrev_b32_e32 v12, 2, v12
	s_waitcnt lgkmcnt(1)
	v_cmp_lt_f32_e64 s1, v3, v10
	v_cndmask_b32_e64 v3, v3, v10, s1
	s_waitcnt lgkmcnt(0)
	v_cmp_lt_f32_e64 s1, v8, v11
	ds_bpermute_b32 v10, v12, v3
	v_cndmask_b32_e64 v8, v8, v11, s1
	v_cmp_gt_i32_e64 s1, 32, v13
	ds_bpermute_b32 v11, v12, v8
	v_cndmask_b32_e64 v13, v2, v13, s1
	s_delay_alu instid0(VALU_DEP_1) | instskip(SKIP_2) | instid1(VALU_DEP_1)
	v_lshlrev_b32_e32 v13, 2, v13
	s_waitcnt lgkmcnt(1)
	v_cmp_lt_f32_e64 s1, v3, v10
	;; [unrolled: 12-line block ×3, first 2 shown]
	v_cndmask_b32_e64 v2, v3, v10, s1
	s_waitcnt lgkmcnt(0)
	v_cmp_lt_f32_e64 s1, v8, v11
	s_delay_alu instid0(VALU_DEP_1) | instskip(SKIP_4) | instid1(VALU_DEP_1)
	v_cndmask_b32_e64 v3, v8, v11, s1
	ds_bpermute_b32 v8, v14, v2
	ds_bpermute_b32 v10, v14, v3
	s_waitcnt lgkmcnt(1)
	v_cmp_lt_f32_e64 s1, v2, v8
	v_cndmask_b32_e64 v2, v2, v8, s1
	s_waitcnt lgkmcnt(0)
	v_cmp_lt_f32_e64 s1, v3, v10
	s_delay_alu instid0(VALU_DEP_2) | instskip(NEXT) | instid1(VALU_DEP_2)
	v_sub_f32_e32 v2, v6, v2
	v_cndmask_b32_e64 v3, v3, v10, s1
	s_delay_alu instid0(VALU_DEP_2) | instskip(NEXT) | instid1(VALU_DEP_2)
	v_cmp_ngt_f32_e64 s1, 0xc2ce8ed0, v2
	v_sub_f32_e32 v5, v5, v3
	s_delay_alu instid0(VALU_DEP_1) | instskip(NEXT) | instid1(VALU_DEP_1)
	v_dual_mul_f32 v3, 0x3fb8aa3b, v2 :: v_dual_mul_f32 v6, 0x3fb8aa3b, v5
	v_fma_f32 v8, 0x3fb8aa3b, v2, -v3
	v_rndne_f32_e32 v10, v3
	s_delay_alu instid0(VALU_DEP_3) | instskip(SKIP_1) | instid1(VALU_DEP_2)
	v_fma_f32 v11, 0x3fb8aa3b, v5, -v6
	v_rndne_f32_e32 v15, v6
	v_dual_fmac_f32 v8, 0x32a5705f, v2 :: v_dual_fmac_f32 v11, 0x32a5705f, v5
	s_delay_alu instid0(VALU_DEP_2) | instskip(NEXT) | instid1(VALU_DEP_1)
	v_dual_sub_f32 v6, v6, v15 :: v_dual_sub_f32 v3, v3, v10
	v_dual_add_f32 v6, v6, v11 :: v_dual_add_f32 v3, v3, v8
	v_cvt_i32_f32_e32 v8, v10
	v_cvt_i32_f32_e32 v10, v15
	s_delay_alu instid0(VALU_DEP_3) | instskip(NEXT) | instid1(VALU_DEP_3)
	v_exp_f32_e32 v6, v6
	v_exp_f32_e32 v3, v3
	s_waitcnt_depctr 0xfff
	v_ldexp_f32 v6, v6, v10
	v_ldexp_f32 v3, v3, v8
	s_delay_alu instid0(VALU_DEP_1) | instskip(SKIP_1) | instid1(VALU_DEP_1)
	v_cndmask_b32_e64 v3, 0, v3, s1
	v_cmp_ngt_f32_e64 s1, 0xc2ce8ed0, v5
	v_cndmask_b32_e64 v6, 0, v6, s1
	v_cmp_nlt_f32_e64 s1, 0x42b17218, v2
	s_delay_alu instid0(VALU_DEP_1)
	v_cndmask_b32_e64 v3, 0x7f800000, v3, s1
	v_cmp_nlt_f32_e64 s1, 0x42b17218, v5
	ds_bpermute_b32 v5, v7, v3
	v_cndmask_b32_e64 v2, 0x7f800000, v6, s1
	ds_bpermute_b32 v6, v7, v2
	s_waitcnt lgkmcnt(0)
	v_add_f32_e32 v6, v2, v6
	ds_bpermute_b32 v8, v9, v6
	s_waitcnt lgkmcnt(0)
	v_dual_add_f32 v5, v3, v5 :: v_dual_add_f32 v6, v6, v8
	ds_bpermute_b32 v7, v9, v5
	ds_bpermute_b32 v8, v12, v6
	s_waitcnt lgkmcnt(0)
	v_dual_add_f32 v5, v5, v7 :: v_dual_add_f32 v6, v6, v8
	ds_bpermute_b32 v7, v12, v5
	ds_bpermute_b32 v8, v13, v6
	s_waitcnt lgkmcnt(1)
	v_add_f32_e32 v5, v5, v7
	ds_bpermute_b32 v7, v13, v5
	s_waitcnt lgkmcnt(0)
	v_add_f32_e32 v7, v5, v7
	v_add_f32_e32 v5, v6, v8
	ds_bpermute_b32 v8, v14, v7
	ds_bpermute_b32 v6, v14, v5
	s_and_saveexec_b32 s1, vcc_lo
	s_cbranch_execz .LBB443_10
; %bb.5:
	v_lshlrev_b64 v[0:1], 2, v[0:1]
	s_delay_alu instid0(VALU_DEP_1) | instskip(NEXT) | instid1(VALU_DEP_2)
	v_add_co_u32 v0, vcc_lo, s4, v0
	v_add_co_ci_u32_e32 v1, vcc_lo, s5, v1, vcc_lo
	s_and_saveexec_b32 s1, s0
	s_cbranch_execz .LBB443_7
; %bb.6:
	s_waitcnt lgkmcnt(1)
	v_add_f32_e32 v7, v7, v8
	s_delay_alu instid0(VALU_DEP_1) | instskip(NEXT) | instid1(VALU_DEP_1)
	v_div_scale_f32 v8, null, v7, v7, v3
	v_rcp_f32_e32 v9, v8
	s_waitcnt_depctr 0xfff
	v_fma_f32 v10, -v8, v9, 1.0
	s_delay_alu instid0(VALU_DEP_1) | instskip(SKIP_1) | instid1(VALU_DEP_1)
	v_fmac_f32_e32 v9, v10, v9
	v_div_scale_f32 v10, vcc_lo, v3, v7, v3
	v_mul_f32_e32 v11, v10, v9
	s_delay_alu instid0(VALU_DEP_1) | instskip(NEXT) | instid1(VALU_DEP_1)
	v_fma_f32 v12, -v8, v11, v10
	v_fmac_f32_e32 v11, v12, v9
	s_delay_alu instid0(VALU_DEP_1) | instskip(NEXT) | instid1(VALU_DEP_1)
	v_fma_f32 v8, -v8, v11, v10
	v_div_fmas_f32 v8, v8, v9, v11
	v_cmp_neq_f32_e32 vcc_lo, 0, v7
	s_delay_alu instid0(VALU_DEP_2) | instskip(NEXT) | instid1(VALU_DEP_1)
	v_div_fixup_f32 v3, v8, v7, v3
	v_cndmask_b32_e32 v3, 0x7fc00000, v3, vcc_lo
	global_store_b32 v[0:1], v3, off
.LBB443_7:
	s_or_b32 exec_lo, exec_lo, s1
	v_cmp_ne_u32_e32 vcc_lo, 1, v4
	s_and_b32 exec_lo, exec_lo, vcc_lo
	s_cbranch_execz .LBB443_10
; %bb.8:
	s_and_b32 exec_lo, exec_lo, s0
	s_cbranch_execz .LBB443_10
; %bb.9:
	s_waitcnt lgkmcnt(0)
	v_add_f32_e32 v3, v5, v6
	s_mov_b32 s11, 0
	s_delay_alu instid0(SALU_CYCLE_1) | instskip(NEXT) | instid1(VALU_DEP_1)
	s_lshl_b64 s[0:1], s[10:11], 2
	v_div_scale_f32 v4, null, v3, v3, v2
	v_div_scale_f32 v7, vcc_lo, v2, v3, v2
	s_delay_alu instid0(VALU_DEP_2) | instskip(SKIP_2) | instid1(VALU_DEP_1)
	v_rcp_f32_e32 v5, v4
	s_waitcnt_depctr 0xfff
	v_fma_f32 v6, -v4, v5, 1.0
	v_fmac_f32_e32 v5, v6, v5
	s_delay_alu instid0(VALU_DEP_1) | instskip(NEXT) | instid1(VALU_DEP_1)
	v_mul_f32_e32 v6, v7, v5
	v_fma_f32 v8, -v4, v6, v7
	s_delay_alu instid0(VALU_DEP_1) | instskip(NEXT) | instid1(VALU_DEP_1)
	v_fmac_f32_e32 v6, v8, v5
	v_fma_f32 v4, -v4, v6, v7
	s_delay_alu instid0(VALU_DEP_1) | instskip(SKIP_2) | instid1(VALU_DEP_3)
	v_div_fmas_f32 v4, v4, v5, v6
	v_add_co_u32 v0, vcc_lo, v0, s0
	v_add_co_ci_u32_e32 v1, vcc_lo, s1, v1, vcc_lo
	v_div_fixup_f32 v2, v4, v3, v2
	v_cmp_neq_f32_e32 vcc_lo, 0, v3
	s_delay_alu instid0(VALU_DEP_2)
	v_cndmask_b32_e32 v2, 0x7fc00000, v2, vcc_lo
	global_store_b32 v[0:1], v2, off
.LBB443_10:
	s_nop 0
	s_sendmsg sendmsg(MSG_DEALLOC_VGPRS)
	s_endpgm
	.section	.rodata,"a",@progbits
	.p2align	6, 0x0
	.amdhsa_kernel _ZN12_GLOBAL__N_120softmax_warp_forwardIN3c104HalfEffLi5ELb0ELb0ELi32EEEvPT0_PKT_iiiPKbib
		.amdhsa_group_segment_fixed_size 0
		.amdhsa_private_segment_fixed_size 0
		.amdhsa_kernarg_size 304
		.amdhsa_user_sgpr_count 15
		.amdhsa_user_sgpr_dispatch_ptr 0
		.amdhsa_user_sgpr_queue_ptr 0
		.amdhsa_user_sgpr_kernarg_segment_ptr 1
		.amdhsa_user_sgpr_dispatch_id 0
		.amdhsa_user_sgpr_private_segment_size 0
		.amdhsa_wavefront_size32 1
		.amdhsa_uses_dynamic_stack 0
		.amdhsa_enable_private_segment 0
		.amdhsa_system_sgpr_workgroup_id_x 1
		.amdhsa_system_sgpr_workgroup_id_y 0
		.amdhsa_system_sgpr_workgroup_id_z 0
		.amdhsa_system_sgpr_workgroup_info 0
		.amdhsa_system_vgpr_workitem_id 1
		.amdhsa_next_free_vgpr 16
		.amdhsa_next_free_sgpr 16
		.amdhsa_reserve_vcc 1
		.amdhsa_float_round_mode_32 0
		.amdhsa_float_round_mode_16_64 0
		.amdhsa_float_denorm_mode_32 3
		.amdhsa_float_denorm_mode_16_64 3
		.amdhsa_dx10_clamp 1
		.amdhsa_ieee_mode 1
		.amdhsa_fp16_overflow 0
		.amdhsa_workgroup_processor_mode 1
		.amdhsa_memory_ordered 1
		.amdhsa_forward_progress 0
		.amdhsa_shared_vgpr_count 0
		.amdhsa_exception_fp_ieee_invalid_op 0
		.amdhsa_exception_fp_denorm_src 0
		.amdhsa_exception_fp_ieee_div_zero 0
		.amdhsa_exception_fp_ieee_overflow 0
		.amdhsa_exception_fp_ieee_underflow 0
		.amdhsa_exception_fp_ieee_inexact 0
		.amdhsa_exception_int_div_zero 0
	.end_amdhsa_kernel
	.section	.text._ZN12_GLOBAL__N_120softmax_warp_forwardIN3c104HalfEffLi5ELb0ELb0ELi32EEEvPT0_PKT_iiiPKbib,"axG",@progbits,_ZN12_GLOBAL__N_120softmax_warp_forwardIN3c104HalfEffLi5ELb0ELb0ELi32EEEvPT0_PKT_iiiPKbib,comdat
.Lfunc_end443:
	.size	_ZN12_GLOBAL__N_120softmax_warp_forwardIN3c104HalfEffLi5ELb0ELb0ELi32EEEvPT0_PKT_iiiPKbib, .Lfunc_end443-_ZN12_GLOBAL__N_120softmax_warp_forwardIN3c104HalfEffLi5ELb0ELb0ELi32EEEvPT0_PKT_iiiPKbib
                                        ; -- End function
	.section	.AMDGPU.csdata,"",@progbits
; Kernel info:
; codeLenInByte = 1404
; NumSgprs: 18
; NumVgprs: 16
; ScratchSize: 0
; MemoryBound: 0
; FloatMode: 240
; IeeeMode: 1
; LDSByteSize: 0 bytes/workgroup (compile time only)
; SGPRBlocks: 2
; VGPRBlocks: 1
; NumSGPRsForWavesPerEU: 18
; NumVGPRsForWavesPerEU: 16
; Occupancy: 16
; WaveLimiterHint : 0
; COMPUTE_PGM_RSRC2:SCRATCH_EN: 0
; COMPUTE_PGM_RSRC2:USER_SGPR: 15
; COMPUTE_PGM_RSRC2:TRAP_HANDLER: 0
; COMPUTE_PGM_RSRC2:TGID_X_EN: 1
; COMPUTE_PGM_RSRC2:TGID_Y_EN: 0
; COMPUTE_PGM_RSRC2:TGID_Z_EN: 0
; COMPUTE_PGM_RSRC2:TIDIG_COMP_CNT: 1
	.section	.text._ZN12_GLOBAL__N_120softmax_warp_forwardIN3c104HalfEffLi6ELb0ELb0ELi64EEEvPT0_PKT_iiiPKbib,"axG",@progbits,_ZN12_GLOBAL__N_120softmax_warp_forwardIN3c104HalfEffLi6ELb0ELb0ELi64EEEvPT0_PKT_iiiPKbib,comdat
	.globl	_ZN12_GLOBAL__N_120softmax_warp_forwardIN3c104HalfEffLi6ELb0ELb0ELi64EEEvPT0_PKT_iiiPKbib ; -- Begin function _ZN12_GLOBAL__N_120softmax_warp_forwardIN3c104HalfEffLi6ELb0ELb0ELi64EEEvPT0_PKT_iiiPKbib
	.p2align	8
	.type	_ZN12_GLOBAL__N_120softmax_warp_forwardIN3c104HalfEffLi6ELb0ELb0ELi64EEEvPT0_PKT_iiiPKbib,@function
_ZN12_GLOBAL__N_120softmax_warp_forwardIN3c104HalfEffLi6ELb0ELb0ELi64EEEvPT0_PKT_iiiPKbib: ; @_ZN12_GLOBAL__N_120softmax_warp_forwardIN3c104HalfEffLi6ELb0ELb0ELi64EEEvPT0_PKT_iiiPKbib
; %bb.0:
	s_clause 0x1
	s_load_b32 s2, s[0:1], 0x3c
	s_load_b256 s[4:11], s[0:1], 0x0
	v_bfe_u32 v1, v0, 10, 10
	v_and_b32_e32 v2, 0x3ff, v0
	v_mov_b32_e32 v5, 0xff800000
	s_waitcnt lgkmcnt(0)
	s_lshr_b32 s0, s2, 16
	s_delay_alu instid0(SALU_CYCLE_1) | instskip(SKIP_2) | instid1(VALU_DEP_1)
	s_mul_i32 s15, s15, s0
	v_cmp_gt_i32_e64 s0, s10, v2
	v_add_lshl_u32 v3, s15, v1, 1
	v_mad_u64_u32 v[0:1], null, v3, s9, v[2:3]
	v_sub_nc_u32_e32 v4, s8, v3
	s_delay_alu instid0(VALU_DEP_1) | instskip(NEXT) | instid1(VALU_DEP_3)
	v_cmp_lt_i32_e32 vcc_lo, 0, v4
	v_ashrrev_i32_e32 v1, 31, v0
	s_and_b32 s2, s0, vcc_lo
	s_delay_alu instid0(VALU_DEP_1) | instskip(NEXT) | instid1(VALU_DEP_1)
	v_lshlrev_b64 v[6:7], 1, v[0:1]
	v_add_co_u32 v2, s1, s6, v6
	v_mov_b32_e32 v6, 0xff800000
	s_delay_alu instid0(VALU_DEP_3)
	v_add_co_ci_u32_e64 v3, s1, s7, v7, s1
	s_and_saveexec_b32 s1, s2
	s_cbranch_execz .LBB444_2
; %bb.1:
	global_load_u16 v6, v[2:3], off
	s_waitcnt vmcnt(0)
	v_cvt_f32_f16_e32 v6, v6
.LBB444_2:
	s_or_b32 exec_lo, exec_lo, s1
	v_cmp_lt_i32_e64 s1, 1, v4
	s_delay_alu instid0(VALU_DEP_1) | instskip(NEXT) | instid1(SALU_CYCLE_1)
	s_and_b32 s1, s0, s1
	s_and_saveexec_b32 s2, s1
	s_cbranch_execz .LBB444_4
; %bb.3:
	s_mov_b32 s11, 0
	s_delay_alu instid0(SALU_CYCLE_1) | instskip(NEXT) | instid1(SALU_CYCLE_1)
	s_lshl_b64 s[6:7], s[10:11], 1
	v_add_co_u32 v2, s1, v2, s6
	s_delay_alu instid0(VALU_DEP_1)
	v_add_co_ci_u32_e64 v3, s1, s7, v3, s1
	global_load_u16 v2, v[2:3], off
	s_waitcnt vmcnt(0)
	v_cvt_f32_f16_e32 v5, v2
.LBB444_4:
	s_or_b32 exec_lo, exec_lo, s2
	v_mbcnt_lo_u32_b32 v2, -1, 0
	s_delay_alu instid0(VALU_DEP_1)
	v_or_b32_e32 v3, 32, v2
	v_xor_b32_e32 v9, 16, v2
	v_xor_b32_e32 v12, 8, v2
	;; [unrolled: 1-line block ×4, first 2 shown]
	v_cmp_gt_i32_e64 s1, 64, v3
	v_xor_b32_e32 v15, 1, v2
	s_delay_alu instid0(VALU_DEP_2) | instskip(SKIP_1) | instid1(VALU_DEP_2)
	v_cndmask_b32_e64 v3, v2, v3, s1
	v_cmp_gt_i32_e64 s1, 64, v9
	v_lshlrev_b32_e32 v7, 2, v3
	s_delay_alu instid0(VALU_DEP_2)
	v_cndmask_b32_e64 v9, v2, v9, s1
	ds_bpermute_b32 v3, v7, v6
	ds_bpermute_b32 v8, v7, v5
	v_lshlrev_b32_e32 v9, 2, v9
	s_waitcnt lgkmcnt(1)
	v_cmp_lt_f32_e64 s1, v6, v3
	s_delay_alu instid0(VALU_DEP_1)
	v_cndmask_b32_e64 v3, v6, v3, s1
	s_waitcnt lgkmcnt(0)
	v_cmp_lt_f32_e64 s1, v5, v8
	ds_bpermute_b32 v10, v9, v3
	v_cndmask_b32_e64 v8, v5, v8, s1
	v_cmp_gt_i32_e64 s1, 64, v12
	ds_bpermute_b32 v11, v9, v8
	v_cndmask_b32_e64 v12, v2, v12, s1
	s_delay_alu instid0(VALU_DEP_1) | instskip(SKIP_2) | instid1(VALU_DEP_1)
	v_lshlrev_b32_e32 v12, 2, v12
	s_waitcnt lgkmcnt(1)
	v_cmp_lt_f32_e64 s1, v3, v10
	v_cndmask_b32_e64 v3, v3, v10, s1
	s_waitcnt lgkmcnt(0)
	v_cmp_lt_f32_e64 s1, v8, v11
	ds_bpermute_b32 v10, v12, v3
	v_cndmask_b32_e64 v8, v8, v11, s1
	v_cmp_gt_i32_e64 s1, 64, v13
	ds_bpermute_b32 v11, v12, v8
	v_cndmask_b32_e64 v13, v2, v13, s1
	s_delay_alu instid0(VALU_DEP_1) | instskip(SKIP_2) | instid1(VALU_DEP_1)
	v_lshlrev_b32_e32 v13, 2, v13
	s_waitcnt lgkmcnt(1)
	v_cmp_lt_f32_e64 s1, v3, v10
	;; [unrolled: 12-line block ×4, first 2 shown]
	v_cndmask_b32_e64 v2, v3, v10, s1
	s_waitcnt lgkmcnt(0)
	v_cmp_lt_f32_e64 s1, v8, v11
	s_delay_alu instid0(VALU_DEP_1) | instskip(SKIP_4) | instid1(VALU_DEP_1)
	v_cndmask_b32_e64 v3, v8, v11, s1
	ds_bpermute_b32 v8, v15, v2
	ds_bpermute_b32 v10, v15, v3
	s_waitcnt lgkmcnt(1)
	v_cmp_lt_f32_e64 s1, v2, v8
	v_cndmask_b32_e64 v2, v2, v8, s1
	s_waitcnt lgkmcnt(0)
	v_cmp_lt_f32_e64 s1, v3, v10
	s_delay_alu instid0(VALU_DEP_2) | instskip(NEXT) | instid1(VALU_DEP_2)
	v_sub_f32_e32 v2, v6, v2
	v_cndmask_b32_e64 v3, v3, v10, s1
	s_delay_alu instid0(VALU_DEP_2) | instskip(NEXT) | instid1(VALU_DEP_2)
	v_cmp_ngt_f32_e64 s1, 0xc2ce8ed0, v2
	v_sub_f32_e32 v5, v5, v3
	s_delay_alu instid0(VALU_DEP_1) | instskip(NEXT) | instid1(VALU_DEP_1)
	v_mul_f32_e32 v6, 0x3fb8aa3b, v5
	v_fma_f32 v11, 0x3fb8aa3b, v5, -v6
	v_rndne_f32_e32 v16, v6
	s_delay_alu instid0(VALU_DEP_1) | instskip(NEXT) | instid1(VALU_DEP_1)
	v_dual_fmac_f32 v11, 0x32a5705f, v5 :: v_dual_sub_f32 v6, v6, v16
	v_dual_mul_f32 v3, 0x3fb8aa3b, v2 :: v_dual_add_f32 v6, v6, v11
	s_delay_alu instid0(VALU_DEP_1) | instskip(SKIP_1) | instid1(VALU_DEP_3)
	v_fma_f32 v8, 0x3fb8aa3b, v2, -v3
	v_rndne_f32_e32 v10, v3
	v_exp_f32_e32 v6, v6
	s_delay_alu instid0(VALU_DEP_2) | instskip(NEXT) | instid1(VALU_DEP_2)
	v_fmac_f32_e32 v8, 0x32a5705f, v2
	v_sub_f32_e32 v3, v3, v10
	s_delay_alu instid0(VALU_DEP_1) | instskip(SKIP_2) | instid1(VALU_DEP_3)
	v_add_f32_e32 v3, v3, v8
	v_cvt_i32_f32_e32 v8, v10
	v_cvt_i32_f32_e32 v10, v16
	v_exp_f32_e32 v3, v3
	s_delay_alu instid0(TRANS32_DEP_2) | instid1(VALU_DEP_1)
	v_ldexp_f32 v6, v6, v10
	s_waitcnt_depctr 0xfff
	v_ldexp_f32 v3, v3, v8
	s_delay_alu instid0(VALU_DEP_1) | instskip(SKIP_1) | instid1(VALU_DEP_1)
	v_cndmask_b32_e64 v3, 0, v3, s1
	v_cmp_ngt_f32_e64 s1, 0xc2ce8ed0, v5
	v_cndmask_b32_e64 v6, 0, v6, s1
	v_cmp_nlt_f32_e64 s1, 0x42b17218, v2
	s_delay_alu instid0(VALU_DEP_1)
	v_cndmask_b32_e64 v3, 0x7f800000, v3, s1
	v_cmp_nlt_f32_e64 s1, 0x42b17218, v5
	ds_bpermute_b32 v5, v7, v3
	v_cndmask_b32_e64 v2, 0x7f800000, v6, s1
	ds_bpermute_b32 v6, v7, v2
	s_waitcnt lgkmcnt(0)
	v_add_f32_e32 v6, v2, v6
	ds_bpermute_b32 v8, v9, v6
	s_waitcnt lgkmcnt(0)
	v_add_f32_e32 v6, v6, v8
	ds_bpermute_b32 v8, v12, v6
	s_waitcnt lgkmcnt(0)
	v_dual_add_f32 v5, v3, v5 :: v_dual_add_f32 v6, v6, v8
	ds_bpermute_b32 v7, v9, v5
	ds_bpermute_b32 v8, v13, v6
	s_waitcnt lgkmcnt(0)
	v_dual_add_f32 v5, v5, v7 :: v_dual_add_f32 v6, v6, v8
	ds_bpermute_b32 v7, v12, v5
	ds_bpermute_b32 v8, v14, v6
	s_waitcnt lgkmcnt(1)
	v_add_f32_e32 v5, v5, v7
	ds_bpermute_b32 v7, v13, v5
	s_waitcnt lgkmcnt(0)
	v_add_f32_e32 v5, v5, v7
	;; [unrolled: 3-line block ×3, first 2 shown]
	v_add_f32_e32 v5, v6, v8
	ds_bpermute_b32 v8, v15, v7
	ds_bpermute_b32 v6, v15, v5
	s_and_saveexec_b32 s1, vcc_lo
	s_cbranch_execz .LBB444_10
; %bb.5:
	v_lshlrev_b64 v[0:1], 2, v[0:1]
	s_delay_alu instid0(VALU_DEP_1) | instskip(NEXT) | instid1(VALU_DEP_2)
	v_add_co_u32 v0, vcc_lo, s4, v0
	v_add_co_ci_u32_e32 v1, vcc_lo, s5, v1, vcc_lo
	s_and_saveexec_b32 s1, s0
	s_cbranch_execz .LBB444_7
; %bb.6:
	s_waitcnt lgkmcnt(1)
	v_add_f32_e32 v7, v7, v8
	s_delay_alu instid0(VALU_DEP_1) | instskip(NEXT) | instid1(VALU_DEP_1)
	v_div_scale_f32 v8, null, v7, v7, v3
	v_rcp_f32_e32 v9, v8
	s_waitcnt_depctr 0xfff
	v_fma_f32 v10, -v8, v9, 1.0
	s_delay_alu instid0(VALU_DEP_1) | instskip(SKIP_1) | instid1(VALU_DEP_1)
	v_fmac_f32_e32 v9, v10, v9
	v_div_scale_f32 v10, vcc_lo, v3, v7, v3
	v_mul_f32_e32 v11, v10, v9
	s_delay_alu instid0(VALU_DEP_1) | instskip(NEXT) | instid1(VALU_DEP_1)
	v_fma_f32 v12, -v8, v11, v10
	v_fmac_f32_e32 v11, v12, v9
	s_delay_alu instid0(VALU_DEP_1) | instskip(NEXT) | instid1(VALU_DEP_1)
	v_fma_f32 v8, -v8, v11, v10
	v_div_fmas_f32 v8, v8, v9, v11
	v_cmp_neq_f32_e32 vcc_lo, 0, v7
	s_delay_alu instid0(VALU_DEP_2) | instskip(NEXT) | instid1(VALU_DEP_1)
	v_div_fixup_f32 v3, v8, v7, v3
	v_cndmask_b32_e32 v3, 0x7fc00000, v3, vcc_lo
	global_store_b32 v[0:1], v3, off
.LBB444_7:
	s_or_b32 exec_lo, exec_lo, s1
	v_cmp_ne_u32_e32 vcc_lo, 1, v4
	s_and_b32 exec_lo, exec_lo, vcc_lo
	s_cbranch_execz .LBB444_10
; %bb.8:
	s_and_b32 exec_lo, exec_lo, s0
	s_cbranch_execz .LBB444_10
; %bb.9:
	s_waitcnt lgkmcnt(0)
	v_add_f32_e32 v3, v5, v6
	s_mov_b32 s11, 0
	s_delay_alu instid0(SALU_CYCLE_1) | instskip(NEXT) | instid1(VALU_DEP_1)
	s_lshl_b64 s[0:1], s[10:11], 2
	v_div_scale_f32 v4, null, v3, v3, v2
	v_div_scale_f32 v7, vcc_lo, v2, v3, v2
	s_delay_alu instid0(VALU_DEP_2) | instskip(SKIP_2) | instid1(VALU_DEP_1)
	v_rcp_f32_e32 v5, v4
	s_waitcnt_depctr 0xfff
	v_fma_f32 v6, -v4, v5, 1.0
	v_fmac_f32_e32 v5, v6, v5
	s_delay_alu instid0(VALU_DEP_1) | instskip(NEXT) | instid1(VALU_DEP_1)
	v_mul_f32_e32 v6, v7, v5
	v_fma_f32 v8, -v4, v6, v7
	s_delay_alu instid0(VALU_DEP_1) | instskip(NEXT) | instid1(VALU_DEP_1)
	v_fmac_f32_e32 v6, v8, v5
	v_fma_f32 v4, -v4, v6, v7
	s_delay_alu instid0(VALU_DEP_1) | instskip(SKIP_2) | instid1(VALU_DEP_3)
	v_div_fmas_f32 v4, v4, v5, v6
	v_add_co_u32 v0, vcc_lo, v0, s0
	v_add_co_ci_u32_e32 v1, vcc_lo, s1, v1, vcc_lo
	v_div_fixup_f32 v2, v4, v3, v2
	v_cmp_neq_f32_e32 vcc_lo, 0, v3
	s_delay_alu instid0(VALU_DEP_2)
	v_cndmask_b32_e32 v2, 0x7fc00000, v2, vcc_lo
	global_store_b32 v[0:1], v2, off
.LBB444_10:
	s_nop 0
	s_sendmsg sendmsg(MSG_DEALLOC_VGPRS)
	s_endpgm
	.section	.rodata,"a",@progbits
	.p2align	6, 0x0
	.amdhsa_kernel _ZN12_GLOBAL__N_120softmax_warp_forwardIN3c104HalfEffLi6ELb0ELb0ELi64EEEvPT0_PKT_iiiPKbib
		.amdhsa_group_segment_fixed_size 0
		.amdhsa_private_segment_fixed_size 0
		.amdhsa_kernarg_size 304
		.amdhsa_user_sgpr_count 15
		.amdhsa_user_sgpr_dispatch_ptr 0
		.amdhsa_user_sgpr_queue_ptr 0
		.amdhsa_user_sgpr_kernarg_segment_ptr 1
		.amdhsa_user_sgpr_dispatch_id 0
		.amdhsa_user_sgpr_private_segment_size 0
		.amdhsa_wavefront_size32 1
		.amdhsa_uses_dynamic_stack 0
		.amdhsa_enable_private_segment 0
		.amdhsa_system_sgpr_workgroup_id_x 1
		.amdhsa_system_sgpr_workgroup_id_y 0
		.amdhsa_system_sgpr_workgroup_id_z 0
		.amdhsa_system_sgpr_workgroup_info 0
		.amdhsa_system_vgpr_workitem_id 1
		.amdhsa_next_free_vgpr 17
		.amdhsa_next_free_sgpr 16
		.amdhsa_reserve_vcc 1
		.amdhsa_float_round_mode_32 0
		.amdhsa_float_round_mode_16_64 0
		.amdhsa_float_denorm_mode_32 3
		.amdhsa_float_denorm_mode_16_64 3
		.amdhsa_dx10_clamp 1
		.amdhsa_ieee_mode 1
		.amdhsa_fp16_overflow 0
		.amdhsa_workgroup_processor_mode 1
		.amdhsa_memory_ordered 1
		.amdhsa_forward_progress 0
		.amdhsa_shared_vgpr_count 0
		.amdhsa_exception_fp_ieee_invalid_op 0
		.amdhsa_exception_fp_denorm_src 0
		.amdhsa_exception_fp_ieee_div_zero 0
		.amdhsa_exception_fp_ieee_overflow 0
		.amdhsa_exception_fp_ieee_underflow 0
		.amdhsa_exception_fp_ieee_inexact 0
		.amdhsa_exception_int_div_zero 0
	.end_amdhsa_kernel
	.section	.text._ZN12_GLOBAL__N_120softmax_warp_forwardIN3c104HalfEffLi6ELb0ELb0ELi64EEEvPT0_PKT_iiiPKbib,"axG",@progbits,_ZN12_GLOBAL__N_120softmax_warp_forwardIN3c104HalfEffLi6ELb0ELb0ELi64EEEvPT0_PKT_iiiPKbib,comdat
.Lfunc_end444:
	.size	_ZN12_GLOBAL__N_120softmax_warp_forwardIN3c104HalfEffLi6ELb0ELb0ELi64EEEvPT0_PKT_iiiPKbib, .Lfunc_end444-_ZN12_GLOBAL__N_120softmax_warp_forwardIN3c104HalfEffLi6ELb0ELb0ELi64EEEvPT0_PKT_iiiPKbib
                                        ; -- End function
	.section	.AMDGPU.csdata,"",@progbits
; Kernel info:
; codeLenInByte = 1536
; NumSgprs: 18
; NumVgprs: 17
; ScratchSize: 0
; MemoryBound: 0
; FloatMode: 240
; IeeeMode: 1
; LDSByteSize: 0 bytes/workgroup (compile time only)
; SGPRBlocks: 2
; VGPRBlocks: 2
; NumSGPRsForWavesPerEU: 18
; NumVGPRsForWavesPerEU: 17
; Occupancy: 16
; WaveLimiterHint : 0
; COMPUTE_PGM_RSRC2:SCRATCH_EN: 0
; COMPUTE_PGM_RSRC2:USER_SGPR: 15
; COMPUTE_PGM_RSRC2:TRAP_HANDLER: 0
; COMPUTE_PGM_RSRC2:TGID_X_EN: 1
; COMPUTE_PGM_RSRC2:TGID_Y_EN: 0
; COMPUTE_PGM_RSRC2:TGID_Z_EN: 0
; COMPUTE_PGM_RSRC2:TIDIG_COMP_CNT: 1
	.section	.text._ZN12_GLOBAL__N_120softmax_warp_forwardIN3c104HalfEffLi6ELb0ELb0ELi32EEEvPT0_PKT_iiiPKbib,"axG",@progbits,_ZN12_GLOBAL__N_120softmax_warp_forwardIN3c104HalfEffLi6ELb0ELb0ELi32EEEvPT0_PKT_iiiPKbib,comdat
	.globl	_ZN12_GLOBAL__N_120softmax_warp_forwardIN3c104HalfEffLi6ELb0ELb0ELi32EEEvPT0_PKT_iiiPKbib ; -- Begin function _ZN12_GLOBAL__N_120softmax_warp_forwardIN3c104HalfEffLi6ELb0ELb0ELi32EEEvPT0_PKT_iiiPKbib
	.p2align	8
	.type	_ZN12_GLOBAL__N_120softmax_warp_forwardIN3c104HalfEffLi6ELb0ELb0ELi32EEEvPT0_PKT_iiiPKbib,@function
_ZN12_GLOBAL__N_120softmax_warp_forwardIN3c104HalfEffLi6ELb0ELb0ELi32EEEvPT0_PKT_iiiPKbib: ; @_ZN12_GLOBAL__N_120softmax_warp_forwardIN3c104HalfEffLi6ELb0ELb0ELi32EEEvPT0_PKT_iiiPKbib
; %bb.0:
	s_clause 0x1
	s_load_b32 s2, s[0:1], 0x3c
	s_load_b256 s[4:11], s[0:1], 0x0
	v_bfe_u32 v1, v0, 10, 10
	v_and_b32_e32 v4, 0x3ff, v0
	v_dual_mov_b32 v6, 0xff800000 :: v_dual_mov_b32 v7, 0xff800000
	s_waitcnt lgkmcnt(0)
	s_lshr_b32 s0, s2, 16
	s_delay_alu instid0(VALU_DEP_2) | instskip(SKIP_1) | instid1(SALU_CYCLE_1)
	v_cmp_gt_i32_e64 s1, s10, v4
	s_mul_i32 s15, s15, s0
	v_add_lshl_u32 v2, s15, v1, 1
	s_delay_alu instid0(VALU_DEP_1) | instskip(SKIP_1) | instid1(VALU_DEP_1)
	v_mad_u64_u32 v[0:1], null, v2, s9, v[4:5]
	v_sub_nc_u32_e32 v5, s8, v2
	v_cmp_lt_i32_e32 vcc_lo, 0, v5
	s_delay_alu instid0(VALU_DEP_3) | instskip(SKIP_1) | instid1(VALU_DEP_1)
	v_ashrrev_i32_e32 v1, 31, v0
	s_and_b32 s2, vcc_lo, s1
	v_lshlrev_b64 v[2:3], 1, v[0:1]
	s_delay_alu instid0(VALU_DEP_1) | instskip(NEXT) | instid1(VALU_DEP_1)
	v_add_co_u32 v2, s0, s6, v2
	v_add_co_ci_u32_e64 v3, s0, s7, v3, s0
	s_and_saveexec_b32 s0, s2
	s_cbranch_execz .LBB445_2
; %bb.1:
	global_load_u16 v7, v[2:3], off
	s_waitcnt vmcnt(0)
	v_cvt_f32_f16_e32 v7, v7
.LBB445_2:
	s_or_b32 exec_lo, exec_lo, s0
	v_add_nc_u32_e32 v4, 32, v4
	s_delay_alu instid0(VALU_DEP_1) | instskip(NEXT) | instid1(VALU_DEP_1)
	v_cmp_gt_i32_e64 s0, s10, v4
	s_and_b32 s3, vcc_lo, s0
	s_delay_alu instid0(SALU_CYCLE_1)
	s_and_saveexec_b32 s2, s3
	s_cbranch_execz .LBB445_4
; %bb.3:
	global_load_u16 v4, v[2:3], off offset:64
	s_waitcnt vmcnt(0)
	v_cvt_f32_f16_e32 v6, v4
.LBB445_4:
	s_or_b32 exec_lo, exec_lo, s2
	v_cmp_lt_i32_e64 s2, 1, v5
	v_mov_b32_e32 v4, 0xff800000
	v_mov_b32_e32 v8, 0xff800000
	s_delay_alu instid0(VALU_DEP_3) | instskip(NEXT) | instid1(SALU_CYCLE_1)
	s_and_b32 s3, s2, s1
	s_and_saveexec_b32 s6, s3
	s_cbranch_execz .LBB445_6
; %bb.5:
	s_mov_b32 s11, 0
	s_delay_alu instid0(SALU_CYCLE_1) | instskip(NEXT) | instid1(SALU_CYCLE_1)
	s_lshl_b64 s[8:9], s[10:11], 1
	v_add_co_u32 v8, s3, v2, s8
	s_delay_alu instid0(VALU_DEP_1)
	v_add_co_ci_u32_e64 v9, s3, s9, v3, s3
	global_load_u16 v8, v[8:9], off
	s_waitcnt vmcnt(0)
	v_cvt_f32_f16_e32 v8, v8
.LBB445_6:
	s_or_b32 exec_lo, exec_lo, s6
	s_and_b32 s2, s2, s0
	s_delay_alu instid0(SALU_CYCLE_1)
	s_and_saveexec_b32 s3, s2
	s_cbranch_execz .LBB445_8
; %bb.7:
	s_mov_b32 s11, 0
	s_delay_alu instid0(SALU_CYCLE_1) | instskip(NEXT) | instid1(SALU_CYCLE_1)
	s_lshl_b64 s[6:7], s[10:11], 1
	v_add_co_u32 v2, s2, v2, s6
	s_delay_alu instid0(VALU_DEP_1)
	v_add_co_ci_u32_e64 v3, s2, s7, v3, s2
	global_load_u16 v2, v[2:3], off offset:64
	s_waitcnt vmcnt(0)
	v_cvt_f32_f16_e32 v4, v2
.LBB445_8:
	s_or_b32 exec_lo, exec_lo, s3
	v_mbcnt_lo_u32_b32 v2, -1, 0
	s_delay_alu instid0(VALU_DEP_1)
	v_xor_b32_e32 v3, 16, v2
	v_xor_b32_e32 v13, 8, v2
	;; [unrolled: 1-line block ×5, first 2 shown]
	v_cmp_gt_i32_e64 s2, 32, v3
	s_delay_alu instid0(VALU_DEP_1) | instskip(SKIP_1) | instid1(VALU_DEP_2)
	v_cndmask_b32_e64 v3, v2, v3, s2
	v_cmp_gt_f32_e64 s2, v7, v6
	v_lshlrev_b32_e32 v10, 2, v3
	s_delay_alu instid0(VALU_DEP_2)
	v_cndmask_b32_e64 v9, v6, v7, s2
	v_cmp_gt_f32_e64 s2, v8, v4
	ds_bpermute_b32 v11, v10, v9
	v_cndmask_b32_e64 v3, v4, v8, s2
	v_cmp_gt_i32_e64 s2, 32, v13
	ds_bpermute_b32 v12, v10, v3
	v_cndmask_b32_e64 v13, v2, v13, s2
	s_delay_alu instid0(VALU_DEP_1) | instskip(SKIP_2) | instid1(VALU_DEP_1)
	v_lshlrev_b32_e32 v13, 2, v13
	s_waitcnt lgkmcnt(1)
	v_cmp_lt_f32_e64 s2, v9, v11
	v_cndmask_b32_e64 v9, v9, v11, s2
	s_waitcnt lgkmcnt(0)
	v_cmp_lt_f32_e64 s2, v3, v12
	ds_bpermute_b32 v11, v13, v9
	v_cndmask_b32_e64 v3, v3, v12, s2
	v_cmp_gt_i32_e64 s2, 32, v14
	ds_bpermute_b32 v12, v13, v3
	v_cndmask_b32_e64 v14, v2, v14, s2
	s_delay_alu instid0(VALU_DEP_1) | instskip(SKIP_2) | instid1(VALU_DEP_1)
	v_lshlrev_b32_e32 v14, 2, v14
	s_waitcnt lgkmcnt(1)
	v_cmp_lt_f32_e64 s2, v9, v11
	v_cndmask_b32_e64 v9, v9, v11, s2
	s_waitcnt lgkmcnt(0)
	v_cmp_lt_f32_e64 s2, v3, v12
	;; [unrolled: 12-line block ×4, first 2 shown]
	ds_bpermute_b32 v9, v16, v2
	v_cndmask_b32_e64 v3, v3, v12, s2
	ds_bpermute_b32 v11, v16, v3
	s_waitcnt lgkmcnt(1)
	v_cmp_lt_f32_e64 s2, v2, v9
	s_delay_alu instid0(VALU_DEP_1) | instskip(SKIP_2) | instid1(VALU_DEP_2)
	v_cndmask_b32_e64 v2, v2, v9, s2
	s_waitcnt lgkmcnt(0)
	v_cmp_lt_f32_e64 s2, v3, v11
	v_sub_f32_e32 v7, v7, v2
	s_delay_alu instid0(VALU_DEP_2) | instskip(SKIP_1) | instid1(VALU_DEP_3)
	v_cndmask_b32_e64 v3, v3, v11, s2
	v_sub_f32_e32 v2, v6, v2
	v_cmp_ngt_f32_e64 s2, 0xc2ce8ed0, v7
	s_delay_alu instid0(VALU_DEP_3) | instskip(SKIP_1) | instid1(VALU_DEP_4)
	v_sub_f32_e32 v9, v4, v3
	v_sub_f32_e32 v6, v8, v3
	v_dual_mul_f32 v3, 0x3fb8aa3b, v7 :: v_dual_mul_f32 v4, 0x3fb8aa3b, v2
	s_delay_alu instid0(VALU_DEP_3) | instskip(NEXT) | instid1(VALU_DEP_2)
	v_mul_f32_e32 v11, 0x3fb8aa3b, v9
	v_fma_f32 v12, 0x3fb8aa3b, v7, -v3
	v_rndne_f32_e32 v17, v3
	s_delay_alu instid0(VALU_DEP_4) | instskip(NEXT) | instid1(VALU_DEP_4)
	v_fma_f32 v18, 0x3fb8aa3b, v2, -v4
	v_fma_f32 v22, 0x3fb8aa3b, v9, -v11
	v_rndne_f32_e32 v23, v11
	s_delay_alu instid0(VALU_DEP_4) | instskip(SKIP_1) | instid1(VALU_DEP_3)
	v_dual_mul_f32 v8, 0x3fb8aa3b, v6 :: v_dual_sub_f32 v3, v3, v17
	v_rndne_f32_e32 v19, v4
	v_dual_fmac_f32 v18, 0x32a5705f, v2 :: v_dual_sub_f32 v11, v11, v23
	v_fmac_f32_e32 v22, 0x32a5705f, v9
	v_fmac_f32_e32 v12, 0x32a5705f, v7
	v_fma_f32 v20, 0x3fb8aa3b, v6, -v8
	v_rndne_f32_e32 v21, v8
	s_delay_alu instid0(VALU_DEP_4) | instskip(NEXT) | instid1(VALU_DEP_3)
	v_dual_add_f32 v11, v11, v22 :: v_dual_sub_f32 v4, v4, v19
	v_dual_add_f32 v3, v3, v12 :: v_dual_fmac_f32 v20, 0x32a5705f, v6
	s_delay_alu instid0(VALU_DEP_3) | instskip(SKIP_1) | instid1(VALU_DEP_4)
	v_sub_f32_e32 v8, v8, v21
	v_cvt_i32_f32_e32 v12, v17
	v_add_f32_e32 v4, v4, v18
	s_delay_alu instid0(VALU_DEP_4)
	v_exp_f32_e32 v3, v3
	v_cvt_i32_f32_e32 v17, v19
	v_add_f32_e32 v8, v8, v20
	v_exp_f32_e32 v11, v11
	v_exp_f32_e32 v4, v4
	v_cvt_i32_f32_e32 v18, v21
	v_cvt_i32_f32_e32 v19, v23
	v_exp_f32_e32 v8, v8
	v_ldexp_f32 v3, v3, v12
	s_delay_alu instid0(TRANS32_DEP_3) | instid1(VALU_DEP_2)
	v_ldexp_f32 v11, v11, v19
	s_waitcnt_depctr 0xfff
	v_ldexp_f32 v4, v4, v17
	v_cndmask_b32_e64 v3, 0, v3, s2
	v_cmp_ngt_f32_e64 s2, 0xc2ce8ed0, v2
	v_ldexp_f32 v8, v8, v18
	s_delay_alu instid0(VALU_DEP_2) | instskip(SKIP_1) | instid1(VALU_DEP_1)
	v_cndmask_b32_e64 v4, 0, v4, s2
	v_cmp_ngt_f32_e64 s2, 0xc2ce8ed0, v6
	v_cndmask_b32_e64 v12, 0, v8, s2
	v_cmp_ngt_f32_e64 s2, 0xc2ce8ed0, v9
	s_delay_alu instid0(VALU_DEP_1) | instskip(SKIP_1) | instid1(VALU_DEP_1)
	v_cndmask_b32_e64 v11, 0, v11, s2
	v_cmp_nlt_f32_e64 s2, 0x42b17218, v7
	v_cndmask_b32_e64 v8, 0x7f800000, v3, s2
	v_cmp_nlt_f32_e64 s2, 0x42b17218, v2
	s_delay_alu instid0(VALU_DEP_1) | instskip(SKIP_1) | instid1(VALU_DEP_2)
	v_cndmask_b32_e64 v4, 0x7f800000, v4, s2
	v_cmp_nlt_f32_e64 s2, 0x42b17218, v6
	v_add_f32_e32 v6, v8, v4
	s_delay_alu instid0(VALU_DEP_2) | instskip(SKIP_3) | instid1(VALU_DEP_1)
	v_cndmask_b32_e64 v3, 0x7f800000, v12, s2
	v_cmp_nlt_f32_e64 s2, 0x42b17218, v9
	ds_bpermute_b32 v9, v10, v6
	v_cndmask_b32_e64 v2, 0x7f800000, v11, s2
	v_add_f32_e32 v7, v3, v2
	ds_bpermute_b32 v10, v10, v7
	s_waitcnt lgkmcnt(0)
	v_add_f32_e32 v7, v7, v10
	ds_bpermute_b32 v10, v13, v7
	s_waitcnt lgkmcnt(0)
	v_add_f32_e32 v7, v7, v10
	ds_bpermute_b32 v10, v14, v7
	s_waitcnt lgkmcnt(0)
	v_dual_add_f32 v7, v7, v10 :: v_dual_add_f32 v6, v6, v9
	ds_bpermute_b32 v10, v15, v7
	ds_bpermute_b32 v9, v13, v6
	s_waitcnt lgkmcnt(0)
	v_add_f32_e32 v6, v6, v9
	ds_bpermute_b32 v9, v14, v6
	s_waitcnt lgkmcnt(0)
	v_add_f32_e32 v6, v6, v9
	ds_bpermute_b32 v9, v15, v6
	s_waitcnt lgkmcnt(0)
	v_dual_add_f32 v9, v6, v9 :: v_dual_add_f32 v6, v7, v10
	ds_bpermute_b32 v10, v16, v9
	ds_bpermute_b32 v7, v16, v6
	s_and_saveexec_b32 s2, vcc_lo
	s_cbranch_execz .LBB445_16
; %bb.9:
	v_lshlrev_b64 v[0:1], 2, v[0:1]
	s_delay_alu instid0(VALU_DEP_1) | instskip(NEXT) | instid1(VALU_DEP_2)
	v_add_co_u32 v0, vcc_lo, s4, v0
	v_add_co_ci_u32_e32 v1, vcc_lo, s5, v1, vcc_lo
	s_and_saveexec_b32 s3, s1
	s_cbranch_execz .LBB445_12
; %bb.10:
	s_waitcnt lgkmcnt(1)
	v_add_f32_e32 v9, v9, v10
	s_delay_alu instid0(VALU_DEP_1) | instskip(SKIP_1) | instid1(VALU_DEP_2)
	v_div_scale_f32 v10, null, v9, v9, v8
	v_cmp_eq_f32_e64 s2, 0, v9
	v_rcp_f32_e32 v11, v10
	s_waitcnt_depctr 0xfff
	v_fma_f32 v12, -v10, v11, 1.0
	s_delay_alu instid0(VALU_DEP_1) | instskip(SKIP_1) | instid1(VALU_DEP_1)
	v_fmac_f32_e32 v11, v12, v11
	v_div_scale_f32 v12, vcc_lo, v8, v9, v8
	v_mul_f32_e32 v13, v12, v11
	s_delay_alu instid0(VALU_DEP_1) | instskip(NEXT) | instid1(VALU_DEP_1)
	v_fma_f32 v14, -v10, v13, v12
	v_fmac_f32_e32 v13, v14, v11
	s_delay_alu instid0(VALU_DEP_1) | instskip(NEXT) | instid1(VALU_DEP_1)
	v_fma_f32 v10, -v10, v13, v12
	v_div_fmas_f32 v10, v10, v11, v13
	s_delay_alu instid0(VALU_DEP_1) | instskip(NEXT) | instid1(VALU_DEP_1)
	v_div_fixup_f32 v8, v10, v9, v8
	v_cndmask_b32_e64 v8, v8, 0x7fc00000, s2
	global_store_b32 v[0:1], v8, off
	s_and_b32 exec_lo, exec_lo, s0
	s_cbranch_execz .LBB445_12
; %bb.11:
	v_div_scale_f32 v8, null, v9, v9, v4
	s_delay_alu instid0(VALU_DEP_1) | instskip(SKIP_2) | instid1(VALU_DEP_1)
	v_rcp_f32_e32 v10, v8
	s_waitcnt_depctr 0xfff
	v_fma_f32 v11, -v8, v10, 1.0
	v_fmac_f32_e32 v10, v11, v10
	v_div_scale_f32 v11, vcc_lo, v4, v9, v4
	s_delay_alu instid0(VALU_DEP_1) | instskip(NEXT) | instid1(VALU_DEP_1)
	v_mul_f32_e32 v12, v11, v10
	v_fma_f32 v13, -v8, v12, v11
	s_delay_alu instid0(VALU_DEP_1) | instskip(NEXT) | instid1(VALU_DEP_1)
	v_fmac_f32_e32 v12, v13, v10
	v_fma_f32 v8, -v8, v12, v11
	s_delay_alu instid0(VALU_DEP_1) | instskip(NEXT) | instid1(VALU_DEP_1)
	v_div_fmas_f32 v8, v8, v10, v12
	v_div_fixup_f32 v4, v8, v9, v4
	s_delay_alu instid0(VALU_DEP_1)
	v_cndmask_b32_e64 v4, v4, 0x7fc00000, s2
	global_store_b32 v[0:1], v4, off offset:128
.LBB445_12:
	s_or_b32 exec_lo, exec_lo, s3
	v_cmp_ne_u32_e32 vcc_lo, 1, v5
	s_and_b32 exec_lo, exec_lo, vcc_lo
	s_cbranch_execz .LBB445_16
; %bb.13:
	s_and_b32 exec_lo, exec_lo, s1
	s_cbranch_execz .LBB445_16
; %bb.14:
	s_waitcnt lgkmcnt(0)
	v_add_f32_e32 v4, v6, v7
	s_mov_b32 s11, 0
	s_delay_alu instid0(SALU_CYCLE_1) | instskip(NEXT) | instid1(VALU_DEP_1)
	s_lshl_b64 s[2:3], s[10:11], 2
	v_div_scale_f32 v5, null, v4, v4, v3
	v_div_scale_f32 v8, vcc_lo, v3, v4, v3
	s_delay_alu instid0(VALU_DEP_2) | instskip(SKIP_2) | instid1(VALU_DEP_1)
	v_rcp_f32_e32 v6, v5
	s_waitcnt_depctr 0xfff
	v_fma_f32 v7, -v5, v6, 1.0
	v_fmac_f32_e32 v6, v7, v6
	s_delay_alu instid0(VALU_DEP_1) | instskip(SKIP_1) | instid1(VALU_DEP_2)
	v_mul_f32_e32 v7, v8, v6
	v_cmp_eq_f32_e64 s1, 0, v4
	v_fma_f32 v9, -v5, v7, v8
	s_delay_alu instid0(VALU_DEP_1) | instskip(NEXT) | instid1(VALU_DEP_1)
	v_fmac_f32_e32 v7, v9, v6
	v_fma_f32 v5, -v5, v7, v8
	s_delay_alu instid0(VALU_DEP_1) | instskip(NEXT) | instid1(VALU_DEP_1)
	v_div_fmas_f32 v5, v5, v6, v7
	v_div_fixup_f32 v3, v5, v4, v3
	v_add_co_u32 v5, vcc_lo, v0, s2
	v_add_co_ci_u32_e32 v6, vcc_lo, s3, v1, vcc_lo
	s_delay_alu instid0(VALU_DEP_3)
	v_cndmask_b32_e64 v3, v3, 0x7fc00000, s1
	global_store_b32 v[5:6], v3, off
	s_and_b32 exec_lo, exec_lo, s0
	s_cbranch_execz .LBB445_16
; %bb.15:
	v_div_scale_f32 v3, null, v4, v4, v2
	v_div_scale_f32 v7, vcc_lo, v2, v4, v2
	s_ashr_i32 s11, s10, 31
	s_delay_alu instid0(VALU_DEP_2) | instskip(SKIP_3) | instid1(VALU_DEP_1)
	v_rcp_f32_e32 v5, v3
	s_lshl_b64 s[2:3], s[10:11], 2
	s_waitcnt_depctr 0xfff
	v_fma_f32 v6, -v3, v5, 1.0
	v_fmac_f32_e32 v5, v6, v5
	s_delay_alu instid0(VALU_DEP_1) | instskip(NEXT) | instid1(VALU_DEP_1)
	v_mul_f32_e32 v6, v7, v5
	v_fma_f32 v8, -v3, v6, v7
	s_delay_alu instid0(VALU_DEP_1) | instskip(NEXT) | instid1(VALU_DEP_1)
	v_fmac_f32_e32 v6, v8, v5
	v_fma_f32 v3, -v3, v6, v7
	s_delay_alu instid0(VALU_DEP_1) | instskip(SKIP_2) | instid1(VALU_DEP_3)
	v_div_fmas_f32 v3, v3, v5, v6
	v_add_co_u32 v0, vcc_lo, v0, s2
	v_add_co_ci_u32_e32 v1, vcc_lo, s3, v1, vcc_lo
	v_div_fixup_f32 v2, v3, v4, v2
	s_delay_alu instid0(VALU_DEP_1)
	v_cndmask_b32_e64 v2, v2, 0x7fc00000, s1
	global_store_b32 v[0:1], v2, off offset:128
.LBB445_16:
	s_nop 0
	s_sendmsg sendmsg(MSG_DEALLOC_VGPRS)
	s_endpgm
	.section	.rodata,"a",@progbits
	.p2align	6, 0x0
	.amdhsa_kernel _ZN12_GLOBAL__N_120softmax_warp_forwardIN3c104HalfEffLi6ELb0ELb0ELi32EEEvPT0_PKT_iiiPKbib
		.amdhsa_group_segment_fixed_size 0
		.amdhsa_private_segment_fixed_size 0
		.amdhsa_kernarg_size 304
		.amdhsa_user_sgpr_count 15
		.amdhsa_user_sgpr_dispatch_ptr 0
		.amdhsa_user_sgpr_queue_ptr 0
		.amdhsa_user_sgpr_kernarg_segment_ptr 1
		.amdhsa_user_sgpr_dispatch_id 0
		.amdhsa_user_sgpr_private_segment_size 0
		.amdhsa_wavefront_size32 1
		.amdhsa_uses_dynamic_stack 0
		.amdhsa_enable_private_segment 0
		.amdhsa_system_sgpr_workgroup_id_x 1
		.amdhsa_system_sgpr_workgroup_id_y 0
		.amdhsa_system_sgpr_workgroup_id_z 0
		.amdhsa_system_sgpr_workgroup_info 0
		.amdhsa_system_vgpr_workitem_id 1
		.amdhsa_next_free_vgpr 24
		.amdhsa_next_free_sgpr 16
		.amdhsa_reserve_vcc 1
		.amdhsa_float_round_mode_32 0
		.amdhsa_float_round_mode_16_64 0
		.amdhsa_float_denorm_mode_32 3
		.amdhsa_float_denorm_mode_16_64 3
		.amdhsa_dx10_clamp 1
		.amdhsa_ieee_mode 1
		.amdhsa_fp16_overflow 0
		.amdhsa_workgroup_processor_mode 1
		.amdhsa_memory_ordered 1
		.amdhsa_forward_progress 0
		.amdhsa_shared_vgpr_count 0
		.amdhsa_exception_fp_ieee_invalid_op 0
		.amdhsa_exception_fp_denorm_src 0
		.amdhsa_exception_fp_ieee_div_zero 0
		.amdhsa_exception_fp_ieee_overflow 0
		.amdhsa_exception_fp_ieee_underflow 0
		.amdhsa_exception_fp_ieee_inexact 0
		.amdhsa_exception_int_div_zero 0
	.end_amdhsa_kernel
	.section	.text._ZN12_GLOBAL__N_120softmax_warp_forwardIN3c104HalfEffLi6ELb0ELb0ELi32EEEvPT0_PKT_iiiPKbib,"axG",@progbits,_ZN12_GLOBAL__N_120softmax_warp_forwardIN3c104HalfEffLi6ELb0ELb0ELi32EEEvPT0_PKT_iiiPKbib,comdat
.Lfunc_end445:
	.size	_ZN12_GLOBAL__N_120softmax_warp_forwardIN3c104HalfEffLi6ELb0ELb0ELi32EEEvPT0_PKT_iiiPKbib, .Lfunc_end445-_ZN12_GLOBAL__N_120softmax_warp_forwardIN3c104HalfEffLi6ELb0ELb0ELi32EEEvPT0_PKT_iiiPKbib
                                        ; -- End function
	.section	.AMDGPU.csdata,"",@progbits
; Kernel info:
; codeLenInByte = 2096
; NumSgprs: 18
; NumVgprs: 24
; ScratchSize: 0
; MemoryBound: 0
; FloatMode: 240
; IeeeMode: 1
; LDSByteSize: 0 bytes/workgroup (compile time only)
; SGPRBlocks: 2
; VGPRBlocks: 2
; NumSGPRsForWavesPerEU: 18
; NumVGPRsForWavesPerEU: 24
; Occupancy: 16
; WaveLimiterHint : 0
; COMPUTE_PGM_RSRC2:SCRATCH_EN: 0
; COMPUTE_PGM_RSRC2:USER_SGPR: 15
; COMPUTE_PGM_RSRC2:TRAP_HANDLER: 0
; COMPUTE_PGM_RSRC2:TGID_X_EN: 1
; COMPUTE_PGM_RSRC2:TGID_Y_EN: 0
; COMPUTE_PGM_RSRC2:TGID_Z_EN: 0
; COMPUTE_PGM_RSRC2:TIDIG_COMP_CNT: 1
	.section	.text._ZN12_GLOBAL__N_120softmax_warp_forwardIN3c104HalfEffLi7ELb0ELb0ELi64EEEvPT0_PKT_iiiPKbib,"axG",@progbits,_ZN12_GLOBAL__N_120softmax_warp_forwardIN3c104HalfEffLi7ELb0ELb0ELi64EEEvPT0_PKT_iiiPKbib,comdat
	.globl	_ZN12_GLOBAL__N_120softmax_warp_forwardIN3c104HalfEffLi7ELb0ELb0ELi64EEEvPT0_PKT_iiiPKbib ; -- Begin function _ZN12_GLOBAL__N_120softmax_warp_forwardIN3c104HalfEffLi7ELb0ELb0ELi64EEEvPT0_PKT_iiiPKbib
	.p2align	8
	.type	_ZN12_GLOBAL__N_120softmax_warp_forwardIN3c104HalfEffLi7ELb0ELb0ELi64EEEvPT0_PKT_iiiPKbib,@function
_ZN12_GLOBAL__N_120softmax_warp_forwardIN3c104HalfEffLi7ELb0ELb0ELi64EEEvPT0_PKT_iiiPKbib: ; @_ZN12_GLOBAL__N_120softmax_warp_forwardIN3c104HalfEffLi7ELb0ELb0ELi64EEEvPT0_PKT_iiiPKbib
; %bb.0:
	s_clause 0x1
	s_load_b32 s2, s[0:1], 0x3c
	s_load_b256 s[4:11], s[0:1], 0x0
	v_bfe_u32 v1, v0, 10, 10
	v_and_b32_e32 v4, 0x3ff, v0
	v_dual_mov_b32 v6, 0xff800000 :: v_dual_mov_b32 v7, 0xff800000
	s_waitcnt lgkmcnt(0)
	s_lshr_b32 s0, s2, 16
	s_delay_alu instid0(VALU_DEP_2) | instskip(SKIP_1) | instid1(SALU_CYCLE_1)
	v_cmp_gt_i32_e64 s1, s10, v4
	s_mul_i32 s15, s15, s0
	v_add_lshl_u32 v2, s15, v1, 1
	s_delay_alu instid0(VALU_DEP_1) | instskip(SKIP_1) | instid1(VALU_DEP_1)
	v_mad_u64_u32 v[0:1], null, v2, s9, v[4:5]
	v_sub_nc_u32_e32 v5, s8, v2
	v_cmp_lt_i32_e32 vcc_lo, 0, v5
	s_delay_alu instid0(VALU_DEP_3) | instskip(SKIP_1) | instid1(VALU_DEP_1)
	v_ashrrev_i32_e32 v1, 31, v0
	s_and_b32 s2, vcc_lo, s1
	v_lshlrev_b64 v[2:3], 1, v[0:1]
	s_delay_alu instid0(VALU_DEP_1) | instskip(NEXT) | instid1(VALU_DEP_1)
	v_add_co_u32 v2, s0, s6, v2
	v_add_co_ci_u32_e64 v3, s0, s7, v3, s0
	s_and_saveexec_b32 s0, s2
	s_cbranch_execz .LBB446_2
; %bb.1:
	global_load_u16 v7, v[2:3], off
	s_waitcnt vmcnt(0)
	v_cvt_f32_f16_e32 v7, v7
.LBB446_2:
	s_or_b32 exec_lo, exec_lo, s0
	v_add_nc_u32_e32 v4, 64, v4
	s_delay_alu instid0(VALU_DEP_1) | instskip(NEXT) | instid1(VALU_DEP_1)
	v_cmp_gt_i32_e64 s0, s10, v4
	s_and_b32 s3, vcc_lo, s0
	s_delay_alu instid0(SALU_CYCLE_1)
	s_and_saveexec_b32 s2, s3
	s_cbranch_execz .LBB446_4
; %bb.3:
	global_load_u16 v4, v[2:3], off offset:128
	s_waitcnt vmcnt(0)
	v_cvt_f32_f16_e32 v6, v4
.LBB446_4:
	s_or_b32 exec_lo, exec_lo, s2
	v_cmp_lt_i32_e64 s2, 1, v5
	v_mov_b32_e32 v4, 0xff800000
	v_mov_b32_e32 v8, 0xff800000
	s_delay_alu instid0(VALU_DEP_3) | instskip(NEXT) | instid1(SALU_CYCLE_1)
	s_and_b32 s3, s2, s1
	s_and_saveexec_b32 s6, s3
	s_cbranch_execz .LBB446_6
; %bb.5:
	s_mov_b32 s11, 0
	s_delay_alu instid0(SALU_CYCLE_1) | instskip(NEXT) | instid1(SALU_CYCLE_1)
	s_lshl_b64 s[8:9], s[10:11], 1
	v_add_co_u32 v8, s3, v2, s8
	s_delay_alu instid0(VALU_DEP_1)
	v_add_co_ci_u32_e64 v9, s3, s9, v3, s3
	global_load_u16 v8, v[8:9], off
	s_waitcnt vmcnt(0)
	v_cvt_f32_f16_e32 v8, v8
.LBB446_6:
	s_or_b32 exec_lo, exec_lo, s6
	s_and_b32 s2, s2, s0
	s_delay_alu instid0(SALU_CYCLE_1)
	s_and_saveexec_b32 s3, s2
	s_cbranch_execz .LBB446_8
; %bb.7:
	s_mov_b32 s11, 0
	s_delay_alu instid0(SALU_CYCLE_1) | instskip(NEXT) | instid1(SALU_CYCLE_1)
	s_lshl_b64 s[6:7], s[10:11], 1
	v_add_co_u32 v2, s2, v2, s6
	s_delay_alu instid0(VALU_DEP_1)
	v_add_co_ci_u32_e64 v3, s2, s7, v3, s2
	global_load_u16 v2, v[2:3], off offset:128
	s_waitcnt vmcnt(0)
	v_cvt_f32_f16_e32 v4, v2
.LBB446_8:
	s_or_b32 exec_lo, exec_lo, s3
	v_mbcnt_lo_u32_b32 v2, -1, 0
	s_delay_alu instid0(VALU_DEP_1)
	v_or_b32_e32 v3, 32, v2
	v_xor_b32_e32 v13, 16, v2
	v_xor_b32_e32 v14, 8, v2
	;; [unrolled: 1-line block ×4, first 2 shown]
	v_cmp_gt_i32_e64 s2, 64, v3
	v_xor_b32_e32 v17, 1, v2
	s_delay_alu instid0(VALU_DEP_2) | instskip(SKIP_1) | instid1(VALU_DEP_2)
	v_cndmask_b32_e64 v3, v2, v3, s2
	v_cmp_gt_f32_e64 s2, v7, v6
	v_lshlrev_b32_e32 v10, 2, v3
	s_delay_alu instid0(VALU_DEP_2)
	v_cndmask_b32_e64 v9, v6, v7, s2
	v_cmp_gt_f32_e64 s2, v8, v4
	ds_bpermute_b32 v11, v10, v9
	v_cndmask_b32_e64 v3, v4, v8, s2
	v_cmp_gt_i32_e64 s2, 64, v13
	ds_bpermute_b32 v12, v10, v3
	v_cndmask_b32_e64 v13, v2, v13, s2
	s_delay_alu instid0(VALU_DEP_1) | instskip(SKIP_2) | instid1(VALU_DEP_1)
	v_lshlrev_b32_e32 v13, 2, v13
	s_waitcnt lgkmcnt(1)
	v_cmp_lt_f32_e64 s2, v9, v11
	v_cndmask_b32_e64 v9, v9, v11, s2
	s_waitcnt lgkmcnt(0)
	v_cmp_lt_f32_e64 s2, v3, v12
	ds_bpermute_b32 v11, v13, v9
	v_cndmask_b32_e64 v3, v3, v12, s2
	v_cmp_gt_i32_e64 s2, 64, v14
	ds_bpermute_b32 v12, v13, v3
	v_cndmask_b32_e64 v14, v2, v14, s2
	s_delay_alu instid0(VALU_DEP_1) | instskip(SKIP_2) | instid1(VALU_DEP_1)
	v_lshlrev_b32_e32 v14, 2, v14
	s_waitcnt lgkmcnt(1)
	v_cmp_lt_f32_e64 s2, v9, v11
	v_cndmask_b32_e64 v9, v9, v11, s2
	s_waitcnt lgkmcnt(0)
	v_cmp_lt_f32_e64 s2, v3, v12
	;; [unrolled: 12-line block ×5, first 2 shown]
	ds_bpermute_b32 v9, v17, v2
	v_cndmask_b32_e64 v3, v3, v12, s2
	ds_bpermute_b32 v11, v17, v3
	s_waitcnt lgkmcnt(1)
	v_cmp_lt_f32_e64 s2, v2, v9
	s_delay_alu instid0(VALU_DEP_1) | instskip(SKIP_2) | instid1(VALU_DEP_2)
	v_cndmask_b32_e64 v2, v2, v9, s2
	s_waitcnt lgkmcnt(0)
	v_cmp_lt_f32_e64 s2, v3, v11
	v_sub_f32_e32 v7, v7, v2
	s_delay_alu instid0(VALU_DEP_2) | instskip(SKIP_1) | instid1(VALU_DEP_3)
	v_cndmask_b32_e64 v3, v3, v11, s2
	v_sub_f32_e32 v2, v6, v2
	v_cmp_ngt_f32_e64 s2, 0xc2ce8ed0, v7
	s_delay_alu instid0(VALU_DEP_3) | instskip(SKIP_1) | instid1(VALU_DEP_4)
	v_sub_f32_e32 v6, v8, v3
	v_sub_f32_e32 v9, v4, v3
	v_dual_mul_f32 v3, 0x3fb8aa3b, v7 :: v_dual_mul_f32 v4, 0x3fb8aa3b, v2
	s_delay_alu instid0(VALU_DEP_2) | instskip(NEXT) | instid1(VALU_DEP_2)
	v_dual_mul_f32 v8, 0x3fb8aa3b, v6 :: v_dual_mul_f32 v11, 0x3fb8aa3b, v9
	v_fma_f32 v12, 0x3fb8aa3b, v7, -v3
	v_rndne_f32_e32 v18, v3
	s_delay_alu instid0(VALU_DEP_4) | instskip(SKIP_2) | instid1(VALU_DEP_4)
	v_fma_f32 v19, 0x3fb8aa3b, v2, -v4
	v_rndne_f32_e32 v20, v4
	v_fma_f32 v21, 0x3fb8aa3b, v6, -v8
	v_dual_fmac_f32 v12, 0x32a5705f, v7 :: v_dual_sub_f32 v3, v3, v18
	v_rndne_f32_e32 v22, v8
	s_delay_alu instid0(VALU_DEP_4) | instskip(SKIP_1) | instid1(VALU_DEP_4)
	v_dual_fmac_f32 v19, 0x32a5705f, v2 :: v_dual_sub_f32 v4, v4, v20
	v_fma_f32 v23, 0x3fb8aa3b, v9, -v11
	v_add_f32_e32 v3, v3, v12
	v_rndne_f32_e32 v24, v11
	s_delay_alu instid0(VALU_DEP_4) | instskip(NEXT) | instid1(VALU_DEP_4)
	v_dual_fmac_f32 v21, 0x32a5705f, v6 :: v_dual_add_f32 v4, v4, v19
	v_dual_sub_f32 v8, v8, v22 :: v_dual_fmac_f32 v23, 0x32a5705f, v9
	s_delay_alu instid0(VALU_DEP_4) | instskip(NEXT) | instid1(VALU_DEP_3)
	v_exp_f32_e32 v3, v3
	v_sub_f32_e32 v11, v11, v24
	s_delay_alu instid0(VALU_DEP_3) | instskip(NEXT) | instid1(VALU_DEP_2)
	v_exp_f32_e32 v4, v4
	v_add_f32_e32 v8, v8, v21
	v_cvt_i32_f32_e32 v12, v18
	v_cvt_i32_f32_e32 v18, v20
	v_add_f32_e32 v11, v11, v23
	v_cvt_i32_f32_e32 v19, v22
	v_exp_f32_e32 v8, v8
	v_cvt_i32_f32_e32 v20, v24
	v_ldexp_f32 v3, v3, v12
	v_exp_f32_e32 v11, v11
	v_ldexp_f32 v4, v4, v18
	s_delay_alu instid0(VALU_DEP_2) | instskip(SKIP_1) | instid1(TRANS32_DEP_2)
	v_cndmask_b32_e64 v3, 0, v3, s2
	v_cmp_ngt_f32_e64 s2, 0xc2ce8ed0, v2
	v_ldexp_f32 v8, v8, v19
	s_delay_alu instid0(VALU_DEP_2) | instskip(SKIP_1) | instid1(TRANS32_DEP_1)
	v_cndmask_b32_e64 v4, 0, v4, s2
	v_cmp_ngt_f32_e64 s2, 0xc2ce8ed0, v6
	v_ldexp_f32 v11, v11, v20
	s_delay_alu instid0(VALU_DEP_2) | instskip(SKIP_1) | instid1(VALU_DEP_1)
	v_cndmask_b32_e64 v12, 0, v8, s2
	v_cmp_ngt_f32_e64 s2, 0xc2ce8ed0, v9
	v_cndmask_b32_e64 v11, 0, v11, s2
	v_cmp_nlt_f32_e64 s2, 0x42b17218, v7
	s_delay_alu instid0(VALU_DEP_1) | instskip(SKIP_1) | instid1(VALU_DEP_1)
	v_cndmask_b32_e64 v8, 0x7f800000, v3, s2
	v_cmp_nlt_f32_e64 s2, 0x42b17218, v2
	v_cndmask_b32_e64 v4, 0x7f800000, v4, s2
	v_cmp_nlt_f32_e64 s2, 0x42b17218, v6
	s_delay_alu instid0(VALU_DEP_2) | instskip(NEXT) | instid1(VALU_DEP_2)
	v_add_f32_e32 v6, v8, v4
	v_cndmask_b32_e64 v3, 0x7f800000, v12, s2
	v_cmp_nlt_f32_e64 s2, 0x42b17218, v9
	ds_bpermute_b32 v9, v10, v6
	v_cndmask_b32_e64 v2, 0x7f800000, v11, s2
	s_waitcnt lgkmcnt(0)
	v_add_f32_e32 v6, v6, v9
	ds_bpermute_b32 v9, v13, v6
	s_waitcnt lgkmcnt(0)
	v_dual_add_f32 v7, v3, v2 :: v_dual_add_f32 v6, v6, v9
	ds_bpermute_b32 v10, v10, v7
	ds_bpermute_b32 v9, v14, v6
	s_waitcnt lgkmcnt(0)
	v_dual_add_f32 v7, v7, v10 :: v_dual_add_f32 v6, v6, v9
	ds_bpermute_b32 v10, v13, v7
	;; [unrolled: 4-line block ×3, first 2 shown]
	ds_bpermute_b32 v9, v16, v6
	s_waitcnt lgkmcnt(1)
	v_add_f32_e32 v7, v7, v10
	ds_bpermute_b32 v10, v15, v7
	s_waitcnt lgkmcnt(0)
	v_add_f32_e32 v7, v7, v10
	ds_bpermute_b32 v10, v16, v7
	s_waitcnt lgkmcnt(0)
	v_dual_add_f32 v9, v6, v9 :: v_dual_add_f32 v6, v7, v10
	ds_bpermute_b32 v10, v17, v9
	ds_bpermute_b32 v7, v17, v6
	s_and_saveexec_b32 s2, vcc_lo
	s_cbranch_execz .LBB446_16
; %bb.9:
	v_lshlrev_b64 v[0:1], 2, v[0:1]
	s_delay_alu instid0(VALU_DEP_1) | instskip(NEXT) | instid1(VALU_DEP_2)
	v_add_co_u32 v0, vcc_lo, s4, v0
	v_add_co_ci_u32_e32 v1, vcc_lo, s5, v1, vcc_lo
	s_and_saveexec_b32 s3, s1
	s_cbranch_execz .LBB446_12
; %bb.10:
	s_waitcnt lgkmcnt(1)
	v_add_f32_e32 v9, v9, v10
	s_delay_alu instid0(VALU_DEP_1) | instskip(SKIP_1) | instid1(VALU_DEP_2)
	v_div_scale_f32 v10, null, v9, v9, v8
	v_cmp_eq_f32_e64 s2, 0, v9
	v_rcp_f32_e32 v11, v10
	s_waitcnt_depctr 0xfff
	v_fma_f32 v12, -v10, v11, 1.0
	s_delay_alu instid0(VALU_DEP_1) | instskip(SKIP_1) | instid1(VALU_DEP_1)
	v_fmac_f32_e32 v11, v12, v11
	v_div_scale_f32 v12, vcc_lo, v8, v9, v8
	v_mul_f32_e32 v13, v12, v11
	s_delay_alu instid0(VALU_DEP_1) | instskip(NEXT) | instid1(VALU_DEP_1)
	v_fma_f32 v14, -v10, v13, v12
	v_fmac_f32_e32 v13, v14, v11
	s_delay_alu instid0(VALU_DEP_1) | instskip(NEXT) | instid1(VALU_DEP_1)
	v_fma_f32 v10, -v10, v13, v12
	v_div_fmas_f32 v10, v10, v11, v13
	s_delay_alu instid0(VALU_DEP_1) | instskip(NEXT) | instid1(VALU_DEP_1)
	v_div_fixup_f32 v8, v10, v9, v8
	v_cndmask_b32_e64 v8, v8, 0x7fc00000, s2
	global_store_b32 v[0:1], v8, off
	s_and_b32 exec_lo, exec_lo, s0
	s_cbranch_execz .LBB446_12
; %bb.11:
	v_div_scale_f32 v8, null, v9, v9, v4
	s_delay_alu instid0(VALU_DEP_1) | instskip(SKIP_2) | instid1(VALU_DEP_1)
	v_rcp_f32_e32 v10, v8
	s_waitcnt_depctr 0xfff
	v_fma_f32 v11, -v8, v10, 1.0
	v_fmac_f32_e32 v10, v11, v10
	v_div_scale_f32 v11, vcc_lo, v4, v9, v4
	s_delay_alu instid0(VALU_DEP_1) | instskip(NEXT) | instid1(VALU_DEP_1)
	v_mul_f32_e32 v12, v11, v10
	v_fma_f32 v13, -v8, v12, v11
	s_delay_alu instid0(VALU_DEP_1) | instskip(NEXT) | instid1(VALU_DEP_1)
	v_fmac_f32_e32 v12, v13, v10
	v_fma_f32 v8, -v8, v12, v11
	s_delay_alu instid0(VALU_DEP_1) | instskip(NEXT) | instid1(VALU_DEP_1)
	v_div_fmas_f32 v8, v8, v10, v12
	v_div_fixup_f32 v4, v8, v9, v4
	s_delay_alu instid0(VALU_DEP_1)
	v_cndmask_b32_e64 v4, v4, 0x7fc00000, s2
	global_store_b32 v[0:1], v4, off offset:256
.LBB446_12:
	s_or_b32 exec_lo, exec_lo, s3
	v_cmp_ne_u32_e32 vcc_lo, 1, v5
	s_and_b32 exec_lo, exec_lo, vcc_lo
	s_cbranch_execz .LBB446_16
; %bb.13:
	s_and_b32 exec_lo, exec_lo, s1
	s_cbranch_execz .LBB446_16
; %bb.14:
	s_waitcnt lgkmcnt(0)
	v_add_f32_e32 v4, v6, v7
	s_mov_b32 s11, 0
	s_delay_alu instid0(SALU_CYCLE_1) | instskip(NEXT) | instid1(VALU_DEP_1)
	s_lshl_b64 s[2:3], s[10:11], 2
	v_div_scale_f32 v5, null, v4, v4, v3
	v_div_scale_f32 v8, vcc_lo, v3, v4, v3
	s_delay_alu instid0(VALU_DEP_2) | instskip(SKIP_2) | instid1(VALU_DEP_1)
	v_rcp_f32_e32 v6, v5
	s_waitcnt_depctr 0xfff
	v_fma_f32 v7, -v5, v6, 1.0
	v_fmac_f32_e32 v6, v7, v6
	s_delay_alu instid0(VALU_DEP_1) | instskip(SKIP_1) | instid1(VALU_DEP_2)
	v_mul_f32_e32 v7, v8, v6
	v_cmp_eq_f32_e64 s1, 0, v4
	v_fma_f32 v9, -v5, v7, v8
	s_delay_alu instid0(VALU_DEP_1) | instskip(NEXT) | instid1(VALU_DEP_1)
	v_fmac_f32_e32 v7, v9, v6
	v_fma_f32 v5, -v5, v7, v8
	s_delay_alu instid0(VALU_DEP_1) | instskip(NEXT) | instid1(VALU_DEP_1)
	v_div_fmas_f32 v5, v5, v6, v7
	v_div_fixup_f32 v3, v5, v4, v3
	v_add_co_u32 v5, vcc_lo, v0, s2
	v_add_co_ci_u32_e32 v6, vcc_lo, s3, v1, vcc_lo
	s_delay_alu instid0(VALU_DEP_3)
	v_cndmask_b32_e64 v3, v3, 0x7fc00000, s1
	global_store_b32 v[5:6], v3, off
	s_and_b32 exec_lo, exec_lo, s0
	s_cbranch_execz .LBB446_16
; %bb.15:
	v_div_scale_f32 v3, null, v4, v4, v2
	v_div_scale_f32 v7, vcc_lo, v2, v4, v2
	s_ashr_i32 s11, s10, 31
	s_delay_alu instid0(VALU_DEP_2) | instskip(SKIP_3) | instid1(VALU_DEP_1)
	v_rcp_f32_e32 v5, v3
	s_lshl_b64 s[2:3], s[10:11], 2
	s_waitcnt_depctr 0xfff
	v_fma_f32 v6, -v3, v5, 1.0
	v_fmac_f32_e32 v5, v6, v5
	s_delay_alu instid0(VALU_DEP_1) | instskip(NEXT) | instid1(VALU_DEP_1)
	v_mul_f32_e32 v6, v7, v5
	v_fma_f32 v8, -v3, v6, v7
	s_delay_alu instid0(VALU_DEP_1) | instskip(NEXT) | instid1(VALU_DEP_1)
	v_fmac_f32_e32 v6, v8, v5
	v_fma_f32 v3, -v3, v6, v7
	s_delay_alu instid0(VALU_DEP_1) | instskip(SKIP_2) | instid1(VALU_DEP_3)
	v_div_fmas_f32 v3, v3, v5, v6
	v_add_co_u32 v0, vcc_lo, v0, s2
	v_add_co_ci_u32_e32 v1, vcc_lo, s3, v1, vcc_lo
	v_div_fixup_f32 v2, v3, v4, v2
	s_delay_alu instid0(VALU_DEP_1)
	v_cndmask_b32_e64 v2, v2, 0x7fc00000, s1
	global_store_b32 v[0:1], v2, off offset:256
.LBB446_16:
	s_nop 0
	s_sendmsg sendmsg(MSG_DEALLOC_VGPRS)
	s_endpgm
	.section	.rodata,"a",@progbits
	.p2align	6, 0x0
	.amdhsa_kernel _ZN12_GLOBAL__N_120softmax_warp_forwardIN3c104HalfEffLi7ELb0ELb0ELi64EEEvPT0_PKT_iiiPKbib
		.amdhsa_group_segment_fixed_size 0
		.amdhsa_private_segment_fixed_size 0
		.amdhsa_kernarg_size 304
		.amdhsa_user_sgpr_count 15
		.amdhsa_user_sgpr_dispatch_ptr 0
		.amdhsa_user_sgpr_queue_ptr 0
		.amdhsa_user_sgpr_kernarg_segment_ptr 1
		.amdhsa_user_sgpr_dispatch_id 0
		.amdhsa_user_sgpr_private_segment_size 0
		.amdhsa_wavefront_size32 1
		.amdhsa_uses_dynamic_stack 0
		.amdhsa_enable_private_segment 0
		.amdhsa_system_sgpr_workgroup_id_x 1
		.amdhsa_system_sgpr_workgroup_id_y 0
		.amdhsa_system_sgpr_workgroup_id_z 0
		.amdhsa_system_sgpr_workgroup_info 0
		.amdhsa_system_vgpr_workitem_id 1
		.amdhsa_next_free_vgpr 25
		.amdhsa_next_free_sgpr 16
		.amdhsa_reserve_vcc 1
		.amdhsa_float_round_mode_32 0
		.amdhsa_float_round_mode_16_64 0
		.amdhsa_float_denorm_mode_32 3
		.amdhsa_float_denorm_mode_16_64 3
		.amdhsa_dx10_clamp 1
		.amdhsa_ieee_mode 1
		.amdhsa_fp16_overflow 0
		.amdhsa_workgroup_processor_mode 1
		.amdhsa_memory_ordered 1
		.amdhsa_forward_progress 0
		.amdhsa_shared_vgpr_count 0
		.amdhsa_exception_fp_ieee_invalid_op 0
		.amdhsa_exception_fp_denorm_src 0
		.amdhsa_exception_fp_ieee_div_zero 0
		.amdhsa_exception_fp_ieee_overflow 0
		.amdhsa_exception_fp_ieee_underflow 0
		.amdhsa_exception_fp_ieee_inexact 0
		.amdhsa_exception_int_div_zero 0
	.end_amdhsa_kernel
	.section	.text._ZN12_GLOBAL__N_120softmax_warp_forwardIN3c104HalfEffLi7ELb0ELb0ELi64EEEvPT0_PKT_iiiPKbib,"axG",@progbits,_ZN12_GLOBAL__N_120softmax_warp_forwardIN3c104HalfEffLi7ELb0ELb0ELi64EEEvPT0_PKT_iiiPKbib,comdat
.Lfunc_end446:
	.size	_ZN12_GLOBAL__N_120softmax_warp_forwardIN3c104HalfEffLi7ELb0ELb0ELi64EEEvPT0_PKT_iiiPKbib, .Lfunc_end446-_ZN12_GLOBAL__N_120softmax_warp_forwardIN3c104HalfEffLi7ELb0ELb0ELi64EEEvPT0_PKT_iiiPKbib
                                        ; -- End function
	.section	.AMDGPU.csdata,"",@progbits
; Kernel info:
; codeLenInByte = 2200
; NumSgprs: 18
; NumVgprs: 25
; ScratchSize: 0
; MemoryBound: 0
; FloatMode: 240
; IeeeMode: 1
; LDSByteSize: 0 bytes/workgroup (compile time only)
; SGPRBlocks: 2
; VGPRBlocks: 3
; NumSGPRsForWavesPerEU: 18
; NumVGPRsForWavesPerEU: 25
; Occupancy: 16
; WaveLimiterHint : 0
; COMPUTE_PGM_RSRC2:SCRATCH_EN: 0
; COMPUTE_PGM_RSRC2:USER_SGPR: 15
; COMPUTE_PGM_RSRC2:TRAP_HANDLER: 0
; COMPUTE_PGM_RSRC2:TGID_X_EN: 1
; COMPUTE_PGM_RSRC2:TGID_Y_EN: 0
; COMPUTE_PGM_RSRC2:TGID_Z_EN: 0
; COMPUTE_PGM_RSRC2:TIDIG_COMP_CNT: 1
	.section	.text._ZN12_GLOBAL__N_120softmax_warp_forwardIN3c104HalfEffLi7ELb0ELb0ELi32EEEvPT0_PKT_iiiPKbib,"axG",@progbits,_ZN12_GLOBAL__N_120softmax_warp_forwardIN3c104HalfEffLi7ELb0ELb0ELi32EEEvPT0_PKT_iiiPKbib,comdat
	.globl	_ZN12_GLOBAL__N_120softmax_warp_forwardIN3c104HalfEffLi7ELb0ELb0ELi32EEEvPT0_PKT_iiiPKbib ; -- Begin function _ZN12_GLOBAL__N_120softmax_warp_forwardIN3c104HalfEffLi7ELb0ELb0ELi32EEEvPT0_PKT_iiiPKbib
	.p2align	8
	.type	_ZN12_GLOBAL__N_120softmax_warp_forwardIN3c104HalfEffLi7ELb0ELb0ELi32EEEvPT0_PKT_iiiPKbib,@function
_ZN12_GLOBAL__N_120softmax_warp_forwardIN3c104HalfEffLi7ELb0ELb0ELi32EEEvPT0_PKT_iiiPKbib: ; @_ZN12_GLOBAL__N_120softmax_warp_forwardIN3c104HalfEffLi7ELb0ELb0ELi32EEEvPT0_PKT_iiiPKbib
; %bb.0:
	s_clause 0x1
	s_load_b32 s2, s[0:1], 0x3c
	s_load_b256 s[16:23], s[0:1], 0x0
	v_bfe_u32 v1, v0, 10, 10
	v_and_b32_e32 v4, 0x3ff, v0
	v_mov_b32_e32 v6, 0xff800000
	v_mov_b32_e32 v8, 0xff800000
	s_waitcnt lgkmcnt(0)
	s_lshr_b32 s0, s2, 16
	v_cmp_gt_i32_e64 s3, s22, v4
	s_mul_i32 s15, s15, s0
	s_delay_alu instid0(SALU_CYCLE_1) | instskip(NEXT) | instid1(VALU_DEP_1)
	v_add_lshl_u32 v2, s15, v1, 1
	v_mad_u64_u32 v[0:1], null, v2, s21, v[4:5]
	v_sub_nc_u32_e32 v5, s20, v2
	s_delay_alu instid0(VALU_DEP_1) | instskip(NEXT) | instid1(VALU_DEP_3)
	v_cmp_lt_i32_e32 vcc_lo, 0, v5
	v_ashrrev_i32_e32 v1, 31, v0
	s_and_b32 s1, vcc_lo, s3
	s_delay_alu instid0(VALU_DEP_1) | instskip(NEXT) | instid1(VALU_DEP_1)
	v_lshlrev_b64 v[2:3], 1, v[0:1]
	v_add_co_u32 v2, s0, s18, v2
	s_delay_alu instid0(VALU_DEP_1)
	v_add_co_ci_u32_e64 v3, s0, s19, v3, s0
	s_and_saveexec_b32 s0, s1
	s_cbranch_execz .LBB447_2
; %bb.1:
	global_load_u16 v7, v[2:3], off
	s_waitcnt vmcnt(0)
	v_cvt_f32_f16_e32 v8, v7
.LBB447_2:
	s_or_b32 exec_lo, exec_lo, s0
	v_add_nc_u32_e32 v7, 32, v4
	s_delay_alu instid0(VALU_DEP_1) | instskip(NEXT) | instid1(VALU_DEP_1)
	v_cmp_gt_i32_e64 s2, s22, v7
	s_and_b32 s1, vcc_lo, s2
	s_delay_alu instid0(SALU_CYCLE_1)
	s_and_saveexec_b32 s0, s1
	s_cbranch_execz .LBB447_4
; %bb.3:
	global_load_u16 v6, v[2:3], off offset:64
	s_waitcnt vmcnt(0)
	v_cvt_f32_f16_e32 v6, v6
.LBB447_4:
	s_or_b32 exec_lo, exec_lo, s0
	v_add_nc_u32_e32 v7, 64, v4
	v_mov_b32_e32 v9, 0xff800000
	s_delay_alu instid0(VALU_DEP_2) | instskip(SKIP_1) | instid1(VALU_DEP_2)
	v_cmp_gt_i32_e64 s1, s22, v7
	v_mov_b32_e32 v7, 0xff800000
	s_and_b32 s4, vcc_lo, s1
	s_delay_alu instid0(SALU_CYCLE_1)
	s_and_saveexec_b32 s0, s4
	s_cbranch_execz .LBB447_6
; %bb.5:
	global_load_u16 v9, v[2:3], off offset:128
	s_waitcnt vmcnt(0)
	v_cvt_f32_f16_e32 v9, v9
.LBB447_6:
	s_or_b32 exec_lo, exec_lo, s0
	v_add_nc_u32_e32 v4, 0x60, v4
	s_delay_alu instid0(VALU_DEP_1) | instskip(NEXT) | instid1(VALU_DEP_1)
	v_cmp_gt_i32_e64 s0, s22, v4
	s_and_b32 s5, vcc_lo, s0
	s_delay_alu instid0(SALU_CYCLE_1)
	s_and_saveexec_b32 s4, s5
	s_cbranch_execz .LBB447_8
; %bb.7:
	global_load_u16 v4, v[2:3], off offset:192
	s_waitcnt vmcnt(0)
	v_cvt_f32_f16_e32 v7, v4
.LBB447_8:
	s_or_b32 exec_lo, exec_lo, s4
	v_cmp_lt_i32_e64 s4, 1, v5
	v_dual_mov_b32 v4, 0xff800000 :: v_dual_mov_b32 v11, 0xff800000
	s_delay_alu instid0(VALU_DEP_2) | instskip(NEXT) | instid1(SALU_CYCLE_1)
	s_and_b32 s5, s4, s3
	s_and_saveexec_b32 s6, s5
	s_cbranch_execz .LBB447_10
; %bb.9:
	s_mov_b32 s23, 0
	s_delay_alu instid0(SALU_CYCLE_1) | instskip(NEXT) | instid1(SALU_CYCLE_1)
	s_lshl_b64 s[8:9], s[22:23], 1
	v_add_co_u32 v10, s5, v2, s8
	s_delay_alu instid0(VALU_DEP_1)
	v_add_co_ci_u32_e64 v11, s5, s9, v3, s5
	global_load_u16 v10, v[10:11], off
	s_waitcnt vmcnt(0)
	v_cvt_f32_f16_e32 v11, v10
.LBB447_10:
	s_or_b32 exec_lo, exec_lo, s6
	s_and_b32 s5, s4, s2
	s_delay_alu instid0(SALU_CYCLE_1)
	s_and_saveexec_b32 s6, s5
	s_cbranch_execz .LBB447_12
; %bb.11:
	s_mov_b32 s23, 0
	s_delay_alu instid0(SALU_CYCLE_1) | instskip(NEXT) | instid1(SALU_CYCLE_1)
	s_lshl_b64 s[8:9], s[22:23], 1
	v_add_co_u32 v12, s5, v2, s8
	s_delay_alu instid0(VALU_DEP_1)
	v_add_co_ci_u32_e64 v13, s5, s9, v3, s5
	global_load_u16 v4, v[12:13], off offset:64
	s_waitcnt vmcnt(0)
	v_cvt_f32_f16_e32 v4, v4
.LBB447_12:
	s_or_b32 exec_lo, exec_lo, s6
	v_mov_b32_e32 v10, 0xff800000
	v_mov_b32_e32 v12, 0xff800000
	s_and_b32 s5, s4, s1
	s_delay_alu instid0(SALU_CYCLE_1)
	s_and_saveexec_b32 s6, s5
	s_cbranch_execz .LBB447_14
; %bb.13:
	s_mov_b32 s23, 0
	s_delay_alu instid0(SALU_CYCLE_1) | instskip(NEXT) | instid1(SALU_CYCLE_1)
	s_lshl_b64 s[8:9], s[22:23], 1
	v_add_co_u32 v12, s5, v2, s8
	s_delay_alu instid0(VALU_DEP_1)
	v_add_co_ci_u32_e64 v13, s5, s9, v3, s5
	global_load_u16 v12, v[12:13], off offset:128
	s_waitcnt vmcnt(0)
	v_cvt_f32_f16_e32 v12, v12
.LBB447_14:
	s_or_b32 exec_lo, exec_lo, s6
	s_and_b32 s4, s4, s0
	s_delay_alu instid0(SALU_CYCLE_1)
	s_and_saveexec_b32 s5, s4
	s_cbranch_execz .LBB447_16
; %bb.15:
	s_mov_b32 s23, 0
	s_delay_alu instid0(SALU_CYCLE_1) | instskip(NEXT) | instid1(SALU_CYCLE_1)
	s_lshl_b64 s[6:7], s[22:23], 1
	v_add_co_u32 v2, s4, v2, s6
	s_delay_alu instid0(VALU_DEP_1)
	v_add_co_ci_u32_e64 v3, s4, s7, v3, s4
	global_load_u16 v2, v[2:3], off offset:192
	s_waitcnt vmcnt(0)
	v_cvt_f32_f16_e32 v10, v2
.LBB447_16:
	s_or_b32 exec_lo, exec_lo, s5
	v_cmp_gt_f32_e64 s4, v8, v6
	v_mbcnt_lo_u32_b32 v2, -1, 0
	s_delay_alu instid0(VALU_DEP_2) | instskip(SKIP_1) | instid1(VALU_DEP_3)
	v_cndmask_b32_e64 v3, v6, v8, s4
	v_cmp_gt_f32_e64 s4, v11, v4
	v_xor_b32_e32 v13, 16, v2
	v_xor_b32_e32 v17, 8, v2
	v_xor_b32_e32 v18, 4, v2
	v_xor_b32_e32 v19, 2, v2
	v_cndmask_b32_e64 v14, v4, v11, s4
	v_cmp_gt_f32_e64 s4, v3, v9
	v_xor_b32_e32 v20, 1, v2
	s_delay_alu instid0(VALU_DEP_2) | instskip(SKIP_1) | instid1(VALU_DEP_1)
	v_cndmask_b32_e64 v3, v9, v3, s4
	v_cmp_gt_i32_e64 s4, 32, v13
	v_cndmask_b32_e64 v13, v2, v13, s4
	v_cmp_gt_f32_e64 s4, v14, v12
	s_delay_alu instid0(VALU_DEP_2) | instskip(NEXT) | instid1(VALU_DEP_2)
	v_lshlrev_b32_e32 v15, 2, v13
	v_cndmask_b32_e64 v14, v12, v14, s4
	v_cmp_gt_f32_e64 s4, v3, v7
	s_delay_alu instid0(VALU_DEP_1) | instskip(NEXT) | instid1(VALU_DEP_3)
	v_cndmask_b32_e64 v3, v7, v3, s4
	v_cmp_gt_f32_e64 s4, v14, v10
	s_delay_alu instid0(VALU_DEP_1) | instskip(SKIP_4) | instid1(VALU_DEP_1)
	v_cndmask_b32_e64 v13, v10, v14, s4
	ds_bpermute_b32 v14, v15, v3
	v_cmp_gt_i32_e64 s4, 32, v17
	ds_bpermute_b32 v16, v15, v13
	v_cndmask_b32_e64 v17, v2, v17, s4
	v_lshlrev_b32_e32 v17, 2, v17
	s_waitcnt lgkmcnt(1)
	v_cmp_lt_f32_e64 s4, v3, v14
	s_delay_alu instid0(VALU_DEP_1)
	v_cndmask_b32_e64 v3, v3, v14, s4
	s_waitcnt lgkmcnt(0)
	v_cmp_lt_f32_e64 s4, v13, v16
	ds_bpermute_b32 v14, v17, v3
	v_cndmask_b32_e64 v13, v13, v16, s4
	v_cmp_gt_i32_e64 s4, 32, v18
	ds_bpermute_b32 v16, v17, v13
	v_cndmask_b32_e64 v18, v2, v18, s4
	s_delay_alu instid0(VALU_DEP_1) | instskip(SKIP_2) | instid1(VALU_DEP_1)
	v_lshlrev_b32_e32 v18, 2, v18
	s_waitcnt lgkmcnt(1)
	v_cmp_lt_f32_e64 s4, v3, v14
	v_cndmask_b32_e64 v3, v3, v14, s4
	s_waitcnt lgkmcnt(0)
	v_cmp_lt_f32_e64 s4, v13, v16
	ds_bpermute_b32 v14, v18, v3
	v_cndmask_b32_e64 v13, v13, v16, s4
	v_cmp_gt_i32_e64 s4, 32, v19
	ds_bpermute_b32 v16, v18, v13
	v_cndmask_b32_e64 v19, v2, v19, s4
	s_delay_alu instid0(VALU_DEP_1) | instskip(SKIP_2) | instid1(VALU_DEP_1)
	v_lshlrev_b32_e32 v19, 2, v19
	s_waitcnt lgkmcnt(1)
	v_cmp_lt_f32_e64 s4, v3, v14
	;; [unrolled: 12-line block ×3, first 2 shown]
	v_cndmask_b32_e64 v2, v3, v14, s4
	s_waitcnt lgkmcnt(0)
	v_cmp_lt_f32_e64 s4, v13, v16
	s_delay_alu instid0(VALU_DEP_1) | instskip(SKIP_4) | instid1(VALU_DEP_1)
	v_cndmask_b32_e64 v3, v13, v16, s4
	ds_bpermute_b32 v13, v20, v2
	ds_bpermute_b32 v14, v20, v3
	s_waitcnt lgkmcnt(1)
	v_cmp_lt_f32_e64 s4, v2, v13
	v_cndmask_b32_e64 v2, v2, v13, s4
	s_waitcnt lgkmcnt(0)
	v_cmp_lt_f32_e64 s4, v3, v14
	s_delay_alu instid0(VALU_DEP_2) | instskip(NEXT) | instid1(VALU_DEP_2)
	v_sub_f32_e32 v8, v8, v2
	v_cndmask_b32_e64 v3, v3, v14, s4
	v_sub_f32_e32 v6, v6, v2
	v_sub_f32_e32 v9, v9, v2
	;; [unrolled: 1-line block ×3, first 2 shown]
	v_cmp_ngt_f32_e64 s4, 0xc2ce8ed0, v8
	v_sub_f32_e32 v4, v4, v3
	v_sub_f32_e32 v7, v11, v3
	v_dual_sub_f32 v12, v12, v3 :: v_dual_mul_f32 v11, 0x3fb8aa3b, v9
	v_dual_sub_f32 v14, v10, v3 :: v_dual_mul_f32 v13, 0x3fb8aa3b, v2
	v_dual_mul_f32 v3, 0x3fb8aa3b, v8 :: v_dual_mul_f32 v10, 0x3fb8aa3b, v6
	s_delay_alu instid0(VALU_DEP_4) | instskip(NEXT) | instid1(VALU_DEP_3)
	v_dual_mul_f32 v21, 0x3fb8aa3b, v4 :: v_dual_mul_f32 v16, 0x3fb8aa3b, v7
	v_mul_f32_e32 v23, 0x3fb8aa3b, v14
	s_delay_alu instid0(VALU_DEP_3)
	v_fma_f32 v24, 0x3fb8aa3b, v8, -v3
	v_rndne_f32_e32 v25, v3
	v_mul_f32_e32 v22, 0x3fb8aa3b, v12
	v_fma_f32 v26, 0x3fb8aa3b, v6, -v10
	v_rndne_f32_e32 v27, v10
	v_rndne_f32_e32 v29, v11
	v_dual_sub_f32 v3, v3, v25 :: v_dual_fmac_f32 v24, 0x32a5705f, v8
	v_fma_f32 v28, 0x3fb8aa3b, v9, -v11
	v_fma_f32 v30, 0x3fb8aa3b, v2, -v13
	s_delay_alu instid0(VALU_DEP_4)
	v_sub_f32_e32 v11, v11, v29
	v_rndne_f32_e32 v31, v13
	v_fma_f32 v38, 0x3fb8aa3b, v14, -v23
	v_rndne_f32_e32 v39, v23
	v_fmac_f32_e32 v26, 0x32a5705f, v6
	v_dual_sub_f32 v10, v10, v27 :: v_dual_add_f32 v3, v3, v24
	v_fma_f32 v32, 0x3fb8aa3b, v7, -v16
	v_fma_f32 v34, 0x3fb8aa3b, v4, -v21
	v_rndne_f32_e32 v35, v21
	v_fma_f32 v36, 0x3fb8aa3b, v12, -v22
	v_rndne_f32_e32 v37, v22
	v_fmac_f32_e32 v28, 0x32a5705f, v9
	v_dual_fmac_f32 v30, 0x32a5705f, v2 :: v_dual_sub_f32 v23, v23, v39
	v_dual_sub_f32 v13, v13, v31 :: v_dual_fmac_f32 v38, 0x32a5705f, v14
	v_add_f32_e32 v10, v10, v26
	v_exp_f32_e32 v3, v3
	v_rndne_f32_e32 v33, v16
	v_cvt_i32_f32_e32 v25, v25
	v_dual_fmac_f32 v34, 0x32a5705f, v4 :: v_dual_add_f32 v23, v23, v38
	v_sub_f32_e32 v21, v21, v35
	v_dual_fmac_f32 v32, 0x32a5705f, v7 :: v_dual_add_f32 v11, v11, v28
	v_fmac_f32_e32 v36, 0x32a5705f, v12
	v_sub_f32_e32 v22, v22, v37
	v_exp_f32_e32 v10, v10
	v_cvt_i32_f32_e32 v27, v27
	v_dual_sub_f32 v16, v16, v33 :: v_dual_add_f32 v13, v13, v30
	s_delay_alu instid0(VALU_DEP_3)
	v_dual_add_f32 v21, v21, v34 :: v_dual_add_f32 v22, v22, v36
	v_exp_f32_e32 v11, v11
	v_ldexp_f32 v3, v3, v25
	v_cvt_i32_f32_e32 v29, v29
	v_add_f32_e32 v16, v16, v32
	v_exp_f32_e32 v13, v13
	v_exp_f32_e32 v22, v22
	v_ldexp_f32 v10, v10, v27
	v_cndmask_b32_e64 v3, 0, v3, s4
	v_cmp_ngt_f32_e64 s4, 0xc2ce8ed0, v6
	v_cvt_i32_f32_e32 v31, v31
	v_exp_f32_e32 v16, v16
	v_cvt_i32_f32_e32 v24, v37
	v_ldexp_f32 v11, v11, v29
	v_cndmask_b32_e64 v10, 0, v10, s4
	v_cmp_ngt_f32_e64 s4, 0xc2ce8ed0, v9
	v_cvt_i32_f32_e32 v33, v33
	v_exp_f32_e32 v21, v21
	v_ldexp_f32 v13, v13, v31
	v_ldexp_f32 v22, v22, v24
	v_cndmask_b32_e64 v24, 0, v11, s4
	v_cmp_ngt_f32_e64 s4, 0xc2ce8ed0, v2
	v_cvt_i32_f32_e32 v35, v35
	v_ldexp_f32 v16, v16, v33
	v_exp_f32_e32 v23, v23
	v_cvt_i32_f32_e32 v26, v39
	v_cndmask_b32_e64 v25, 0, v13, s4
	v_cmp_ngt_f32_e64 s4, 0xc2ce8ed0, v7
	v_ldexp_f32 v21, v21, v35
	s_delay_alu instid0(VALU_DEP_2) | instskip(SKIP_1) | instid1(TRANS32_DEP_1)
	v_cndmask_b32_e64 v16, 0, v16, s4
	v_cmp_ngt_f32_e64 s4, 0xc2ce8ed0, v4
	v_ldexp_f32 v23, v23, v26
	s_delay_alu instid0(VALU_DEP_2) | instskip(SKIP_1) | instid1(VALU_DEP_1)
	v_cndmask_b32_e64 v21, 0, v21, s4
	v_cmp_ngt_f32_e64 s4, 0xc2ce8ed0, v12
	v_cndmask_b32_e64 v22, 0, v22, s4
	v_cmp_ngt_f32_e64 s4, 0xc2ce8ed0, v14
	s_delay_alu instid0(VALU_DEP_1) | instskip(SKIP_1) | instid1(VALU_DEP_1)
	v_cndmask_b32_e64 v23, 0, v23, s4
	v_cmp_nlt_f32_e64 s4, 0x42b17218, v8
	v_cndmask_b32_e64 v13, 0x7f800000, v3, s4
	v_cmp_nlt_f32_e64 s4, 0x42b17218, v6
	s_delay_alu instid0(VALU_DEP_1) | instskip(SKIP_1) | instid1(VALU_DEP_2)
	v_cndmask_b32_e64 v11, 0x7f800000, v10, s4
	v_cmp_nlt_f32_e64 s4, 0x42b17218, v7
	v_add_f32_e32 v8, v13, v11
	s_delay_alu instid0(VALU_DEP_2) | instskip(SKIP_1) | instid1(VALU_DEP_1)
	v_cndmask_b32_e64 v6, 0x7f800000, v16, s4
	v_cmp_nlt_f32_e64 s4, 0x42b17218, v4
	v_cndmask_b32_e64 v4, 0x7f800000, v21, s4
	v_cmp_nlt_f32_e64 s4, 0x42b17218, v9
	s_delay_alu instid0(VALU_DEP_2) | instskip(NEXT) | instid1(VALU_DEP_2)
	v_add_f32_e32 v9, v6, v4
	v_cndmask_b32_e64 v10, 0x7f800000, v24, s4
	v_cmp_nlt_f32_e64 s4, 0x42b17218, v12
	s_delay_alu instid0(VALU_DEP_2) | instskip(NEXT) | instid1(VALU_DEP_2)
	v_add_f32_e32 v8, v8, v10
	;; [unrolled: 4-line block ×3, first 2 shown]
	v_cndmask_b32_e64 v7, 0x7f800000, v25, s4
	v_cmp_nlt_f32_e64 s4, 0x42b17218, v14
	s_delay_alu instid0(VALU_DEP_1) | instskip(NEXT) | instid1(VALU_DEP_1)
	v_cndmask_b32_e64 v2, 0x7f800000, v23, s4
	v_add_f32_e32 v9, v9, v2
	ds_bpermute_b32 v14, v15, v9
	s_waitcnt lgkmcnt(0)
	v_add_f32_e32 v9, v9, v14
	ds_bpermute_b32 v14, v17, v9
	s_waitcnt lgkmcnt(0)
	v_dual_add_f32 v8, v8, v7 :: v_dual_add_f32 v9, v9, v14
	ds_bpermute_b32 v12, v15, v8
	ds_bpermute_b32 v14, v18, v9
	s_waitcnt lgkmcnt(0)
	v_dual_add_f32 v8, v8, v12 :: v_dual_add_f32 v9, v9, v14
	ds_bpermute_b32 v12, v17, v8
	ds_bpermute_b32 v14, v19, v9
	s_waitcnt lgkmcnt(1)
	v_add_f32_e32 v8, v8, v12
	ds_bpermute_b32 v12, v18, v8
	s_waitcnt lgkmcnt(0)
	v_add_f32_e32 v8, v8, v12
	;; [unrolled: 3-line block ×3, first 2 shown]
	v_add_f32_e32 v8, v9, v14
	ds_bpermute_b32 v14, v20, v12
	ds_bpermute_b32 v9, v20, v8
	s_and_saveexec_b32 s4, vcc_lo
	s_cbranch_execz .LBB447_28
; %bb.17:
	v_lshlrev_b64 v[0:1], 2, v[0:1]
	s_delay_alu instid0(VALU_DEP_1) | instskip(NEXT) | instid1(VALU_DEP_2)
	v_add_co_u32 v0, vcc_lo, s16, v0
	v_add_co_ci_u32_e32 v1, vcc_lo, s17, v1, vcc_lo
	s_and_saveexec_b32 s5, s3
	s_cbranch_execz .LBB447_22
; %bb.18:
	s_waitcnt lgkmcnt(1)
	v_add_f32_e32 v12, v12, v14
	s_delay_alu instid0(VALU_DEP_1) | instskip(NEXT) | instid1(VALU_DEP_1)
	v_div_scale_f32 v14, null, v12, v12, v13
	v_rcp_f32_e32 v15, v14
	s_waitcnt_depctr 0xfff
	v_fma_f32 v16, -v14, v15, 1.0
	s_delay_alu instid0(VALU_DEP_1) | instskip(SKIP_1) | instid1(VALU_DEP_1)
	v_fmac_f32_e32 v15, v16, v15
	v_div_scale_f32 v16, vcc_lo, v13, v12, v13
	v_mul_f32_e32 v17, v16, v15
	s_delay_alu instid0(VALU_DEP_1) | instskip(NEXT) | instid1(VALU_DEP_1)
	v_fma_f32 v18, -v14, v17, v16
	v_fmac_f32_e32 v17, v18, v15
	v_cmp_eq_f32_e64 s4, 0, v12
	s_delay_alu instid0(VALU_DEP_2) | instskip(NEXT) | instid1(VALU_DEP_1)
	v_fma_f32 v14, -v14, v17, v16
	v_div_fmas_f32 v14, v14, v15, v17
	s_delay_alu instid0(VALU_DEP_1) | instskip(NEXT) | instid1(VALU_DEP_1)
	v_div_fixup_f32 v13, v14, v12, v13
	v_cndmask_b32_e64 v13, v13, 0x7fc00000, s4
	global_store_b32 v[0:1], v13, off
	s_and_b32 exec_lo, exec_lo, s2
	s_cbranch_execz .LBB447_22
; %bb.19:
	v_div_scale_f32 v13, null, v12, v12, v11
	s_delay_alu instid0(VALU_DEP_1) | instskip(SKIP_2) | instid1(VALU_DEP_1)
	v_rcp_f32_e32 v14, v13
	s_waitcnt_depctr 0xfff
	v_fma_f32 v15, -v13, v14, 1.0
	v_fmac_f32_e32 v14, v15, v14
	v_div_scale_f32 v15, vcc_lo, v11, v12, v11
	s_delay_alu instid0(VALU_DEP_1) | instskip(NEXT) | instid1(VALU_DEP_1)
	v_mul_f32_e32 v16, v15, v14
	v_fma_f32 v17, -v13, v16, v15
	s_delay_alu instid0(VALU_DEP_1) | instskip(NEXT) | instid1(VALU_DEP_1)
	v_fmac_f32_e32 v16, v17, v14
	v_fma_f32 v13, -v13, v16, v15
	s_delay_alu instid0(VALU_DEP_1) | instskip(NEXT) | instid1(VALU_DEP_1)
	v_div_fmas_f32 v13, v13, v14, v16
	v_div_fixup_f32 v11, v13, v12, v11
	s_delay_alu instid0(VALU_DEP_1)
	v_cndmask_b32_e64 v11, v11, 0x7fc00000, s4
	global_store_b32 v[0:1], v11, off offset:128
	s_and_b32 exec_lo, exec_lo, s1
	s_cbranch_execz .LBB447_22
; %bb.20:
	v_div_scale_f32 v11, null, v12, v12, v10
	s_delay_alu instid0(VALU_DEP_1) | instskip(SKIP_2) | instid1(VALU_DEP_1)
	v_rcp_f32_e32 v13, v11
	s_waitcnt_depctr 0xfff
	v_fma_f32 v14, -v11, v13, 1.0
	v_fmac_f32_e32 v13, v14, v13
	v_div_scale_f32 v14, vcc_lo, v10, v12, v10
	s_delay_alu instid0(VALU_DEP_1) | instskip(NEXT) | instid1(VALU_DEP_1)
	v_mul_f32_e32 v15, v14, v13
	v_fma_f32 v16, -v11, v15, v14
	s_delay_alu instid0(VALU_DEP_1) | instskip(NEXT) | instid1(VALU_DEP_1)
	v_fmac_f32_e32 v15, v16, v13
	v_fma_f32 v11, -v11, v15, v14
	s_delay_alu instid0(VALU_DEP_1) | instskip(NEXT) | instid1(VALU_DEP_1)
	v_div_fmas_f32 v11, v11, v13, v15
	v_div_fixup_f32 v10, v11, v12, v10
	s_delay_alu instid0(VALU_DEP_1)
	v_cndmask_b32_e64 v10, v10, 0x7fc00000, s4
	global_store_b32 v[0:1], v10, off offset:256
	;; [unrolled: 22-line block ×3, first 2 shown]
.LBB447_22:
	s_or_b32 exec_lo, exec_lo, s5
	v_cmp_ne_u32_e32 vcc_lo, 1, v5
	s_and_b32 exec_lo, exec_lo, vcc_lo
	s_cbranch_execz .LBB447_28
; %bb.23:
	s_and_b32 exec_lo, exec_lo, s3
	s_cbranch_execz .LBB447_28
; %bb.24:
	s_waitcnt lgkmcnt(0)
	v_add_f32_e32 v5, v8, v9
	s_ashr_i32 s23, s22, 31
	s_delay_alu instid0(SALU_CYCLE_1) | instskip(NEXT) | instid1(VALU_DEP_1)
	s_lshl_b64 s[4:5], s[22:23], 2
	v_div_scale_f32 v7, null, v5, v5, v6
	s_delay_alu instid0(VALU_DEP_1) | instskip(SKIP_2) | instid1(VALU_DEP_1)
	v_rcp_f32_e32 v8, v7
	s_waitcnt_depctr 0xfff
	v_fma_f32 v9, -v7, v8, 1.0
	v_fmac_f32_e32 v8, v9, v8
	v_div_scale_f32 v10, vcc_lo, v6, v5, v6
	v_cmp_eq_f32_e64 s3, 0, v5
	s_delay_alu instid0(VALU_DEP_2) | instskip(NEXT) | instid1(VALU_DEP_1)
	v_mul_f32_e32 v9, v10, v8
	v_fma_f32 v11, -v7, v9, v10
	s_delay_alu instid0(VALU_DEP_1) | instskip(NEXT) | instid1(VALU_DEP_1)
	v_fmac_f32_e32 v9, v11, v8
	v_fma_f32 v7, -v7, v9, v10
	s_delay_alu instid0(VALU_DEP_1) | instskip(SKIP_2) | instid1(VALU_DEP_3)
	v_div_fmas_f32 v7, v7, v8, v9
	v_add_co_u32 v0, vcc_lo, v0, s4
	v_add_co_ci_u32_e32 v1, vcc_lo, s5, v1, vcc_lo
	v_div_fixup_f32 v6, v7, v5, v6
	s_delay_alu instid0(VALU_DEP_1)
	v_cndmask_b32_e64 v6, v6, 0x7fc00000, s3
	global_store_b32 v[0:1], v6, off
	s_and_b32 exec_lo, exec_lo, s2
	s_cbranch_execz .LBB447_28
; %bb.25:
	v_div_scale_f32 v6, null, v5, v5, v4
	s_delay_alu instid0(VALU_DEP_1) | instskip(SKIP_2) | instid1(VALU_DEP_1)
	v_rcp_f32_e32 v7, v6
	s_waitcnt_depctr 0xfff
	v_fma_f32 v8, -v6, v7, 1.0
	v_fmac_f32_e32 v7, v8, v7
	v_div_scale_f32 v8, vcc_lo, v4, v5, v4
	s_delay_alu instid0(VALU_DEP_1) | instskip(NEXT) | instid1(VALU_DEP_1)
	v_mul_f32_e32 v9, v8, v7
	v_fma_f32 v10, -v6, v9, v8
	s_delay_alu instid0(VALU_DEP_1) | instskip(NEXT) | instid1(VALU_DEP_1)
	v_fmac_f32_e32 v9, v10, v7
	v_fma_f32 v6, -v6, v9, v8
	s_delay_alu instid0(VALU_DEP_1) | instskip(NEXT) | instid1(VALU_DEP_1)
	v_div_fmas_f32 v6, v6, v7, v9
	v_div_fixup_f32 v4, v6, v5, v4
	s_delay_alu instid0(VALU_DEP_1)
	v_cndmask_b32_e64 v4, v4, 0x7fc00000, s3
	global_store_b32 v[0:1], v4, off offset:128
	s_and_b32 exec_lo, exec_lo, s1
	s_cbranch_execz .LBB447_28
; %bb.26:
	v_div_scale_f32 v4, null, v5, v5, v3
	s_delay_alu instid0(VALU_DEP_1) | instskip(SKIP_2) | instid1(VALU_DEP_1)
	v_rcp_f32_e32 v6, v4
	s_waitcnt_depctr 0xfff
	v_fma_f32 v7, -v4, v6, 1.0
	v_fmac_f32_e32 v6, v7, v6
	v_div_scale_f32 v7, vcc_lo, v3, v5, v3
	s_delay_alu instid0(VALU_DEP_1) | instskip(NEXT) | instid1(VALU_DEP_1)
	v_mul_f32_e32 v8, v7, v6
	v_fma_f32 v9, -v4, v8, v7
	s_delay_alu instid0(VALU_DEP_1) | instskip(NEXT) | instid1(VALU_DEP_1)
	v_fmac_f32_e32 v8, v9, v6
	v_fma_f32 v4, -v4, v8, v7
	s_delay_alu instid0(VALU_DEP_1) | instskip(NEXT) | instid1(VALU_DEP_1)
	v_div_fmas_f32 v4, v4, v6, v8
	v_div_fixup_f32 v3, v4, v5, v3
	s_delay_alu instid0(VALU_DEP_1)
	v_cndmask_b32_e64 v3, v3, 0x7fc00000, s3
	global_store_b32 v[0:1], v3, off offset:256
	;; [unrolled: 22-line block ×3, first 2 shown]
.LBB447_28:
	s_nop 0
	s_sendmsg sendmsg(MSG_DEALLOC_VGPRS)
	s_endpgm
	.section	.rodata,"a",@progbits
	.p2align	6, 0x0
	.amdhsa_kernel _ZN12_GLOBAL__N_120softmax_warp_forwardIN3c104HalfEffLi7ELb0ELb0ELi32EEEvPT0_PKT_iiiPKbib
		.amdhsa_group_segment_fixed_size 0
		.amdhsa_private_segment_fixed_size 0
		.amdhsa_kernarg_size 304
		.amdhsa_user_sgpr_count 15
		.amdhsa_user_sgpr_dispatch_ptr 0
		.amdhsa_user_sgpr_queue_ptr 0
		.amdhsa_user_sgpr_kernarg_segment_ptr 1
		.amdhsa_user_sgpr_dispatch_id 0
		.amdhsa_user_sgpr_private_segment_size 0
		.amdhsa_wavefront_size32 1
		.amdhsa_uses_dynamic_stack 0
		.amdhsa_enable_private_segment 0
		.amdhsa_system_sgpr_workgroup_id_x 1
		.amdhsa_system_sgpr_workgroup_id_y 0
		.amdhsa_system_sgpr_workgroup_id_z 0
		.amdhsa_system_sgpr_workgroup_info 0
		.amdhsa_system_vgpr_workitem_id 1
		.amdhsa_next_free_vgpr 40
		.amdhsa_next_free_sgpr 24
		.amdhsa_reserve_vcc 1
		.amdhsa_float_round_mode_32 0
		.amdhsa_float_round_mode_16_64 0
		.amdhsa_float_denorm_mode_32 3
		.amdhsa_float_denorm_mode_16_64 3
		.amdhsa_dx10_clamp 1
		.amdhsa_ieee_mode 1
		.amdhsa_fp16_overflow 0
		.amdhsa_workgroup_processor_mode 1
		.amdhsa_memory_ordered 1
		.amdhsa_forward_progress 0
		.amdhsa_shared_vgpr_count 0
		.amdhsa_exception_fp_ieee_invalid_op 0
		.amdhsa_exception_fp_denorm_src 0
		.amdhsa_exception_fp_ieee_div_zero 0
		.amdhsa_exception_fp_ieee_overflow 0
		.amdhsa_exception_fp_ieee_underflow 0
		.amdhsa_exception_fp_ieee_inexact 0
		.amdhsa_exception_int_div_zero 0
	.end_amdhsa_kernel
	.section	.text._ZN12_GLOBAL__N_120softmax_warp_forwardIN3c104HalfEffLi7ELb0ELb0ELi32EEEvPT0_PKT_iiiPKbib,"axG",@progbits,_ZN12_GLOBAL__N_120softmax_warp_forwardIN3c104HalfEffLi7ELb0ELb0ELi32EEEvPT0_PKT_iiiPKbib,comdat
.Lfunc_end447:
	.size	_ZN12_GLOBAL__N_120softmax_warp_forwardIN3c104HalfEffLi7ELb0ELb0ELi32EEEvPT0_PKT_iiiPKbib, .Lfunc_end447-_ZN12_GLOBAL__N_120softmax_warp_forwardIN3c104HalfEffLi7ELb0ELb0ELi32EEEvPT0_PKT_iiiPKbib
                                        ; -- End function
	.section	.AMDGPU.csdata,"",@progbits
; Kernel info:
; codeLenInByte = 3348
; NumSgprs: 26
; NumVgprs: 40
; ScratchSize: 0
; MemoryBound: 0
; FloatMode: 240
; IeeeMode: 1
; LDSByteSize: 0 bytes/workgroup (compile time only)
; SGPRBlocks: 3
; VGPRBlocks: 4
; NumSGPRsForWavesPerEU: 26
; NumVGPRsForWavesPerEU: 40
; Occupancy: 16
; WaveLimiterHint : 0
; COMPUTE_PGM_RSRC2:SCRATCH_EN: 0
; COMPUTE_PGM_RSRC2:USER_SGPR: 15
; COMPUTE_PGM_RSRC2:TRAP_HANDLER: 0
; COMPUTE_PGM_RSRC2:TGID_X_EN: 1
; COMPUTE_PGM_RSRC2:TGID_Y_EN: 0
; COMPUTE_PGM_RSRC2:TGID_Z_EN: 0
; COMPUTE_PGM_RSRC2:TIDIG_COMP_CNT: 1
	.section	.text._ZN12_GLOBAL__N_120softmax_warp_forwardIN3c104HalfEffLi8ELb0ELb0ELi64EEEvPT0_PKT_iiiPKbib,"axG",@progbits,_ZN12_GLOBAL__N_120softmax_warp_forwardIN3c104HalfEffLi8ELb0ELb0ELi64EEEvPT0_PKT_iiiPKbib,comdat
	.globl	_ZN12_GLOBAL__N_120softmax_warp_forwardIN3c104HalfEffLi8ELb0ELb0ELi64EEEvPT0_PKT_iiiPKbib ; -- Begin function _ZN12_GLOBAL__N_120softmax_warp_forwardIN3c104HalfEffLi8ELb0ELb0ELi64EEEvPT0_PKT_iiiPKbib
	.p2align	8
	.type	_ZN12_GLOBAL__N_120softmax_warp_forwardIN3c104HalfEffLi8ELb0ELb0ELi64EEEvPT0_PKT_iiiPKbib,@function
_ZN12_GLOBAL__N_120softmax_warp_forwardIN3c104HalfEffLi8ELb0ELb0ELi64EEEvPT0_PKT_iiiPKbib: ; @_ZN12_GLOBAL__N_120softmax_warp_forwardIN3c104HalfEffLi8ELb0ELb0ELi64EEEvPT0_PKT_iiiPKbib
; %bb.0:
	s_clause 0x1
	s_load_b32 s2, s[0:1], 0x3c
	s_load_b256 s[4:11], s[0:1], 0x0
	v_bfe_u32 v1, v0, 10, 10
	v_mov_b32_e32 v6, 0xff800000
	v_mov_b32_e32 v8, 0xff800000
	s_waitcnt lgkmcnt(0)
	s_lshr_b32 s0, s2, 16
	s_delay_alu instid0(SALU_CYCLE_1) | instskip(SKIP_1) | instid1(VALU_DEP_1)
	v_mad_u64_u32 v[3:4], null, s15, s0, v[1:2]
	v_and_b32_e32 v2, 0x3ff, v0
	v_cmp_gt_i32_e32 vcc_lo, s10, v2
	s_delay_alu instid0(VALU_DEP_3) | instskip(SKIP_1) | instid1(VALU_DEP_1)
	v_mad_u64_u32 v[0:1], null, v3, s9, v[2:3]
	v_sub_nc_u32_e32 v5, s8, v3
	v_cmp_lt_i32_e64 s3, 0, v5
	s_delay_alu instid0(VALU_DEP_3) | instskip(NEXT) | instid1(VALU_DEP_2)
	v_ashrrev_i32_e32 v1, 31, v0
	s_and_b32 s1, s3, vcc_lo
	s_delay_alu instid0(VALU_DEP_1) | instskip(NEXT) | instid1(VALU_DEP_1)
	v_lshlrev_b64 v[3:4], 1, v[0:1]
	v_add_co_u32 v3, s0, s6, v3
	s_delay_alu instid0(VALU_DEP_1)
	v_add_co_ci_u32_e64 v4, s0, s7, v4, s0
	s_and_saveexec_b32 s0, s1
	s_cbranch_execz .LBB448_2
; %bb.1:
	global_load_u16 v7, v[3:4], off
	s_waitcnt vmcnt(0)
	v_cvt_f32_f16_e32 v8, v7
.LBB448_2:
	s_or_b32 exec_lo, exec_lo, s0
	v_add_nc_u32_e32 v7, 64, v2
	s_delay_alu instid0(VALU_DEP_1) | instskip(NEXT) | instid1(VALU_DEP_1)
	v_cmp_gt_i32_e64 s2, s10, v7
	s_and_b32 s1, s3, s2
	s_delay_alu instid0(SALU_CYCLE_1)
	s_and_saveexec_b32 s0, s1
	s_cbranch_execz .LBB448_4
; %bb.3:
	global_load_u16 v6, v[3:4], off offset:128
	s_waitcnt vmcnt(0)
	v_cvt_f32_f16_e32 v6, v6
.LBB448_4:
	s_or_b32 exec_lo, exec_lo, s0
	v_add_nc_u32_e32 v7, 0x80, v2
	v_mov_b32_e32 v9, 0xff800000
	s_delay_alu instid0(VALU_DEP_2) | instskip(SKIP_1) | instid1(VALU_DEP_2)
	v_cmp_gt_i32_e64 s1, s10, v7
	v_mov_b32_e32 v7, 0xff800000
	s_and_b32 s6, s3, s1
	s_delay_alu instid0(SALU_CYCLE_1)
	s_and_saveexec_b32 s0, s6
	s_cbranch_execz .LBB448_6
; %bb.5:
	global_load_u16 v9, v[3:4], off offset:256
	s_waitcnt vmcnt(0)
	v_cvt_f32_f16_e32 v9, v9
.LBB448_6:
	s_or_b32 exec_lo, exec_lo, s0
	v_add_nc_u32_e32 v2, 0xc0, v2
	s_delay_alu instid0(VALU_DEP_1) | instskip(NEXT) | instid1(VALU_DEP_1)
	v_cmp_gt_i32_e64 s0, s10, v2
	s_and_b32 s6, s3, s0
	s_delay_alu instid0(SALU_CYCLE_1)
	s_and_saveexec_b32 s3, s6
	s_cbranch_execz .LBB448_8
; %bb.7:
	global_load_u16 v2, v[3:4], off offset:384
	s_waitcnt vmcnt(0)
	v_cvt_f32_f16_e32 v7, v2
.LBB448_8:
	s_or_b32 exec_lo, exec_lo, s3
	v_cmp_gt_f32_e64 s3, v8, v6
	v_mbcnt_lo_u32_b32 v2, -1, 0
	s_mov_b32 s6, exec_lo
	s_delay_alu instid0(VALU_DEP_2) | instskip(NEXT) | instid1(VALU_DEP_2)
	v_cndmask_b32_e64 v3, v6, v8, s3
	v_or_b32_e32 v4, 32, v2
	v_xor_b32_e32 v11, 16, v2
	v_xor_b32_e32 v12, 8, v2
	;; [unrolled: 1-line block ×3, first 2 shown]
	v_cmp_gt_f32_e64 s3, v3, v9
	v_xor_b32_e32 v14, 2, v2
	v_xor_b32_e32 v15, 1, v2
	s_delay_alu instid0(VALU_DEP_3) | instskip(SKIP_1) | instid1(VALU_DEP_1)
	v_cndmask_b32_e64 v3, v9, v3, s3
	v_cmp_gt_i32_e64 s3, 64, v4
	v_cndmask_b32_e64 v4, v2, v4, s3
	s_delay_alu instid0(VALU_DEP_3) | instskip(NEXT) | instid1(VALU_DEP_2)
	v_cmp_gt_f32_e64 s3, v3, v7
	v_lshlrev_b32_e32 v4, 2, v4
	s_delay_alu instid0(VALU_DEP_2) | instskip(SKIP_3) | instid1(VALU_DEP_1)
	v_cndmask_b32_e64 v3, v7, v3, s3
	v_cmp_gt_i32_e64 s3, 64, v11
	ds_bpermute_b32 v10, v4, v3
	v_cndmask_b32_e64 v11, v2, v11, s3
	v_lshlrev_b32_e32 v11, 2, v11
	s_waitcnt lgkmcnt(0)
	v_cmp_lt_f32_e64 s3, v3, v10
	s_delay_alu instid0(VALU_DEP_1) | instskip(SKIP_3) | instid1(VALU_DEP_1)
	v_cndmask_b32_e64 v3, v3, v10, s3
	v_cmp_gt_i32_e64 s3, 64, v12
	ds_bpermute_b32 v10, v11, v3
	v_cndmask_b32_e64 v12, v2, v12, s3
	v_lshlrev_b32_e32 v12, 2, v12
	s_waitcnt lgkmcnt(0)
	v_cmp_lt_f32_e64 s3, v3, v10
	s_delay_alu instid0(VALU_DEP_1) | instskip(SKIP_3) | instid1(VALU_DEP_1)
	;; [unrolled: 8-line block ×5, first 2 shown]
	v_cndmask_b32_e64 v2, v3, v10, s3
	ds_bpermute_b32 v3, v15, v2
	s_waitcnt lgkmcnt(0)
	v_cmp_lt_f32_e64 s3, v2, v3
	v_cndmask_b32_e64 v2, v2, v3, s3
	s_delay_alu instid0(VALU_DEP_1) | instskip(SKIP_2) | instid1(VALU_DEP_3)
	v_sub_f32_e32 v3, v8, v2
	v_sub_f32_e32 v8, v9, v2
	;; [unrolled: 1-line block ×3, first 2 shown]
	v_cmp_ngt_f32_e64 s3, 0xc2ce8ed0, v3
	s_delay_alu instid0(VALU_DEP_3) | instskip(NEXT) | instid1(VALU_DEP_1)
	v_mul_f32_e32 v10, 0x3fb8aa3b, v8
	v_fma_f32 v21, 0x3fb8aa3b, v8, -v10
	v_rndne_f32_e32 v22, v10
	s_delay_alu instid0(VALU_DEP_1) | instskip(NEXT) | instid1(VALU_DEP_1)
	v_dual_fmac_f32 v21, 0x32a5705f, v8 :: v_dual_sub_f32 v10, v10, v22
	v_dual_mul_f32 v9, 0x3fb8aa3b, v6 :: v_dual_add_f32 v10, v10, v21
	s_delay_alu instid0(VALU_DEP_1) | instskip(SKIP_2) | instid1(VALU_DEP_4)
	v_rndne_f32_e32 v20, v9
	v_dual_sub_f32 v2, v7, v2 :: v_dual_mul_f32 v7, 0x3fb8aa3b, v3
	v_fma_f32 v19, 0x3fb8aa3b, v6, -v9
	v_exp_f32_e32 v10, v10
	s_delay_alu instid0(VALU_DEP_3) | instskip(NEXT) | instid1(VALU_DEP_3)
	v_sub_f32_e32 v9, v9, v20
	v_fma_f32 v17, 0x3fb8aa3b, v3, -v7
	v_rndne_f32_e32 v18, v7
	s_delay_alu instid0(VALU_DEP_2) | instskip(NEXT) | instid1(VALU_DEP_2)
	v_fmac_f32_e32 v17, 0x32a5705f, v3
	v_sub_f32_e32 v7, v7, v18
	v_mul_f32_e32 v16, 0x3fb8aa3b, v2
	v_cvt_i32_f32_e32 v18, v18
	s_delay_alu instid0(VALU_DEP_3) | instskip(NEXT) | instid1(VALU_DEP_3)
	v_add_f32_e32 v7, v7, v17
	v_fma_f32 v23, 0x3fb8aa3b, v2, -v16
	v_rndne_f32_e32 v17, v16
	s_delay_alu instid0(VALU_DEP_3) | instskip(NEXT) | instid1(VALU_DEP_1)
	v_exp_f32_e32 v7, v7
	v_dual_fmac_f32 v23, 0x32a5705f, v2 :: v_dual_sub_f32 v16, v16, v17
	v_fmac_f32_e32 v19, 0x32a5705f, v6
	v_cvt_i32_f32_e32 v17, v17
	s_delay_alu instid0(VALU_DEP_3) | instskip(NEXT) | instid1(VALU_DEP_3)
	v_add_f32_e32 v16, v16, v23
	v_add_f32_e32 v9, v9, v19
	v_cvt_i32_f32_e32 v19, v20
	s_delay_alu instid0(TRANS32_DEP_1) | instskip(SKIP_3) | instid1(VALU_DEP_2)
	v_ldexp_f32 v7, v7, v18
	v_cvt_i32_f32_e32 v20, v22
	v_exp_f32_e32 v16, v16
	v_exp_f32_e32 v9, v9
	v_cndmask_b32_e64 v7, 0, v7, s3
	v_cmp_ngt_f32_e64 s3, 0xc2ce8ed0, v6
	v_ldexp_f32 v10, v10, v20
	s_waitcnt_depctr 0xfff
	v_ldexp_f32 v9, v9, v19
	s_delay_alu instid0(VALU_DEP_1) | instskip(SKIP_1) | instid1(VALU_DEP_1)
	v_cndmask_b32_e64 v9, 0, v9, s3
	v_cmp_ngt_f32_e64 s3, 0xc2ce8ed0, v8
	v_cndmask_b32_e64 v10, 0, v10, s3
	v_cmp_nlt_f32_e64 s3, 0x42b17218, v3
	s_delay_alu instid0(VALU_DEP_1) | instskip(SKIP_1) | instid1(VALU_DEP_1)
	v_cndmask_b32_e64 v7, 0x7f800000, v7, s3
	v_cmp_nlt_f32_e64 s3, 0x42b17218, v6
	v_cndmask_b32_e64 v6, 0x7f800000, v9, s3
	v_cmp_nlt_f32_e64 s3, 0x42b17218, v8
	v_ldexp_f32 v9, v16, v17
	s_delay_alu instid0(VALU_DEP_3) | instskip(NEXT) | instid1(VALU_DEP_3)
	v_add_f32_e32 v8, v7, v6
	v_cndmask_b32_e64 v3, 0x7f800000, v10, s3
	v_cmp_ngt_f32_e64 s3, 0xc2ce8ed0, v2
	s_delay_alu instid0(VALU_DEP_2) | instskip(NEXT) | instid1(VALU_DEP_2)
	v_add_f32_e32 v8, v8, v3
	v_cndmask_b32_e64 v9, 0, v9, s3
	v_cmp_nlt_f32_e64 s3, 0x42b17218, v2
	s_delay_alu instid0(VALU_DEP_1) | instskip(NEXT) | instid1(VALU_DEP_1)
	v_cndmask_b32_e64 v2, 0x7f800000, v9, s3
	v_add_f32_e32 v8, v8, v2
	ds_bpermute_b32 v4, v4, v8
	s_waitcnt lgkmcnt(0)
	v_add_f32_e32 v4, v8, v4
	ds_bpermute_b32 v8, v11, v4
	s_waitcnt lgkmcnt(0)
	;; [unrolled: 3-line block ×5, first 2 shown]
	v_add_f32_e32 v4, v4, v8
	ds_bpermute_b32 v8, v15, v4
	v_cmpx_lt_i32_e32 0, v5
	s_cbranch_execz .LBB448_14
; %bb.9:
	s_and_b32 exec_lo, exec_lo, vcc_lo
	s_cbranch_execz .LBB448_14
; %bb.10:
	s_waitcnt lgkmcnt(0)
	v_add_f32_e32 v4, v4, v8
	v_lshlrev_b64 v[0:1], 2, v[0:1]
	s_delay_alu instid0(VALU_DEP_2) | instskip(SKIP_2) | instid1(VALU_DEP_3)
	v_div_scale_f32 v5, null, v4, v4, v7
	v_div_scale_f32 v10, vcc_lo, v7, v4, v7
	v_cmp_eq_f32_e64 s3, 0, v4
	v_rcp_f32_e32 v8, v5
	s_waitcnt_depctr 0xfff
	v_fma_f32 v9, -v5, v8, 1.0
	s_delay_alu instid0(VALU_DEP_1) | instskip(NEXT) | instid1(VALU_DEP_1)
	v_fmac_f32_e32 v8, v9, v8
	v_mul_f32_e32 v9, v10, v8
	s_delay_alu instid0(VALU_DEP_1) | instskip(NEXT) | instid1(VALU_DEP_1)
	v_fma_f32 v11, -v5, v9, v10
	v_fmac_f32_e32 v9, v11, v8
	s_delay_alu instid0(VALU_DEP_1) | instskip(NEXT) | instid1(VALU_DEP_1)
	v_fma_f32 v5, -v5, v9, v10
	v_div_fmas_f32 v5, v5, v8, v9
	v_add_co_u32 v0, vcc_lo, s4, v0
	v_add_co_ci_u32_e32 v1, vcc_lo, s5, v1, vcc_lo
	s_delay_alu instid0(VALU_DEP_3) | instskip(NEXT) | instid1(VALU_DEP_1)
	v_div_fixup_f32 v5, v5, v4, v7
	v_cndmask_b32_e64 v5, v5, 0x7fc00000, s3
	global_store_b32 v[0:1], v5, off
	s_and_b32 exec_lo, exec_lo, s2
	s_cbranch_execz .LBB448_14
; %bb.11:
	v_div_scale_f32 v5, null, v4, v4, v6
	s_delay_alu instid0(VALU_DEP_1) | instskip(SKIP_2) | instid1(VALU_DEP_1)
	v_rcp_f32_e32 v7, v5
	s_waitcnt_depctr 0xfff
	v_fma_f32 v8, -v5, v7, 1.0
	v_fmac_f32_e32 v7, v8, v7
	v_div_scale_f32 v8, vcc_lo, v6, v4, v6
	s_delay_alu instid0(VALU_DEP_1) | instskip(NEXT) | instid1(VALU_DEP_1)
	v_mul_f32_e32 v9, v8, v7
	v_fma_f32 v10, -v5, v9, v8
	s_delay_alu instid0(VALU_DEP_1) | instskip(NEXT) | instid1(VALU_DEP_1)
	v_fmac_f32_e32 v9, v10, v7
	v_fma_f32 v5, -v5, v9, v8
	s_delay_alu instid0(VALU_DEP_1) | instskip(NEXT) | instid1(VALU_DEP_1)
	v_div_fmas_f32 v5, v5, v7, v9
	v_div_fixup_f32 v5, v5, v4, v6
	s_delay_alu instid0(VALU_DEP_1)
	v_cndmask_b32_e64 v5, v5, 0x7fc00000, s3
	global_store_b32 v[0:1], v5, off offset:256
	s_and_b32 exec_lo, exec_lo, s1
	s_cbranch_execz .LBB448_14
; %bb.12:
	v_div_scale_f32 v5, null, v4, v4, v3
	s_delay_alu instid0(VALU_DEP_1) | instskip(SKIP_2) | instid1(VALU_DEP_1)
	v_rcp_f32_e32 v6, v5
	s_waitcnt_depctr 0xfff
	v_fma_f32 v7, -v5, v6, 1.0
	v_fmac_f32_e32 v6, v7, v6
	v_div_scale_f32 v7, vcc_lo, v3, v4, v3
	s_delay_alu instid0(VALU_DEP_1) | instskip(NEXT) | instid1(VALU_DEP_1)
	v_mul_f32_e32 v8, v7, v6
	v_fma_f32 v9, -v5, v8, v7
	s_delay_alu instid0(VALU_DEP_1) | instskip(NEXT) | instid1(VALU_DEP_1)
	v_fmac_f32_e32 v8, v9, v6
	v_fma_f32 v5, -v5, v8, v7
	s_delay_alu instid0(VALU_DEP_1) | instskip(NEXT) | instid1(VALU_DEP_1)
	v_div_fmas_f32 v5, v5, v6, v8
	v_div_fixup_f32 v3, v5, v4, v3
	s_delay_alu instid0(VALU_DEP_1)
	v_cndmask_b32_e64 v3, v3, 0x7fc00000, s3
	global_store_b32 v[0:1], v3, off offset:512
	;; [unrolled: 22-line block ×3, first 2 shown]
.LBB448_14:
	s_nop 0
	s_sendmsg sendmsg(MSG_DEALLOC_VGPRS)
	s_endpgm
	.section	.rodata,"a",@progbits
	.p2align	6, 0x0
	.amdhsa_kernel _ZN12_GLOBAL__N_120softmax_warp_forwardIN3c104HalfEffLi8ELb0ELb0ELi64EEEvPT0_PKT_iiiPKbib
		.amdhsa_group_segment_fixed_size 0
		.amdhsa_private_segment_fixed_size 0
		.amdhsa_kernarg_size 304
		.amdhsa_user_sgpr_count 15
		.amdhsa_user_sgpr_dispatch_ptr 0
		.amdhsa_user_sgpr_queue_ptr 0
		.amdhsa_user_sgpr_kernarg_segment_ptr 1
		.amdhsa_user_sgpr_dispatch_id 0
		.amdhsa_user_sgpr_private_segment_size 0
		.amdhsa_wavefront_size32 1
		.amdhsa_uses_dynamic_stack 0
		.amdhsa_enable_private_segment 0
		.amdhsa_system_sgpr_workgroup_id_x 1
		.amdhsa_system_sgpr_workgroup_id_y 0
		.amdhsa_system_sgpr_workgroup_id_z 0
		.amdhsa_system_sgpr_workgroup_info 0
		.amdhsa_system_vgpr_workitem_id 1
		.amdhsa_next_free_vgpr 24
		.amdhsa_next_free_sgpr 16
		.amdhsa_reserve_vcc 1
		.amdhsa_float_round_mode_32 0
		.amdhsa_float_round_mode_16_64 0
		.amdhsa_float_denorm_mode_32 3
		.amdhsa_float_denorm_mode_16_64 3
		.amdhsa_dx10_clamp 1
		.amdhsa_ieee_mode 1
		.amdhsa_fp16_overflow 0
		.amdhsa_workgroup_processor_mode 1
		.amdhsa_memory_ordered 1
		.amdhsa_forward_progress 0
		.amdhsa_shared_vgpr_count 0
		.amdhsa_exception_fp_ieee_invalid_op 0
		.amdhsa_exception_fp_denorm_src 0
		.amdhsa_exception_fp_ieee_div_zero 0
		.amdhsa_exception_fp_ieee_overflow 0
		.amdhsa_exception_fp_ieee_underflow 0
		.amdhsa_exception_fp_ieee_inexact 0
		.amdhsa_exception_int_div_zero 0
	.end_amdhsa_kernel
	.section	.text._ZN12_GLOBAL__N_120softmax_warp_forwardIN3c104HalfEffLi8ELb0ELb0ELi64EEEvPT0_PKT_iiiPKbib,"axG",@progbits,_ZN12_GLOBAL__N_120softmax_warp_forwardIN3c104HalfEffLi8ELb0ELb0ELi64EEEvPT0_PKT_iiiPKbib,comdat
.Lfunc_end448:
	.size	_ZN12_GLOBAL__N_120softmax_warp_forwardIN3c104HalfEffLi8ELb0ELb0ELi64EEEvPT0_PKT_iiiPKbib, .Lfunc_end448-_ZN12_GLOBAL__N_120softmax_warp_forwardIN3c104HalfEffLi8ELb0ELb0ELi64EEEvPT0_PKT_iiiPKbib
                                        ; -- End function
	.section	.AMDGPU.csdata,"",@progbits
; Kernel info:
; codeLenInByte = 1892
; NumSgprs: 18
; NumVgprs: 24
; ScratchSize: 0
; MemoryBound: 0
; FloatMode: 240
; IeeeMode: 1
; LDSByteSize: 0 bytes/workgroup (compile time only)
; SGPRBlocks: 2
; VGPRBlocks: 2
; NumSGPRsForWavesPerEU: 18
; NumVGPRsForWavesPerEU: 24
; Occupancy: 16
; WaveLimiterHint : 0
; COMPUTE_PGM_RSRC2:SCRATCH_EN: 0
; COMPUTE_PGM_RSRC2:USER_SGPR: 15
; COMPUTE_PGM_RSRC2:TRAP_HANDLER: 0
; COMPUTE_PGM_RSRC2:TGID_X_EN: 1
; COMPUTE_PGM_RSRC2:TGID_Y_EN: 0
; COMPUTE_PGM_RSRC2:TGID_Z_EN: 0
; COMPUTE_PGM_RSRC2:TIDIG_COMP_CNT: 1
	.section	.text._ZN12_GLOBAL__N_120softmax_warp_forwardIN3c104HalfEffLi8ELb0ELb0ELi32EEEvPT0_PKT_iiiPKbib,"axG",@progbits,_ZN12_GLOBAL__N_120softmax_warp_forwardIN3c104HalfEffLi8ELb0ELb0ELi32EEEvPT0_PKT_iiiPKbib,comdat
	.globl	_ZN12_GLOBAL__N_120softmax_warp_forwardIN3c104HalfEffLi8ELb0ELb0ELi32EEEvPT0_PKT_iiiPKbib ; -- Begin function _ZN12_GLOBAL__N_120softmax_warp_forwardIN3c104HalfEffLi8ELb0ELb0ELi32EEEvPT0_PKT_iiiPKbib
	.p2align	8
	.type	_ZN12_GLOBAL__N_120softmax_warp_forwardIN3c104HalfEffLi8ELb0ELb0ELi32EEEvPT0_PKT_iiiPKbib,@function
_ZN12_GLOBAL__N_120softmax_warp_forwardIN3c104HalfEffLi8ELb0ELb0ELi32EEEvPT0_PKT_iiiPKbib: ; @_ZN12_GLOBAL__N_120softmax_warp_forwardIN3c104HalfEffLi8ELb0ELb0ELi32EEEvPT0_PKT_iiiPKbib
; %bb.0:
	s_clause 0x1
	s_load_b32 s2, s[0:1], 0x3c
	s_load_b256 s[16:23], s[0:1], 0x0
	v_bfe_u32 v1, v0, 10, 10
	v_mov_b32_e32 v6, 0xff800000
	v_mov_b32_e32 v10, 0xff800000
	s_waitcnt lgkmcnt(0)
	s_lshr_b32 s0, s2, 16
	s_delay_alu instid0(SALU_CYCLE_1) | instskip(SKIP_1) | instid1(VALU_DEP_1)
	v_mad_u64_u32 v[3:4], null, s15, s0, v[1:2]
	v_and_b32_e32 v2, 0x3ff, v0
	v_cmp_gt_i32_e32 vcc_lo, s22, v2
	s_delay_alu instid0(VALU_DEP_3) | instskip(SKIP_1) | instid1(VALU_DEP_1)
	v_mad_u64_u32 v[0:1], null, v3, s21, v[2:3]
	v_sub_nc_u32_e32 v5, s20, v3
	v_cmp_lt_i32_e64 s7, 0, v5
	s_delay_alu instid0(VALU_DEP_3) | instskip(NEXT) | instid1(VALU_DEP_2)
	v_ashrrev_i32_e32 v1, 31, v0
	s_and_b32 s1, s7, vcc_lo
	s_delay_alu instid0(VALU_DEP_1) | instskip(NEXT) | instid1(VALU_DEP_1)
	v_lshlrev_b64 v[3:4], 1, v[0:1]
	v_add_co_u32 v3, s0, s18, v3
	s_delay_alu instid0(VALU_DEP_1)
	v_add_co_ci_u32_e64 v4, s0, s19, v4, s0
	s_and_saveexec_b32 s0, s1
	s_cbranch_execz .LBB449_2
; %bb.1:
	global_load_u16 v7, v[3:4], off
	s_waitcnt vmcnt(0)
	v_cvt_f32_f16_e32 v10, v7
.LBB449_2:
	s_or_b32 exec_lo, exec_lo, s0
	v_add_nc_u32_e32 v7, 32, v2
	s_delay_alu instid0(VALU_DEP_1) | instskip(NEXT) | instid1(VALU_DEP_1)
	v_cmp_gt_i32_e64 s6, s22, v7
	s_and_b32 s1, s7, s6
	s_delay_alu instid0(SALU_CYCLE_1)
	s_and_saveexec_b32 s0, s1
	s_cbranch_execz .LBB449_4
; %bb.3:
	global_load_u16 v6, v[3:4], off offset:64
	s_waitcnt vmcnt(0)
	v_cvt_f32_f16_e32 v6, v6
.LBB449_4:
	s_or_b32 exec_lo, exec_lo, s0
	v_add_nc_u32_e32 v7, 64, v2
	v_mov_b32_e32 v11, 0xff800000
	s_delay_alu instid0(VALU_DEP_2) | instskip(SKIP_1) | instid1(VALU_DEP_2)
	v_cmp_gt_i32_e64 s5, s22, v7
	v_mov_b32_e32 v7, 0xff800000
	s_and_b32 s1, s7, s5
	s_delay_alu instid0(SALU_CYCLE_1)
	s_and_saveexec_b32 s0, s1
	s_cbranch_execz .LBB449_6
; %bb.5:
	global_load_u16 v8, v[3:4], off offset:128
	s_waitcnt vmcnt(0)
	v_cvt_f32_f16_e32 v11, v8
.LBB449_6:
	s_or_b32 exec_lo, exec_lo, s0
	v_add_nc_u32_e32 v8, 0x60, v2
	s_delay_alu instid0(VALU_DEP_1) | instskip(NEXT) | instid1(VALU_DEP_1)
	v_cmp_gt_i32_e64 s4, s22, v8
	s_and_b32 s1, s7, s4
	s_delay_alu instid0(SALU_CYCLE_1)
	s_and_saveexec_b32 s0, s1
	s_cbranch_execz .LBB449_8
; %bb.7:
	global_load_u16 v7, v[3:4], off offset:192
	s_waitcnt vmcnt(0)
	v_cvt_f32_f16_e32 v7, v7
.LBB449_8:
	s_or_b32 exec_lo, exec_lo, s0
	v_add_nc_u32_e32 v8, 0x80, v2
	v_mov_b32_e32 v12, 0xff800000
	s_delay_alu instid0(VALU_DEP_2) | instskip(SKIP_1) | instid1(VALU_DEP_2)
	v_cmp_gt_i32_e64 s3, s22, v8
	v_mov_b32_e32 v8, 0xff800000
	s_and_b32 s1, s7, s3
	s_delay_alu instid0(SALU_CYCLE_1)
	s_and_saveexec_b32 s0, s1
	s_cbranch_execz .LBB449_10
; %bb.9:
	global_load_u16 v9, v[3:4], off offset:256
	s_waitcnt vmcnt(0)
	v_cvt_f32_f16_e32 v12, v9
.LBB449_10:
	;; [unrolled: 28-line block ×3, first 2 shown]
	s_or_b32 exec_lo, exec_lo, s0
	v_add_nc_u32_e32 v2, 0xe0, v2
	s_delay_alu instid0(VALU_DEP_1) | instskip(NEXT) | instid1(VALU_DEP_1)
	v_cmp_gt_i32_e64 s0, s22, v2
	s_and_b32 s8, s7, s0
	s_delay_alu instid0(SALU_CYCLE_1)
	s_and_saveexec_b32 s7, s8
	s_cbranch_execz .LBB449_16
; %bb.15:
	global_load_u16 v2, v[3:4], off offset:448
	s_waitcnt vmcnt(0)
	v_cvt_f32_f16_e32 v9, v2
.LBB449_16:
	s_or_b32 exec_lo, exec_lo, s7
	v_cmp_gt_f32_e64 s7, v10, v6
	v_mbcnt_lo_u32_b32 v3, -1, 0
	s_mov_b32 s8, exec_lo
	s_delay_alu instid0(VALU_DEP_2) | instskip(NEXT) | instid1(VALU_DEP_2)
	v_cndmask_b32_e64 v2, v6, v10, s7
	v_xor_b32_e32 v4, 16, v3
	v_xor_b32_e32 v15, 8, v3
	;; [unrolled: 1-line block ×4, first 2 shown]
	v_cmp_gt_f32_e64 s7, v2, v11
	v_xor_b32_e32 v18, 1, v3
	s_delay_alu instid0(VALU_DEP_2) | instskip(NEXT) | instid1(VALU_DEP_1)
	v_cndmask_b32_e64 v2, v11, v2, s7
	v_cmp_gt_f32_e64 s7, v2, v7
	s_delay_alu instid0(VALU_DEP_1) | instskip(NEXT) | instid1(VALU_DEP_1)
	v_cndmask_b32_e64 v2, v7, v2, s7
	v_cmp_gt_f32_e64 s7, v2, v12
	s_delay_alu instid0(VALU_DEP_1) | instskip(NEXT) | instid1(VALU_DEP_1)
	v_cndmask_b32_e64 v2, v12, v2, s7
	v_cmp_gt_f32_e64 s7, v2, v8
	s_delay_alu instid0(VALU_DEP_1) | instskip(SKIP_1) | instid1(VALU_DEP_1)
	v_cndmask_b32_e64 v2, v8, v2, s7
	v_cmp_gt_i32_e64 s7, 32, v4
	v_cndmask_b32_e64 v4, v3, v4, s7
	s_delay_alu instid0(VALU_DEP_3) | instskip(NEXT) | instid1(VALU_DEP_2)
	v_cmp_gt_f32_e64 s7, v2, v13
	v_lshlrev_b32_e32 v4, 2, v4
	s_delay_alu instid0(VALU_DEP_2) | instskip(NEXT) | instid1(VALU_DEP_1)
	v_cndmask_b32_e64 v2, v13, v2, s7
	v_cmp_gt_f32_e64 s7, v2, v9
	s_delay_alu instid0(VALU_DEP_1) | instskip(SKIP_3) | instid1(VALU_DEP_1)
	v_cndmask_b32_e64 v2, v9, v2, s7
	v_cmp_gt_i32_e64 s7, 32, v15
	ds_bpermute_b32 v14, v4, v2
	v_cndmask_b32_e64 v15, v3, v15, s7
	v_lshlrev_b32_e32 v15, 2, v15
	s_waitcnt lgkmcnt(0)
	v_cmp_lt_f32_e64 s7, v2, v14
	s_delay_alu instid0(VALU_DEP_1) | instskip(SKIP_3) | instid1(VALU_DEP_1)
	v_cndmask_b32_e64 v2, v2, v14, s7
	v_cmp_gt_i32_e64 s7, 32, v16
	ds_bpermute_b32 v14, v15, v2
	v_cndmask_b32_e64 v16, v3, v16, s7
	v_lshlrev_b32_e32 v16, 2, v16
	s_waitcnt lgkmcnt(0)
	v_cmp_lt_f32_e64 s7, v2, v14
	;; [unrolled: 8-line block ×4, first 2 shown]
	s_delay_alu instid0(VALU_DEP_1) | instskip(SKIP_3) | instid1(VALU_DEP_1)
	v_cndmask_b32_e64 v2, v2, v14, s7
	ds_bpermute_b32 v3, v18, v2
	s_waitcnt lgkmcnt(0)
	v_cmp_lt_f32_e64 s7, v2, v3
	v_cndmask_b32_e64 v2, v2, v3, s7
	s_delay_alu instid0(VALU_DEP_1)
	v_sub_f32_e32 v19, v8, v2
	v_sub_f32_e32 v3, v10, v2
	;; [unrolled: 1-line block ×6, first 2 shown]
	v_dual_sub_f32 v13, v13, v2 :: v_dual_mul_f32 v8, 0x3fb8aa3b, v3
	v_dual_sub_f32 v2, v9, v2 :: v_dual_mul_f32 v21, 0x3fb8aa3b, v19
	v_mul_f32_e32 v11, 0x3fb8aa3b, v7
	s_delay_alu instid0(VALU_DEP_4) | instskip(NEXT) | instid1(VALU_DEP_4)
	v_dual_mul_f32 v9, 0x3fb8aa3b, v6 :: v_dual_mul_f32 v20, 0x3fb8aa3b, v12
	v_fma_f32 v24, 0x3fb8aa3b, v3, -v8
	v_rndne_f32_e32 v25, v8
	v_rndne_f32_e32 v35, v21
	s_delay_alu instid0(VALU_DEP_4)
	v_fma_f32 v26, 0x3fb8aa3b, v6, -v9
	v_rndne_f32_e32 v27, v9
	v_mul_f32_e32 v10, 0x3fb8aa3b, v14
	v_rndne_f32_e32 v31, v11
	v_fma_f32 v34, 0x3fb8aa3b, v19, -v21
	v_sub_f32_e32 v8, v8, v25
	v_dual_fmac_f32 v26, 0x32a5705f, v6 :: v_dual_sub_f32 v21, v21, v35
	v_sub_f32_e32 v9, v9, v27
	v_fmac_f32_e32 v24, 0x32a5705f, v3
	v_dual_mul_f32 v22, 0x3fb8aa3b, v13 :: v_dual_mul_f32 v23, 0x3fb8aa3b, v2
	v_fma_f32 v28, 0x3fb8aa3b, v14, -v10
	v_rndne_f32_e32 v29, v10
	v_fma_f32 v30, 0x3fb8aa3b, v7, -v11
	v_sub_f32_e32 v11, v11, v31
	v_dual_fmac_f32 v34, 0x32a5705f, v19 :: v_dual_add_f32 v9, v9, v26
	v_add_f32_e32 v8, v8, v24
	v_fma_f32 v36, 0x3fb8aa3b, v13, -v22
	v_rndne_f32_e32 v37, v22
	v_rndne_f32_e32 v39, v23
	v_fmac_f32_e32 v28, 0x32a5705f, v14
	v_dual_fmac_f32 v30, 0x32a5705f, v7 :: v_dual_add_f32 v21, v21, v34
	v_sub_f32_e32 v10, v10, v29
	v_exp_f32_e32 v8, v8
	v_fma_f32 v38, 0x3fb8aa3b, v2, -v23
	s_delay_alu instid0(VALU_DEP_3)
	v_add_f32_e32 v11, v11, v30
	v_cvt_i32_f32_e32 v25, v25
	v_fmac_f32_e32 v36, 0x32a5705f, v13
	v_dual_sub_f32 v22, v22, v37 :: v_dual_sub_f32 v23, v23, v39
	v_add_f32_e32 v10, v10, v28
	v_exp_f32_e32 v9, v9
	v_cvt_i32_f32_e32 v27, v27
	s_delay_alu instid0(VALU_DEP_3)
	v_add_f32_e32 v22, v22, v36
	v_ldexp_f32 v8, v8, v25
	v_exp_f32_e32 v10, v10
	v_cmp_ngt_f32_e64 s7, 0xc2ce8ed0, v3
	v_cvt_i32_f32_e32 v29, v29
	v_exp_f32_e32 v22, v22
	v_fma_f32 v32, 0x3fb8aa3b, v12, -v20
	v_rndne_f32_e32 v33, v20
	v_ldexp_f32 v9, v9, v27
	v_cndmask_b32_e64 v8, 0, v8, s7
	v_cmp_ngt_f32_e64 s7, 0xc2ce8ed0, v6
	v_exp_f32_e32 v11, v11
	v_cvt_i32_f32_e32 v24, v37
	v_ldexp_f32 v10, v10, v29
	v_cvt_i32_f32_e32 v31, v31
	v_cndmask_b32_e64 v9, 0, v9, s7
	v_cmp_ngt_f32_e64 s7, 0xc2ce8ed0, v14
	v_sub_f32_e32 v20, v20, v33
	v_fmac_f32_e32 v38, 0x32a5705f, v2
	v_fmac_f32_e32 v32, 0x32a5705f, v12
	v_ldexp_f32 v22, v22, v24
	v_cndmask_b32_e64 v24, 0, v10, s7
	v_cmp_nlt_f32_e64 s7, 0x42b17218, v3
	s_delay_alu instid0(VALU_DEP_4) | instskip(SKIP_2) | instid1(VALU_DEP_4)
	v_dual_add_f32 v23, v23, v38 :: v_dual_add_f32 v20, v20, v32
	v_ldexp_f32 v25, v11, v31
	v_cvt_i32_f32_e32 v33, v33
	v_cndmask_b32_e64 v11, 0x7f800000, v8, s7
	v_cmp_nlt_f32_e64 s7, 0x42b17218, v6
	v_exp_f32_e32 v20, v20
	v_exp_f32_e32 v21, v21
	v_cvt_i32_f32_e32 v35, v35
	v_exp_f32_e32 v23, v23
	v_cndmask_b32_e64 v10, 0x7f800000, v9, s7
	v_cmp_ngt_f32_e64 s7, 0xc2ce8ed0, v7
	v_cvt_i32_f32_e32 v26, v39
	s_delay_alu instid0(VALU_DEP_3) | instskip(NEXT) | instid1(VALU_DEP_3)
	v_add_f32_e32 v6, v11, v10
	v_cndmask_b32_e64 v3, 0, v25, s7
	v_cmp_nlt_f32_e64 s7, 0x42b17218, v14
	v_ldexp_f32 v20, v20, v33
	v_ldexp_f32 v21, v21, v35
	s_delay_alu instid0(VALU_DEP_3) | instskip(SKIP_1) | instid1(VALU_DEP_1)
	v_cndmask_b32_e64 v9, 0x7f800000, v24, s7
	v_cmp_ngt_f32_e64 s7, 0xc2ce8ed0, v12
	v_cndmask_b32_e64 v14, 0, v20, s7
	v_cmp_nlt_f32_e64 s7, 0x42b17218, v7
	s_delay_alu instid0(VALU_DEP_1) | instskip(SKIP_2) | instid1(VALU_DEP_2)
	v_cndmask_b32_e64 v8, 0x7f800000, v3, s7
	v_cmp_ngt_f32_e64 s7, 0xc2ce8ed0, v19
	v_add_f32_e32 v3, v6, v9
	v_cndmask_b32_e64 v6, 0, v21, s7
	v_cmp_nlt_f32_e64 s7, 0x42b17218, v12
	s_delay_alu instid0(VALU_DEP_3) | instskip(NEXT) | instid1(VALU_DEP_2)
	v_add_f32_e32 v3, v3, v8
	v_cndmask_b32_e64 v7, 0x7f800000, v14, s7
	v_cmp_ngt_f32_e64 s7, 0xc2ce8ed0, v13
	s_delay_alu instid0(VALU_DEP_2) | instskip(NEXT) | instid1(VALU_DEP_2)
	v_add_f32_e32 v14, v3, v7
	v_cndmask_b32_e64 v12, 0, v22, s7
	v_cmp_nlt_f32_e64 s7, 0x42b17218, v19
	v_ldexp_f32 v19, v23, v26
	s_delay_alu instid0(VALU_DEP_2) | instskip(SKIP_1) | instid1(VALU_DEP_1)
	v_cndmask_b32_e64 v6, 0x7f800000, v6, s7
	v_cmp_nlt_f32_e64 s7, 0x42b17218, v13
	v_cndmask_b32_e64 v3, 0x7f800000, v12, s7
	v_cmp_ngt_f32_e64 s7, 0xc2ce8ed0, v2
	s_delay_alu instid0(VALU_DEP_4) | instskip(NEXT) | instid1(VALU_DEP_2)
	v_add_f32_e32 v12, v14, v6
	v_cndmask_b32_e64 v13, 0, v19, s7
	v_cmp_nlt_f32_e64 s7, 0x42b17218, v2
	s_delay_alu instid0(VALU_DEP_3) | instskip(NEXT) | instid1(VALU_DEP_2)
	v_add_f32_e32 v12, v12, v3
	v_cndmask_b32_e64 v2, 0x7f800000, v13, s7
	s_delay_alu instid0(VALU_DEP_1)
	v_add_f32_e32 v12, v12, v2
	ds_bpermute_b32 v4, v4, v12
	s_waitcnt lgkmcnt(0)
	v_add_f32_e32 v4, v12, v4
	ds_bpermute_b32 v12, v15, v4
	s_waitcnt lgkmcnt(0)
	;; [unrolled: 3-line block ×4, first 2 shown]
	v_add_f32_e32 v4, v4, v12
	ds_bpermute_b32 v12, v18, v4
	v_cmpx_lt_i32_e32 0, v5
	s_cbranch_execz .LBB449_26
; %bb.17:
	s_and_b32 exec_lo, exec_lo, vcc_lo
	s_cbranch_execz .LBB449_26
; %bb.18:
	s_waitcnt lgkmcnt(0)
	v_add_f32_e32 v4, v4, v12
	v_lshlrev_b64 v[0:1], 2, v[0:1]
	s_delay_alu instid0(VALU_DEP_2) | instskip(SKIP_2) | instid1(VALU_DEP_3)
	v_div_scale_f32 v5, null, v4, v4, v11
	v_div_scale_f32 v14, vcc_lo, v11, v4, v11
	v_cmp_eq_f32_e64 s7, 0, v4
	v_rcp_f32_e32 v12, v5
	s_waitcnt_depctr 0xfff
	v_fma_f32 v13, -v5, v12, 1.0
	s_delay_alu instid0(VALU_DEP_1) | instskip(NEXT) | instid1(VALU_DEP_1)
	v_fmac_f32_e32 v12, v13, v12
	v_mul_f32_e32 v13, v14, v12
	s_delay_alu instid0(VALU_DEP_1) | instskip(NEXT) | instid1(VALU_DEP_1)
	v_fma_f32 v15, -v5, v13, v14
	v_fmac_f32_e32 v13, v15, v12
	s_delay_alu instid0(VALU_DEP_1) | instskip(NEXT) | instid1(VALU_DEP_1)
	v_fma_f32 v5, -v5, v13, v14
	v_div_fmas_f32 v5, v5, v12, v13
	v_add_co_u32 v0, vcc_lo, s16, v0
	v_add_co_ci_u32_e32 v1, vcc_lo, s17, v1, vcc_lo
	s_delay_alu instid0(VALU_DEP_3) | instskip(NEXT) | instid1(VALU_DEP_1)
	v_div_fixup_f32 v5, v5, v4, v11
	v_cndmask_b32_e64 v5, v5, 0x7fc00000, s7
	global_store_b32 v[0:1], v5, off
	s_and_b32 exec_lo, exec_lo, s6
	s_cbranch_execz .LBB449_26
; %bb.19:
	v_div_scale_f32 v5, null, v4, v4, v10
	s_delay_alu instid0(VALU_DEP_1) | instskip(SKIP_2) | instid1(VALU_DEP_1)
	v_rcp_f32_e32 v11, v5
	s_waitcnt_depctr 0xfff
	v_fma_f32 v12, -v5, v11, 1.0
	v_fmac_f32_e32 v11, v12, v11
	v_div_scale_f32 v12, vcc_lo, v10, v4, v10
	s_delay_alu instid0(VALU_DEP_1) | instskip(NEXT) | instid1(VALU_DEP_1)
	v_mul_f32_e32 v13, v12, v11
	v_fma_f32 v14, -v5, v13, v12
	s_delay_alu instid0(VALU_DEP_1) | instskip(NEXT) | instid1(VALU_DEP_1)
	v_fmac_f32_e32 v13, v14, v11
	v_fma_f32 v5, -v5, v13, v12
	s_delay_alu instid0(VALU_DEP_1) | instskip(NEXT) | instid1(VALU_DEP_1)
	v_div_fmas_f32 v5, v5, v11, v13
	v_div_fixup_f32 v5, v5, v4, v10
	s_delay_alu instid0(VALU_DEP_1)
	v_cndmask_b32_e64 v5, v5, 0x7fc00000, s7
	global_store_b32 v[0:1], v5, off offset:128
	s_and_b32 exec_lo, exec_lo, s5
	s_cbranch_execz .LBB449_26
; %bb.20:
	v_div_scale_f32 v5, null, v4, v4, v9
	s_delay_alu instid0(VALU_DEP_1) | instskip(SKIP_2) | instid1(VALU_DEP_1)
	v_rcp_f32_e32 v10, v5
	s_waitcnt_depctr 0xfff
	v_fma_f32 v11, -v5, v10, 1.0
	v_fmac_f32_e32 v10, v11, v10
	v_div_scale_f32 v11, vcc_lo, v9, v4, v9
	s_delay_alu instid0(VALU_DEP_1) | instskip(NEXT) | instid1(VALU_DEP_1)
	v_mul_f32_e32 v12, v11, v10
	v_fma_f32 v13, -v5, v12, v11
	s_delay_alu instid0(VALU_DEP_1) | instskip(NEXT) | instid1(VALU_DEP_1)
	v_fmac_f32_e32 v12, v13, v10
	v_fma_f32 v5, -v5, v12, v11
	s_delay_alu instid0(VALU_DEP_1) | instskip(NEXT) | instid1(VALU_DEP_1)
	v_div_fmas_f32 v5, v5, v10, v12
	v_div_fixup_f32 v5, v5, v4, v9
	s_delay_alu instid0(VALU_DEP_1)
	v_cndmask_b32_e64 v5, v5, 0x7fc00000, s7
	global_store_b32 v[0:1], v5, off offset:256
	s_and_b32 exec_lo, exec_lo, s4
	s_cbranch_execz .LBB449_26
; %bb.21:
	v_div_scale_f32 v5, null, v4, v4, v8
	s_delay_alu instid0(VALU_DEP_1) | instskip(SKIP_2) | instid1(VALU_DEP_1)
	v_rcp_f32_e32 v9, v5
	s_waitcnt_depctr 0xfff
	v_fma_f32 v10, -v5, v9, 1.0
	v_fmac_f32_e32 v9, v10, v9
	v_div_scale_f32 v10, vcc_lo, v8, v4, v8
	s_delay_alu instid0(VALU_DEP_1) | instskip(NEXT) | instid1(VALU_DEP_1)
	v_mul_f32_e32 v11, v10, v9
	v_fma_f32 v12, -v5, v11, v10
	s_delay_alu instid0(VALU_DEP_1) | instskip(NEXT) | instid1(VALU_DEP_1)
	v_fmac_f32_e32 v11, v12, v9
	v_fma_f32 v5, -v5, v11, v10
	s_delay_alu instid0(VALU_DEP_1) | instskip(NEXT) | instid1(VALU_DEP_1)
	v_div_fmas_f32 v5, v5, v9, v11
	v_div_fixup_f32 v5, v5, v4, v8
	s_delay_alu instid0(VALU_DEP_1)
	v_cndmask_b32_e64 v5, v5, 0x7fc00000, s7
	global_store_b32 v[0:1], v5, off offset:384
	s_and_b32 exec_lo, exec_lo, s3
	s_cbranch_execz .LBB449_26
; %bb.22:
	v_div_scale_f32 v5, null, v4, v4, v7
	s_delay_alu instid0(VALU_DEP_1) | instskip(SKIP_2) | instid1(VALU_DEP_1)
	v_rcp_f32_e32 v8, v5
	s_waitcnt_depctr 0xfff
	v_fma_f32 v9, -v5, v8, 1.0
	v_fmac_f32_e32 v8, v9, v8
	v_div_scale_f32 v9, vcc_lo, v7, v4, v7
	s_delay_alu instid0(VALU_DEP_1) | instskip(NEXT) | instid1(VALU_DEP_1)
	v_mul_f32_e32 v10, v9, v8
	v_fma_f32 v11, -v5, v10, v9
	s_delay_alu instid0(VALU_DEP_1) | instskip(NEXT) | instid1(VALU_DEP_1)
	v_fmac_f32_e32 v10, v11, v8
	v_fma_f32 v5, -v5, v10, v9
	s_delay_alu instid0(VALU_DEP_1) | instskip(NEXT) | instid1(VALU_DEP_1)
	v_div_fmas_f32 v5, v5, v8, v10
	v_div_fixup_f32 v5, v5, v4, v7
	s_delay_alu instid0(VALU_DEP_1)
	v_cndmask_b32_e64 v5, v5, 0x7fc00000, s7
	global_store_b32 v[0:1], v5, off offset:512
	s_and_b32 exec_lo, exec_lo, s2
	s_cbranch_execz .LBB449_26
; %bb.23:
	v_div_scale_f32 v5, null, v4, v4, v6
	s_delay_alu instid0(VALU_DEP_1) | instskip(SKIP_2) | instid1(VALU_DEP_1)
	v_rcp_f32_e32 v7, v5
	s_waitcnt_depctr 0xfff
	v_fma_f32 v8, -v5, v7, 1.0
	v_fmac_f32_e32 v7, v8, v7
	v_div_scale_f32 v8, vcc_lo, v6, v4, v6
	s_delay_alu instid0(VALU_DEP_1) | instskip(NEXT) | instid1(VALU_DEP_1)
	v_mul_f32_e32 v9, v8, v7
	v_fma_f32 v10, -v5, v9, v8
	s_delay_alu instid0(VALU_DEP_1) | instskip(NEXT) | instid1(VALU_DEP_1)
	v_fmac_f32_e32 v9, v10, v7
	v_fma_f32 v5, -v5, v9, v8
	s_delay_alu instid0(VALU_DEP_1) | instskip(NEXT) | instid1(VALU_DEP_1)
	v_div_fmas_f32 v5, v5, v7, v9
	v_div_fixup_f32 v5, v5, v4, v6
	s_delay_alu instid0(VALU_DEP_1)
	v_cndmask_b32_e64 v5, v5, 0x7fc00000, s7
	global_store_b32 v[0:1], v5, off offset:640
	s_and_b32 exec_lo, exec_lo, s1
	s_cbranch_execz .LBB449_26
; %bb.24:
	v_div_scale_f32 v5, null, v4, v4, v3
	s_delay_alu instid0(VALU_DEP_1) | instskip(SKIP_2) | instid1(VALU_DEP_1)
	v_rcp_f32_e32 v6, v5
	s_waitcnt_depctr 0xfff
	v_fma_f32 v7, -v5, v6, 1.0
	v_fmac_f32_e32 v6, v7, v6
	v_div_scale_f32 v7, vcc_lo, v3, v4, v3
	s_delay_alu instid0(VALU_DEP_1) | instskip(NEXT) | instid1(VALU_DEP_1)
	v_mul_f32_e32 v8, v7, v6
	v_fma_f32 v9, -v5, v8, v7
	s_delay_alu instid0(VALU_DEP_1) | instskip(NEXT) | instid1(VALU_DEP_1)
	v_fmac_f32_e32 v8, v9, v6
	v_fma_f32 v5, -v5, v8, v7
	s_delay_alu instid0(VALU_DEP_1) | instskip(NEXT) | instid1(VALU_DEP_1)
	v_div_fmas_f32 v5, v5, v6, v8
	v_div_fixup_f32 v3, v5, v4, v3
	s_delay_alu instid0(VALU_DEP_1)
	v_cndmask_b32_e64 v3, v3, 0x7fc00000, s7
	global_store_b32 v[0:1], v3, off offset:768
	s_and_b32 exec_lo, exec_lo, s0
	s_cbranch_execz .LBB449_26
; %bb.25:
	v_div_scale_f32 v3, null, v4, v4, v2
	s_delay_alu instid0(VALU_DEP_1) | instskip(SKIP_2) | instid1(VALU_DEP_1)
	v_rcp_f32_e32 v5, v3
	s_waitcnt_depctr 0xfff
	v_fma_f32 v6, -v3, v5, 1.0
	v_fmac_f32_e32 v5, v6, v5
	v_div_scale_f32 v6, vcc_lo, v2, v4, v2
	s_delay_alu instid0(VALU_DEP_1) | instskip(NEXT) | instid1(VALU_DEP_1)
	v_mul_f32_e32 v7, v6, v5
	v_fma_f32 v8, -v3, v7, v6
	s_delay_alu instid0(VALU_DEP_1) | instskip(NEXT) | instid1(VALU_DEP_1)
	v_fmac_f32_e32 v7, v8, v5
	v_fma_f32 v3, -v3, v7, v6
	s_delay_alu instid0(VALU_DEP_1) | instskip(NEXT) | instid1(VALU_DEP_1)
	v_div_fmas_f32 v3, v3, v5, v7
	v_div_fixup_f32 v2, v3, v4, v2
	s_delay_alu instid0(VALU_DEP_1)
	v_cndmask_b32_e64 v2, v2, 0x7fc00000, s7
	global_store_b32 v[0:1], v2, off offset:896
.LBB449_26:
	s_nop 0
	s_sendmsg sendmsg(MSG_DEALLOC_VGPRS)
	s_endpgm
	.section	.rodata,"a",@progbits
	.p2align	6, 0x0
	.amdhsa_kernel _ZN12_GLOBAL__N_120softmax_warp_forwardIN3c104HalfEffLi8ELb0ELb0ELi32EEEvPT0_PKT_iiiPKbib
		.amdhsa_group_segment_fixed_size 0
		.amdhsa_private_segment_fixed_size 0
		.amdhsa_kernarg_size 304
		.amdhsa_user_sgpr_count 15
		.amdhsa_user_sgpr_dispatch_ptr 0
		.amdhsa_user_sgpr_queue_ptr 0
		.amdhsa_user_sgpr_kernarg_segment_ptr 1
		.amdhsa_user_sgpr_dispatch_id 0
		.amdhsa_user_sgpr_private_segment_size 0
		.amdhsa_wavefront_size32 1
		.amdhsa_uses_dynamic_stack 0
		.amdhsa_enable_private_segment 0
		.amdhsa_system_sgpr_workgroup_id_x 1
		.amdhsa_system_sgpr_workgroup_id_y 0
		.amdhsa_system_sgpr_workgroup_id_z 0
		.amdhsa_system_sgpr_workgroup_info 0
		.amdhsa_system_vgpr_workitem_id 1
		.amdhsa_next_free_vgpr 40
		.amdhsa_next_free_sgpr 24
		.amdhsa_reserve_vcc 1
		.amdhsa_float_round_mode_32 0
		.amdhsa_float_round_mode_16_64 0
		.amdhsa_float_denorm_mode_32 3
		.amdhsa_float_denorm_mode_16_64 3
		.amdhsa_dx10_clamp 1
		.amdhsa_ieee_mode 1
		.amdhsa_fp16_overflow 0
		.amdhsa_workgroup_processor_mode 1
		.amdhsa_memory_ordered 1
		.amdhsa_forward_progress 0
		.amdhsa_shared_vgpr_count 0
		.amdhsa_exception_fp_ieee_invalid_op 0
		.amdhsa_exception_fp_denorm_src 0
		.amdhsa_exception_fp_ieee_div_zero 0
		.amdhsa_exception_fp_ieee_overflow 0
		.amdhsa_exception_fp_ieee_underflow 0
		.amdhsa_exception_fp_ieee_inexact 0
		.amdhsa_exception_int_div_zero 0
	.end_amdhsa_kernel
	.section	.text._ZN12_GLOBAL__N_120softmax_warp_forwardIN3c104HalfEffLi8ELb0ELb0ELi32EEEvPT0_PKT_iiiPKbib,"axG",@progbits,_ZN12_GLOBAL__N_120softmax_warp_forwardIN3c104HalfEffLi8ELb0ELb0ELi32EEEvPT0_PKT_iiiPKbib,comdat
.Lfunc_end449:
	.size	_ZN12_GLOBAL__N_120softmax_warp_forwardIN3c104HalfEffLi8ELb0ELb0ELi32EEEvPT0_PKT_iiiPKbib, .Lfunc_end449-_ZN12_GLOBAL__N_120softmax_warp_forwardIN3c104HalfEffLi8ELb0ELb0ELi32EEEvPT0_PKT_iiiPKbib
                                        ; -- End function
	.section	.AMDGPU.csdata,"",@progbits
; Kernel info:
; codeLenInByte = 3068
; NumSgprs: 26
; NumVgprs: 40
; ScratchSize: 0
; MemoryBound: 0
; FloatMode: 240
; IeeeMode: 1
; LDSByteSize: 0 bytes/workgroup (compile time only)
; SGPRBlocks: 3
; VGPRBlocks: 4
; NumSGPRsForWavesPerEU: 26
; NumVGPRsForWavesPerEU: 40
; Occupancy: 16
; WaveLimiterHint : 0
; COMPUTE_PGM_RSRC2:SCRATCH_EN: 0
; COMPUTE_PGM_RSRC2:USER_SGPR: 15
; COMPUTE_PGM_RSRC2:TRAP_HANDLER: 0
; COMPUTE_PGM_RSRC2:TGID_X_EN: 1
; COMPUTE_PGM_RSRC2:TGID_Y_EN: 0
; COMPUTE_PGM_RSRC2:TGID_Z_EN: 0
; COMPUTE_PGM_RSRC2:TIDIG_COMP_CNT: 1
	.section	.text._ZN12_GLOBAL__N_120softmax_warp_forwardIN3c104HalfEffLi9ELb0ELb0ELi64EEEvPT0_PKT_iiiPKbib,"axG",@progbits,_ZN12_GLOBAL__N_120softmax_warp_forwardIN3c104HalfEffLi9ELb0ELb0ELi64EEEvPT0_PKT_iiiPKbib,comdat
	.globl	_ZN12_GLOBAL__N_120softmax_warp_forwardIN3c104HalfEffLi9ELb0ELb0ELi64EEEvPT0_PKT_iiiPKbib ; -- Begin function _ZN12_GLOBAL__N_120softmax_warp_forwardIN3c104HalfEffLi9ELb0ELb0ELi64EEEvPT0_PKT_iiiPKbib
	.p2align	8
	.type	_ZN12_GLOBAL__N_120softmax_warp_forwardIN3c104HalfEffLi9ELb0ELb0ELi64EEEvPT0_PKT_iiiPKbib,@function
_ZN12_GLOBAL__N_120softmax_warp_forwardIN3c104HalfEffLi9ELb0ELb0ELi64EEEvPT0_PKT_iiiPKbib: ; @_ZN12_GLOBAL__N_120softmax_warp_forwardIN3c104HalfEffLi9ELb0ELb0ELi64EEEvPT0_PKT_iiiPKbib
; %bb.0:
	s_clause 0x1
	s_load_b32 s2, s[0:1], 0x3c
	s_load_b256 s[16:23], s[0:1], 0x0
	v_bfe_u32 v1, v0, 10, 10
	v_mov_b32_e32 v6, 0xff800000
	v_mov_b32_e32 v10, 0xff800000
	s_waitcnt lgkmcnt(0)
	s_lshr_b32 s0, s2, 16
	s_delay_alu instid0(SALU_CYCLE_1) | instskip(SKIP_1) | instid1(VALU_DEP_1)
	v_mad_u64_u32 v[3:4], null, s15, s0, v[1:2]
	v_and_b32_e32 v2, 0x3ff, v0
	v_cmp_gt_i32_e32 vcc_lo, s22, v2
	s_delay_alu instid0(VALU_DEP_3) | instskip(SKIP_1) | instid1(VALU_DEP_1)
	v_mad_u64_u32 v[0:1], null, v3, s21, v[2:3]
	v_sub_nc_u32_e32 v5, s20, v3
	v_cmp_lt_i32_e64 s7, 0, v5
	s_delay_alu instid0(VALU_DEP_3) | instskip(NEXT) | instid1(VALU_DEP_2)
	v_ashrrev_i32_e32 v1, 31, v0
	s_and_b32 s1, s7, vcc_lo
	s_delay_alu instid0(VALU_DEP_1) | instskip(NEXT) | instid1(VALU_DEP_1)
	v_lshlrev_b64 v[3:4], 1, v[0:1]
	v_add_co_u32 v3, s0, s18, v3
	s_delay_alu instid0(VALU_DEP_1)
	v_add_co_ci_u32_e64 v4, s0, s19, v4, s0
	s_and_saveexec_b32 s0, s1
	s_cbranch_execz .LBB450_2
; %bb.1:
	global_load_u16 v7, v[3:4], off
	s_waitcnt vmcnt(0)
	v_cvt_f32_f16_e32 v10, v7
.LBB450_2:
	s_or_b32 exec_lo, exec_lo, s0
	v_add_nc_u32_e32 v7, 64, v2
	s_delay_alu instid0(VALU_DEP_1) | instskip(NEXT) | instid1(VALU_DEP_1)
	v_cmp_gt_i32_e64 s6, s22, v7
	s_and_b32 s1, s7, s6
	s_delay_alu instid0(SALU_CYCLE_1)
	s_and_saveexec_b32 s0, s1
	s_cbranch_execz .LBB450_4
; %bb.3:
	global_load_u16 v6, v[3:4], off offset:128
	s_waitcnt vmcnt(0)
	v_cvt_f32_f16_e32 v6, v6
.LBB450_4:
	s_or_b32 exec_lo, exec_lo, s0
	v_add_nc_u32_e32 v7, 0x80, v2
	v_mov_b32_e32 v11, 0xff800000
	s_delay_alu instid0(VALU_DEP_2) | instskip(SKIP_1) | instid1(VALU_DEP_2)
	v_cmp_gt_i32_e64 s5, s22, v7
	v_mov_b32_e32 v7, 0xff800000
	s_and_b32 s1, s7, s5
	s_delay_alu instid0(SALU_CYCLE_1)
	s_and_saveexec_b32 s0, s1
	s_cbranch_execz .LBB450_6
; %bb.5:
	global_load_u16 v8, v[3:4], off offset:256
	s_waitcnt vmcnt(0)
	v_cvt_f32_f16_e32 v11, v8
.LBB450_6:
	s_or_b32 exec_lo, exec_lo, s0
	v_add_nc_u32_e32 v8, 0xc0, v2
	s_delay_alu instid0(VALU_DEP_1) | instskip(NEXT) | instid1(VALU_DEP_1)
	v_cmp_gt_i32_e64 s4, s22, v8
	s_and_b32 s1, s7, s4
	s_delay_alu instid0(SALU_CYCLE_1)
	s_and_saveexec_b32 s0, s1
	s_cbranch_execz .LBB450_8
; %bb.7:
	global_load_u16 v7, v[3:4], off offset:384
	s_waitcnt vmcnt(0)
	v_cvt_f32_f16_e32 v7, v7
.LBB450_8:
	s_or_b32 exec_lo, exec_lo, s0
	v_add_nc_u32_e32 v8, 0x100, v2
	v_mov_b32_e32 v12, 0xff800000
	s_delay_alu instid0(VALU_DEP_2) | instskip(SKIP_1) | instid1(VALU_DEP_2)
	v_cmp_gt_i32_e64 s3, s22, v8
	v_mov_b32_e32 v8, 0xff800000
	s_and_b32 s1, s7, s3
	s_delay_alu instid0(SALU_CYCLE_1)
	s_and_saveexec_b32 s0, s1
	s_cbranch_execz .LBB450_10
; %bb.9:
	global_load_u16 v9, v[3:4], off offset:512
	s_waitcnt vmcnt(0)
	v_cvt_f32_f16_e32 v12, v9
.LBB450_10:
	;; [unrolled: 28-line block ×3, first 2 shown]
	s_or_b32 exec_lo, exec_lo, s0
	v_add_nc_u32_e32 v2, 0x1c0, v2
	s_delay_alu instid0(VALU_DEP_1) | instskip(NEXT) | instid1(VALU_DEP_1)
	v_cmp_gt_i32_e64 s0, s22, v2
	s_and_b32 s8, s7, s0
	s_delay_alu instid0(SALU_CYCLE_1)
	s_and_saveexec_b32 s7, s8
	s_cbranch_execz .LBB450_16
; %bb.15:
	global_load_u16 v2, v[3:4], off offset:896
	s_waitcnt vmcnt(0)
	v_cvt_f32_f16_e32 v9, v2
.LBB450_16:
	s_or_b32 exec_lo, exec_lo, s7
	v_cmp_gt_f32_e64 s7, v10, v6
	v_mbcnt_lo_u32_b32 v3, -1, 0
	s_mov_b32 s8, exec_lo
	s_delay_alu instid0(VALU_DEP_2) | instskip(NEXT) | instid1(VALU_DEP_2)
	v_cndmask_b32_e64 v2, v6, v10, s7
	v_or_b32_e32 v4, 32, v3
	v_xor_b32_e32 v15, 16, v3
	v_xor_b32_e32 v16, 8, v3
	;; [unrolled: 1-line block ×3, first 2 shown]
	v_cmp_gt_f32_e64 s7, v2, v11
	v_xor_b32_e32 v18, 2, v3
	v_xor_b32_e32 v19, 1, v3
	s_delay_alu instid0(VALU_DEP_3) | instskip(NEXT) | instid1(VALU_DEP_1)
	v_cndmask_b32_e64 v2, v11, v2, s7
	v_cmp_gt_f32_e64 s7, v2, v7
	s_delay_alu instid0(VALU_DEP_1) | instskip(NEXT) | instid1(VALU_DEP_1)
	v_cndmask_b32_e64 v2, v7, v2, s7
	v_cmp_gt_f32_e64 s7, v2, v12
	s_delay_alu instid0(VALU_DEP_1) | instskip(NEXT) | instid1(VALU_DEP_1)
	v_cndmask_b32_e64 v2, v12, v2, s7
	v_cmp_gt_f32_e64 s7, v2, v8
	s_delay_alu instid0(VALU_DEP_1) | instskip(SKIP_1) | instid1(VALU_DEP_1)
	v_cndmask_b32_e64 v2, v8, v2, s7
	v_cmp_gt_i32_e64 s7, 64, v4
	v_cndmask_b32_e64 v4, v3, v4, s7
	s_delay_alu instid0(VALU_DEP_3) | instskip(NEXT) | instid1(VALU_DEP_2)
	v_cmp_gt_f32_e64 s7, v2, v13
	v_lshlrev_b32_e32 v4, 2, v4
	s_delay_alu instid0(VALU_DEP_2) | instskip(NEXT) | instid1(VALU_DEP_1)
	v_cndmask_b32_e64 v2, v13, v2, s7
	v_cmp_gt_f32_e64 s7, v2, v9
	s_delay_alu instid0(VALU_DEP_1) | instskip(SKIP_3) | instid1(VALU_DEP_1)
	v_cndmask_b32_e64 v2, v9, v2, s7
	v_cmp_gt_i32_e64 s7, 64, v15
	ds_bpermute_b32 v14, v4, v2
	v_cndmask_b32_e64 v15, v3, v15, s7
	v_lshlrev_b32_e32 v15, 2, v15
	s_waitcnt lgkmcnt(0)
	v_cmp_lt_f32_e64 s7, v2, v14
	s_delay_alu instid0(VALU_DEP_1) | instskip(SKIP_3) | instid1(VALU_DEP_1)
	v_cndmask_b32_e64 v2, v2, v14, s7
	v_cmp_gt_i32_e64 s7, 64, v16
	ds_bpermute_b32 v14, v15, v2
	v_cndmask_b32_e64 v16, v3, v16, s7
	v_lshlrev_b32_e32 v16, 2, v16
	s_waitcnt lgkmcnt(0)
	v_cmp_lt_f32_e64 s7, v2, v14
	;; [unrolled: 8-line block ×5, first 2 shown]
	s_delay_alu instid0(VALU_DEP_1) | instskip(SKIP_3) | instid1(VALU_DEP_1)
	v_cndmask_b32_e64 v2, v2, v14, s7
	ds_bpermute_b32 v3, v19, v2
	s_waitcnt lgkmcnt(0)
	v_cmp_lt_f32_e64 s7, v2, v3
	v_cndmask_b32_e64 v2, v2, v3, s7
	s_delay_alu instid0(VALU_DEP_1) | instskip(SKIP_3) | instid1(VALU_DEP_4)
	v_sub_f32_e32 v12, v12, v2
	v_sub_f32_e32 v3, v10, v2
	;; [unrolled: 1-line block ×4, first 2 shown]
	v_dual_sub_f32 v20, v8, v2 :: v_dual_mul_f32 v21, 0x3fb8aa3b, v12
	s_delay_alu instid0(VALU_DEP_4) | instskip(SKIP_2) | instid1(VALU_DEP_4)
	v_dual_sub_f32 v13, v13, v2 :: v_dual_mul_f32 v8, 0x3fb8aa3b, v3
	v_sub_f32_e32 v14, v11, v2
	v_sub_f32_e32 v2, v9, v2
	v_dual_mul_f32 v9, 0x3fb8aa3b, v6 :: v_dual_mul_f32 v22, 0x3fb8aa3b, v20
	v_mul_f32_e32 v11, 0x3fb8aa3b, v7
	v_fma_f32 v25, 0x3fb8aa3b, v3, -v8
	v_rndne_f32_e32 v26, v8
	v_mul_f32_e32 v23, 0x3fb8aa3b, v13
	v_fma_f32 v27, 0x3fb8aa3b, v6, -v9
	v_rndne_f32_e32 v28, v9
	v_mul_f32_e32 v10, 0x3fb8aa3b, v14
	v_rndne_f32_e32 v32, v11
	v_mul_f32_e32 v24, 0x3fb8aa3b, v2
	v_fma_f32 v33, 0x3fb8aa3b, v12, -v21
	v_dual_fmac_f32 v25, 0x32a5705f, v3 :: v_dual_sub_f32 v8, v8, v26
	v_fma_f32 v31, 0x3fb8aa3b, v7, -v11
	v_rndne_f32_e32 v36, v22
	v_fmac_f32_e32 v27, 0x32a5705f, v6
	v_sub_f32_e32 v9, v9, v28
	v_fma_f32 v29, 0x3fb8aa3b, v14, -v10
	v_rndne_f32_e32 v30, v10
	v_sub_f32_e32 v11, v11, v32
	v_fma_f32 v39, 0x3fb8aa3b, v2, -v24
	v_rndne_f32_e32 v40, v24
	v_dual_fmac_f32 v33, 0x32a5705f, v12 :: v_dual_add_f32 v8, v8, v25
	v_rndne_f32_e32 v34, v21
	v_fma_f32 v35, 0x3fb8aa3b, v20, -v22
	v_fma_f32 v37, 0x3fb8aa3b, v13, -v23
	v_rndne_f32_e32 v38, v23
	v_dual_fmac_f32 v29, 0x32a5705f, v14 :: v_dual_sub_f32 v24, v24, v40
	v_dual_sub_f32 v10, v10, v30 :: v_dual_fmac_f32 v31, 0x32a5705f, v7
	v_dual_sub_f32 v22, v22, v36 :: v_dual_fmac_f32 v39, 0x32a5705f, v2
	v_add_f32_e32 v9, v9, v27
	v_exp_f32_e32 v8, v8
	v_cvt_i32_f32_e32 v26, v26
	v_dual_sub_f32 v21, v21, v34 :: v_dual_add_f32 v10, v10, v29
	v_dual_fmac_f32 v35, 0x32a5705f, v20 :: v_dual_add_f32 v24, v24, v39
	v_fmac_f32_e32 v37, 0x32a5705f, v13
	v_sub_f32_e32 v23, v23, v38
	v_exp_f32_e32 v9, v9
	v_cvt_i32_f32_e32 v28, v28
	v_add_f32_e32 v22, v22, v35
	v_exp_f32_e32 v10, v10
	v_add_f32_e32 v23, v23, v37
	v_ldexp_f32 v8, v8, v26
	v_cmp_ngt_f32_e64 s7, 0xc2ce8ed0, v3
	v_cvt_i32_f32_e32 v30, v30
	v_add_f32_e32 v11, v11, v31
	v_exp_f32_e32 v23, v23
	v_ldexp_f32 v9, v9, v28
	v_cndmask_b32_e64 v8, 0, v8, s7
	v_cmp_ngt_f32_e64 s7, 0xc2ce8ed0, v6
	v_exp_f32_e32 v11, v11
	v_cvt_i32_f32_e32 v25, v38
	v_ldexp_f32 v10, v10, v30
	v_cvt_i32_f32_e32 v32, v32
	v_cndmask_b32_e64 v9, 0, v9, s7
	v_cmp_ngt_f32_e64 s7, 0xc2ce8ed0, v14
	v_ldexp_f32 v23, v23, v25
	v_add_f32_e32 v21, v21, v33
	v_cvt_i32_f32_e32 v34, v34
	v_exp_f32_e32 v22, v22
	v_cndmask_b32_e64 v25, 0, v10, s7
	v_cmp_nlt_f32_e64 s7, 0x42b17218, v3
	v_ldexp_f32 v26, v11, v32
	v_exp_f32_e32 v21, v21
	v_cvt_i32_f32_e32 v36, v36
	v_exp_f32_e32 v24, v24
	v_cndmask_b32_e64 v11, 0x7f800000, v8, s7
	v_cmp_nlt_f32_e64 s7, 0x42b17218, v6
	v_cvt_i32_f32_e32 v27, v40
	v_ldexp_f32 v22, v22, v36
	s_delay_alu instid0(VALU_DEP_3) | instskip(SKIP_1) | instid1(TRANS32_DEP_2)
	v_cndmask_b32_e64 v10, 0x7f800000, v9, s7
	v_cmp_ngt_f32_e64 s7, 0xc2ce8ed0, v7
	v_ldexp_f32 v21, v21, v34
	s_delay_alu instid0(VALU_DEP_3) | instskip(NEXT) | instid1(VALU_DEP_3)
	v_add_f32_e32 v6, v11, v10
	v_cndmask_b32_e64 v3, 0, v26, s7
	v_cmp_nlt_f32_e64 s7, 0x42b17218, v14
	s_delay_alu instid0(VALU_DEP_1) | instskip(SKIP_1) | instid1(VALU_DEP_1)
	v_cndmask_b32_e64 v9, 0x7f800000, v25, s7
	v_cmp_ngt_f32_e64 s7, 0xc2ce8ed0, v12
	v_cndmask_b32_e64 v14, 0, v21, s7
	v_cmp_nlt_f32_e64 s7, 0x42b17218, v7
	s_delay_alu instid0(VALU_DEP_1) | instskip(SKIP_2) | instid1(VALU_DEP_2)
	v_cndmask_b32_e64 v8, 0x7f800000, v3, s7
	v_cmp_ngt_f32_e64 s7, 0xc2ce8ed0, v20
	v_add_f32_e32 v3, v6, v9
	v_cndmask_b32_e64 v6, 0, v22, s7
	v_cmp_nlt_f32_e64 s7, 0x42b17218, v12
	s_delay_alu instid0(VALU_DEP_3) | instskip(NEXT) | instid1(VALU_DEP_2)
	v_add_f32_e32 v3, v3, v8
	v_cndmask_b32_e64 v7, 0x7f800000, v14, s7
	v_cmp_ngt_f32_e64 s7, 0xc2ce8ed0, v13
	s_delay_alu instid0(VALU_DEP_2) | instskip(NEXT) | instid1(VALU_DEP_2)
	v_add_f32_e32 v14, v3, v7
	v_cndmask_b32_e64 v12, 0, v23, s7
	v_cmp_nlt_f32_e64 s7, 0x42b17218, v20
	v_ldexp_f32 v20, v24, v27
	s_delay_alu instid0(VALU_DEP_2) | instskip(SKIP_1) | instid1(VALU_DEP_1)
	v_cndmask_b32_e64 v6, 0x7f800000, v6, s7
	v_cmp_nlt_f32_e64 s7, 0x42b17218, v13
	v_cndmask_b32_e64 v3, 0x7f800000, v12, s7
	v_cmp_ngt_f32_e64 s7, 0xc2ce8ed0, v2
	s_delay_alu instid0(VALU_DEP_4) | instskip(NEXT) | instid1(VALU_DEP_2)
	v_add_f32_e32 v12, v14, v6
	v_cndmask_b32_e64 v13, 0, v20, s7
	v_cmp_nlt_f32_e64 s7, 0x42b17218, v2
	s_delay_alu instid0(VALU_DEP_3) | instskip(NEXT) | instid1(VALU_DEP_2)
	v_add_f32_e32 v12, v12, v3
	v_cndmask_b32_e64 v2, 0x7f800000, v13, s7
	s_delay_alu instid0(VALU_DEP_1)
	v_add_f32_e32 v12, v12, v2
	ds_bpermute_b32 v4, v4, v12
	s_waitcnt lgkmcnt(0)
	v_add_f32_e32 v4, v12, v4
	ds_bpermute_b32 v12, v15, v4
	s_waitcnt lgkmcnt(0)
	;; [unrolled: 3-line block ×5, first 2 shown]
	v_add_f32_e32 v4, v4, v12
	ds_bpermute_b32 v12, v19, v4
	v_cmpx_lt_i32_e32 0, v5
	s_cbranch_execz .LBB450_26
; %bb.17:
	s_and_b32 exec_lo, exec_lo, vcc_lo
	s_cbranch_execz .LBB450_26
; %bb.18:
	s_waitcnt lgkmcnt(0)
	v_add_f32_e32 v4, v4, v12
	v_lshlrev_b64 v[0:1], 2, v[0:1]
	s_delay_alu instid0(VALU_DEP_2) | instskip(SKIP_2) | instid1(VALU_DEP_3)
	v_div_scale_f32 v5, null, v4, v4, v11
	v_div_scale_f32 v14, vcc_lo, v11, v4, v11
	v_cmp_eq_f32_e64 s7, 0, v4
	v_rcp_f32_e32 v12, v5
	s_waitcnt_depctr 0xfff
	v_fma_f32 v13, -v5, v12, 1.0
	s_delay_alu instid0(VALU_DEP_1) | instskip(NEXT) | instid1(VALU_DEP_1)
	v_fmac_f32_e32 v12, v13, v12
	v_mul_f32_e32 v13, v14, v12
	s_delay_alu instid0(VALU_DEP_1) | instskip(NEXT) | instid1(VALU_DEP_1)
	v_fma_f32 v15, -v5, v13, v14
	v_fmac_f32_e32 v13, v15, v12
	s_delay_alu instid0(VALU_DEP_1) | instskip(NEXT) | instid1(VALU_DEP_1)
	v_fma_f32 v5, -v5, v13, v14
	v_div_fmas_f32 v5, v5, v12, v13
	v_add_co_u32 v0, vcc_lo, s16, v0
	v_add_co_ci_u32_e32 v1, vcc_lo, s17, v1, vcc_lo
	s_delay_alu instid0(VALU_DEP_3) | instskip(NEXT) | instid1(VALU_DEP_1)
	v_div_fixup_f32 v5, v5, v4, v11
	v_cndmask_b32_e64 v5, v5, 0x7fc00000, s7
	global_store_b32 v[0:1], v5, off
	s_and_b32 exec_lo, exec_lo, s6
	s_cbranch_execz .LBB450_26
; %bb.19:
	v_div_scale_f32 v5, null, v4, v4, v10
	s_delay_alu instid0(VALU_DEP_1) | instskip(SKIP_2) | instid1(VALU_DEP_1)
	v_rcp_f32_e32 v11, v5
	s_waitcnt_depctr 0xfff
	v_fma_f32 v12, -v5, v11, 1.0
	v_fmac_f32_e32 v11, v12, v11
	v_div_scale_f32 v12, vcc_lo, v10, v4, v10
	s_delay_alu instid0(VALU_DEP_1) | instskip(NEXT) | instid1(VALU_DEP_1)
	v_mul_f32_e32 v13, v12, v11
	v_fma_f32 v14, -v5, v13, v12
	s_delay_alu instid0(VALU_DEP_1) | instskip(NEXT) | instid1(VALU_DEP_1)
	v_fmac_f32_e32 v13, v14, v11
	v_fma_f32 v5, -v5, v13, v12
	s_delay_alu instid0(VALU_DEP_1) | instskip(NEXT) | instid1(VALU_DEP_1)
	v_div_fmas_f32 v5, v5, v11, v13
	v_div_fixup_f32 v5, v5, v4, v10
	s_delay_alu instid0(VALU_DEP_1)
	v_cndmask_b32_e64 v5, v5, 0x7fc00000, s7
	global_store_b32 v[0:1], v5, off offset:256
	s_and_b32 exec_lo, exec_lo, s5
	s_cbranch_execz .LBB450_26
; %bb.20:
	v_div_scale_f32 v5, null, v4, v4, v9
	s_delay_alu instid0(VALU_DEP_1) | instskip(SKIP_2) | instid1(VALU_DEP_1)
	v_rcp_f32_e32 v10, v5
	s_waitcnt_depctr 0xfff
	v_fma_f32 v11, -v5, v10, 1.0
	v_fmac_f32_e32 v10, v11, v10
	v_div_scale_f32 v11, vcc_lo, v9, v4, v9
	s_delay_alu instid0(VALU_DEP_1) | instskip(NEXT) | instid1(VALU_DEP_1)
	v_mul_f32_e32 v12, v11, v10
	v_fma_f32 v13, -v5, v12, v11
	s_delay_alu instid0(VALU_DEP_1) | instskip(NEXT) | instid1(VALU_DEP_1)
	v_fmac_f32_e32 v12, v13, v10
	v_fma_f32 v5, -v5, v12, v11
	s_delay_alu instid0(VALU_DEP_1) | instskip(NEXT) | instid1(VALU_DEP_1)
	v_div_fmas_f32 v5, v5, v10, v12
	v_div_fixup_f32 v5, v5, v4, v9
	s_delay_alu instid0(VALU_DEP_1)
	v_cndmask_b32_e64 v5, v5, 0x7fc00000, s7
	global_store_b32 v[0:1], v5, off offset:512
	;; [unrolled: 22-line block ×7, first 2 shown]
.LBB450_26:
	s_nop 0
	s_sendmsg sendmsg(MSG_DEALLOC_VGPRS)
	s_endpgm
	.section	.rodata,"a",@progbits
	.p2align	6, 0x0
	.amdhsa_kernel _ZN12_GLOBAL__N_120softmax_warp_forwardIN3c104HalfEffLi9ELb0ELb0ELi64EEEvPT0_PKT_iiiPKbib
		.amdhsa_group_segment_fixed_size 0
		.amdhsa_private_segment_fixed_size 0
		.amdhsa_kernarg_size 304
		.amdhsa_user_sgpr_count 15
		.amdhsa_user_sgpr_dispatch_ptr 0
		.amdhsa_user_sgpr_queue_ptr 0
		.amdhsa_user_sgpr_kernarg_segment_ptr 1
		.amdhsa_user_sgpr_dispatch_id 0
		.amdhsa_user_sgpr_private_segment_size 0
		.amdhsa_wavefront_size32 1
		.amdhsa_uses_dynamic_stack 0
		.amdhsa_enable_private_segment 0
		.amdhsa_system_sgpr_workgroup_id_x 1
		.amdhsa_system_sgpr_workgroup_id_y 0
		.amdhsa_system_sgpr_workgroup_id_z 0
		.amdhsa_system_sgpr_workgroup_info 0
		.amdhsa_system_vgpr_workitem_id 1
		.amdhsa_next_free_vgpr 41
		.amdhsa_next_free_sgpr 24
		.amdhsa_reserve_vcc 1
		.amdhsa_float_round_mode_32 0
		.amdhsa_float_round_mode_16_64 0
		.amdhsa_float_denorm_mode_32 3
		.amdhsa_float_denorm_mode_16_64 3
		.amdhsa_dx10_clamp 1
		.amdhsa_ieee_mode 1
		.amdhsa_fp16_overflow 0
		.amdhsa_workgroup_processor_mode 1
		.amdhsa_memory_ordered 1
		.amdhsa_forward_progress 0
		.amdhsa_shared_vgpr_count 0
		.amdhsa_exception_fp_ieee_invalid_op 0
		.amdhsa_exception_fp_denorm_src 0
		.amdhsa_exception_fp_ieee_div_zero 0
		.amdhsa_exception_fp_ieee_overflow 0
		.amdhsa_exception_fp_ieee_underflow 0
		.amdhsa_exception_fp_ieee_inexact 0
		.amdhsa_exception_int_div_zero 0
	.end_amdhsa_kernel
	.section	.text._ZN12_GLOBAL__N_120softmax_warp_forwardIN3c104HalfEffLi9ELb0ELb0ELi64EEEvPT0_PKT_iiiPKbib,"axG",@progbits,_ZN12_GLOBAL__N_120softmax_warp_forwardIN3c104HalfEffLi9ELb0ELb0ELi64EEEvPT0_PKT_iiiPKbib,comdat
.Lfunc_end450:
	.size	_ZN12_GLOBAL__N_120softmax_warp_forwardIN3c104HalfEffLi9ELb0ELb0ELi64EEEvPT0_PKT_iiiPKbib, .Lfunc_end450-_ZN12_GLOBAL__N_120softmax_warp_forwardIN3c104HalfEffLi9ELb0ELb0ELi64EEEvPT0_PKT_iiiPKbib
                                        ; -- End function
	.section	.AMDGPU.csdata,"",@progbits
; Kernel info:
; codeLenInByte = 3136
; NumSgprs: 26
; NumVgprs: 41
; ScratchSize: 0
; MemoryBound: 0
; FloatMode: 240
; IeeeMode: 1
; LDSByteSize: 0 bytes/workgroup (compile time only)
; SGPRBlocks: 3
; VGPRBlocks: 5
; NumSGPRsForWavesPerEU: 26
; NumVGPRsForWavesPerEU: 41
; Occupancy: 16
; WaveLimiterHint : 0
; COMPUTE_PGM_RSRC2:SCRATCH_EN: 0
; COMPUTE_PGM_RSRC2:USER_SGPR: 15
; COMPUTE_PGM_RSRC2:TRAP_HANDLER: 0
; COMPUTE_PGM_RSRC2:TGID_X_EN: 1
; COMPUTE_PGM_RSRC2:TGID_Y_EN: 0
; COMPUTE_PGM_RSRC2:TGID_Z_EN: 0
; COMPUTE_PGM_RSRC2:TIDIG_COMP_CNT: 1
	.section	.text._ZN12_GLOBAL__N_120softmax_warp_forwardIN3c104HalfEffLi9ELb0ELb0ELi32EEEvPT0_PKT_iiiPKbib,"axG",@progbits,_ZN12_GLOBAL__N_120softmax_warp_forwardIN3c104HalfEffLi9ELb0ELb0ELi32EEEvPT0_PKT_iiiPKbib,comdat
	.globl	_ZN12_GLOBAL__N_120softmax_warp_forwardIN3c104HalfEffLi9ELb0ELb0ELi32EEEvPT0_PKT_iiiPKbib ; -- Begin function _ZN12_GLOBAL__N_120softmax_warp_forwardIN3c104HalfEffLi9ELb0ELb0ELi32EEEvPT0_PKT_iiiPKbib
	.p2align	8
	.type	_ZN12_GLOBAL__N_120softmax_warp_forwardIN3c104HalfEffLi9ELb0ELb0ELi32EEEvPT0_PKT_iiiPKbib,@function
_ZN12_GLOBAL__N_120softmax_warp_forwardIN3c104HalfEffLi9ELb0ELb0ELi32EEEvPT0_PKT_iiiPKbib: ; @_ZN12_GLOBAL__N_120softmax_warp_forwardIN3c104HalfEffLi9ELb0ELb0ELi32EEEvPT0_PKT_iiiPKbib
; %bb.0:
	s_clause 0x1
	s_load_b32 s2, s[0:1], 0x3c
	s_load_b256 s[16:23], s[0:1], 0x0
	v_bfe_u32 v1, v0, 10, 10
	v_dual_mov_b32 v9, 0xff800000 :: v_dual_mov_b32 v8, 0xff800000
	s_waitcnt lgkmcnt(0)
	s_lshr_b32 s0, s2, 16
	s_delay_alu instid0(VALU_DEP_2) | instid1(SALU_CYCLE_1)
	v_mad_u64_u32 v[3:4], null, s15, s0, v[1:2]
	v_and_b32_e32 v2, 0x3ff, v0
	s_delay_alu instid0(VALU_DEP_1) | instskip(NEXT) | instid1(VALU_DEP_3)
	v_cmp_gt_i32_e32 vcc_lo, s22, v2
	v_mad_u64_u32 v[0:1], null, v3, s21, v[2:3]
	v_sub_nc_u32_e32 v5, s20, v3
	s_delay_alu instid0(VALU_DEP_1) | instskip(NEXT) | instid1(VALU_DEP_3)
	v_cmp_lt_i32_e64 s15, 0, v5
	v_ashrrev_i32_e32 v1, 31, v0
	s_delay_alu instid0(VALU_DEP_2) | instskip(NEXT) | instid1(VALU_DEP_1)
	s_and_b32 s1, s15, vcc_lo
	v_lshlrev_b64 v[3:4], 1, v[0:1]
	s_delay_alu instid0(VALU_DEP_1) | instskip(NEXT) | instid1(VALU_DEP_1)
	v_add_co_u32 v3, s0, s18, v3
	v_add_co_ci_u32_e64 v4, s0, s19, v4, s0
	s_and_saveexec_b32 s0, s1
	s_cbranch_execz .LBB451_2
; %bb.1:
	global_load_u16 v6, v[3:4], off
	s_waitcnt vmcnt(0)
	v_cvt_f32_f16_e32 v8, v6
.LBB451_2:
	s_or_b32 exec_lo, exec_lo, s0
	v_add_nc_u32_e32 v6, 32, v2
	s_delay_alu instid0(VALU_DEP_1) | instskip(NEXT) | instid1(VALU_DEP_1)
	v_cmp_gt_i32_e64 s14, s22, v6
	s_and_b32 s1, s15, s14
	s_delay_alu instid0(SALU_CYCLE_1)
	s_and_saveexec_b32 s0, s1
	s_cbranch_execz .LBB451_4
; %bb.3:
	global_load_u16 v6, v[3:4], off offset:64
	s_waitcnt vmcnt(0)
	v_cvt_f32_f16_e32 v9, v6
.LBB451_4:
	s_or_b32 exec_lo, exec_lo, s0
	v_dual_mov_b32 v17, 0xff800000 :: v_dual_add_nc_u32 v6, 64, v2
	v_mov_b32_e32 v10, 0xff800000
	s_delay_alu instid0(VALU_DEP_2) | instskip(NEXT) | instid1(VALU_DEP_1)
	v_cmp_gt_i32_e64 s13, s22, v6
	s_and_b32 s1, s15, s13
	s_delay_alu instid0(SALU_CYCLE_1)
	s_and_saveexec_b32 s0, s1
	s_cbranch_execz .LBB451_6
; %bb.5:
	global_load_u16 v6, v[3:4], off offset:128
	s_waitcnt vmcnt(0)
	v_cvt_f32_f16_e32 v17, v6
.LBB451_6:
	s_or_b32 exec_lo, exec_lo, s0
	v_add_nc_u32_e32 v6, 0x60, v2
	s_delay_alu instid0(VALU_DEP_1) | instskip(NEXT) | instid1(VALU_DEP_1)
	v_cmp_gt_i32_e64 s12, s22, v6
	s_and_b32 s1, s15, s12
	s_delay_alu instid0(SALU_CYCLE_1)
	s_and_saveexec_b32 s0, s1
	s_cbranch_execz .LBB451_8
; %bb.7:
	global_load_u16 v6, v[3:4], off offset:192
	s_waitcnt vmcnt(0)
	v_cvt_f32_f16_e32 v10, v6
.LBB451_8:
	s_or_b32 exec_lo, exec_lo, s0
	v_add_nc_u32_e32 v6, 0x80, v2
	v_dual_mov_b32 v11, 0xff800000 :: v_dual_mov_b32 v18, 0xff800000
	s_delay_alu instid0(VALU_DEP_2) | instskip(NEXT) | instid1(VALU_DEP_1)
	v_cmp_gt_i32_e64 s11, s22, v6
	s_and_b32 s1, s15, s11
	s_delay_alu instid0(SALU_CYCLE_1)
	s_and_saveexec_b32 s0, s1
	s_cbranch_execz .LBB451_10
; %bb.9:
	global_load_u16 v6, v[3:4], off offset:256
	s_waitcnt vmcnt(0)
	v_cvt_f32_f16_e32 v18, v6
.LBB451_10:
	s_or_b32 exec_lo, exec_lo, s0
	v_add_nc_u32_e32 v6, 0xa0, v2
	s_delay_alu instid0(VALU_DEP_1) | instskip(NEXT) | instid1(VALU_DEP_1)
	v_cmp_gt_i32_e64 s10, s22, v6
	s_and_b32 s1, s15, s10
	s_delay_alu instid0(SALU_CYCLE_1)
	s_and_saveexec_b32 s0, s1
	s_cbranch_execz .LBB451_12
; %bb.11:
	global_load_u16 v6, v[3:4], off offset:320
	s_waitcnt vmcnt(0)
	v_cvt_f32_f16_e32 v11, v6
.LBB451_12:
	s_or_b32 exec_lo, exec_lo, s0
	v_add_nc_u32_e32 v6, 0xc0, v2
	v_dual_mov_b32 v12, 0xff800000 :: v_dual_mov_b32 v19, 0xff800000
	;; [unrolled: 27-line block ×6, first 2 shown]
	s_delay_alu instid0(VALU_DEP_2) | instskip(NEXT) | instid1(VALU_DEP_1)
	v_cmp_gt_i32_e64 s1, s22, v6
	s_and_b32 s18, s15, s1
	s_delay_alu instid0(SALU_CYCLE_1)
	s_and_saveexec_b32 s0, s18
	s_cbranch_execz .LBB451_30
; %bb.29:
	global_load_u16 v6, v[3:4], off offset:896
	s_waitcnt vmcnt(0)
	v_cvt_f32_f16_e32 v23, v6
.LBB451_30:
	s_or_b32 exec_lo, exec_lo, s0
	v_add_nc_u32_e32 v2, 0x1e0, v2
	s_delay_alu instid0(VALU_DEP_1) | instskip(NEXT) | instid1(VALU_DEP_1)
	v_cmp_gt_i32_e64 s0, s22, v2
	s_and_b32 s18, s15, s0
	s_delay_alu instid0(SALU_CYCLE_1)
	s_and_saveexec_b32 s15, s18
	s_cbranch_execz .LBB451_32
; %bb.31:
	global_load_u16 v2, v[3:4], off offset:960
	s_waitcnt vmcnt(0)
	v_cvt_f32_f16_e32 v16, v2
.LBB451_32:
	s_or_b32 exec_lo, exec_lo, s15
	v_cmp_gt_f32_e64 s15, v8, v9
	v_mbcnt_lo_u32_b32 v7, -1, 0
	s_mov_b32 s18, exec_lo
	s_delay_alu instid0(VALU_DEP_2) | instskip(NEXT) | instid1(VALU_DEP_2)
	v_cndmask_b32_e64 v2, v9, v8, s15
	v_xor_b32_e32 v3, 16, v7
	v_xor_b32_e32 v26, 1, v7
	s_delay_alu instid0(VALU_DEP_3) | instskip(NEXT) | instid1(VALU_DEP_1)
	v_cmp_gt_f32_e64 s15, v2, v17
	v_cndmask_b32_e64 v2, v17, v2, s15
	s_delay_alu instid0(VALU_DEP_1) | instskip(NEXT) | instid1(VALU_DEP_1)
	v_cmp_gt_f32_e64 s15, v2, v10
	v_cndmask_b32_e64 v2, v10, v2, s15
	s_delay_alu instid0(VALU_DEP_1) | instskip(NEXT) | instid1(VALU_DEP_1)
	;; [unrolled: 3-line block ×11, first 2 shown]
	v_cmp_gt_f32_e64 s15, v2, v15
	v_cndmask_b32_e64 v2, v15, v2, s15
	v_cmp_gt_i32_e64 s15, 32, v3
	s_delay_alu instid0(VALU_DEP_1) | instskip(NEXT) | instid1(VALU_DEP_3)
	v_cndmask_b32_e64 v3, v7, v3, s15
	v_cmp_gt_f32_e64 s15, v2, v23
	s_delay_alu instid0(VALU_DEP_1) | instskip(NEXT) | instid1(VALU_DEP_3)
	v_cndmask_b32_e64 v4, v23, v2, s15
	v_lshlrev_b32_e32 v2, 2, v3
	v_xor_b32_e32 v3, 8, v7
	s_delay_alu instid0(VALU_DEP_3) | instskip(NEXT) | instid1(VALU_DEP_1)
	v_cmp_gt_f32_e64 s15, v4, v16
	v_cndmask_b32_e64 v4, v16, v4, s15
	s_delay_alu instid0(VALU_DEP_3) | instskip(SKIP_2) | instid1(VALU_DEP_1)
	v_cmp_gt_i32_e64 s15, 32, v3
	ds_bpermute_b32 v6, v2, v4
	v_cndmask_b32_e64 v3, v7, v3, s15
	v_lshlrev_b32_e32 v3, 2, v3
	s_waitcnt lgkmcnt(0)
	v_cmp_lt_f32_e64 s15, v4, v6
	s_delay_alu instid0(VALU_DEP_1) | instskip(SKIP_3) | instid1(VALU_DEP_1)
	v_cndmask_b32_e64 v6, v4, v6, s15
	v_xor_b32_e32 v4, 4, v7
	ds_bpermute_b32 v24, v3, v6
	v_cmp_gt_i32_e64 s15, 32, v4
	v_cndmask_b32_e64 v4, v7, v4, s15
	s_delay_alu instid0(VALU_DEP_1) | instskip(SKIP_2) | instid1(VALU_DEP_1)
	v_lshlrev_b32_e32 v4, 2, v4
	s_waitcnt lgkmcnt(0)
	v_cmp_lt_f32_e64 s15, v6, v24
	v_cndmask_b32_e64 v24, v6, v24, s15
	v_xor_b32_e32 v6, 2, v7
	ds_bpermute_b32 v25, v4, v24
	v_cmp_gt_i32_e64 s15, 32, v6
	s_delay_alu instid0(VALU_DEP_1) | instskip(NEXT) | instid1(VALU_DEP_1)
	v_cndmask_b32_e64 v6, v7, v6, s15
	v_lshlrev_b32_e32 v6, 2, v6
	s_waitcnt lgkmcnt(0)
	v_cmp_lt_f32_e64 s15, v24, v25
	s_delay_alu instid0(VALU_DEP_1) | instskip(SKIP_3) | instid1(VALU_DEP_1)
	v_cndmask_b32_e64 v24, v24, v25, s15
	v_cmp_gt_i32_e64 s15, 32, v26
	ds_bpermute_b32 v25, v6, v24
	v_cndmask_b32_e64 v7, v7, v26, s15
	v_lshlrev_b32_e32 v7, 2, v7
	s_waitcnt lgkmcnt(0)
	v_cmp_lt_f32_e64 s15, v24, v25
	s_delay_alu instid0(VALU_DEP_1) | instskip(SKIP_3) | instid1(VALU_DEP_1)
	v_cndmask_b32_e64 v24, v24, v25, s15
	ds_bpermute_b32 v25, v7, v24
	s_waitcnt lgkmcnt(0)
	v_cmp_lt_f32_e64 s15, v24, v25
	v_cndmask_b32_e64 v24, v24, v25, s15
	s_delay_alu instid0(VALU_DEP_1)
	v_sub_f32_e32 v10, v10, v24
	v_sub_f32_e32 v9, v9, v24
	;; [unrolled: 1-line block ×10, first 2 shown]
	v_dual_sub_f32 v30, v15, v24 :: v_dual_mul_f32 v15, 0x3fb8aa3b, v9
	v_mul_f32_e32 v19, 0x3fb8aa3b, v10
	v_mul_f32_e32 v20, 0x3fb8aa3b, v18
	v_mul_f32_e32 v22, 0x3fb8aa3b, v25
	v_mul_f32_e32 v33, 0x3fb8aa3b, v13
	v_dual_sub_f32 v27, v21, v24 :: v_dual_mul_f32 v32, 0x3fb8aa3b, v26
	v_sub_f32_e32 v12, v12, v24
	v_sub_f32_e32 v28, v14, v24
	v_rndne_f32_e32 v43, v15
	s_delay_alu instid0(VALU_DEP_4)
	v_dual_mul_f32 v34, 0x3fb8aa3b, v27 :: v_dual_sub_f32 v31, v23, v24
	v_mul_f32_e32 v36, 0x3fb8aa3b, v29
	v_sub_f32_e32 v24, v16, v24
	v_dual_mul_f32 v16, 0x3fb8aa3b, v17 :: v_dual_mul_f32 v21, 0x3fb8aa3b, v11
	v_rndne_f32_e32 v47, v19
	v_mul_f32_e32 v14, 0x3fb8aa3b, v8
	v_dual_mul_f32 v23, 0x3fb8aa3b, v12 :: v_dual_mul_f32 v38, 0x3fb8aa3b, v31
	v_fma_f32 v46, 0x3fb8aa3b, v10, -v19
	v_rndne_f32_e32 v51, v21
	v_sub_f32_e32 v19, v19, v47
	v_fma_f32 v40, 0x3fb8aa3b, v8, -v14
	v_rndne_f32_e32 v41, v14
	v_fma_f32 v42, 0x3fb8aa3b, v9, -v15
	v_fma_f32 v50, 0x3fb8aa3b, v11, -v21
	v_rndne_f32_e32 v55, v23
	v_fmac_f32_e32 v40, 0x32a5705f, v8
	v_dual_sub_f32 v14, v14, v41 :: v_dual_sub_f32 v21, v21, v51
	v_mul_f32_e32 v37, 0x3fb8aa3b, v30
	v_mul_f32_e32 v35, 0x3fb8aa3b, v28
	v_fma_f32 v44, 0x3fb8aa3b, v17, -v16
	v_rndne_f32_e32 v45, v16
	v_rndne_f32_e32 v49, v20
	v_fma_f32 v54, 0x3fb8aa3b, v12, -v23
	v_rndne_f32_e32 v59, v33
	v_dual_fmac_f32 v42, 0x32a5705f, v9 :: v_dual_sub_f32 v15, v15, v43
	v_dual_sub_f32 v23, v23, v55 :: v_dual_add_f32 v14, v14, v40
	v_dual_mul_f32 v39, 0x3fb8aa3b, v24 :: v_dual_sub_f32 v16, v16, v45
	v_fma_f32 v48, 0x3fb8aa3b, v18, -v20
	v_fma_f32 v58, 0x3fb8aa3b, v13, -v33
	v_rndne_f32_e32 v63, v35
	v_fma_f32 v66, 0x3fb8aa3b, v30, -v37
	v_rndne_f32_e32 v67, v37
	v_dual_fmac_f32 v44, 0x32a5705f, v17 :: v_dual_sub_f32 v33, v33, v59
	v_dual_sub_f32 v20, v20, v49 :: v_dual_add_f32 v15, v15, v42
	v_exp_f32_e32 v14, v14
	v_fma_f32 v62, 0x3fb8aa3b, v28, -v35
	v_cvt_i32_f32_e32 v41, v41
	v_dual_fmac_f32 v46, 0x32a5705f, v10 :: v_dual_sub_f32 v37, v37, v67
	v_dual_sub_f32 v35, v35, v63 :: v_dual_fmac_f32 v66, 0x32a5705f, v30
	v_add_f32_e32 v16, v16, v44
	v_exp_f32_e32 v15, v15
	v_fma_f32 v52, 0x3fb8aa3b, v25, -v22
	v_rndne_f32_e32 v53, v22
	v_cvt_i32_f32_e32 v43, v43
	v_dual_fmac_f32 v58, 0x32a5705f, v13 :: v_dual_add_f32 v37, v37, v66
	v_fmac_f32_e32 v54, 0x32a5705f, v12
	v_exp_f32_e32 v16, v16
	v_ldexp_f32 v14, v14, v41
	s_delay_alu instid0(VALU_DEP_3)
	v_add_f32_e32 v33, v33, v58
	v_cmp_ngt_f32_e64 s15, 0xc2ce8ed0, v8
	v_cvt_i32_f32_e32 v45, v45
	v_dual_fmac_f32 v50, 0x32a5705f, v11 :: v_dual_add_f32 v19, v19, v46
	v_fmac_f32_e32 v52, 0x32a5705f, v25
	v_dual_sub_f32 v22, v22, v53 :: v_dual_add_f32 v23, v23, v54
	v_ldexp_f32 v15, v15, v43
	v_cndmask_b32_e64 v14, 0, v14, s15
	v_cmp_ngt_f32_e64 s15, 0xc2ce8ed0, v9
	s_delay_alu instid0(VALU_DEP_4) | instskip(SKIP_2) | instid1(VALU_DEP_3)
	v_dual_add_f32 v21, v21, v50 :: v_dual_add_f32 v22, v22, v52
	v_exp_f32_e32 v23, v23
	v_ldexp_f32 v16, v16, v45
	v_cndmask_b32_e64 v15, 0, v15, s15
	v_cmp_ngt_f32_e64 s15, 0xc2ce8ed0, v17
	v_rndne_f32_e32 v71, v39
	v_fmac_f32_e32 v48, 0x32a5705f, v18
	v_cvt_i32_f32_e32 v55, v55
	v_exp_f32_e32 v19, v19
	v_exp_f32_e32 v22, v22
	v_cndmask_b32_e64 v16, 0, v16, s15
	v_cmp_nlt_f32_e64 s15, 0x42b17218, v8
	v_fma_f32 v70, 0x3fb8aa3b, v24, -v39
	v_sub_f32_e32 v39, v39, v71
	v_cvt_i32_f32_e32 v47, v47
	v_cvt_i32_f32_e32 v53, v53
	v_add_f32_e32 v20, v20, v48
	v_ldexp_f32 v42, v23, v55
	v_cndmask_b32_e64 v23, 0x7f800000, v14, s15
	v_cmp_nlt_f32_e64 s15, 0x42b17218, v9
	v_exp_f32_e32 v21, v21
	v_exp_f32_e32 v20, v20
	v_ldexp_f32 v19, v19, v47
	v_ldexp_f32 v41, v22, v53
	v_cndmask_b32_e64 v22, 0x7f800000, v15, s15
	v_cmp_ngt_f32_e64 s15, 0xc2ce8ed0, v10
	v_cvt_i32_f32_e32 v49, v49
	v_cvt_i32_f32_e32 v51, v51
	v_rndne_f32_e32 v61, v34
	v_fma_f32 v60, 0x3fb8aa3b, v27, -v34
	v_cndmask_b32_e64 v8, 0, v19, s15
	v_cmp_nlt_f32_e64 s15, 0x42b17218, v17
	v_ldexp_f32 v20, v20, v49
	v_ldexp_f32 v40, v21, v51
	v_dual_sub_f32 v34, v34, v61 :: v_dual_add_f32 v9, v23, v22
	s_delay_alu instid0(VALU_DEP_4)
	v_cndmask_b32_e64 v21, 0x7f800000, v16, s15
	v_cmp_ngt_f32_e64 s15, 0xc2ce8ed0, v18
	v_fma_f32 v56, 0x3fb8aa3b, v26, -v32
	v_rndne_f32_e32 v57, v32
	v_fmac_f32_e32 v62, 0x32a5705f, v28
	v_fmac_f32_e32 v70, 0x32a5705f, v24
	v_cndmask_b32_e64 v14, 0, v20, s15
	v_cmp_nlt_f32_e64 s15, 0x42b17218, v10
	v_fmac_f32_e32 v56, 0x32a5705f, v26
	v_dual_sub_f32 v32, v32, v57 :: v_dual_add_f32 v35, v35, v62
	v_cvt_i32_f32_e32 v57, v57
	s_delay_alu instid0(VALU_DEP_4) | instskip(SKIP_4) | instid1(VALU_DEP_4)
	v_cndmask_b32_e64 v20, 0x7f800000, v8, s15
	v_cmp_ngt_f32_e64 s15, 0xc2ce8ed0, v11
	v_add_f32_e32 v8, v9, v21
	v_add_f32_e32 v32, v32, v56
	v_dual_fmac_f32 v60, 0x32a5705f, v27 :: v_dual_add_f32 v39, v39, v70
	v_cndmask_b32_e64 v9, 0, v40, s15
	v_cmp_nlt_f32_e64 s15, 0x42b17218, v18
	s_delay_alu instid0(VALU_DEP_4)
	v_exp_f32_e32 v32, v32
	v_exp_f32_e32 v33, v33
	v_cvt_i32_f32_e32 v59, v59
	v_add_f32_e32 v34, v34, v60
	v_cndmask_b32_e64 v19, 0x7f800000, v14, s15
	v_cmp_ngt_f32_e64 s15, 0xc2ce8ed0, v25
	v_fma_f32 v64, 0x3fb8aa3b, v29, -v36
	v_rndne_f32_e32 v65, v36
	v_exp_f32_e32 v34, v34
	v_cvt_i32_f32_e32 v61, v61
	v_cndmask_b32_e64 v10, 0, v41, s15
	v_cmp_nlt_f32_e64 s15, 0x42b17218, v11
	v_ldexp_f32 v32, v32, v57
	v_ldexp_f32 v33, v33, v59
	v_fmac_f32_e32 v64, 0x32a5705f, v29
	v_sub_f32_e32 v36, v36, v65
	v_cndmask_b32_e64 v18, 0x7f800000, v9, s15
	v_cmp_ngt_f32_e64 s15, 0xc2ce8ed0, v12
	v_exp_f32_e32 v35, v35
	v_ldexp_f32 v34, v34, v61
	v_cvt_i32_f32_e32 v63, v63
	v_add_f32_e32 v36, v36, v64
	v_cndmask_b32_e64 v9, 0, v42, s15
	v_cmp_nlt_f32_e64 s15, 0x42b17218, v25
	v_add_f32_e32 v8, v8, v20
	v_fma_f32 v68, 0x3fb8aa3b, v31, -v38
	v_exp_f32_e32 v36, v36
	v_rndne_f32_e32 v69, v38
	v_cndmask_b32_e64 v17, 0x7f800000, v10, s15
	v_cmp_ngt_f32_e64 s15, 0xc2ce8ed0, v26
	v_ldexp_f32 v35, v35, v63
	v_cvt_i32_f32_e32 v65, v65
	v_add_f32_e32 v8, v8, v19
	v_fmac_f32_e32 v68, 0x32a5705f, v31
	v_cndmask_b32_e64 v10, 0, v32, s15
	v_cmp_nlt_f32_e64 s15, 0x42b17218, v12
	v_sub_f32_e32 v38, v38, v69
	v_exp_f32_e32 v37, v37
	v_ldexp_f32 v36, v36, v65
	v_add_f32_e32 v8, v8, v18
	v_cndmask_b32_e64 v16, 0x7f800000, v9, s15
	v_cmp_ngt_f32_e64 s15, 0xc2ce8ed0, v13
	v_cvt_i32_f32_e32 v67, v67
	v_add_f32_e32 v38, v38, v68
	v_add_f32_e32 v8, v8, v17
	v_cvt_i32_f32_e32 v69, v69
	v_cndmask_b32_e64 v9, 0, v33, s15
	v_cmp_nlt_f32_e64 s15, 0x42b17218, v26
	v_exp_f32_e32 v38, v38
	v_ldexp_f32 v37, v37, v67
	v_add_f32_e32 v8, v8, v16
	v_exp_f32_e32 v39, v39
	v_cndmask_b32_e64 v15, 0x7f800000, v10, s15
	v_cmp_ngt_f32_e64 s15, 0xc2ce8ed0, v27
	v_cvt_i32_f32_e32 v71, v71
	s_delay_alu instid0(VALU_DEP_3) | instskip(NEXT) | instid1(VALU_DEP_3)
	v_add_f32_e32 v8, v8, v15
	v_cndmask_b32_e64 v10, 0, v34, s15
	v_cmp_nlt_f32_e64 s15, 0x42b17218, v13
	v_ldexp_f32 v38, v38, v69
	s_delay_alu instid0(TRANS32_DEP_1) | instskip(NEXT) | instid1(VALU_DEP_3)
	v_ldexp_f32 v26, v39, v71
	v_cndmask_b32_e64 v14, 0x7f800000, v9, s15
	v_cmp_ngt_f32_e64 s15, 0xc2ce8ed0, v28
	s_delay_alu instid0(VALU_DEP_2) | instskip(NEXT) | instid1(VALU_DEP_2)
	v_add_f32_e32 v8, v8, v14
	v_cndmask_b32_e64 v9, 0, v35, s15
	v_cmp_nlt_f32_e64 s15, 0x42b17218, v27
	s_delay_alu instid0(VALU_DEP_1) | instskip(SKIP_1) | instid1(VALU_DEP_2)
	v_cndmask_b32_e64 v13, 0x7f800000, v10, s15
	v_cmp_ngt_f32_e64 s15, 0xc2ce8ed0, v29
	v_add_f32_e32 v8, v8, v13
	s_delay_alu instid0(VALU_DEP_2) | instskip(SKIP_1) | instid1(VALU_DEP_1)
	v_cndmask_b32_e64 v10, 0, v36, s15
	v_cmp_nlt_f32_e64 s15, 0x42b17218, v28
	v_cndmask_b32_e64 v12, 0x7f800000, v9, s15
	v_cmp_ngt_f32_e64 s15, 0xc2ce8ed0, v30
	s_delay_alu instid0(VALU_DEP_2) | instskip(NEXT) | instid1(VALU_DEP_2)
	v_add_f32_e32 v8, v8, v12
	v_cndmask_b32_e64 v9, 0, v37, s15
	v_cmp_nlt_f32_e64 s15, 0x42b17218, v29
	s_delay_alu instid0(VALU_DEP_1) | instskip(SKIP_1) | instid1(VALU_DEP_2)
	v_cndmask_b32_e64 v11, 0x7f800000, v10, s15
	v_cmp_ngt_f32_e64 s15, 0xc2ce8ed0, v31
	v_add_f32_e32 v8, v8, v11
	s_delay_alu instid0(VALU_DEP_2) | instskip(SKIP_1) | instid1(VALU_DEP_1)
	v_cndmask_b32_e64 v25, 0, v38, s15
	v_cmp_nlt_f32_e64 s15, 0x42b17218, v30
	v_cndmask_b32_e64 v10, 0x7f800000, v9, s15
	v_cmp_nlt_f32_e64 s15, 0x42b17218, v31
	s_delay_alu instid0(VALU_DEP_2) | instskip(NEXT) | instid1(VALU_DEP_2)
	v_add_f32_e32 v8, v8, v10
	v_cndmask_b32_e64 v9, 0x7f800000, v25, s15
	v_cmp_ngt_f32_e64 s15, 0xc2ce8ed0, v24
	s_delay_alu instid0(VALU_DEP_1) | instskip(SKIP_1) | instid1(VALU_DEP_4)
	v_cndmask_b32_e64 v25, 0, v26, s15
	v_cmp_nlt_f32_e64 s15, 0x42b17218, v24
	v_add_f32_e32 v26, v8, v9
	s_delay_alu instid0(VALU_DEP_2) | instskip(NEXT) | instid1(VALU_DEP_1)
	v_cndmask_b32_e64 v8, 0x7f800000, v25, s15
	v_add_f32_e32 v24, v26, v8
	ds_bpermute_b32 v2, v2, v24
	s_waitcnt lgkmcnt(0)
	v_add_f32_e32 v2, v24, v2
	ds_bpermute_b32 v3, v3, v2
	s_waitcnt lgkmcnt(0)
	;; [unrolled: 3-line block ×4, first 2 shown]
	v_add_f32_e32 v2, v2, v3
	ds_bpermute_b32 v3, v7, v2
	v_cmpx_lt_i32_e32 0, v5
	s_cbranch_execz .LBB451_50
; %bb.33:
	s_and_b32 exec_lo, exec_lo, vcc_lo
	s_cbranch_execz .LBB451_50
; %bb.34:
	s_waitcnt lgkmcnt(0)
	v_add_f32_e32 v2, v2, v3
	v_lshlrev_b64 v[0:1], 2, v[0:1]
	s_delay_alu instid0(VALU_DEP_2) | instskip(SKIP_1) | instid1(VALU_DEP_2)
	v_div_scale_f32 v3, null, v2, v2, v23
	v_div_scale_f32 v6, vcc_lo, v23, v2, v23
	v_rcp_f32_e32 v4, v3
	s_waitcnt_depctr 0xfff
	v_fma_f32 v5, -v3, v4, 1.0
	s_delay_alu instid0(VALU_DEP_1) | instskip(NEXT) | instid1(VALU_DEP_1)
	v_fmac_f32_e32 v4, v5, v4
	v_mul_f32_e32 v5, v6, v4
	s_delay_alu instid0(VALU_DEP_1) | instskip(NEXT) | instid1(VALU_DEP_1)
	v_fma_f32 v7, -v3, v5, v6
	v_fmac_f32_e32 v5, v7, v4
	v_cmp_eq_f32_e64 s15, 0, v2
	s_delay_alu instid0(VALU_DEP_2) | instskip(NEXT) | instid1(VALU_DEP_1)
	v_fma_f32 v3, -v3, v5, v6
	v_div_fmas_f32 v3, v3, v4, v5
	v_add_co_u32 v0, vcc_lo, s16, v0
	v_add_co_ci_u32_e32 v1, vcc_lo, s17, v1, vcc_lo
	s_delay_alu instid0(VALU_DEP_3) | instskip(NEXT) | instid1(VALU_DEP_1)
	v_div_fixup_f32 v3, v3, v2, v23
	v_cndmask_b32_e64 v3, v3, 0x7fc00000, s15
	global_store_b32 v[0:1], v3, off
	s_and_b32 exec_lo, exec_lo, s14
	s_cbranch_execz .LBB451_50
; %bb.35:
	v_div_scale_f32 v3, null, v2, v2, v22
	s_delay_alu instid0(VALU_DEP_1) | instskip(SKIP_2) | instid1(VALU_DEP_1)
	v_rcp_f32_e32 v4, v3
	s_waitcnt_depctr 0xfff
	v_fma_f32 v5, -v3, v4, 1.0
	v_fmac_f32_e32 v4, v5, v4
	v_div_scale_f32 v5, vcc_lo, v22, v2, v22
	s_delay_alu instid0(VALU_DEP_1) | instskip(NEXT) | instid1(VALU_DEP_1)
	v_mul_f32_e32 v6, v5, v4
	v_fma_f32 v7, -v3, v6, v5
	s_delay_alu instid0(VALU_DEP_1) | instskip(NEXT) | instid1(VALU_DEP_1)
	v_fmac_f32_e32 v6, v7, v4
	v_fma_f32 v3, -v3, v6, v5
	s_delay_alu instid0(VALU_DEP_1) | instskip(NEXT) | instid1(VALU_DEP_1)
	v_div_fmas_f32 v3, v3, v4, v6
	v_div_fixup_f32 v3, v3, v2, v22
	s_delay_alu instid0(VALU_DEP_1)
	v_cndmask_b32_e64 v3, v3, 0x7fc00000, s15
	global_store_b32 v[0:1], v3, off offset:128
	s_and_b32 exec_lo, exec_lo, s13
	s_cbranch_execz .LBB451_50
; %bb.36:
	v_div_scale_f32 v3, null, v2, v2, v21
	s_delay_alu instid0(VALU_DEP_1) | instskip(SKIP_2) | instid1(VALU_DEP_1)
	v_rcp_f32_e32 v4, v3
	s_waitcnt_depctr 0xfff
	v_fma_f32 v5, -v3, v4, 1.0
	v_fmac_f32_e32 v4, v5, v4
	v_div_scale_f32 v5, vcc_lo, v21, v2, v21
	s_delay_alu instid0(VALU_DEP_1) | instskip(NEXT) | instid1(VALU_DEP_1)
	v_mul_f32_e32 v6, v5, v4
	v_fma_f32 v7, -v3, v6, v5
	s_delay_alu instid0(VALU_DEP_1) | instskip(NEXT) | instid1(VALU_DEP_1)
	v_fmac_f32_e32 v6, v7, v4
	v_fma_f32 v3, -v3, v6, v5
	s_delay_alu instid0(VALU_DEP_1) | instskip(NEXT) | instid1(VALU_DEP_1)
	v_div_fmas_f32 v3, v3, v4, v6
	v_div_fixup_f32 v3, v3, v2, v21
	s_delay_alu instid0(VALU_DEP_1)
	v_cndmask_b32_e64 v3, v3, 0x7fc00000, s15
	global_store_b32 v[0:1], v3, off offset:256
	;; [unrolled: 22-line block ×15, first 2 shown]
.LBB451_50:
	s_nop 0
	s_sendmsg sendmsg(MSG_DEALLOC_VGPRS)
	s_endpgm
	.section	.rodata,"a",@progbits
	.p2align	6, 0x0
	.amdhsa_kernel _ZN12_GLOBAL__N_120softmax_warp_forwardIN3c104HalfEffLi9ELb0ELb0ELi32EEEvPT0_PKT_iiiPKbib
		.amdhsa_group_segment_fixed_size 0
		.amdhsa_private_segment_fixed_size 0
		.amdhsa_kernarg_size 304
		.amdhsa_user_sgpr_count 15
		.amdhsa_user_sgpr_dispatch_ptr 0
		.amdhsa_user_sgpr_queue_ptr 0
		.amdhsa_user_sgpr_kernarg_segment_ptr 1
		.amdhsa_user_sgpr_dispatch_id 0
		.amdhsa_user_sgpr_private_segment_size 0
		.amdhsa_wavefront_size32 1
		.amdhsa_uses_dynamic_stack 0
		.amdhsa_enable_private_segment 0
		.amdhsa_system_sgpr_workgroup_id_x 1
		.amdhsa_system_sgpr_workgroup_id_y 0
		.amdhsa_system_sgpr_workgroup_id_z 0
		.amdhsa_system_sgpr_workgroup_info 0
		.amdhsa_system_vgpr_workitem_id 1
		.amdhsa_next_free_vgpr 72
		.amdhsa_next_free_sgpr 24
		.amdhsa_reserve_vcc 1
		.amdhsa_float_round_mode_32 0
		.amdhsa_float_round_mode_16_64 0
		.amdhsa_float_denorm_mode_32 3
		.amdhsa_float_denorm_mode_16_64 3
		.amdhsa_dx10_clamp 1
		.amdhsa_ieee_mode 1
		.amdhsa_fp16_overflow 0
		.amdhsa_workgroup_processor_mode 1
		.amdhsa_memory_ordered 1
		.amdhsa_forward_progress 0
		.amdhsa_shared_vgpr_count 0
		.amdhsa_exception_fp_ieee_invalid_op 0
		.amdhsa_exception_fp_denorm_src 0
		.amdhsa_exception_fp_ieee_div_zero 0
		.amdhsa_exception_fp_ieee_overflow 0
		.amdhsa_exception_fp_ieee_underflow 0
		.amdhsa_exception_fp_ieee_inexact 0
		.amdhsa_exception_int_div_zero 0
	.end_amdhsa_kernel
	.section	.text._ZN12_GLOBAL__N_120softmax_warp_forwardIN3c104HalfEffLi9ELb0ELb0ELi32EEEvPT0_PKT_iiiPKbib,"axG",@progbits,_ZN12_GLOBAL__N_120softmax_warp_forwardIN3c104HalfEffLi9ELb0ELb0ELi32EEEvPT0_PKT_iiiPKbib,comdat
.Lfunc_end451:
	.size	_ZN12_GLOBAL__N_120softmax_warp_forwardIN3c104HalfEffLi9ELb0ELb0ELi32EEEvPT0_PKT_iiiPKbib, .Lfunc_end451-_ZN12_GLOBAL__N_120softmax_warp_forwardIN3c104HalfEffLi9ELb0ELb0ELi32EEEvPT0_PKT_iiiPKbib
                                        ; -- End function
	.section	.AMDGPU.csdata,"",@progbits
; Kernel info:
; codeLenInByte = 5588
; NumSgprs: 26
; NumVgprs: 72
; ScratchSize: 0
; MemoryBound: 0
; FloatMode: 240
; IeeeMode: 1
; LDSByteSize: 0 bytes/workgroup (compile time only)
; SGPRBlocks: 3
; VGPRBlocks: 8
; NumSGPRsForWavesPerEU: 26
; NumVGPRsForWavesPerEU: 72
; Occupancy: 16
; WaveLimiterHint : 0
; COMPUTE_PGM_RSRC2:SCRATCH_EN: 0
; COMPUTE_PGM_RSRC2:USER_SGPR: 15
; COMPUTE_PGM_RSRC2:TRAP_HANDLER: 0
; COMPUTE_PGM_RSRC2:TGID_X_EN: 1
; COMPUTE_PGM_RSRC2:TGID_Y_EN: 0
; COMPUTE_PGM_RSRC2:TGID_Z_EN: 0
; COMPUTE_PGM_RSRC2:TIDIG_COMP_CNT: 1
	.section	.text._ZN12_GLOBAL__N_120softmax_warp_forwardIN3c104HalfEffLi10ELb0ELb0ELi64EEEvPT0_PKT_iiiPKbib,"axG",@progbits,_ZN12_GLOBAL__N_120softmax_warp_forwardIN3c104HalfEffLi10ELb0ELb0ELi64EEEvPT0_PKT_iiiPKbib,comdat
	.globl	_ZN12_GLOBAL__N_120softmax_warp_forwardIN3c104HalfEffLi10ELb0ELb0ELi64EEEvPT0_PKT_iiiPKbib ; -- Begin function _ZN12_GLOBAL__N_120softmax_warp_forwardIN3c104HalfEffLi10ELb0ELb0ELi64EEEvPT0_PKT_iiiPKbib
	.p2align	8
	.type	_ZN12_GLOBAL__N_120softmax_warp_forwardIN3c104HalfEffLi10ELb0ELb0ELi64EEEvPT0_PKT_iiiPKbib,@function
_ZN12_GLOBAL__N_120softmax_warp_forwardIN3c104HalfEffLi10ELb0ELb0ELi64EEEvPT0_PKT_iiiPKbib: ; @_ZN12_GLOBAL__N_120softmax_warp_forwardIN3c104HalfEffLi10ELb0ELb0ELi64EEEvPT0_PKT_iiiPKbib
; %bb.0:
	s_clause 0x1
	s_load_b32 s2, s[0:1], 0x3c
	s_load_b256 s[16:23], s[0:1], 0x0
	v_bfe_u32 v1, v0, 10, 10
	v_dual_mov_b32 v10, 0xff800000 :: v_dual_mov_b32 v9, 0xff800000
	s_waitcnt lgkmcnt(0)
	s_lshr_b32 s0, s2, 16
	s_delay_alu instid0(VALU_DEP_2) | instid1(SALU_CYCLE_1)
	v_mad_u64_u32 v[3:4], null, s15, s0, v[1:2]
	v_and_b32_e32 v2, 0x3ff, v0
	s_delay_alu instid0(VALU_DEP_1) | instskip(NEXT) | instid1(VALU_DEP_3)
	v_cmp_gt_i32_e32 vcc_lo, s22, v2
	v_mad_u64_u32 v[0:1], null, v3, s21, v[2:3]
	v_sub_nc_u32_e32 v5, s20, v3
	s_delay_alu instid0(VALU_DEP_1) | instskip(NEXT) | instid1(VALU_DEP_3)
	v_cmp_lt_i32_e64 s15, 0, v5
	v_ashrrev_i32_e32 v1, 31, v0
	s_delay_alu instid0(VALU_DEP_2) | instskip(NEXT) | instid1(VALU_DEP_1)
	s_and_b32 s1, s15, vcc_lo
	v_lshlrev_b64 v[3:4], 1, v[0:1]
	s_delay_alu instid0(VALU_DEP_1) | instskip(NEXT) | instid1(VALU_DEP_1)
	v_add_co_u32 v3, s0, s18, v3
	v_add_co_ci_u32_e64 v4, s0, s19, v4, s0
	s_and_saveexec_b32 s0, s1
	s_cbranch_execz .LBB452_2
; %bb.1:
	global_load_u16 v6, v[3:4], off
	s_waitcnt vmcnt(0)
	v_cvt_f32_f16_e32 v9, v6
.LBB452_2:
	s_or_b32 exec_lo, exec_lo, s0
	v_add_nc_u32_e32 v6, 64, v2
	s_delay_alu instid0(VALU_DEP_1) | instskip(NEXT) | instid1(VALU_DEP_1)
	v_cmp_gt_i32_e64 s14, s22, v6
	s_and_b32 s1, s15, s14
	s_delay_alu instid0(SALU_CYCLE_1)
	s_and_saveexec_b32 s0, s1
	s_cbranch_execz .LBB452_4
; %bb.3:
	global_load_u16 v6, v[3:4], off offset:128
	s_waitcnt vmcnt(0)
	v_cvt_f32_f16_e32 v10, v6
.LBB452_4:
	s_or_b32 exec_lo, exec_lo, s0
	v_add_nc_u32_e32 v6, 0x80, v2
	v_dual_mov_b32 v11, 0xff800000 :: v_dual_mov_b32 v18, 0xff800000
	s_delay_alu instid0(VALU_DEP_2) | instskip(NEXT) | instid1(VALU_DEP_1)
	v_cmp_gt_i32_e64 s13, s22, v6
	s_and_b32 s1, s15, s13
	s_delay_alu instid0(SALU_CYCLE_1)
	s_and_saveexec_b32 s0, s1
	s_cbranch_execz .LBB452_6
; %bb.5:
	global_load_u16 v6, v[3:4], off offset:256
	s_waitcnt vmcnt(0)
	v_cvt_f32_f16_e32 v18, v6
.LBB452_6:
	s_or_b32 exec_lo, exec_lo, s0
	v_add_nc_u32_e32 v6, 0xc0, v2
	s_delay_alu instid0(VALU_DEP_1) | instskip(NEXT) | instid1(VALU_DEP_1)
	v_cmp_gt_i32_e64 s12, s22, v6
	s_and_b32 s1, s15, s12
	s_delay_alu instid0(SALU_CYCLE_1)
	s_and_saveexec_b32 s0, s1
	s_cbranch_execz .LBB452_8
; %bb.7:
	global_load_u16 v6, v[3:4], off offset:384
	s_waitcnt vmcnt(0)
	v_cvt_f32_f16_e32 v11, v6
.LBB452_8:
	s_or_b32 exec_lo, exec_lo, s0
	v_add_nc_u32_e32 v6, 0x100, v2
	v_dual_mov_b32 v12, 0xff800000 :: v_dual_mov_b32 v19, 0xff800000
	s_delay_alu instid0(VALU_DEP_2) | instskip(NEXT) | instid1(VALU_DEP_1)
	v_cmp_gt_i32_e64 s11, s22, v6
	s_and_b32 s1, s15, s11
	s_delay_alu instid0(SALU_CYCLE_1)
	s_and_saveexec_b32 s0, s1
	s_cbranch_execz .LBB452_10
; %bb.9:
	global_load_u16 v6, v[3:4], off offset:512
	s_waitcnt vmcnt(0)
	v_cvt_f32_f16_e32 v19, v6
.LBB452_10:
	;; [unrolled: 27-line block ×7, first 2 shown]
	s_or_b32 exec_lo, exec_lo, s0
	v_add_nc_u32_e32 v2, 0x3c0, v2
	s_delay_alu instid0(VALU_DEP_1) | instskip(NEXT) | instid1(VALU_DEP_1)
	v_cmp_gt_i32_e64 s0, s22, v2
	s_and_b32 s18, s15, s0
	s_delay_alu instid0(SALU_CYCLE_1)
	s_and_saveexec_b32 s15, s18
	s_cbranch_execz .LBB452_32
; %bb.31:
	global_load_u16 v2, v[3:4], off offset:1920
	s_waitcnt vmcnt(0)
	v_cvt_f32_f16_e32 v17, v2
.LBB452_32:
	s_or_b32 exec_lo, exec_lo, s15
	v_cmp_gt_f32_e64 s15, v9, v10
	v_mbcnt_lo_u32_b32 v8, -1, 0
	s_mov_b32 s18, exec_lo
	s_delay_alu instid0(VALU_DEP_2) | instskip(NEXT) | instid1(VALU_DEP_2)
	v_cndmask_b32_e64 v2, v10, v9, s15
	v_or_b32_e32 v3, 32, v8
	v_xor_b32_e32 v27, 1, v8
	s_delay_alu instid0(VALU_DEP_3) | instskip(NEXT) | instid1(VALU_DEP_1)
	v_cmp_gt_f32_e64 s15, v2, v18
	v_cndmask_b32_e64 v2, v18, v2, s15
	s_delay_alu instid0(VALU_DEP_1) | instskip(NEXT) | instid1(VALU_DEP_1)
	v_cmp_gt_f32_e64 s15, v2, v11
	v_cndmask_b32_e64 v2, v11, v2, s15
	s_delay_alu instid0(VALU_DEP_1) | instskip(NEXT) | instid1(VALU_DEP_1)
	;; [unrolled: 3-line block ×11, first 2 shown]
	v_cmp_gt_f32_e64 s15, v2, v16
	v_cndmask_b32_e64 v2, v16, v2, s15
	v_cmp_gt_i32_e64 s15, 64, v3
	s_delay_alu instid0(VALU_DEP_1) | instskip(NEXT) | instid1(VALU_DEP_3)
	v_cndmask_b32_e64 v3, v8, v3, s15
	v_cmp_gt_f32_e64 s15, v2, v24
	s_delay_alu instid0(VALU_DEP_1) | instskip(NEXT) | instid1(VALU_DEP_3)
	v_cndmask_b32_e64 v4, v24, v2, s15
	v_lshlrev_b32_e32 v2, 2, v3
	v_xor_b32_e32 v3, 16, v8
	s_delay_alu instid0(VALU_DEP_3) | instskip(NEXT) | instid1(VALU_DEP_1)
	v_cmp_gt_f32_e64 s15, v4, v17
	v_cndmask_b32_e64 v4, v17, v4, s15
	s_delay_alu instid0(VALU_DEP_3) | instskip(SKIP_2) | instid1(VALU_DEP_1)
	v_cmp_gt_i32_e64 s15, 64, v3
	ds_bpermute_b32 v6, v2, v4
	v_cndmask_b32_e64 v3, v8, v3, s15
	v_lshlrev_b32_e32 v3, 2, v3
	s_waitcnt lgkmcnt(0)
	v_cmp_lt_f32_e64 s15, v4, v6
	s_delay_alu instid0(VALU_DEP_1) | instskip(SKIP_3) | instid1(VALU_DEP_1)
	v_cndmask_b32_e64 v6, v4, v6, s15
	v_xor_b32_e32 v4, 8, v8
	ds_bpermute_b32 v7, v3, v6
	v_cmp_gt_i32_e64 s15, 64, v4
	v_cndmask_b32_e64 v4, v8, v4, s15
	s_delay_alu instid0(VALU_DEP_1) | instskip(SKIP_2) | instid1(VALU_DEP_1)
	v_lshlrev_b32_e32 v4, 2, v4
	s_waitcnt lgkmcnt(0)
	v_cmp_lt_f32_e64 s15, v6, v7
	v_cndmask_b32_e64 v7, v6, v7, s15
	v_xor_b32_e32 v6, 4, v8
	ds_bpermute_b32 v25, v4, v7
	v_cmp_gt_i32_e64 s15, 64, v6
	s_delay_alu instid0(VALU_DEP_1) | instskip(NEXT) | instid1(VALU_DEP_1)
	v_cndmask_b32_e64 v6, v8, v6, s15
	v_lshlrev_b32_e32 v6, 2, v6
	s_waitcnt lgkmcnt(0)
	v_cmp_lt_f32_e64 s15, v7, v25
	s_delay_alu instid0(VALU_DEP_1) | instskip(SKIP_3) | instid1(VALU_DEP_1)
	v_cndmask_b32_e64 v25, v7, v25, s15
	v_xor_b32_e32 v7, 2, v8
	ds_bpermute_b32 v26, v6, v25
	v_cmp_gt_i32_e64 s15, 64, v7
	v_cndmask_b32_e64 v7, v8, v7, s15
	s_delay_alu instid0(VALU_DEP_1) | instskip(SKIP_2) | instid1(VALU_DEP_1)
	v_lshlrev_b32_e32 v7, 2, v7
	s_waitcnt lgkmcnt(0)
	v_cmp_lt_f32_e64 s15, v25, v26
	v_cndmask_b32_e64 v25, v25, v26, s15
	v_cmp_gt_i32_e64 s15, 64, v27
	ds_bpermute_b32 v26, v7, v25
	v_cndmask_b32_e64 v8, v8, v27, s15
	s_delay_alu instid0(VALU_DEP_1) | instskip(SKIP_2) | instid1(VALU_DEP_1)
	v_lshlrev_b32_e32 v8, 2, v8
	s_waitcnt lgkmcnt(0)
	v_cmp_lt_f32_e64 s15, v25, v26
	v_cndmask_b32_e64 v25, v25, v26, s15
	ds_bpermute_b32 v26, v8, v25
	s_waitcnt lgkmcnt(0)
	v_cmp_lt_f32_e64 s15, v25, v26
	s_delay_alu instid0(VALU_DEP_1) | instskip(NEXT) | instid1(VALU_DEP_1)
	v_cndmask_b32_e64 v25, v25, v26, s15
	v_sub_f32_e32 v13, v13, v25
	v_sub_f32_e32 v10, v10, v25
	;; [unrolled: 1-line block ×8, first 2 shown]
	v_dual_sub_f32 v31, v16, v25 :: v_dual_mul_f32 v16, 0x3fb8aa3b, v10
	v_sub_f32_e32 v28, v22, v25
	v_sub_f32_e32 v11, v11, v25
	s_delay_alu instid0(VALU_DEP_4) | instskip(SKIP_1) | instid1(VALU_DEP_4)
	v_mul_f32_e32 v33, 0x3fb8aa3b, v27
	v_sub_f32_e32 v29, v15, v25
	v_dual_sub_f32 v30, v23, v25 :: v_dual_mul_f32 v35, 0x3fb8aa3b, v28
	v_dual_sub_f32 v32, v24, v25 :: v_dual_mul_f32 v21, 0x3fb8aa3b, v19
	;; [unrolled: 1-line block ×3, first 2 shown]
	v_sub_f32_e32 v25, v17, v25
	v_dual_mul_f32 v17, 0x3fb8aa3b, v18 :: v_dual_mul_f32 v22, 0x3fb8aa3b, v12
	s_delay_alu instid0(VALU_DEP_3)
	v_dual_mul_f32 v34, 0x3fb8aa3b, v14 :: v_dual_mul_f32 v15, 0x3fb8aa3b, v9
	v_mul_f32_e32 v38, 0x3fb8aa3b, v31
	v_mul_f32_e32 v20, 0x3fb8aa3b, v11
	v_fma_f32 v43, 0x3fb8aa3b, v10, -v16
	v_rndne_f32_e32 v44, v16
	v_fma_f32 v41, 0x3fb8aa3b, v9, -v15
	v_rndne_f32_e32 v42, v15
	v_mul_f32_e32 v36, 0x3fb8aa3b, v29
	v_fma_f32 v45, 0x3fb8aa3b, v18, -v17
	v_rndne_f32_e32 v46, v17
	v_dual_fmac_f32 v41, 0x32a5705f, v9 :: v_dual_sub_f32 v16, v16, v44
	v_sub_f32_e32 v15, v15, v42
	v_rndne_f32_e32 v48, v20
	v_fma_f32 v51, 0x3fb8aa3b, v12, -v22
	v_fmac_f32_e32 v43, 0x32a5705f, v10
	v_mul_f32_e32 v37, 0x3fb8aa3b, v30
	v_add_f32_e32 v15, v15, v41
	v_dual_mul_f32 v24, 0x3fb8aa3b, v13 :: v_dual_mul_f32 v39, 0x3fb8aa3b, v32
	v_dual_mul_f32 v40, 0x3fb8aa3b, v25 :: v_dual_sub_f32 v17, v17, v46
	v_fma_f32 v47, 0x3fb8aa3b, v11, -v20
	v_rndne_f32_e32 v52, v22
	v_dual_fmac_f32 v45, 0x32a5705f, v18 :: v_dual_sub_f32 v20, v20, v48
	v_dual_fmac_f32 v51, 0x32a5705f, v12 :: v_dual_add_f32 v16, v16, v43
	v_exp_f32_e32 v15, v15
	v_fma_f32 v55, 0x3fb8aa3b, v13, -v24
	v_rndne_f32_e32 v56, v24
	v_cvt_i32_f32_e32 v42, v42
	v_dual_sub_f32 v22, v22, v52 :: v_dual_add_f32 v17, v17, v45
	v_exp_f32_e32 v16, v16
	v_fma_f32 v53, 0x3fb8aa3b, v26, -v23
	v_rndne_f32_e32 v54, v23
	v_fma_f32 v59, 0x3fb8aa3b, v14, -v34
	v_cvt_i32_f32_e32 v44, v44
	v_dual_fmac_f32 v47, 0x32a5705f, v11 :: v_dual_sub_f32 v24, v24, v56
	v_fmac_f32_e32 v55, 0x32a5705f, v13
	v_exp_f32_e32 v17, v17
	v_ldexp_f32 v15, v15, v42
	s_delay_alu instid0(VALU_DEP_3)
	v_add_f32_e32 v20, v20, v47
	v_cmp_ngt_f32_e64 s15, 0xc2ce8ed0, v9
	v_rndne_f32_e32 v68, v38
	v_rndne_f32_e32 v72, v40
	v_cvt_i32_f32_e32 v46, v46
	v_fmac_f32_e32 v53, 0x32a5705f, v26
	v_sub_f32_e32 v23, v23, v54
	v_dual_fmac_f32 v59, 0x32a5705f, v14 :: v_dual_add_f32 v24, v24, v55
	v_ldexp_f32 v16, v16, v44
	v_cndmask_b32_e64 v15, 0, v15, s15
	v_cmp_ngt_f32_e64 s15, 0xc2ce8ed0, v10
	v_fma_f32 v49, 0x3fb8aa3b, v19, -v21
	v_rndne_f32_e32 v50, v21
	v_fma_f32 v67, 0x3fb8aa3b, v31, -v38
	v_fma_f32 v71, 0x3fb8aa3b, v25, -v40
	v_sub_f32_e32 v38, v38, v68
	v_dual_sub_f32 v40, v40, v72 :: v_dual_add_f32 v23, v23, v53
	v_exp_f32_e32 v24, v24
	v_ldexp_f32 v17, v17, v46
	v_cndmask_b32_e64 v16, 0, v16, s15
	v_cmp_ngt_f32_e64 s15, 0xc2ce8ed0, v18
	v_rndne_f32_e32 v58, v33
	v_rndne_f32_e32 v60, v34
	;; [unrolled: 1-line block ×3, first 2 shown]
	v_fmac_f32_e32 v49, 0x32a5705f, v19
	v_sub_f32_e32 v21, v21, v50
	v_cvt_i32_f32_e32 v56, v56
	v_exp_f32_e32 v20, v20
	v_exp_f32_e32 v23, v23
	v_cndmask_b32_e64 v17, 0, v17, s15
	v_cmp_nlt_f32_e64 s15, 0x42b17218, v9
	v_fma_f32 v57, 0x3fb8aa3b, v27, -v33
	v_fma_f32 v63, 0x3fb8aa3b, v29, -v36
	v_sub_f32_e32 v36, v36, v64
	v_cvt_i32_f32_e32 v48, v48
	v_cvt_i32_f32_e32 v54, v54
	v_dual_sub_f32 v33, v33, v58 :: v_dual_add_f32 v22, v22, v51
	v_dual_sub_f32 v34, v34, v60 :: v_dual_add_f32 v21, v21, v49
	v_ldexp_f32 v43, v24, v56
	v_cndmask_b32_e64 v24, 0x7f800000, v15, s15
	v_cmp_nlt_f32_e64 s15, 0x42b17218, v10
	v_exp_f32_e32 v22, v22
	v_exp_f32_e32 v21, v21
	v_ldexp_f32 v20, v20, v48
	v_ldexp_f32 v42, v23, v54
	v_cndmask_b32_e64 v23, 0x7f800000, v16, s15
	v_cmp_ngt_f32_e64 s15, 0xc2ce8ed0, v11
	v_cvt_i32_f32_e32 v50, v50
	v_cvt_i32_f32_e32 v52, v52
	v_rndne_f32_e32 v66, v37
	v_fma_f32 v65, 0x3fb8aa3b, v30, -v37
	v_cndmask_b32_e64 v9, 0, v20, s15
	v_cmp_nlt_f32_e64 s15, 0x42b17218, v18
	v_ldexp_f32 v21, v21, v50
	v_ldexp_f32 v41, v22, v52
	v_dual_sub_f32 v37, v37, v66 :: v_dual_add_f32 v10, v24, v23
	s_delay_alu instid0(VALU_DEP_4)
	v_cndmask_b32_e64 v22, 0x7f800000, v17, s15
	v_cmp_ngt_f32_e64 s15, 0xc2ce8ed0, v19
	v_fmac_f32_e32 v57, 0x32a5705f, v27
	v_fma_f32 v61, 0x3fb8aa3b, v28, -v35
	v_rndne_f32_e32 v62, v35
	v_cvt_i32_f32_e32 v58, v58
	v_cndmask_b32_e64 v15, 0, v21, s15
	v_cmp_nlt_f32_e64 s15, 0x42b17218, v11
	v_add_f32_e32 v33, v33, v57
	v_dual_fmac_f32 v61, 0x32a5705f, v28 :: v_dual_add_f32 v34, v34, v59
	v_fmac_f32_e32 v67, 0x32a5705f, v31
	s_delay_alu instid0(VALU_DEP_4) | instskip(SKIP_4) | instid1(VALU_DEP_3)
	v_cndmask_b32_e64 v21, 0x7f800000, v9, s15
	v_cmp_ngt_f32_e64 s15, 0xc2ce8ed0, v12
	v_add_f32_e32 v9, v10, v22
	v_exp_f32_e32 v33, v33
	v_dual_fmac_f32 v63, 0x32a5705f, v29 :: v_dual_add_f32 v38, v38, v67
	v_cndmask_b32_e64 v10, 0, v41, s15
	v_cmp_nlt_f32_e64 s15, 0x42b17218, v19
	s_delay_alu instid0(VALU_DEP_3) | instskip(SKIP_2) | instid1(VALU_DEP_3)
	v_dual_sub_f32 v35, v35, v62 :: v_dual_add_f32 v36, v36, v63
	v_exp_f32_e32 v34, v34
	v_cvt_i32_f32_e32 v60, v60
	v_cndmask_b32_e64 v20, 0x7f800000, v15, s15
	v_cmp_ngt_f32_e64 s15, 0xc2ce8ed0, v26
	s_delay_alu instid0(TRANS32_DEP_2)
	v_ldexp_f32 v33, v33, v58
	v_add_f32_e32 v35, v35, v61
	v_cvt_i32_f32_e32 v62, v62
	v_fmac_f32_e32 v71, 0x32a5705f, v25
	v_cndmask_b32_e64 v11, 0, v42, s15
	v_cmp_nlt_f32_e64 s15, 0x42b17218, v12
	v_exp_f32_e32 v35, v35
	v_ldexp_f32 v34, v34, v60
	v_dual_fmac_f32 v65, 0x32a5705f, v30 :: v_dual_add_f32 v40, v40, v71
	s_delay_alu instid0(VALU_DEP_3)
	v_cndmask_b32_e64 v19, 0x7f800000, v10, s15
	v_cmp_ngt_f32_e64 s15, 0xc2ce8ed0, v13
	v_exp_f32_e32 v36, v36
	v_cvt_i32_f32_e32 v64, v64
	v_add_f32_e32 v37, v37, v65
	v_add_f32_e32 v9, v9, v21
	v_cndmask_b32_e64 v10, 0, v43, s15
	v_cmp_nlt_f32_e64 s15, 0x42b17218, v26
	v_ldexp_f32 v35, v35, v62
	v_exp_f32_e32 v37, v37
	v_fma_f32 v69, 0x3fb8aa3b, v32, -v39
	v_rndne_f32_e32 v70, v39
	v_cndmask_b32_e64 v18, 0x7f800000, v11, s15
	v_cmp_ngt_f32_e64 s15, 0xc2ce8ed0, v27
	v_ldexp_f32 v36, v36, v64
	v_cvt_i32_f32_e32 v66, v66
	v_add_f32_e32 v9, v9, v20
	v_fmac_f32_e32 v69, 0x32a5705f, v32
	v_cndmask_b32_e64 v11, 0, v33, s15
	v_cmp_nlt_f32_e64 s15, 0x42b17218, v13
	v_sub_f32_e32 v39, v39, v70
	v_exp_f32_e32 v38, v38
	v_ldexp_f32 v37, v37, v66
	v_add_f32_e32 v9, v9, v19
	v_cndmask_b32_e64 v17, 0x7f800000, v10, s15
	v_cmp_ngt_f32_e64 s15, 0xc2ce8ed0, v14
	v_cvt_i32_f32_e32 v68, v68
	v_add_f32_e32 v39, v39, v69
	v_add_f32_e32 v9, v9, v18
	v_cvt_i32_f32_e32 v70, v70
	v_cndmask_b32_e64 v10, 0, v34, s15
	v_cmp_nlt_f32_e64 s15, 0x42b17218, v27
	v_exp_f32_e32 v39, v39
	v_ldexp_f32 v38, v38, v68
	v_add_f32_e32 v9, v9, v17
	v_exp_f32_e32 v40, v40
	v_cndmask_b32_e64 v16, 0x7f800000, v11, s15
	v_cmp_ngt_f32_e64 s15, 0xc2ce8ed0, v28
	v_cvt_i32_f32_e32 v72, v72
	s_delay_alu instid0(VALU_DEP_3) | instskip(NEXT) | instid1(VALU_DEP_3)
	v_add_f32_e32 v9, v9, v16
	v_cndmask_b32_e64 v11, 0, v35, s15
	v_cmp_nlt_f32_e64 s15, 0x42b17218, v14
	v_ldexp_f32 v39, v39, v70
	s_delay_alu instid0(TRANS32_DEP_1) | instskip(NEXT) | instid1(VALU_DEP_3)
	v_ldexp_f32 v27, v40, v72
	v_cndmask_b32_e64 v15, 0x7f800000, v10, s15
	v_cmp_ngt_f32_e64 s15, 0xc2ce8ed0, v29
	s_delay_alu instid0(VALU_DEP_2) | instskip(NEXT) | instid1(VALU_DEP_2)
	v_add_f32_e32 v9, v9, v15
	v_cndmask_b32_e64 v10, 0, v36, s15
	v_cmp_nlt_f32_e64 s15, 0x42b17218, v28
	s_delay_alu instid0(VALU_DEP_1) | instskip(SKIP_1) | instid1(VALU_DEP_2)
	v_cndmask_b32_e64 v14, 0x7f800000, v11, s15
	v_cmp_ngt_f32_e64 s15, 0xc2ce8ed0, v30
	v_add_f32_e32 v9, v9, v14
	s_delay_alu instid0(VALU_DEP_2) | instskip(SKIP_1) | instid1(VALU_DEP_1)
	v_cndmask_b32_e64 v11, 0, v37, s15
	v_cmp_nlt_f32_e64 s15, 0x42b17218, v29
	v_cndmask_b32_e64 v13, 0x7f800000, v10, s15
	v_cmp_ngt_f32_e64 s15, 0xc2ce8ed0, v31
	s_delay_alu instid0(VALU_DEP_2) | instskip(NEXT) | instid1(VALU_DEP_2)
	v_add_f32_e32 v9, v9, v13
	v_cndmask_b32_e64 v10, 0, v38, s15
	v_cmp_nlt_f32_e64 s15, 0x42b17218, v30
	s_delay_alu instid0(VALU_DEP_1) | instskip(SKIP_1) | instid1(VALU_DEP_2)
	v_cndmask_b32_e64 v12, 0x7f800000, v11, s15
	v_cmp_ngt_f32_e64 s15, 0xc2ce8ed0, v32
	v_add_f32_e32 v9, v9, v12
	s_delay_alu instid0(VALU_DEP_2) | instskip(SKIP_1) | instid1(VALU_DEP_1)
	v_cndmask_b32_e64 v26, 0, v39, s15
	v_cmp_nlt_f32_e64 s15, 0x42b17218, v31
	v_cndmask_b32_e64 v11, 0x7f800000, v10, s15
	v_cmp_nlt_f32_e64 s15, 0x42b17218, v32
	s_delay_alu instid0(VALU_DEP_2) | instskip(NEXT) | instid1(VALU_DEP_2)
	v_add_f32_e32 v9, v9, v11
	v_cndmask_b32_e64 v10, 0x7f800000, v26, s15
	v_cmp_ngt_f32_e64 s15, 0xc2ce8ed0, v25
	s_delay_alu instid0(VALU_DEP_1) | instskip(SKIP_1) | instid1(VALU_DEP_4)
	v_cndmask_b32_e64 v26, 0, v27, s15
	v_cmp_nlt_f32_e64 s15, 0x42b17218, v25
	v_add_f32_e32 v27, v9, v10
	s_delay_alu instid0(VALU_DEP_2) | instskip(NEXT) | instid1(VALU_DEP_1)
	v_cndmask_b32_e64 v9, 0x7f800000, v26, s15
	v_add_f32_e32 v25, v27, v9
	ds_bpermute_b32 v2, v2, v25
	s_waitcnt lgkmcnt(0)
	v_add_f32_e32 v2, v25, v2
	ds_bpermute_b32 v3, v3, v2
	s_waitcnt lgkmcnt(0)
	;; [unrolled: 3-line block ×5, first 2 shown]
	v_add_f32_e32 v2, v2, v3
	ds_bpermute_b32 v3, v8, v2
	v_cmpx_lt_i32_e32 0, v5
	s_cbranch_execz .LBB452_50
; %bb.33:
	s_and_b32 exec_lo, exec_lo, vcc_lo
	s_cbranch_execz .LBB452_50
; %bb.34:
	s_waitcnt lgkmcnt(0)
	v_add_f32_e32 v2, v2, v3
	v_lshlrev_b64 v[0:1], 2, v[0:1]
	s_delay_alu instid0(VALU_DEP_2) | instskip(SKIP_1) | instid1(VALU_DEP_2)
	v_div_scale_f32 v3, null, v2, v2, v24
	v_div_scale_f32 v6, vcc_lo, v24, v2, v24
	v_rcp_f32_e32 v4, v3
	s_waitcnt_depctr 0xfff
	v_fma_f32 v5, -v3, v4, 1.0
	s_delay_alu instid0(VALU_DEP_1) | instskip(NEXT) | instid1(VALU_DEP_1)
	v_fmac_f32_e32 v4, v5, v4
	v_mul_f32_e32 v5, v6, v4
	s_delay_alu instid0(VALU_DEP_1) | instskip(NEXT) | instid1(VALU_DEP_1)
	v_fma_f32 v7, -v3, v5, v6
	v_fmac_f32_e32 v5, v7, v4
	v_cmp_eq_f32_e64 s15, 0, v2
	s_delay_alu instid0(VALU_DEP_2) | instskip(NEXT) | instid1(VALU_DEP_1)
	v_fma_f32 v3, -v3, v5, v6
	v_div_fmas_f32 v3, v3, v4, v5
	v_add_co_u32 v0, vcc_lo, s16, v0
	v_add_co_ci_u32_e32 v1, vcc_lo, s17, v1, vcc_lo
	s_delay_alu instid0(VALU_DEP_3) | instskip(NEXT) | instid1(VALU_DEP_1)
	v_div_fixup_f32 v3, v3, v2, v24
	v_cndmask_b32_e64 v3, v3, 0x7fc00000, s15
	global_store_b32 v[0:1], v3, off
	s_and_b32 exec_lo, exec_lo, s14
	s_cbranch_execz .LBB452_50
; %bb.35:
	v_div_scale_f32 v3, null, v2, v2, v23
	s_delay_alu instid0(VALU_DEP_1) | instskip(SKIP_2) | instid1(VALU_DEP_1)
	v_rcp_f32_e32 v4, v3
	s_waitcnt_depctr 0xfff
	v_fma_f32 v5, -v3, v4, 1.0
	v_fmac_f32_e32 v4, v5, v4
	v_div_scale_f32 v5, vcc_lo, v23, v2, v23
	s_delay_alu instid0(VALU_DEP_1) | instskip(NEXT) | instid1(VALU_DEP_1)
	v_mul_f32_e32 v6, v5, v4
	v_fma_f32 v7, -v3, v6, v5
	s_delay_alu instid0(VALU_DEP_1) | instskip(NEXT) | instid1(VALU_DEP_1)
	v_fmac_f32_e32 v6, v7, v4
	v_fma_f32 v3, -v3, v6, v5
	s_delay_alu instid0(VALU_DEP_1) | instskip(NEXT) | instid1(VALU_DEP_1)
	v_div_fmas_f32 v3, v3, v4, v6
	v_div_fixup_f32 v3, v3, v2, v23
	s_delay_alu instid0(VALU_DEP_1)
	v_cndmask_b32_e64 v3, v3, 0x7fc00000, s15
	global_store_b32 v[0:1], v3, off offset:256
	s_and_b32 exec_lo, exec_lo, s13
	s_cbranch_execz .LBB452_50
; %bb.36:
	v_div_scale_f32 v3, null, v2, v2, v22
	s_delay_alu instid0(VALU_DEP_1) | instskip(SKIP_2) | instid1(VALU_DEP_1)
	v_rcp_f32_e32 v4, v3
	s_waitcnt_depctr 0xfff
	v_fma_f32 v5, -v3, v4, 1.0
	v_fmac_f32_e32 v4, v5, v4
	v_div_scale_f32 v5, vcc_lo, v22, v2, v22
	s_delay_alu instid0(VALU_DEP_1) | instskip(NEXT) | instid1(VALU_DEP_1)
	v_mul_f32_e32 v6, v5, v4
	v_fma_f32 v7, -v3, v6, v5
	s_delay_alu instid0(VALU_DEP_1) | instskip(NEXT) | instid1(VALU_DEP_1)
	v_fmac_f32_e32 v6, v7, v4
	v_fma_f32 v3, -v3, v6, v5
	s_delay_alu instid0(VALU_DEP_1) | instskip(NEXT) | instid1(VALU_DEP_1)
	v_div_fmas_f32 v3, v3, v4, v6
	v_div_fixup_f32 v3, v3, v2, v22
	s_delay_alu instid0(VALU_DEP_1)
	v_cndmask_b32_e64 v3, v3, 0x7fc00000, s15
	global_store_b32 v[0:1], v3, off offset:512
	;; [unrolled: 22-line block ×15, first 2 shown]
.LBB452_50:
	s_nop 0
	s_sendmsg sendmsg(MSG_DEALLOC_VGPRS)
	s_endpgm
	.section	.rodata,"a",@progbits
	.p2align	6, 0x0
	.amdhsa_kernel _ZN12_GLOBAL__N_120softmax_warp_forwardIN3c104HalfEffLi10ELb0ELb0ELi64EEEvPT0_PKT_iiiPKbib
		.amdhsa_group_segment_fixed_size 0
		.amdhsa_private_segment_fixed_size 0
		.amdhsa_kernarg_size 304
		.amdhsa_user_sgpr_count 15
		.amdhsa_user_sgpr_dispatch_ptr 0
		.amdhsa_user_sgpr_queue_ptr 0
		.amdhsa_user_sgpr_kernarg_segment_ptr 1
		.amdhsa_user_sgpr_dispatch_id 0
		.amdhsa_user_sgpr_private_segment_size 0
		.amdhsa_wavefront_size32 1
		.amdhsa_uses_dynamic_stack 0
		.amdhsa_enable_private_segment 0
		.amdhsa_system_sgpr_workgroup_id_x 1
		.amdhsa_system_sgpr_workgroup_id_y 0
		.amdhsa_system_sgpr_workgroup_id_z 0
		.amdhsa_system_sgpr_workgroup_info 0
		.amdhsa_system_vgpr_workitem_id 1
		.amdhsa_next_free_vgpr 73
		.amdhsa_next_free_sgpr 24
		.amdhsa_reserve_vcc 1
		.amdhsa_float_round_mode_32 0
		.amdhsa_float_round_mode_16_64 0
		.amdhsa_float_denorm_mode_32 3
		.amdhsa_float_denorm_mode_16_64 3
		.amdhsa_dx10_clamp 1
		.amdhsa_ieee_mode 1
		.amdhsa_fp16_overflow 0
		.amdhsa_workgroup_processor_mode 1
		.amdhsa_memory_ordered 1
		.amdhsa_forward_progress 0
		.amdhsa_shared_vgpr_count 0
		.amdhsa_exception_fp_ieee_invalid_op 0
		.amdhsa_exception_fp_denorm_src 0
		.amdhsa_exception_fp_ieee_div_zero 0
		.amdhsa_exception_fp_ieee_overflow 0
		.amdhsa_exception_fp_ieee_underflow 0
		.amdhsa_exception_fp_ieee_inexact 0
		.amdhsa_exception_int_div_zero 0
	.end_amdhsa_kernel
	.section	.text._ZN12_GLOBAL__N_120softmax_warp_forwardIN3c104HalfEffLi10ELb0ELb0ELi64EEEvPT0_PKT_iiiPKbib,"axG",@progbits,_ZN12_GLOBAL__N_120softmax_warp_forwardIN3c104HalfEffLi10ELb0ELb0ELi64EEEvPT0_PKT_iiiPKbib,comdat
.Lfunc_end452:
	.size	_ZN12_GLOBAL__N_120softmax_warp_forwardIN3c104HalfEffLi10ELb0ELb0ELi64EEEvPT0_PKT_iiiPKbib, .Lfunc_end452-_ZN12_GLOBAL__N_120softmax_warp_forwardIN3c104HalfEffLi10ELb0ELb0ELi64EEEvPT0_PKT_iiiPKbib
                                        ; -- End function
	.section	.AMDGPU.csdata,"",@progbits
; Kernel info:
; codeLenInByte = 5664
; NumSgprs: 26
; NumVgprs: 73
; ScratchSize: 0
; MemoryBound: 0
; FloatMode: 240
; IeeeMode: 1
; LDSByteSize: 0 bytes/workgroup (compile time only)
; SGPRBlocks: 3
; VGPRBlocks: 9
; NumSGPRsForWavesPerEU: 26
; NumVGPRsForWavesPerEU: 73
; Occupancy: 16
; WaveLimiterHint : 0
; COMPUTE_PGM_RSRC2:SCRATCH_EN: 0
; COMPUTE_PGM_RSRC2:USER_SGPR: 15
; COMPUTE_PGM_RSRC2:TRAP_HANDLER: 0
; COMPUTE_PGM_RSRC2:TGID_X_EN: 1
; COMPUTE_PGM_RSRC2:TGID_Y_EN: 0
; COMPUTE_PGM_RSRC2:TGID_Z_EN: 0
; COMPUTE_PGM_RSRC2:TIDIG_COMP_CNT: 1
	.section	.text._ZN12_GLOBAL__N_120softmax_warp_forwardIN3c104HalfEffLi10ELb0ELb0ELi32EEEvPT0_PKT_iiiPKbib,"axG",@progbits,_ZN12_GLOBAL__N_120softmax_warp_forwardIN3c104HalfEffLi10ELb0ELb0ELi32EEEvPT0_PKT_iiiPKbib,comdat
	.globl	_ZN12_GLOBAL__N_120softmax_warp_forwardIN3c104HalfEffLi10ELb0ELb0ELi32EEEvPT0_PKT_iiiPKbib ; -- Begin function _ZN12_GLOBAL__N_120softmax_warp_forwardIN3c104HalfEffLi10ELb0ELb0ELi32EEEvPT0_PKT_iiiPKbib
	.p2align	8
	.type	_ZN12_GLOBAL__N_120softmax_warp_forwardIN3c104HalfEffLi10ELb0ELb0ELi32EEEvPT0_PKT_iiiPKbib,@function
_ZN12_GLOBAL__N_120softmax_warp_forwardIN3c104HalfEffLi10ELb0ELb0ELi32EEEvPT0_PKT_iiiPKbib: ; @_ZN12_GLOBAL__N_120softmax_warp_forwardIN3c104HalfEffLi10ELb0ELb0ELi32EEEvPT0_PKT_iiiPKbib
; %bb.0:
	s_clause 0x1
	s_load_b32 s2, s[0:1], 0x3c
	s_load_b256 s[36:43], s[0:1], 0x0
	v_bfe_u32 v1, v0, 10, 10
	v_mov_b32_e32 v18, 0xff800000
	v_mov_b32_e32 v26, 0xff800000
	s_waitcnt lgkmcnt(0)
	s_lshr_b32 s0, s2, 16
	s_delay_alu instid0(SALU_CYCLE_1) | instskip(SKIP_1) | instid1(VALU_DEP_1)
	v_mad_u64_u32 v[3:4], null, s15, s0, v[1:2]
	v_and_b32_e32 v2, 0x3ff, v0
	v_cmp_gt_i32_e32 vcc_lo, s42, v2
	s_delay_alu instid0(VALU_DEP_3) | instskip(SKIP_1) | instid1(VALU_DEP_1)
	v_mad_u64_u32 v[0:1], null, v3, s41, v[2:3]
	v_sub_nc_u32_e32 v5, s40, v3
	v_cmp_lt_i32_e64 s31, 0, v5
	s_delay_alu instid0(VALU_DEP_3) | instskip(NEXT) | instid1(VALU_DEP_2)
	v_ashrrev_i32_e32 v1, 31, v0
	s_and_b32 s1, s31, vcc_lo
	s_delay_alu instid0(VALU_DEP_1) | instskip(NEXT) | instid1(VALU_DEP_1)
	v_lshlrev_b64 v[3:4], 1, v[0:1]
	v_add_co_u32 v3, s0, s38, v3
	s_delay_alu instid0(VALU_DEP_1)
	v_add_co_ci_u32_e64 v4, s0, s39, v4, s0
	s_and_saveexec_b32 s0, s1
	s_cbranch_execz .LBB453_2
; %bb.1:
	global_load_u16 v6, v[3:4], off
	s_waitcnt vmcnt(0)
	v_cvt_f32_f16_e32 v26, v6
.LBB453_2:
	s_or_b32 exec_lo, exec_lo, s0
	v_add_nc_u32_e32 v6, 32, v2
	s_delay_alu instid0(VALU_DEP_1) | instskip(NEXT) | instid1(VALU_DEP_1)
	v_cmp_gt_i32_e64 s30, s42, v6
	s_and_b32 s1, s31, s30
	s_delay_alu instid0(SALU_CYCLE_1)
	s_and_saveexec_b32 s0, s1
	s_cbranch_execz .LBB453_4
; %bb.3:
	global_load_u16 v6, v[3:4], off offset:64
	s_waitcnt vmcnt(0)
	v_cvt_f32_f16_e32 v18, v6
.LBB453_4:
	s_or_b32 exec_lo, exec_lo, s0
	v_dual_mov_b32 v19, 0xff800000 :: v_dual_add_nc_u32 v6, 64, v2
	v_mov_b32_e32 v29, 0xff800000
	s_delay_alu instid0(VALU_DEP_2) | instskip(NEXT) | instid1(VALU_DEP_1)
	v_cmp_gt_i32_e64 s29, s42, v6
	s_and_b32 s1, s31, s29
	s_delay_alu instid0(SALU_CYCLE_1)
	s_and_saveexec_b32 s0, s1
	s_cbranch_execz .LBB453_6
; %bb.5:
	global_load_u16 v6, v[3:4], off offset:128
	s_waitcnt vmcnt(0)
	v_cvt_f32_f16_e32 v29, v6
.LBB453_6:
	s_or_b32 exec_lo, exec_lo, s0
	v_add_nc_u32_e32 v6, 0x60, v2
	s_delay_alu instid0(VALU_DEP_1) | instskip(NEXT) | instid1(VALU_DEP_1)
	v_cmp_gt_i32_e64 s28, s42, v6
	s_and_b32 s1, s31, s28
	s_delay_alu instid0(SALU_CYCLE_1)
	s_and_saveexec_b32 s0, s1
	s_cbranch_execz .LBB453_8
; %bb.7:
	global_load_u16 v6, v[3:4], off offset:192
	s_waitcnt vmcnt(0)
	v_cvt_f32_f16_e32 v19, v6
.LBB453_8:
	s_or_b32 exec_lo, exec_lo, s0
	v_add_nc_u32_e32 v6, 0x80, v2
	v_dual_mov_b32 v20, 0xff800000 :: v_dual_mov_b32 v31, 0xff800000
	s_delay_alu instid0(VALU_DEP_2) | instskip(NEXT) | instid1(VALU_DEP_1)
	v_cmp_gt_i32_e64 s27, s42, v6
	s_and_b32 s1, s31, s27
	s_delay_alu instid0(SALU_CYCLE_1)
	s_and_saveexec_b32 s0, s1
	s_cbranch_execz .LBB453_10
; %bb.9:
	global_load_u16 v6, v[3:4], off offset:256
	s_waitcnt vmcnt(0)
	v_cvt_f32_f16_e32 v31, v6
.LBB453_10:
	s_or_b32 exec_lo, exec_lo, s0
	v_add_nc_u32_e32 v6, 0xa0, v2
	s_delay_alu instid0(VALU_DEP_1) | instskip(NEXT) | instid1(VALU_DEP_1)
	v_cmp_gt_i32_e64 s26, s42, v6
	s_and_b32 s1, s31, s26
	s_delay_alu instid0(SALU_CYCLE_1)
	s_and_saveexec_b32 s0, s1
	s_cbranch_execz .LBB453_12
; %bb.11:
	global_load_u16 v6, v[3:4], off offset:320
	s_waitcnt vmcnt(0)
	v_cvt_f32_f16_e32 v20, v6
.LBB453_12:
	s_or_b32 exec_lo, exec_lo, s0
	v_add_nc_u32_e32 v6, 0xc0, v2
	v_dual_mov_b32 v21, 0xff800000 :: v_dual_mov_b32 v32, 0xff800000
	;; [unrolled: 27-line block ×6, first 2 shown]
	s_delay_alu instid0(VALU_DEP_2) | instskip(NEXT) | instid1(VALU_DEP_1)
	v_cmp_gt_i32_e64 s17, s42, v6
	s_and_b32 s1, s31, s17
	s_delay_alu instid0(SALU_CYCLE_1)
	s_and_saveexec_b32 s0, s1
	s_cbranch_execz .LBB453_30
; %bb.29:
	global_load_u16 v6, v[3:4], off offset:896
	s_waitcnt vmcnt(0)
	v_cvt_f32_f16_e32 v36, v6
.LBB453_30:
	s_or_b32 exec_lo, exec_lo, s0
	v_add_nc_u32_e32 v6, 0x1e0, v2
	s_delay_alu instid0(VALU_DEP_1) | instskip(NEXT) | instid1(VALU_DEP_1)
	v_cmp_gt_i32_e64 s16, s42, v6
	s_and_b32 s1, s31, s16
	s_delay_alu instid0(SALU_CYCLE_1)
	s_and_saveexec_b32 s0, s1
	s_cbranch_execz .LBB453_32
; %bb.31:
	global_load_u16 v6, v[3:4], off offset:960
	s_waitcnt vmcnt(0)
	v_cvt_f32_f16_e32 v25, v6
.LBB453_32:
	s_or_b32 exec_lo, exec_lo, s0
	v_add_nc_u32_e32 v6, 0x200, v2
	v_mov_b32_e32 v27, 0xff800000
	v_mov_b32_e32 v37, 0xff800000
	s_delay_alu instid0(VALU_DEP_3) | instskip(NEXT) | instid1(VALU_DEP_1)
	v_cmp_gt_i32_e64 s15, s42, v6
	s_and_b32 s1, s31, s15
	s_delay_alu instid0(SALU_CYCLE_1)
	s_and_saveexec_b32 s0, s1
	s_cbranch_execz .LBB453_34
; %bb.33:
	global_load_u16 v6, v[3:4], off offset:1024
	s_waitcnt vmcnt(0)
	v_cvt_f32_f16_e32 v37, v6
.LBB453_34:
	s_or_b32 exec_lo, exec_lo, s0
	v_add_nc_u32_e32 v6, 0x220, v2
	s_delay_alu instid0(VALU_DEP_1) | instskip(NEXT) | instid1(VALU_DEP_1)
	v_cmp_gt_i32_e64 s14, s42, v6
	s_and_b32 s1, s31, s14
	s_delay_alu instid0(SALU_CYCLE_1)
	s_and_saveexec_b32 s0, s1
	s_cbranch_execz .LBB453_36
; %bb.35:
	global_load_u16 v6, v[3:4], off offset:1088
	s_waitcnt vmcnt(0)
	v_cvt_f32_f16_e32 v27, v6
.LBB453_36:
	s_or_b32 exec_lo, exec_lo, s0
	v_add_nc_u32_e32 v6, 0x240, v2
	v_mov_b32_e32 v28, 0xff800000
	v_mov_b32_e32 v38, 0xff800000
	s_delay_alu instid0(VALU_DEP_3) | instskip(NEXT) | instid1(VALU_DEP_1)
	v_cmp_gt_i32_e64 s13, s42, v6
	s_and_b32 s1, s31, s13
	s_delay_alu instid0(SALU_CYCLE_1)
	s_and_saveexec_b32 s0, s1
	s_cbranch_execz .LBB453_38
; %bb.37:
	global_load_u16 v6, v[3:4], off offset:1152
	s_waitcnt vmcnt(0)
	v_cvt_f32_f16_e32 v38, v6
.LBB453_38:
	s_or_b32 exec_lo, exec_lo, s0
	v_add_nc_u32_e32 v6, 0x260, v2
	s_delay_alu instid0(VALU_DEP_1) | instskip(NEXT) | instid1(VALU_DEP_1)
	v_cmp_gt_i32_e64 s12, s42, v6
	s_and_b32 s1, s31, s12
	s_delay_alu instid0(SALU_CYCLE_1)
	s_and_saveexec_b32 s0, s1
	s_cbranch_execz .LBB453_40
; %bb.39:
	global_load_u16 v6, v[3:4], off offset:1216
	s_waitcnt vmcnt(0)
	v_cvt_f32_f16_e32 v28, v6
.LBB453_40:
	s_or_b32 exec_lo, exec_lo, s0
	v_add_nc_u32_e32 v6, 0x280, v2
	v_dual_mov_b32 v30, 0xff800000 :: v_dual_mov_b32 v39, 0xff800000
	s_delay_alu instid0(VALU_DEP_2) | instskip(NEXT) | instid1(VALU_DEP_1)
	v_cmp_gt_i32_e64 s11, s42, v6
	s_and_b32 s1, s31, s11
	s_delay_alu instid0(SALU_CYCLE_1)
	s_and_saveexec_b32 s0, s1
	s_cbranch_execz .LBB453_42
; %bb.41:
	global_load_u16 v6, v[3:4], off offset:1280
	s_waitcnt vmcnt(0)
	v_cvt_f32_f16_e32 v39, v6
.LBB453_42:
	s_or_b32 exec_lo, exec_lo, s0
	v_add_nc_u32_e32 v6, 0x2a0, v2
	s_delay_alu instid0(VALU_DEP_1) | instskip(NEXT) | instid1(VALU_DEP_1)
	v_cmp_gt_i32_e64 s10, s42, v6
	s_and_b32 s1, s31, s10
	s_delay_alu instid0(SALU_CYCLE_1)
	s_and_saveexec_b32 s0, s1
	s_cbranch_execz .LBB453_44
; %bb.43:
	global_load_u16 v6, v[3:4], off offset:1344
	s_waitcnt vmcnt(0)
	v_cvt_f32_f16_e32 v30, v6
.LBB453_44:
	s_or_b32 exec_lo, exec_lo, s0
	v_add_nc_u32_e32 v6, 0x2c0, v2
	v_dual_mov_b32 v13, 0xff800000 :: v_dual_mov_b32 v40, 0xff800000
	s_delay_alu instid0(VALU_DEP_2) | instskip(NEXT) | instid1(VALU_DEP_1)
	v_cmp_gt_i32_e64 s9, s42, v6
	s_and_b32 s1, s31, s9
	s_delay_alu instid0(SALU_CYCLE_1)
	s_and_saveexec_b32 s0, s1
	s_cbranch_execz .LBB453_46
; %bb.45:
	global_load_u16 v6, v[3:4], off offset:1408
	s_waitcnt vmcnt(0)
	v_cvt_f32_f16_e32 v40, v6
.LBB453_46:
	s_or_b32 exec_lo, exec_lo, s0
	v_add_nc_u32_e32 v6, 0x2e0, v2
	s_delay_alu instid0(VALU_DEP_1) | instskip(NEXT) | instid1(VALU_DEP_1)
	v_cmp_gt_i32_e64 s8, s42, v6
	s_and_b32 s1, s31, s8
	s_delay_alu instid0(SALU_CYCLE_1)
	s_and_saveexec_b32 s0, s1
	s_cbranch_execz .LBB453_48
; %bb.47:
	global_load_u16 v6, v[3:4], off offset:1472
	s_waitcnt vmcnt(0)
	v_cvt_f32_f16_e32 v13, v6
.LBB453_48:
	s_or_b32 exec_lo, exec_lo, s0
	v_add_nc_u32_e32 v6, 0x300, v2
	v_mov_b32_e32 v11, 0xff800000
	v_mov_b32_e32 v15, 0xff800000
	s_delay_alu instid0(VALU_DEP_3) | instskip(NEXT) | instid1(VALU_DEP_1)
	v_cmp_gt_i32_e64 s7, s42, v6
	s_and_b32 s1, s31, s7
	s_delay_alu instid0(SALU_CYCLE_1)
	s_and_saveexec_b32 s0, s1
	s_cbranch_execz .LBB453_50
; %bb.49:
	global_load_u16 v6, v[3:4], off offset:1536
	s_waitcnt vmcnt(0)
	v_cvt_f32_f16_e32 v15, v6
.LBB453_50:
	s_or_b32 exec_lo, exec_lo, s0
	v_add_nc_u32_e32 v6, 0x320, v2
	s_delay_alu instid0(VALU_DEP_1) | instskip(NEXT) | instid1(VALU_DEP_1)
	v_cmp_gt_i32_e64 s6, s42, v6
	s_and_b32 s1, s31, s6
	s_delay_alu instid0(SALU_CYCLE_1)
	s_and_saveexec_b32 s0, s1
	s_cbranch_execz .LBB453_52
; %bb.51:
	global_load_u16 v6, v[3:4], off offset:1600
	s_waitcnt vmcnt(0)
	v_cvt_f32_f16_e32 v11, v6
.LBB453_52:
	s_or_b32 exec_lo, exec_lo, s0
	v_add_nc_u32_e32 v6, 0x340, v2
	v_mov_b32_e32 v10, 0xff800000
	v_mov_b32_e32 v12, 0xff800000
	s_delay_alu instid0(VALU_DEP_3) | instskip(NEXT) | instid1(VALU_DEP_1)
	;; [unrolled: 28-line block ×3, first 2 shown]
	v_cmp_gt_i32_e64 s3, s42, v6
	s_and_b32 s1, s31, s3
	s_delay_alu instid0(SALU_CYCLE_1)
	s_and_saveexec_b32 s0, s1
	s_cbranch_execz .LBB453_58
; %bb.57:
	global_load_u16 v6, v[3:4], off offset:1792
	s_waitcnt vmcnt(0)
	v_cvt_f32_f16_e32 v9, v6
.LBB453_58:
	s_or_b32 exec_lo, exec_lo, s0
	v_add_nc_u32_e32 v6, 0x3a0, v2
	s_delay_alu instid0(VALU_DEP_1) | instskip(NEXT) | instid1(VALU_DEP_1)
	v_cmp_gt_i32_e64 s2, s42, v6
	s_and_b32 s1, s31, s2
	s_delay_alu instid0(SALU_CYCLE_1)
	s_and_saveexec_b32 s0, s1
	s_cbranch_execz .LBB453_60
; %bb.59:
	global_load_u16 v6, v[3:4], off offset:1856
	s_waitcnt vmcnt(0)
	v_cvt_f32_f16_e32 v7, v6
.LBB453_60:
	s_or_b32 exec_lo, exec_lo, s0
	v_add_nc_u32_e32 v6, 0x3c0, v2
	v_mov_b32_e32 v8, 0xff800000
	s_delay_alu instid0(VALU_DEP_2) | instskip(SKIP_1) | instid1(VALU_DEP_2)
	v_cmp_gt_i32_e64 s1, s42, v6
	v_mov_b32_e32 v6, 0xff800000
	s_and_b32 s33, s31, s1
	s_delay_alu instid0(SALU_CYCLE_1)
	s_and_saveexec_b32 s0, s33
	s_cbranch_execz .LBB453_62
; %bb.61:
	global_load_u16 v8, v[3:4], off offset:1920
	s_waitcnt vmcnt(0)
	v_cvt_f32_f16_e32 v8, v8
.LBB453_62:
	s_or_b32 exec_lo, exec_lo, s0
	v_add_nc_u32_e32 v2, 0x3e0, v2
	s_delay_alu instid0(VALU_DEP_1) | instskip(NEXT) | instid1(VALU_DEP_1)
	v_cmp_gt_i32_e64 s0, s42, v2
	s_and_b32 s33, s31, s0
	s_delay_alu instid0(SALU_CYCLE_1)
	s_and_saveexec_b32 s31, s33
	s_cbranch_execz .LBB453_64
; %bb.63:
	global_load_u16 v2, v[3:4], off offset:1984
	s_waitcnt vmcnt(0)
	v_cvt_f32_f16_e32 v6, v2
.LBB453_64:
	s_or_b32 exec_lo, exec_lo, s31
	v_cmp_gt_f32_e64 s31, v26, v18
	v_mbcnt_lo_u32_b32 v16, -1, 0
	s_mov_b32 s33, exec_lo
	s_delay_alu instid0(VALU_DEP_2) | instskip(NEXT) | instid1(VALU_DEP_2)
	v_cndmask_b32_e64 v2, v18, v26, s31
	v_xor_b32_e32 v3, 16, v16
	v_xor_b32_e32 v42, 1, v16
	s_delay_alu instid0(VALU_DEP_3) | instskip(NEXT) | instid1(VALU_DEP_1)
	v_cmp_gt_f32_e64 s31, v2, v29
	v_cndmask_b32_e64 v2, v29, v2, s31
	s_delay_alu instid0(VALU_DEP_1) | instskip(NEXT) | instid1(VALU_DEP_1)
	v_cmp_gt_f32_e64 s31, v2, v19
	v_cndmask_b32_e64 v2, v19, v2, s31
	s_delay_alu instid0(VALU_DEP_1) | instskip(NEXT) | instid1(VALU_DEP_1)
	;; [unrolled: 3-line block ×27, first 2 shown]
	v_cmp_gt_f32_e64 s31, v2, v7
	v_cndmask_b32_e64 v2, v7, v2, s31
	v_cmp_gt_i32_e64 s31, 32, v3
	s_delay_alu instid0(VALU_DEP_1) | instskip(NEXT) | instid1(VALU_DEP_3)
	v_cndmask_b32_e64 v3, v16, v3, s31
	v_cmp_gt_f32_e64 s31, v2, v8
	s_delay_alu instid0(VALU_DEP_1) | instskip(NEXT) | instid1(VALU_DEP_3)
	v_cndmask_b32_e64 v4, v8, v2, s31
	v_lshlrev_b32_e32 v2, 2, v3
	v_xor_b32_e32 v3, 8, v16
	s_delay_alu instid0(VALU_DEP_3) | instskip(NEXT) | instid1(VALU_DEP_1)
	v_cmp_gt_f32_e64 s31, v4, v6
	v_cndmask_b32_e64 v4, v6, v4, s31
	s_delay_alu instid0(VALU_DEP_3) | instskip(SKIP_2) | instid1(VALU_DEP_1)
	v_cmp_gt_i32_e64 s31, 32, v3
	ds_bpermute_b32 v14, v2, v4
	v_cndmask_b32_e64 v3, v16, v3, s31
	v_lshlrev_b32_e32 v3, 2, v3
	s_waitcnt lgkmcnt(0)
	v_cmp_lt_f32_e64 s31, v4, v14
	s_delay_alu instid0(VALU_DEP_1) | instskip(SKIP_3) | instid1(VALU_DEP_1)
	v_cndmask_b32_e64 v14, v4, v14, s31
	v_xor_b32_e32 v4, 4, v16
	ds_bpermute_b32 v17, v3, v14
	v_cmp_gt_i32_e64 s31, 32, v4
	v_cndmask_b32_e64 v4, v16, v4, s31
	s_delay_alu instid0(VALU_DEP_1) | instskip(SKIP_2) | instid1(VALU_DEP_1)
	v_lshlrev_b32_e32 v4, 2, v4
	s_waitcnt lgkmcnt(0)
	v_cmp_lt_f32_e64 s31, v14, v17
	v_cndmask_b32_e64 v17, v14, v17, s31
	v_xor_b32_e32 v14, 2, v16
	ds_bpermute_b32 v41, v4, v17
	v_cmp_gt_i32_e64 s31, 32, v14
	s_delay_alu instid0(VALU_DEP_1) | instskip(NEXT) | instid1(VALU_DEP_1)
	v_cndmask_b32_e64 v14, v16, v14, s31
	v_lshlrev_b32_e32 v14, 2, v14
	s_waitcnt lgkmcnt(0)
	v_cmp_lt_f32_e64 s31, v17, v41
	s_delay_alu instid0(VALU_DEP_1) | instskip(SKIP_3) | instid1(VALU_DEP_1)
	v_cndmask_b32_e64 v17, v17, v41, s31
	v_cmp_gt_i32_e64 s31, 32, v42
	ds_bpermute_b32 v41, v14, v17
	v_cndmask_b32_e64 v16, v16, v42, s31
	v_lshlrev_b32_e32 v16, 2, v16
	s_waitcnt lgkmcnt(0)
	v_cmp_lt_f32_e64 s31, v17, v41
	s_delay_alu instid0(VALU_DEP_1) | instskip(SKIP_3) | instid1(VALU_DEP_1)
	v_cndmask_b32_e64 v17, v17, v41, s31
	ds_bpermute_b32 v41, v16, v17
	s_waitcnt lgkmcnt(0)
	v_cmp_lt_f32_e64 s31, v17, v41
	v_cndmask_b32_e64 v17, v17, v41, s31
	s_delay_alu instid0(VALU_DEP_1)
	v_sub_f32_e32 v21, v21, v17
	v_sub_f32_e32 v31, v31, v17
	;; [unrolled: 1-line block ×6, first 2 shown]
	v_dual_mul_f32 v33, 0x3fb8aa3b, v31 :: v_dual_sub_f32 v22, v22, v17
	v_sub_f32_e32 v43, v35, v17
	v_sub_f32_e32 v18, v18, v17
	;; [unrolled: 1-line block ×4, first 2 shown]
	v_dual_sub_f32 v48, v38, v17 :: v_dual_mul_f32 v25, 0x3fb8aa3b, v26
	v_dual_sub_f32 v20, v20, v17 :: v_dual_mul_f32 v35, 0x3fb8aa3b, v32
	v_mul_f32_e32 v38, 0x3fb8aa3b, v22
	v_dual_sub_f32 v42, v34, v17 :: v_dual_mul_f32 v53, 0x3fb8aa3b, v43
	v_sub_f32_e32 v24, v24, v17
	v_sub_f32_e32 v46, v37, v17
	s_delay_alu instid0(VALU_DEP_3) | instskip(NEXT) | instid1(VALU_DEP_3)
	v_dual_sub_f32 v44, v36, v17 :: v_dual_mul_f32 v39, 0x3fb8aa3b, v42
	v_dual_sub_f32 v47, v27, v17 :: v_dual_mul_f32 v54, 0x3fb8aa3b, v24
	v_mul_f32_e32 v27, 0x3fb8aa3b, v18
	v_dual_sub_f32 v23, v23, v17 :: v_dual_mul_f32 v34, 0x3fb8aa3b, v20
	v_mul_f32_e32 v57, 0x3fb8aa3b, v46
	v_mul_f32_e32 v55, 0x3fb8aa3b, v44
	v_fma_f32 v64, 0x3fb8aa3b, v26, -v25
	v_sub_f32_e32 v51, v30, v17
	v_fma_f32 v72, 0x3fb8aa3b, v31, -v33
	v_fma_f32 v74, 0x3fb8aa3b, v20, -v34
	v_rndne_f32_e32 v75, v34
	v_fmac_f32_e32 v64, 0x32a5705f, v26
	v_fma_f32 v84, 0x3fb8aa3b, v42, -v39
	v_rndne_f32_e32 v85, v39
	v_fma_f32 v88, 0x3fb8aa3b, v43, -v53
	v_rndne_f32_e32 v89, v53
	;; [unrolled: 2-line block ×3, first 2 shown]
	v_dual_mul_f32 v30, 0x3fb8aa3b, v19 :: v_dual_mul_f32 v37, 0x3fb8aa3b, v41
	v_mul_f32_e32 v62, 0x3fb8aa3b, v51
	v_mul_f32_e32 v52, 0x3fb8aa3b, v23
	v_fma_f32 v92, 0x3fb8aa3b, v44, -v55
	v_dual_fmac_f32 v72, 0x32a5705f, v31 :: v_dual_sub_f32 v39, v39, v85
	v_dual_fmac_f32 v74, 0x32a5705f, v20 :: v_dual_sub_f32 v53, v53, v89
	v_fmac_f32_e32 v84, 0x32a5705f, v42
	v_sub_f32_e32 v34, v34, v75
	v_fmac_f32_e32 v88, 0x32a5705f, v43
	v_fmac_f32_e32 v90, 0x32a5705f, v24
	v_dual_sub_f32 v54, v54, v91 :: v_dual_sub_f32 v29, v29, v17
	v_rndne_f32_e32 v65, v25
	v_rndne_f32_e32 v67, v27
	v_fma_f32 v86, 0x3fb8aa3b, v23, -v52
	v_rndne_f32_e32 v87, v52
	v_dual_add_f32 v39, v39, v84 :: v_dual_add_f32 v34, v34, v74
	v_add_f32_e32 v53, v53, v88
	v_dual_fmac_f32 v92, 0x32a5705f, v44 :: v_dual_sub_f32 v15, v15, v17
	v_fma_f32 v88, 0x3fb8aa3b, v51, -v62
	v_add_f32_e32 v54, v54, v90
	v_rndne_f32_e32 v90, v62
	v_dual_sub_f32 v49, v28, v17 :: v_dual_mul_f32 v58, 0x3fb8aa3b, v47
	v_dual_sub_f32 v40, v40, v17 :: v_dual_mul_f32 v61, 0x3fb8aa3b, v50
	v_fma_f32 v66, 0x3fb8aa3b, v18, -v27
	v_dual_sub_f32 v27, v27, v67 :: v_dual_mul_f32 v28, 0x3fb8aa3b, v29
	s_delay_alu instid0(VALU_DEP_3)
	v_mul_f32_e32 v63, 0x3fb8aa3b, v40
	v_fma_f32 v70, 0x3fb8aa3b, v19, -v30
	v_rndne_f32_e32 v71, v30
	v_dual_sub_f32 v25, v25, v65 :: v_dual_fmac_f32 v66, 0x32a5705f, v18
	v_fmac_f32_e32 v86, 0x32a5705f, v23
	v_fmac_f32_e32 v88, 0x32a5705f, v51
	v_sub_f32_e32 v62, v62, v90
	v_sub_f32_e32 v52, v52, v87
	v_dual_mul_f32 v36, 0x3fb8aa3b, v21 :: v_dual_add_f32 v25, v25, v64
	v_fma_f32 v68, 0x3fb8aa3b, v29, -v28
	v_rndne_f32_e32 v69, v28
	v_fma_f32 v76, 0x3fb8aa3b, v32, -v35
	v_rndne_f32_e32 v77, v35
	;; [unrolled: 2-line block ×3, first 2 shown]
	v_fmac_f32_e32 v70, 0x32a5705f, v19
	v_sub_f32_e32 v30, v30, v71
	v_add_f32_e32 v52, v52, v86
	v_rndne_f32_e32 v86, v61
	v_dual_mul_f32 v56, 0x3fb8aa3b, v45 :: v_dual_add_f32 v27, v27, v66
	v_mul_f32_e32 v59, 0x3fb8aa3b, v48
	v_fma_f32 v78, 0x3fb8aa3b, v21, -v36
	v_rndne_f32_e32 v79, v36
	v_rndne_f32_e32 v93, v55
	v_sub_f32_e32 v35, v35, v77
	v_fmac_f32_e32 v80, 0x32a5705f, v41
	v_dual_sub_f32 v37, v37, v81 :: v_dual_add_f32 v30, v30, v70
	s_delay_alu instid0(VALU_DEP_4)
	v_sub_f32_e32 v55, v55, v93
	v_rndne_f32_e32 v70, v57
	v_fmac_f32_e32 v76, 0x32a5705f, v32
	v_fmac_f32_e32 v68, 0x32a5705f, v29
	v_fma_f32 v84, 0x3fb8aa3b, v50, -v61
	v_dual_sub_f32 v61, v61, v86 :: v_dual_sub_f32 v28, v28, v69
	v_add_f32_e32 v37, v37, v80
	v_exp_f32_e32 v25, v25
	v_rndne_f32_e32 v73, v33
	v_dual_fmac_f32 v78, 0x32a5705f, v21 :: v_dual_add_f32 v55, v55, v92
	v_dual_sub_f32 v36, v36, v79 :: v_dual_add_f32 v35, v35, v76
	s_delay_alu instid0(VALU_DEP_3)
	v_dual_add_f32 v28, v28, v68 :: v_dual_sub_f32 v33, v33, v73
	v_fma_f32 v68, 0x3fb8aa3b, v46, -v57
	v_cvt_i32_f32_e32 v65, v65
	v_exp_f32_e32 v27, v27
	v_fma_f32 v82, 0x3fb8aa3b, v22, -v38
	v_rndne_f32_e32 v83, v38
	v_fma_f32 v76, 0x3fb8aa3b, v48, -v59
	v_cvt_i32_f32_e32 v67, v67
	v_fmac_f32_e32 v68, 0x32a5705f, v46
	v_sub_f32_e32 v57, v57, v70
	v_add_f32_e32 v36, v36, v78
	v_rndne_f32_e32 v78, v59
	v_exp_f32_e32 v28, v28
	v_ldexp_f32 v25, v25, v65
	v_add_f32_e32 v57, v57, v68
	v_cmp_ngt_f32_e64 s31, 0xc2ce8ed0, v26
	v_cvt_i32_f32_e32 v69, v69
	v_dual_fmac_f32 v76, 0x32a5705f, v48 :: v_dual_sub_f32 v59, v59, v78
	v_fmac_f32_e32 v82, 0x32a5705f, v22
	v_fmac_f32_e32 v84, 0x32a5705f, v50
	v_sub_f32_e32 v38, v38, v83
	v_ldexp_f32 v27, v27, v67
	v_cndmask_b32_e64 v25, 0, v25, s31
	v_cmp_ngt_f32_e64 s31, 0xc2ce8ed0, v18
	v_add_f32_e32 v61, v61, v84
	v_dual_add_f32 v59, v59, v76 :: v_dual_add_f32 v38, v38, v82
	v_exp_f32_e32 v39, v39
	v_ldexp_f32 v28, v28, v69
	v_cndmask_b32_e64 v27, 0, v27, s31
	v_cmp_ngt_f32_e64 s31, 0xc2ce8ed0, v29
	v_cvt_i32_f32_e32 v85, v85
	v_exp_f32_e32 v30, v30
	v_exp_f32_e32 v38, v38
	v_dual_mul_f32 v60, 0x3fb8aa3b, v49 :: v_dual_add_f32 v33, v33, v72
	v_cndmask_b32_e64 v28, 0, v28, s31
	v_cmp_nlt_f32_e64 s31, 0x42b17218, v26
	v_cvt_i32_f32_e32 v71, v71
	v_cvt_i32_f32_e32 v83, v83
	v_ldexp_f32 v69, v39, v85
	v_exp_f32_e32 v33, v33
	v_cndmask_b32_e64 v39, 0x7f800000, v25, s31
	v_cmp_nlt_f32_e64 s31, 0x42b17218, v18
	v_exp_f32_e32 v37, v37
	v_ldexp_f32 v30, v30, v71
	v_ldexp_f32 v68, v38, v83
	v_cvt_i32_f32_e32 v73, v73
	v_cndmask_b32_e64 v38, 0x7f800000, v27, s31
	v_cmp_ngt_f32_e64 s31, 0xc2ce8ed0, v19
	v_cvt_i32_f32_e32 v81, v81
	v_exp_f32_e32 v34, v34
	v_exp_f32_e32 v36, v36
	v_ldexp_f32 v33, v33, v73
	v_cndmask_b32_e64 v18, 0, v30, s31
	v_cmp_nlt_f32_e64 s31, 0x42b17218, v29
	v_ldexp_f32 v67, v37, v81
	v_cvt_i32_f32_e32 v75, v75
	v_cvt_i32_f32_e32 v79, v79
	v_fma_f32 v64, 0x3fb8aa3b, v45, -v56
	v_cndmask_b32_e64 v37, 0x7f800000, v28, s31
	v_cmp_ngt_f32_e64 s31, 0xc2ce8ed0, v31
	v_rndne_f32_e32 v66, v56
	v_exp_f32_e32 v35, v35
	v_ldexp_f32 v34, v34, v75
	v_ldexp_f32 v65, v36, v79
	v_cndmask_b32_e64 v26, 0, v33, s31
	v_cmp_nlt_f32_e64 s31, 0x42b17218, v19
	v_cvt_i32_f32_e32 v77, v77
	v_fmac_f32_e32 v64, 0x32a5705f, v45
	v_sub_f32_e32 v56, v56, v66
	v_add_f32_e32 v25, v39, v38
	v_cndmask_b32_e64 v36, 0x7f800000, v18, s31
	v_cmp_ngt_f32_e64 s31, 0xc2ce8ed0, v20
	v_exp_f32_e32 v52, v52
	v_add_f32_e32 v56, v56, v64
	v_ldexp_f32 v64, v35, v77
	v_add_f32_e32 v18, v25, v37
	v_cndmask_b32_e64 v19, 0, v34, s31
	v_cmp_nlt_f32_e64 s31, 0x42b17218, v31
	v_cvt_i32_f32_e32 v87, v87
	v_exp_f32_e32 v53, v53
	v_cvt_i32_f32_e32 v89, v89
	v_exp_f32_e32 v54, v54
	v_cndmask_b32_e64 v35, 0x7f800000, v26, s31
	v_cmp_ngt_f32_e64 s31, 0xc2ce8ed0, v32
	v_ldexp_f32 v52, v52, v87
	v_cvt_i32_f32_e32 v91, v91
	v_exp_f32_e32 v55, v55
	v_add_f32_e32 v18, v18, v36
	v_cndmask_b32_e64 v25, 0, v64, s31
	v_cmp_nlt_f32_e64 s31, 0x42b17218, v20
	v_ldexp_f32 v53, v53, v89
	v_ldexp_f32 v54, v54, v91
	v_cvt_i32_f32_e32 v93, v93
	v_add_f32_e32 v18, v18, v35
	v_cndmask_b32_e64 v34, 0x7f800000, v19, s31
	v_cmp_ngt_f32_e64 s31, 0xc2ce8ed0, v21
	v_exp_f32_e32 v56, v56
	v_ldexp_f32 v55, v55, v93
	v_sub_f32_e32 v8, v8, v17
	v_add_f32_e32 v18, v18, v34
	v_cndmask_b32_e64 v19, 0, v65, s31
	v_cmp_nlt_f32_e64 s31, 0x42b17218, v32
	v_fma_f32 v72, 0x3fb8aa3b, v47, -v58
	v_rndne_f32_e32 v74, v58
	v_cvt_i32_f32_e32 v66, v66
	v_exp_f32_e32 v57, v57
	v_cndmask_b32_e64 v33, 0x7f800000, v25, s31
	v_cmp_ngt_f32_e64 s31, 0xc2ce8ed0, v41
	v_fmac_f32_e32 v72, 0x32a5705f, v47
	v_sub_f32_e32 v58, v58, v74
	v_ldexp_f32 v56, v56, v66
	v_add_f32_e32 v18, v18, v33
	v_cndmask_b32_e64 v20, 0, v67, s31
	v_cmp_nlt_f32_e64 s31, 0x42b17218, v21
	v_cvt_i32_f32_e32 v70, v70
	v_add_f32_e32 v58, v58, v72
	v_sub_f32_e32 v6, v6, v17
	v_fma_f32 v80, 0x3fb8aa3b, v49, -v60
	v_cndmask_b32_e64 v32, 0x7f800000, v19, s31
	v_cmp_ngt_f32_e64 s31, 0xc2ce8ed0, v22
	v_exp_f32_e32 v58, v58
	v_ldexp_f32 v57, v57, v70
	v_rndne_f32_e32 v82, v60
	v_add_f32_e32 v18, v18, v32
	v_cndmask_b32_e64 v19, 0, v68, s31
	v_cmp_nlt_f32_e64 s31, 0x42b17218, v41
	v_cvt_i32_f32_e32 v74, v74
	v_fmac_f32_e32 v80, 0x32a5705f, v49
	v_sub_f32_e32 v60, v60, v82
	v_exp_f32_e32 v59, v59
	v_cndmask_b32_e64 v31, 0x7f800000, v20, s31
	v_cmp_ngt_f32_e64 s31, 0xc2ce8ed0, v42
	v_ldexp_f32 v58, v58, v74
	v_cvt_i32_f32_e32 v78, v78
	v_add_f32_e32 v60, v60, v80
	v_add_f32_e32 v18, v18, v31
	v_cndmask_b32_e64 v20, 0, v69, s31
	v_cmp_nlt_f32_e64 s31, 0x42b17218, v22
	v_cvt_i32_f32_e32 v82, v82
	v_exp_f32_e32 v60, v60
	v_ldexp_f32 v59, v59, v78
	v_exp_f32_e32 v61, v61
	v_cndmask_b32_e64 v30, 0x7f800000, v19, s31
	v_cmp_ngt_f32_e64 s31, 0xc2ce8ed0, v23
	v_cvt_i32_f32_e32 v86, v86
	v_fma_f32 v92, 0x3fb8aa3b, v40, -v63
	v_add_f32_e32 v41, v62, v88
	v_add_f32_e32 v18, v18, v30
	v_cndmask_b32_e64 v19, 0, v52, s31
	v_cmp_nlt_f32_e64 s31, 0x42b17218, v42
	v_ldexp_f32 v60, v60, v82
	v_ldexp_f32 v42, v61, v86
	v_exp_f32_e32 v41, v41
	v_fmac_f32_e32 v92, 0x32a5705f, v40
	v_cndmask_b32_e64 v29, 0x7f800000, v20, s31
	v_cmp_ngt_f32_e64 s31, 0xc2ce8ed0, v43
	s_delay_alu instid0(VALU_DEP_2) | instskip(NEXT) | instid1(VALU_DEP_2)
	v_add_f32_e32 v18, v18, v29
	v_cndmask_b32_e64 v20, 0, v53, s31
	v_cmp_nlt_f32_e64 s31, 0x42b17218, v23
	s_delay_alu instid0(VALU_DEP_1) | instskip(SKIP_1) | instid1(VALU_DEP_2)
	v_cndmask_b32_e64 v28, 0x7f800000, v19, s31
	v_cmp_ngt_f32_e64 s31, 0xc2ce8ed0, v24
	v_add_f32_e32 v18, v18, v28
	s_delay_alu instid0(VALU_DEP_2) | instskip(SKIP_1) | instid1(VALU_DEP_1)
	v_cndmask_b32_e64 v19, 0, v54, s31
	v_cmp_nlt_f32_e64 s31, 0x42b17218, v43
	v_cndmask_b32_e64 v27, 0x7f800000, v20, s31
	v_cmp_ngt_f32_e64 s31, 0xc2ce8ed0, v44
	s_delay_alu instid0(VALU_DEP_2) | instskip(NEXT) | instid1(VALU_DEP_2)
	v_add_f32_e32 v18, v18, v27
	v_cndmask_b32_e64 v20, 0, v55, s31
	v_cmp_nlt_f32_e64 s31, 0x42b17218, v24
	s_delay_alu instid0(VALU_DEP_1) | instskip(SKIP_1) | instid1(VALU_DEP_2)
	v_cndmask_b32_e64 v26, 0x7f800000, v19, s31
	v_cmp_ngt_f32_e64 s31, 0xc2ce8ed0, v45
	v_add_f32_e32 v18, v18, v26
	s_delay_alu instid0(VALU_DEP_2) | instskip(SKIP_1) | instid1(VALU_DEP_1)
	v_cndmask_b32_e64 v19, 0, v56, s31
	v_cmp_nlt_f32_e64 s31, 0x42b17218, v44
	v_cndmask_b32_e64 v25, 0x7f800000, v20, s31
	v_cmp_ngt_f32_e64 s31, 0xc2ce8ed0, v46
	s_delay_alu instid0(VALU_DEP_2) | instskip(NEXT) | instid1(VALU_DEP_2)
	v_add_f32_e32 v18, v18, v25
	v_cndmask_b32_e64 v20, 0, v57, s31
	v_cmp_nlt_f32_e64 s31, 0x42b17218, v45
	v_sub_f32_e32 v45, v13, v17
	v_cvt_i32_f32_e32 v13, v90
	s_delay_alu instid0(VALU_DEP_3) | instskip(SKIP_1) | instid1(VALU_DEP_3)
	v_cndmask_b32_e64 v24, 0x7f800000, v19, s31
	v_cmp_ngt_f32_e64 s31, 0xc2ce8ed0, v47
	v_ldexp_f32 v13, v41, v13
	s_delay_alu instid0(VALU_DEP_3) | instskip(NEXT) | instid1(VALU_DEP_3)
	v_add_f32_e32 v18, v18, v24
	v_cndmask_b32_e64 v19, 0, v58, s31
	v_cmp_nlt_f32_e64 s31, 0x42b17218, v46
	s_delay_alu instid0(VALU_DEP_1) | instskip(SKIP_1) | instid1(VALU_DEP_2)
	v_cndmask_b32_e64 v22, 0x7f800000, v20, s31
	v_cmp_ngt_f32_e64 s31, 0xc2ce8ed0, v48
	v_add_f32_e32 v18, v18, v22
	s_delay_alu instid0(VALU_DEP_2) | instskip(SKIP_1) | instid1(VALU_DEP_1)
	v_cndmask_b32_e64 v20, 0, v59, s31
	v_cmp_nlt_f32_e64 s31, 0x42b17218, v47
	v_cndmask_b32_e64 v21, 0x7f800000, v19, s31
	v_cmp_ngt_f32_e64 s31, 0xc2ce8ed0, v49
	s_delay_alu instid0(VALU_DEP_2) | instskip(NEXT) | instid1(VALU_DEP_2)
	v_add_f32_e32 v23, v18, v21
	v_cndmask_b32_e64 v19, 0, v60, s31
	v_cmp_nlt_f32_e64 s31, 0x42b17218, v48
	s_delay_alu instid0(VALU_DEP_1) | instskip(SKIP_2) | instid1(VALU_DEP_2)
	v_cndmask_b32_e64 v20, 0x7f800000, v20, s31
	v_cmp_nlt_f32_e64 s31, 0x42b17218, v49
	v_sub_f32_e32 v49, v12, v17
	v_cndmask_b32_e64 v18, 0x7f800000, v19, s31
	s_delay_alu instid0(VALU_DEP_4) | instskip(SKIP_2) | instid1(VALU_DEP_3)
	v_add_f32_e32 v19, v23, v20
	v_rndne_f32_e32 v23, v63
	v_cmp_ngt_f32_e64 s31, 0xc2ce8ed0, v50
	v_add_f32_e32 v43, v19, v18
	s_delay_alu instid0(VALU_DEP_3) | instskip(NEXT) | instid1(VALU_DEP_3)
	v_sub_f32_e32 v44, v63, v23
	v_cndmask_b32_e64 v42, 0, v42, s31
	v_cmp_nlt_f32_e64 s31, 0x42b17218, v50
	v_cvt_i32_f32_e32 v23, v23
	s_delay_alu instid0(VALU_DEP_2) | instskip(SKIP_3) | instid1(VALU_DEP_4)
	v_cndmask_b32_e64 v19, 0x7f800000, v42, s31
	v_add_f32_e32 v42, v44, v92
	v_mul_f32_e32 v44, 0x3fb8aa3b, v45
	v_cmp_ngt_f32_e64 s31, 0xc2ce8ed0, v51
	v_add_f32_e32 v43, v43, v19
	s_delay_alu instid0(VALU_DEP_4) | instskip(NEXT) | instid1(VALU_DEP_3)
	v_exp_f32_e32 v41, v42
	v_fma_f32 v42, 0x3fb8aa3b, v45, -v44
	v_rndne_f32_e32 v46, v44
	v_cndmask_b32_e64 v13, 0, v13, s31
	v_cmp_nlt_f32_e64 s31, 0x42b17218, v51
	s_delay_alu instid0(VALU_DEP_4) | instskip(NEXT) | instid1(VALU_DEP_4)
	v_fmac_f32_e32 v42, 0x32a5705f, v45
	v_sub_f32_e32 v44, v44, v46
	s_delay_alu instid0(VALU_DEP_3) | instskip(NEXT) | instid1(TRANS32_DEP_1)
	v_cndmask_b32_e64 v13, 0x7f800000, v13, s31
	v_ldexp_f32 v23, v41, v23
	v_cmp_ngt_f32_e64 s31, 0xc2ce8ed0, v40
	s_delay_alu instid0(VALU_DEP_4) | instskip(NEXT) | instid1(VALU_DEP_4)
	v_dual_add_f32 v41, v44, v42 :: v_dual_sub_f32 v44, v11, v17
	v_dual_add_f32 v42, v43, v13 :: v_dual_mul_f32 v43, 0x3fb8aa3b, v15
	s_delay_alu instid0(VALU_DEP_3) | instskip(NEXT) | instid1(VALU_DEP_3)
	v_cndmask_b32_e64 v23, 0, v23, s31
	v_exp_f32_e32 v41, v41
	v_cmp_nlt_f32_e64 s31, 0x42b17218, v40
	v_mul_f32_e32 v47, 0x3fb8aa3b, v44
	v_fma_f32 v40, 0x3fb8aa3b, v15, -v43
	s_delay_alu instid0(VALU_DEP_3) | instskip(SKIP_2) | instid1(VALU_DEP_4)
	v_cndmask_b32_e64 v11, 0x7f800000, v23, s31
	v_cvt_i32_f32_e32 v23, v46
	v_rndne_f32_e32 v46, v43
	v_fmac_f32_e32 v40, 0x32a5705f, v15
	v_cmp_ngt_f32_e64 s31, 0xc2ce8ed0, v45
	v_rndne_f32_e32 v48, v47
	v_ldexp_f32 v23, v41, v23
	v_sub_f32_e32 v41, v43, v46
	v_fma_f32 v43, 0x3fb8aa3b, v44, -v47
	v_add_f32_e32 v42, v42, v11
	s_delay_alu instid0(VALU_DEP_4) | instskip(NEXT) | instid1(VALU_DEP_4)
	v_cndmask_b32_e64 v12, 0, v23, s31
	v_add_f32_e32 v23, v41, v40
	s_delay_alu instid0(VALU_DEP_4) | instskip(SKIP_2) | instid1(VALU_DEP_4)
	v_fmac_f32_e32 v43, 0x32a5705f, v44
	v_dual_sub_f32 v40, v47, v48 :: v_dual_mul_f32 v41, 0x3fb8aa3b, v49
	v_cmp_nlt_f32_e64 s31, 0x42b17218, v45
	v_exp_f32_e32 v23, v23
	s_delay_alu instid0(VALU_DEP_2) | instskip(NEXT) | instid1(VALU_DEP_3)
	v_dual_sub_f32 v47, v10, v17 :: v_dual_add_f32 v40, v40, v43
	v_fma_f32 v43, 0x3fb8aa3b, v49, -v41
	v_rndne_f32_e32 v45, v41
	v_cvt_i32_f32_e32 v10, v46
	v_cndmask_b32_e64 v12, 0x7f800000, v12, s31
	v_exp_f32_e32 v40, v40
	v_fmac_f32_e32 v43, 0x32a5705f, v49
	v_dual_sub_f32 v41, v41, v45 :: v_dual_mul_f32 v46, 0x3fb8aa3b, v47
	s_delay_alu instid0(TRANS32_DEP_2) | instskip(SKIP_2) | instid1(VALU_DEP_4)
	v_ldexp_f32 v10, v23, v10
	v_cmp_ngt_f32_e64 s31, 0xc2ce8ed0, v15
	v_cvt_i32_f32_e32 v23, v48
	v_add_f32_e32 v41, v41, v43
	v_fma_f32 v43, 0x3fb8aa3b, v47, -v46
	v_rndne_f32_e32 v48, v46
	v_cndmask_b32_e64 v10, 0, v10, s31
	v_cmp_nlt_f32_e64 s31, 0x42b17218, v15
	v_ldexp_f32 v23, v40, v23
	v_exp_f32_e32 v40, v41
	v_fmac_f32_e32 v43, 0x32a5705f, v47
	v_sub_f32_e32 v41, v46, v48
	v_cndmask_b32_e64 v15, 0x7f800000, v10, s31
	v_cmp_ngt_f32_e64 s31, 0xc2ce8ed0, v44
	v_cvt_i32_f32_e32 v10, v45
	v_sub_f32_e32 v45, v7, v17
	v_add_f32_e32 v41, v41, v43
	v_cvt_i32_f32_e32 v43, v48
	v_cndmask_b32_e64 v23, 0, v23, s31
	v_cmp_nlt_f32_e64 s31, 0x42b17218, v44
	v_ldexp_f32 v40, v40, v10
	v_add_f32_e32 v42, v42, v12
	s_delay_alu instid0(VALU_DEP_3) | instskip(SKIP_2) | instid1(VALU_DEP_3)
	v_cndmask_b32_e64 v10, 0x7f800000, v23, s31
	v_exp_f32_e32 v23, v41
	v_cmp_ngt_f32_e64 s31, 0xc2ce8ed0, v49
	v_dual_sub_f32 v41, v9, v17 :: v_dual_add_f32 v42, v42, v15
	s_delay_alu instid0(VALU_DEP_2) | instskip(SKIP_2) | instid1(VALU_DEP_4)
	v_cndmask_b32_e64 v40, 0, v40, s31
	v_cmp_nlt_f32_e64 s31, 0x42b17218, v49
	v_mul_f32_e32 v49, 0x3fb8aa3b, v6
	v_add_f32_e32 v42, v42, v10
	s_delay_alu instid0(TRANS32_DEP_1) | instskip(NEXT) | instid1(VALU_DEP_4)
	v_ldexp_f32 v23, v23, v43
	v_cndmask_b32_e64 v9, 0x7f800000, v40, s31
	v_mul_f32_e32 v40, 0x3fb8aa3b, v41
	v_cmp_ngt_f32_e64 s31, 0xc2ce8ed0, v47
	v_rndne_f32_e32 v50, v49
	s_delay_alu instid0(VALU_DEP_4) | instskip(NEXT) | instid1(VALU_DEP_4)
	v_add_f32_e32 v42, v42, v9
	v_fma_f32 v43, 0x3fb8aa3b, v41, -v40
	v_rndne_f32_e32 v44, v40
	v_cndmask_b32_e64 v23, 0, v23, s31
	v_cmp_nlt_f32_e64 s31, 0x42b17218, v47
	v_mul_f32_e32 v47, 0x3fb8aa3b, v8
	s_delay_alu instid0(VALU_DEP_4) | instskip(SKIP_1) | instid1(VALU_DEP_4)
	v_dual_fmac_f32 v43, 0x32a5705f, v41 :: v_dual_sub_f32 v40, v40, v44
	v_cvt_i32_f32_e32 v44, v44
	v_cndmask_b32_e64 v7, 0x7f800000, v23, s31
	v_mul_f32_e32 v23, 0x3fb8aa3b, v45
	v_rndne_f32_e32 v48, v47
	v_add_f32_e32 v40, v40, v43
	v_cmp_ngt_f32_e64 s31, 0xc2ce8ed0, v41
	v_add_f32_e32 v42, v42, v7
	v_fma_f32 v43, 0x3fb8aa3b, v45, -v23
	v_rndne_f32_e32 v46, v23
	v_exp_f32_e32 v40, v40
	s_delay_alu instid0(VALU_DEP_2) | instskip(NEXT) | instid1(VALU_DEP_2)
	v_fmac_f32_e32 v43, 0x32a5705f, v45
	v_sub_f32_e32 v17, v23, v46
	v_fma_f32 v23, 0x3fb8aa3b, v8, -v47
	s_delay_alu instid0(VALU_DEP_2) | instskip(NEXT) | instid1(VALU_DEP_2)
	v_add_f32_e32 v17, v17, v43
	v_fmac_f32_e32 v23, 0x32a5705f, v8
	v_sub_f32_e32 v43, v47, v48
	s_delay_alu instid0(TRANS32_DEP_1)
	v_ldexp_f32 v40, v40, v44
	v_fma_f32 v47, 0x3fb8aa3b, v6, -v49
	v_exp_f32_e32 v17, v17
	v_cvt_i32_f32_e32 v44, v46
	v_add_f32_e32 v23, v43, v23
	v_cndmask_b32_e64 v40, 0, v40, s31
	v_cmp_nlt_f32_e64 s31, 0x42b17218, v41
	v_fmac_f32_e32 v47, 0x32a5705f, v6
	v_sub_f32_e32 v43, v49, v50
	v_exp_f32_e32 v46, v23
	s_delay_alu instid0(VALU_DEP_3) | instskip(NEXT) | instid1(TRANS32_DEP_2)
	v_cndmask_b32_e64 v23, 0x7f800000, v40, s31
	v_ldexp_f32 v17, v17, v44
	v_cmp_ngt_f32_e64 s31, 0xc2ce8ed0, v45
	v_add_f32_e32 v43, v43, v47
	v_cvt_i32_f32_e32 v40, v48
	v_add_f32_e32 v42, v42, v23
	s_delay_alu instid0(VALU_DEP_4) | instskip(SKIP_4) | instid1(VALU_DEP_3)
	v_cndmask_b32_e64 v17, 0, v17, s31
	v_cmp_nlt_f32_e64 s31, 0x42b17218, v45
	v_exp_f32_e32 v41, v43
	v_ldexp_f32 v40, v46, v40
	v_cvt_i32_f32_e32 v43, v50
	v_cndmask_b32_e64 v17, 0x7f800000, v17, s31
	v_cmp_ngt_f32_e64 s31, 0xc2ce8ed0, v8
	s_delay_alu instid0(VALU_DEP_2) | instskip(NEXT) | instid1(VALU_DEP_2)
	v_add_f32_e32 v42, v42, v17
	v_cndmask_b32_e64 v40, 0, v40, s31
	v_cmp_nlt_f32_e64 s31, 0x42b17218, v8
	s_delay_alu instid0(TRANS32_DEP_1) | instskip(NEXT) | instid1(VALU_DEP_2)
	v_ldexp_f32 v41, v41, v43
	v_cndmask_b32_e64 v8, 0x7f800000, v40, s31
	v_cmp_ngt_f32_e64 s31, 0xc2ce8ed0, v6
	s_delay_alu instid0(VALU_DEP_1) | instskip(NEXT) | instid1(VALU_DEP_3)
	v_cndmask_b32_e64 v40, 0, v41, s31
	v_add_f32_e32 v41, v42, v8
	v_cmp_nlt_f32_e64 s31, 0x42b17218, v6
	s_delay_alu instid0(VALU_DEP_1) | instskip(NEXT) | instid1(VALU_DEP_1)
	v_cndmask_b32_e64 v6, 0x7f800000, v40, s31
	v_add_f32_e32 v40, v41, v6
	ds_bpermute_b32 v2, v2, v40
	s_waitcnt lgkmcnt(0)
	v_add_f32_e32 v2, v40, v2
	ds_bpermute_b32 v3, v3, v2
	s_waitcnt lgkmcnt(0)
	;; [unrolled: 3-line block ×4, first 2 shown]
	v_add_f32_e32 v2, v2, v3
	ds_bpermute_b32 v3, v16, v2
	v_cmpx_lt_i32_e32 0, v5
	s_cbranch_execz .LBB453_98
; %bb.65:
	s_and_b32 exec_lo, exec_lo, vcc_lo
	s_cbranch_execz .LBB453_98
; %bb.66:
	s_waitcnt lgkmcnt(0)
	v_add_f32_e32 v2, v2, v3
	v_lshlrev_b64 v[0:1], 2, v[0:1]
	s_delay_alu instid0(VALU_DEP_2) | instskip(SKIP_1) | instid1(VALU_DEP_2)
	v_div_scale_f32 v3, null, v2, v2, v39
	v_div_scale_f32 v14, vcc_lo, v39, v2, v39
	v_rcp_f32_e32 v4, v3
	s_waitcnt_depctr 0xfff
	v_fma_f32 v5, -v3, v4, 1.0
	s_delay_alu instid0(VALU_DEP_1) | instskip(NEXT) | instid1(VALU_DEP_1)
	v_fmac_f32_e32 v4, v5, v4
	v_mul_f32_e32 v5, v14, v4
	s_delay_alu instid0(VALU_DEP_1) | instskip(NEXT) | instid1(VALU_DEP_1)
	v_fma_f32 v16, -v3, v5, v14
	v_fmac_f32_e32 v5, v16, v4
	v_cmp_eq_f32_e64 s31, 0, v2
	s_delay_alu instid0(VALU_DEP_2) | instskip(NEXT) | instid1(VALU_DEP_1)
	v_fma_f32 v3, -v3, v5, v14
	v_div_fmas_f32 v3, v3, v4, v5
	v_add_co_u32 v0, vcc_lo, s36, v0
	v_add_co_ci_u32_e32 v1, vcc_lo, s37, v1, vcc_lo
	s_delay_alu instid0(VALU_DEP_3) | instskip(NEXT) | instid1(VALU_DEP_1)
	v_div_fixup_f32 v3, v3, v2, v39
	v_cndmask_b32_e64 v3, v3, 0x7fc00000, s31
	global_store_b32 v[0:1], v3, off
	s_and_b32 exec_lo, exec_lo, s30
	s_cbranch_execz .LBB453_98
; %bb.67:
	v_div_scale_f32 v3, null, v2, v2, v38
	s_delay_alu instid0(VALU_DEP_1) | instskip(SKIP_2) | instid1(VALU_DEP_1)
	v_rcp_f32_e32 v4, v3
	s_waitcnt_depctr 0xfff
	v_fma_f32 v5, -v3, v4, 1.0
	v_fmac_f32_e32 v4, v5, v4
	v_div_scale_f32 v5, vcc_lo, v38, v2, v38
	s_delay_alu instid0(VALU_DEP_1) | instskip(NEXT) | instid1(VALU_DEP_1)
	v_mul_f32_e32 v14, v5, v4
	v_fma_f32 v16, -v3, v14, v5
	s_delay_alu instid0(VALU_DEP_1) | instskip(NEXT) | instid1(VALU_DEP_1)
	v_fmac_f32_e32 v14, v16, v4
	v_fma_f32 v3, -v3, v14, v5
	s_delay_alu instid0(VALU_DEP_1) | instskip(NEXT) | instid1(VALU_DEP_1)
	v_div_fmas_f32 v3, v3, v4, v14
	v_div_fixup_f32 v3, v3, v2, v38
	s_delay_alu instid0(VALU_DEP_1)
	v_cndmask_b32_e64 v3, v3, 0x7fc00000, s31
	global_store_b32 v[0:1], v3, off offset:128
	s_and_b32 exec_lo, exec_lo, s29
	s_cbranch_execz .LBB453_98
; %bb.68:
	v_div_scale_f32 v3, null, v2, v2, v37
	s_delay_alu instid0(VALU_DEP_1) | instskip(SKIP_2) | instid1(VALU_DEP_1)
	v_rcp_f32_e32 v4, v3
	s_waitcnt_depctr 0xfff
	v_fma_f32 v5, -v3, v4, 1.0
	v_fmac_f32_e32 v4, v5, v4
	v_div_scale_f32 v5, vcc_lo, v37, v2, v37
	s_delay_alu instid0(VALU_DEP_1) | instskip(NEXT) | instid1(VALU_DEP_1)
	v_mul_f32_e32 v14, v5, v4
	v_fma_f32 v16, -v3, v14, v5
	s_delay_alu instid0(VALU_DEP_1) | instskip(NEXT) | instid1(VALU_DEP_1)
	v_fmac_f32_e32 v14, v16, v4
	v_fma_f32 v3, -v3, v14, v5
	s_delay_alu instid0(VALU_DEP_1) | instskip(NEXT) | instid1(VALU_DEP_1)
	v_div_fmas_f32 v3, v3, v4, v14
	v_div_fixup_f32 v3, v3, v2, v37
	s_delay_alu instid0(VALU_DEP_1)
	v_cndmask_b32_e64 v3, v3, 0x7fc00000, s31
	global_store_b32 v[0:1], v3, off offset:256
	;; [unrolled: 22-line block ×31, first 2 shown]
.LBB453_98:
	s_nop 0
	s_sendmsg sendmsg(MSG_DEALLOC_VGPRS)
	s_endpgm
	.section	.rodata,"a",@progbits
	.p2align	6, 0x0
	.amdhsa_kernel _ZN12_GLOBAL__N_120softmax_warp_forwardIN3c104HalfEffLi10ELb0ELb0ELi32EEEvPT0_PKT_iiiPKbib
		.amdhsa_group_segment_fixed_size 0
		.amdhsa_private_segment_fixed_size 0
		.amdhsa_kernarg_size 304
		.amdhsa_user_sgpr_count 15
		.amdhsa_user_sgpr_dispatch_ptr 0
		.amdhsa_user_sgpr_queue_ptr 0
		.amdhsa_user_sgpr_kernarg_segment_ptr 1
		.amdhsa_user_sgpr_dispatch_id 0
		.amdhsa_user_sgpr_private_segment_size 0
		.amdhsa_wavefront_size32 1
		.amdhsa_uses_dynamic_stack 0
		.amdhsa_enable_private_segment 0
		.amdhsa_system_sgpr_workgroup_id_x 1
		.amdhsa_system_sgpr_workgroup_id_y 0
		.amdhsa_system_sgpr_workgroup_id_z 0
		.amdhsa_system_sgpr_workgroup_info 0
		.amdhsa_system_vgpr_workitem_id 1
		.amdhsa_next_free_vgpr 94
		.amdhsa_next_free_sgpr 44
		.amdhsa_reserve_vcc 1
		.amdhsa_float_round_mode_32 0
		.amdhsa_float_round_mode_16_64 0
		.amdhsa_float_denorm_mode_32 3
		.amdhsa_float_denorm_mode_16_64 3
		.amdhsa_dx10_clamp 1
		.amdhsa_ieee_mode 1
		.amdhsa_fp16_overflow 0
		.amdhsa_workgroup_processor_mode 1
		.amdhsa_memory_ordered 1
		.amdhsa_forward_progress 0
		.amdhsa_shared_vgpr_count 0
		.amdhsa_exception_fp_ieee_invalid_op 0
		.amdhsa_exception_fp_denorm_src 0
		.amdhsa_exception_fp_ieee_div_zero 0
		.amdhsa_exception_fp_ieee_overflow 0
		.amdhsa_exception_fp_ieee_underflow 0
		.amdhsa_exception_fp_ieee_inexact 0
		.amdhsa_exception_int_div_zero 0
	.end_amdhsa_kernel
	.section	.text._ZN12_GLOBAL__N_120softmax_warp_forwardIN3c104HalfEffLi10ELb0ELb0ELi32EEEvPT0_PKT_iiiPKbib,"axG",@progbits,_ZN12_GLOBAL__N_120softmax_warp_forwardIN3c104HalfEffLi10ELb0ELb0ELi32EEEvPT0_PKT_iiiPKbib,comdat
.Lfunc_end453:
	.size	_ZN12_GLOBAL__N_120softmax_warp_forwardIN3c104HalfEffLi10ELb0ELb0ELi32EEEvPT0_PKT_iiiPKbib, .Lfunc_end453-_ZN12_GLOBAL__N_120softmax_warp_forwardIN3c104HalfEffLi10ELb0ELb0ELi32EEEvPT0_PKT_iiiPKbib
                                        ; -- End function
	.section	.AMDGPU.csdata,"",@progbits
; Kernel info:
; codeLenInByte = 10752
; NumSgprs: 46
; NumVgprs: 94
; ScratchSize: 0
; MemoryBound: 0
; FloatMode: 240
; IeeeMode: 1
; LDSByteSize: 0 bytes/workgroup (compile time only)
; SGPRBlocks: 5
; VGPRBlocks: 11
; NumSGPRsForWavesPerEU: 46
; NumVGPRsForWavesPerEU: 94
; Occupancy: 16
; WaveLimiterHint : 0
; COMPUTE_PGM_RSRC2:SCRATCH_EN: 0
; COMPUTE_PGM_RSRC2:USER_SGPR: 15
; COMPUTE_PGM_RSRC2:TRAP_HANDLER: 0
; COMPUTE_PGM_RSRC2:TGID_X_EN: 1
; COMPUTE_PGM_RSRC2:TGID_Y_EN: 0
; COMPUTE_PGM_RSRC2:TGID_Z_EN: 0
; COMPUTE_PGM_RSRC2:TIDIG_COMP_CNT: 1
	.section	.text._ZN12_GLOBAL__N_120softmax_warp_forwardIN3c104HalfEffLi11ELb0ELb0ELi64EEEvPT0_PKT_iiiPKbib,"axG",@progbits,_ZN12_GLOBAL__N_120softmax_warp_forwardIN3c104HalfEffLi11ELb0ELb0ELi64EEEvPT0_PKT_iiiPKbib,comdat
	.globl	_ZN12_GLOBAL__N_120softmax_warp_forwardIN3c104HalfEffLi11ELb0ELb0ELi64EEEvPT0_PKT_iiiPKbib ; -- Begin function _ZN12_GLOBAL__N_120softmax_warp_forwardIN3c104HalfEffLi11ELb0ELb0ELi64EEEvPT0_PKT_iiiPKbib
	.p2align	8
	.type	_ZN12_GLOBAL__N_120softmax_warp_forwardIN3c104HalfEffLi11ELb0ELb0ELi64EEEvPT0_PKT_iiiPKbib,@function
_ZN12_GLOBAL__N_120softmax_warp_forwardIN3c104HalfEffLi11ELb0ELb0ELi64EEEvPT0_PKT_iiiPKbib: ; @_ZN12_GLOBAL__N_120softmax_warp_forwardIN3c104HalfEffLi11ELb0ELb0ELi64EEEvPT0_PKT_iiiPKbib
; %bb.0:
	s_clause 0x1
	s_load_b32 s2, s[0:1], 0x3c
	s_load_b256 s[36:43], s[0:1], 0x0
	v_bfe_u32 v1, v0, 10, 10
	v_mov_b32_e32 v17, 0xff800000
	v_mov_b32_e32 v25, 0xff800000
	s_waitcnt lgkmcnt(0)
	s_lshr_b32 s0, s2, 16
	s_delay_alu instid0(SALU_CYCLE_1) | instskip(SKIP_1) | instid1(VALU_DEP_1)
	v_mad_u64_u32 v[3:4], null, s15, s0, v[1:2]
	v_and_b32_e32 v2, 0x3ff, v0
	v_cmp_gt_i32_e32 vcc_lo, s42, v2
	s_delay_alu instid0(VALU_DEP_3) | instskip(SKIP_1) | instid1(VALU_DEP_1)
	v_mad_u64_u32 v[0:1], null, v3, s41, v[2:3]
	v_sub_nc_u32_e32 v5, s40, v3
	v_cmp_lt_i32_e64 s31, 0, v5
	s_delay_alu instid0(VALU_DEP_3) | instskip(NEXT) | instid1(VALU_DEP_2)
	v_ashrrev_i32_e32 v1, 31, v0
	s_and_b32 s1, s31, vcc_lo
	s_delay_alu instid0(VALU_DEP_1) | instskip(NEXT) | instid1(VALU_DEP_1)
	v_lshlrev_b64 v[3:4], 1, v[0:1]
	v_add_co_u32 v3, s0, s38, v3
	s_delay_alu instid0(VALU_DEP_1)
	v_add_co_ci_u32_e64 v4, s0, s39, v4, s0
	s_and_saveexec_b32 s0, s1
	s_cbranch_execz .LBB454_2
; %bb.1:
	global_load_u16 v6, v[3:4], off
	s_waitcnt vmcnt(0)
	v_cvt_f32_f16_e32 v25, v6
.LBB454_2:
	s_or_b32 exec_lo, exec_lo, s0
	v_add_nc_u32_e32 v6, 64, v2
	s_delay_alu instid0(VALU_DEP_1) | instskip(NEXT) | instid1(VALU_DEP_1)
	v_cmp_gt_i32_e64 s30, s42, v6
	s_and_b32 s1, s31, s30
	s_delay_alu instid0(SALU_CYCLE_1)
	s_and_saveexec_b32 s0, s1
	s_cbranch_execz .LBB454_4
; %bb.3:
	global_load_u16 v6, v[3:4], off offset:128
	s_waitcnt vmcnt(0)
	v_cvt_f32_f16_e32 v17, v6
.LBB454_4:
	s_or_b32 exec_lo, exec_lo, s0
	v_add_nc_u32_e32 v6, 0x80, v2
	v_mov_b32_e32 v18, 0xff800000
	v_mov_b32_e32 v28, 0xff800000
	s_delay_alu instid0(VALU_DEP_3) | instskip(NEXT) | instid1(VALU_DEP_1)
	v_cmp_gt_i32_e64 s29, s42, v6
	s_and_b32 s1, s31, s29
	s_delay_alu instid0(SALU_CYCLE_1)
	s_and_saveexec_b32 s0, s1
	s_cbranch_execz .LBB454_6
; %bb.5:
	global_load_u16 v6, v[3:4], off offset:256
	s_waitcnt vmcnt(0)
	v_cvt_f32_f16_e32 v28, v6
.LBB454_6:
	s_or_b32 exec_lo, exec_lo, s0
	v_add_nc_u32_e32 v6, 0xc0, v2
	s_delay_alu instid0(VALU_DEP_1) | instskip(NEXT) | instid1(VALU_DEP_1)
	v_cmp_gt_i32_e64 s28, s42, v6
	s_and_b32 s1, s31, s28
	s_delay_alu instid0(SALU_CYCLE_1)
	s_and_saveexec_b32 s0, s1
	s_cbranch_execz .LBB454_8
; %bb.7:
	global_load_u16 v6, v[3:4], off offset:384
	s_waitcnt vmcnt(0)
	v_cvt_f32_f16_e32 v18, v6
.LBB454_8:
	s_or_b32 exec_lo, exec_lo, s0
	v_add_nc_u32_e32 v6, 0x100, v2
	v_dual_mov_b32 v19, 0xff800000 :: v_dual_mov_b32 v30, 0xff800000
	s_delay_alu instid0(VALU_DEP_2) | instskip(NEXT) | instid1(VALU_DEP_1)
	v_cmp_gt_i32_e64 s27, s42, v6
	s_and_b32 s1, s31, s27
	s_delay_alu instid0(SALU_CYCLE_1)
	s_and_saveexec_b32 s0, s1
	s_cbranch_execz .LBB454_10
; %bb.9:
	global_load_u16 v6, v[3:4], off offset:512
	s_waitcnt vmcnt(0)
	v_cvt_f32_f16_e32 v30, v6
.LBB454_10:
	s_or_b32 exec_lo, exec_lo, s0
	v_add_nc_u32_e32 v6, 0x140, v2
	s_delay_alu instid0(VALU_DEP_1) | instskip(NEXT) | instid1(VALU_DEP_1)
	v_cmp_gt_i32_e64 s26, s42, v6
	s_and_b32 s1, s31, s26
	s_delay_alu instid0(SALU_CYCLE_1)
	s_and_saveexec_b32 s0, s1
	s_cbranch_execz .LBB454_12
; %bb.11:
	global_load_u16 v6, v[3:4], off offset:640
	s_waitcnt vmcnt(0)
	v_cvt_f32_f16_e32 v19, v6
.LBB454_12:
	s_or_b32 exec_lo, exec_lo, s0
	v_add_nc_u32_e32 v6, 0x180, v2
	v_mov_b32_e32 v20, 0xff800000
	v_mov_b32_e32 v32, 0xff800000
	s_delay_alu instid0(VALU_DEP_3) | instskip(NEXT) | instid1(VALU_DEP_1)
	v_cmp_gt_i32_e64 s25, s42, v6
	s_and_b32 s1, s31, s25
	s_delay_alu instid0(SALU_CYCLE_1)
	s_and_saveexec_b32 s0, s1
	s_cbranch_execz .LBB454_14
; %bb.13:
	global_load_u16 v6, v[3:4], off offset:768
	s_waitcnt vmcnt(0)
	v_cvt_f32_f16_e32 v32, v6
.LBB454_14:
	s_or_b32 exec_lo, exec_lo, s0
	v_add_nc_u32_e32 v6, 0x1c0, v2
	s_delay_alu instid0(VALU_DEP_1) | instskip(NEXT) | instid1(VALU_DEP_1)
	v_cmp_gt_i32_e64 s24, s42, v6
	s_and_b32 s1, s31, s24
	s_delay_alu instid0(SALU_CYCLE_1)
	s_and_saveexec_b32 s0, s1
	s_cbranch_execz .LBB454_16
; %bb.15:
	global_load_u16 v6, v[3:4], off offset:896
	s_waitcnt vmcnt(0)
	v_cvt_f32_f16_e32 v20, v6
.LBB454_16:
	s_or_b32 exec_lo, exec_lo, s0
	v_add_nc_u32_e32 v6, 0x200, v2
	v_mov_b32_e32 v21, 0xff800000
	v_mov_b32_e32 v33, 0xff800000
	s_delay_alu instid0(VALU_DEP_3) | instskip(NEXT) | instid1(VALU_DEP_1)
	;; [unrolled: 28-line block ×5, first 2 shown]
	v_cmp_gt_i32_e64 s17, s42, v6
	s_and_b32 s1, s31, s17
	s_delay_alu instid0(SALU_CYCLE_1)
	s_and_saveexec_b32 s0, s1
	s_cbranch_execz .LBB454_30
; %bb.29:
	global_load_u16 v6, v[3:4], off offset:1792
	s_waitcnt vmcnt(0)
	v_cvt_f32_f16_e32 v36, v6
.LBB454_30:
	s_or_b32 exec_lo, exec_lo, s0
	v_add_nc_u32_e32 v6, 0x3c0, v2
	s_delay_alu instid0(VALU_DEP_1) | instskip(NEXT) | instid1(VALU_DEP_1)
	v_cmp_gt_i32_e64 s16, s42, v6
	s_and_b32 s1, s31, s16
	s_delay_alu instid0(SALU_CYCLE_1)
	s_and_saveexec_b32 s0, s1
	s_cbranch_execz .LBB454_32
; %bb.31:
	global_load_u16 v6, v[3:4], off offset:1920
	s_waitcnt vmcnt(0)
	v_cvt_f32_f16_e32 v24, v6
.LBB454_32:
	s_or_b32 exec_lo, exec_lo, s0
	v_or_b32_e32 v6, 0x400, v2
	v_dual_mov_b32 v26, 0xff800000 :: v_dual_mov_b32 v37, 0xff800000
	s_delay_alu instid0(VALU_DEP_2) | instskip(NEXT) | instid1(VALU_DEP_1)
	v_cmp_gt_i32_e64 s15, s42, v6
	s_and_b32 s1, s31, s15
	s_delay_alu instid0(SALU_CYCLE_1)
	s_and_saveexec_b32 s0, s1
	s_cbranch_execz .LBB454_34
; %bb.33:
	global_load_u16 v6, v[3:4], off offset:2048
	s_waitcnt vmcnt(0)
	v_cvt_f32_f16_e32 v37, v6
.LBB454_34:
	s_or_b32 exec_lo, exec_lo, s0
	v_add_nc_u32_e32 v6, 0x440, v2
	s_delay_alu instid0(VALU_DEP_1) | instskip(NEXT) | instid1(VALU_DEP_1)
	v_cmp_gt_i32_e64 s14, s42, v6
	s_and_b32 s1, s31, s14
	s_delay_alu instid0(SALU_CYCLE_1)
	s_and_saveexec_b32 s0, s1
	s_cbranch_execz .LBB454_36
; %bb.35:
	global_load_u16 v6, v[3:4], off offset:2176
	s_waitcnt vmcnt(0)
	v_cvt_f32_f16_e32 v26, v6
.LBB454_36:
	s_or_b32 exec_lo, exec_lo, s0
	v_add_nc_u32_e32 v6, 0x480, v2
	v_dual_mov_b32 v27, 0xff800000 :: v_dual_mov_b32 v38, 0xff800000
	s_delay_alu instid0(VALU_DEP_2) | instskip(NEXT) | instid1(VALU_DEP_1)
	v_cmp_gt_i32_e64 s13, s42, v6
	s_and_b32 s1, s31, s13
	s_delay_alu instid0(SALU_CYCLE_1)
	s_and_saveexec_b32 s0, s1
	s_cbranch_execz .LBB454_38
; %bb.37:
	global_load_u16 v6, v[3:4], off offset:2304
	s_waitcnt vmcnt(0)
	v_cvt_f32_f16_e32 v38, v6
.LBB454_38:
	s_or_b32 exec_lo, exec_lo, s0
	v_add_nc_u32_e32 v6, 0x4c0, v2
	s_delay_alu instid0(VALU_DEP_1) | instskip(NEXT) | instid1(VALU_DEP_1)
	v_cmp_gt_i32_e64 s12, s42, v6
	s_and_b32 s1, s31, s12
	s_delay_alu instid0(SALU_CYCLE_1)
	s_and_saveexec_b32 s0, s1
	s_cbranch_execz .LBB454_40
; %bb.39:
	global_load_u16 v6, v[3:4], off offset:2432
	s_waitcnt vmcnt(0)
	v_cvt_f32_f16_e32 v27, v6
.LBB454_40:
	s_or_b32 exec_lo, exec_lo, s0
	v_add_nc_u32_e32 v6, 0x500, v2
	v_mov_b32_e32 v29, 0xff800000
	v_mov_b32_e32 v39, 0xff800000
	s_delay_alu instid0(VALU_DEP_3) | instskip(NEXT) | instid1(VALU_DEP_1)
	v_cmp_gt_i32_e64 s11, s42, v6
	s_and_b32 s1, s31, s11
	s_delay_alu instid0(SALU_CYCLE_1)
	s_and_saveexec_b32 s0, s1
	s_cbranch_execz .LBB454_42
; %bb.41:
	global_load_u16 v6, v[3:4], off offset:2560
	s_waitcnt vmcnt(0)
	v_cvt_f32_f16_e32 v39, v6
.LBB454_42:
	s_or_b32 exec_lo, exec_lo, s0
	v_add_nc_u32_e32 v6, 0x540, v2
	s_delay_alu instid0(VALU_DEP_1) | instskip(NEXT) | instid1(VALU_DEP_1)
	v_cmp_gt_i32_e64 s10, s42, v6
	s_and_b32 s1, s31, s10
	s_delay_alu instid0(SALU_CYCLE_1)
	s_and_saveexec_b32 s0, s1
	s_cbranch_execz .LBB454_44
; %bb.43:
	global_load_u16 v6, v[3:4], off offset:2688
	s_waitcnt vmcnt(0)
	v_cvt_f32_f16_e32 v29, v6
.LBB454_44:
	s_or_b32 exec_lo, exec_lo, s0
	v_add_nc_u32_e32 v6, 0x580, v2
	v_dual_mov_b32 v31, 0xff800000 :: v_dual_mov_b32 v40, 0xff800000
	s_delay_alu instid0(VALU_DEP_2) | instskip(NEXT) | instid1(VALU_DEP_1)
	v_cmp_gt_i32_e64 s9, s42, v6
	s_and_b32 s1, s31, s9
	s_delay_alu instid0(SALU_CYCLE_1)
	s_and_saveexec_b32 s0, s1
	s_cbranch_execz .LBB454_46
; %bb.45:
	global_load_u16 v6, v[3:4], off offset:2816
	s_waitcnt vmcnt(0)
	v_cvt_f32_f16_e32 v40, v6
.LBB454_46:
	s_or_b32 exec_lo, exec_lo, s0
	v_add_nc_u32_e32 v6, 0x5c0, v2
	s_delay_alu instid0(VALU_DEP_1) | instskip(NEXT) | instid1(VALU_DEP_1)
	v_cmp_gt_i32_e64 s8, s42, v6
	s_and_b32 s1, s31, s8
	s_delay_alu instid0(SALU_CYCLE_1)
	s_and_saveexec_b32 s0, s1
	s_cbranch_execz .LBB454_48
; %bb.47:
	global_load_u16 v6, v[3:4], off offset:2944
	s_waitcnt vmcnt(0)
	v_cvt_f32_f16_e32 v31, v6
.LBB454_48:
	s_or_b32 exec_lo, exec_lo, s0
	v_add_nc_u32_e32 v6, 0x600, v2
	v_mov_b32_e32 v11, 0xff800000
	v_mov_b32_e32 v41, 0xff800000
	s_delay_alu instid0(VALU_DEP_3) | instskip(NEXT) | instid1(VALU_DEP_1)
	v_cmp_gt_i32_e64 s7, s42, v6
	s_and_b32 s1, s31, s7
	s_delay_alu instid0(SALU_CYCLE_1)
	s_and_saveexec_b32 s0, s1
	s_cbranch_execz .LBB454_50
; %bb.49:
	global_load_u16 v6, v[3:4], off offset:3072
	s_waitcnt vmcnt(0)
	v_cvt_f32_f16_e32 v41, v6
.LBB454_50:
	s_or_b32 exec_lo, exec_lo, s0
	v_add_nc_u32_e32 v6, 0x640, v2
	s_delay_alu instid0(VALU_DEP_1) | instskip(NEXT) | instid1(VALU_DEP_1)
	v_cmp_gt_i32_e64 s6, s42, v6
	s_and_b32 s1, s31, s6
	s_delay_alu instid0(SALU_CYCLE_1)
	s_and_saveexec_b32 s0, s1
	s_cbranch_execz .LBB454_52
; %bb.51:
	global_load_u16 v6, v[3:4], off offset:3200
	s_waitcnt vmcnt(0)
	v_cvt_f32_f16_e32 v11, v6
.LBB454_52:
	s_or_b32 exec_lo, exec_lo, s0
	v_add_nc_u32_e32 v6, 0x680, v2
	v_mov_b32_e32 v10, 0xff800000
	v_mov_b32_e32 v12, 0xff800000
	s_delay_alu instid0(VALU_DEP_3) | instskip(NEXT) | instid1(VALU_DEP_1)
	;; [unrolled: 28-line block ×3, first 2 shown]
	v_cmp_gt_i32_e64 s3, s42, v6
	s_and_b32 s1, s31, s3
	s_delay_alu instid0(SALU_CYCLE_1)
	s_and_saveexec_b32 s0, s1
	s_cbranch_execz .LBB454_58
; %bb.57:
	global_load_u16 v6, v[3:4], off offset:3584
	s_waitcnt vmcnt(0)
	v_cvt_f32_f16_e32 v9, v6
.LBB454_58:
	s_or_b32 exec_lo, exec_lo, s0
	v_add_nc_u32_e32 v6, 0x740, v2
	s_delay_alu instid0(VALU_DEP_1) | instskip(NEXT) | instid1(VALU_DEP_1)
	v_cmp_gt_i32_e64 s2, s42, v6
	s_and_b32 s1, s31, s2
	s_delay_alu instid0(SALU_CYCLE_1)
	s_and_saveexec_b32 s0, s1
	s_cbranch_execz .LBB454_60
; %bb.59:
	global_load_u16 v6, v[3:4], off offset:3712
	s_waitcnt vmcnt(0)
	v_cvt_f32_f16_e32 v7, v6
.LBB454_60:
	s_or_b32 exec_lo, exec_lo, s0
	v_add_nc_u32_e32 v6, 0x780, v2
	v_mov_b32_e32 v8, 0xff800000
	s_delay_alu instid0(VALU_DEP_2) | instskip(SKIP_1) | instid1(VALU_DEP_2)
	v_cmp_gt_i32_e64 s1, s42, v6
	v_mov_b32_e32 v6, 0xff800000
	s_and_b32 s33, s31, s1
	s_delay_alu instid0(SALU_CYCLE_1)
	s_and_saveexec_b32 s0, s33
	s_cbranch_execz .LBB454_62
; %bb.61:
	global_load_u16 v8, v[3:4], off offset:3840
	s_waitcnt vmcnt(0)
	v_cvt_f32_f16_e32 v8, v8
.LBB454_62:
	s_or_b32 exec_lo, exec_lo, s0
	v_add_nc_u32_e32 v2, 0x7c0, v2
	s_delay_alu instid0(VALU_DEP_1) | instskip(NEXT) | instid1(VALU_DEP_1)
	v_cmp_gt_i32_e64 s0, s42, v2
	s_and_b32 s33, s31, s0
	s_delay_alu instid0(SALU_CYCLE_1)
	s_and_saveexec_b32 s31, s33
	s_cbranch_execz .LBB454_64
; %bb.63:
	global_load_u16 v2, v[3:4], off offset:3968
	s_waitcnt vmcnt(0)
	v_cvt_f32_f16_e32 v6, v2
.LBB454_64:
	s_or_b32 exec_lo, exec_lo, s31
	v_cmp_gt_f32_e64 s31, v25, v17
	v_mbcnt_lo_u32_b32 v15, -1, 0
	s_mov_b32 s33, exec_lo
	s_delay_alu instid0(VALU_DEP_2) | instskip(NEXT) | instid1(VALU_DEP_2)
	v_cndmask_b32_e64 v2, v17, v25, s31
	v_or_b32_e32 v3, 32, v15
	v_xor_b32_e32 v43, 1, v15
	s_delay_alu instid0(VALU_DEP_3) | instskip(NEXT) | instid1(VALU_DEP_1)
	v_cmp_gt_f32_e64 s31, v2, v28
	v_cndmask_b32_e64 v2, v28, v2, s31
	s_delay_alu instid0(VALU_DEP_1) | instskip(NEXT) | instid1(VALU_DEP_1)
	v_cmp_gt_f32_e64 s31, v2, v18
	v_cndmask_b32_e64 v2, v18, v2, s31
	s_delay_alu instid0(VALU_DEP_1) | instskip(NEXT) | instid1(VALU_DEP_1)
	v_cmp_gt_f32_e64 s31, v2, v30
	v_cndmask_b32_e64 v2, v30, v2, s31
	s_delay_alu instid0(VALU_DEP_1) | instskip(NEXT) | instid1(VALU_DEP_1)
	v_cmp_gt_f32_e64 s31, v2, v19
	v_cndmask_b32_e64 v2, v19, v2, s31
	s_delay_alu instid0(VALU_DEP_1) | instskip(NEXT) | instid1(VALU_DEP_1)
	v_cmp_gt_f32_e64 s31, v2, v32
	v_cndmask_b32_e64 v2, v32, v2, s31
	s_delay_alu instid0(VALU_DEP_1) | instskip(NEXT) | instid1(VALU_DEP_1)
	v_cmp_gt_f32_e64 s31, v2, v20
	v_cndmask_b32_e64 v2, v20, v2, s31
	s_delay_alu instid0(VALU_DEP_1) | instskip(NEXT) | instid1(VALU_DEP_1)
	v_cmp_gt_f32_e64 s31, v2, v33
	v_cndmask_b32_e64 v2, v33, v2, s31
	s_delay_alu instid0(VALU_DEP_1) | instskip(NEXT) | instid1(VALU_DEP_1)
	v_cmp_gt_f32_e64 s31, v2, v21
	v_cndmask_b32_e64 v2, v21, v2, s31
	s_delay_alu instid0(VALU_DEP_1) | instskip(NEXT) | instid1(VALU_DEP_1)
	v_cmp_gt_f32_e64 s31, v2, v34
	v_cndmask_b32_e64 v2, v34, v2, s31
	s_delay_alu instid0(VALU_DEP_1) | instskip(NEXT) | instid1(VALU_DEP_1)
	v_cmp_gt_f32_e64 s31, v2, v22
	v_cndmask_b32_e64 v2, v22, v2, s31
	s_delay_alu instid0(VALU_DEP_1) | instskip(NEXT) | instid1(VALU_DEP_1)
	v_cmp_gt_f32_e64 s31, v2, v35
	v_cndmask_b32_e64 v2, v35, v2, s31
	s_delay_alu instid0(VALU_DEP_1) | instskip(NEXT) | instid1(VALU_DEP_1)
	v_cmp_gt_f32_e64 s31, v2, v23
	v_cndmask_b32_e64 v2, v23, v2, s31
	s_delay_alu instid0(VALU_DEP_1) | instskip(NEXT) | instid1(VALU_DEP_1)
	v_cmp_gt_f32_e64 s31, v2, v36
	v_cndmask_b32_e64 v2, v36, v2, s31
	s_delay_alu instid0(VALU_DEP_1) | instskip(NEXT) | instid1(VALU_DEP_1)
	v_cmp_gt_f32_e64 s31, v2, v24
	v_cndmask_b32_e64 v2, v24, v2, s31
	s_delay_alu instid0(VALU_DEP_1) | instskip(NEXT) | instid1(VALU_DEP_1)
	v_cmp_gt_f32_e64 s31, v2, v37
	v_cndmask_b32_e64 v2, v37, v2, s31
	s_delay_alu instid0(VALU_DEP_1) | instskip(NEXT) | instid1(VALU_DEP_1)
	v_cmp_gt_f32_e64 s31, v2, v26
	v_cndmask_b32_e64 v2, v26, v2, s31
	s_delay_alu instid0(VALU_DEP_1) | instskip(NEXT) | instid1(VALU_DEP_1)
	v_cmp_gt_f32_e64 s31, v2, v38
	v_cndmask_b32_e64 v2, v38, v2, s31
	s_delay_alu instid0(VALU_DEP_1) | instskip(NEXT) | instid1(VALU_DEP_1)
	v_cmp_gt_f32_e64 s31, v2, v27
	v_cndmask_b32_e64 v2, v27, v2, s31
	s_delay_alu instid0(VALU_DEP_1) | instskip(NEXT) | instid1(VALU_DEP_1)
	v_cmp_gt_f32_e64 s31, v2, v39
	v_cndmask_b32_e64 v2, v39, v2, s31
	s_delay_alu instid0(VALU_DEP_1) | instskip(NEXT) | instid1(VALU_DEP_1)
	v_cmp_gt_f32_e64 s31, v2, v29
	v_cndmask_b32_e64 v2, v29, v2, s31
	s_delay_alu instid0(VALU_DEP_1) | instskip(NEXT) | instid1(VALU_DEP_1)
	v_cmp_gt_f32_e64 s31, v2, v40
	v_cndmask_b32_e64 v2, v40, v2, s31
	s_delay_alu instid0(VALU_DEP_1) | instskip(NEXT) | instid1(VALU_DEP_1)
	v_cmp_gt_f32_e64 s31, v2, v31
	v_cndmask_b32_e64 v2, v31, v2, s31
	s_delay_alu instid0(VALU_DEP_1) | instskip(NEXT) | instid1(VALU_DEP_1)
	v_cmp_gt_f32_e64 s31, v2, v41
	v_cndmask_b32_e64 v2, v41, v2, s31
	s_delay_alu instid0(VALU_DEP_1) | instskip(NEXT) | instid1(VALU_DEP_1)
	v_cmp_gt_f32_e64 s31, v2, v11
	v_cndmask_b32_e64 v2, v11, v2, s31
	s_delay_alu instid0(VALU_DEP_1) | instskip(NEXT) | instid1(VALU_DEP_1)
	v_cmp_gt_f32_e64 s31, v2, v12
	v_cndmask_b32_e64 v2, v12, v2, s31
	s_delay_alu instid0(VALU_DEP_1) | instskip(NEXT) | instid1(VALU_DEP_1)
	v_cmp_gt_f32_e64 s31, v2, v10
	v_cndmask_b32_e64 v2, v10, v2, s31
	s_delay_alu instid0(VALU_DEP_1) | instskip(NEXT) | instid1(VALU_DEP_1)
	v_cmp_gt_f32_e64 s31, v2, v9
	v_cndmask_b32_e64 v2, v9, v2, s31
	s_delay_alu instid0(VALU_DEP_1) | instskip(NEXT) | instid1(VALU_DEP_1)
	v_cmp_gt_f32_e64 s31, v2, v7
	v_cndmask_b32_e64 v2, v7, v2, s31
	v_cmp_gt_i32_e64 s31, 64, v3
	s_delay_alu instid0(VALU_DEP_1) | instskip(NEXT) | instid1(VALU_DEP_3)
	v_cndmask_b32_e64 v3, v15, v3, s31
	v_cmp_gt_f32_e64 s31, v2, v8
	s_delay_alu instid0(VALU_DEP_1) | instskip(NEXT) | instid1(VALU_DEP_3)
	v_cndmask_b32_e64 v4, v8, v2, s31
	v_lshlrev_b32_e32 v2, 2, v3
	v_xor_b32_e32 v3, 16, v15
	s_delay_alu instid0(VALU_DEP_3) | instskip(NEXT) | instid1(VALU_DEP_1)
	v_cmp_gt_f32_e64 s31, v4, v6
	v_cndmask_b32_e64 v4, v6, v4, s31
	s_delay_alu instid0(VALU_DEP_3) | instskip(SKIP_2) | instid1(VALU_DEP_1)
	v_cmp_gt_i32_e64 s31, 64, v3
	ds_bpermute_b32 v13, v2, v4
	v_cndmask_b32_e64 v3, v15, v3, s31
	v_lshlrev_b32_e32 v3, 2, v3
	s_waitcnt lgkmcnt(0)
	v_cmp_lt_f32_e64 s31, v4, v13
	s_delay_alu instid0(VALU_DEP_1) | instskip(SKIP_3) | instid1(VALU_DEP_1)
	v_cndmask_b32_e64 v13, v4, v13, s31
	v_xor_b32_e32 v4, 8, v15
	ds_bpermute_b32 v14, v3, v13
	v_cmp_gt_i32_e64 s31, 64, v4
	v_cndmask_b32_e64 v4, v15, v4, s31
	s_delay_alu instid0(VALU_DEP_1) | instskip(SKIP_2) | instid1(VALU_DEP_1)
	v_lshlrev_b32_e32 v4, 2, v4
	s_waitcnt lgkmcnt(0)
	v_cmp_lt_f32_e64 s31, v13, v14
	v_cndmask_b32_e64 v14, v13, v14, s31
	v_xor_b32_e32 v13, 4, v15
	ds_bpermute_b32 v16, v4, v14
	v_cmp_gt_i32_e64 s31, 64, v13
	s_delay_alu instid0(VALU_DEP_1) | instskip(NEXT) | instid1(VALU_DEP_1)
	v_cndmask_b32_e64 v13, v15, v13, s31
	v_lshlrev_b32_e32 v13, 2, v13
	s_waitcnt lgkmcnt(0)
	v_cmp_lt_f32_e64 s31, v14, v16
	s_delay_alu instid0(VALU_DEP_1) | instskip(SKIP_3) | instid1(VALU_DEP_1)
	v_cndmask_b32_e64 v16, v14, v16, s31
	v_xor_b32_e32 v14, 2, v15
	ds_bpermute_b32 v42, v13, v16
	v_cmp_gt_i32_e64 s31, 64, v14
	v_cndmask_b32_e64 v14, v15, v14, s31
	s_delay_alu instid0(VALU_DEP_1) | instskip(SKIP_2) | instid1(VALU_DEP_1)
	v_lshlrev_b32_e32 v14, 2, v14
	s_waitcnt lgkmcnt(0)
	v_cmp_lt_f32_e64 s31, v16, v42
	v_cndmask_b32_e64 v16, v16, v42, s31
	v_cmp_gt_i32_e64 s31, 64, v43
	ds_bpermute_b32 v42, v14, v16
	v_cndmask_b32_e64 v15, v15, v43, s31
	s_delay_alu instid0(VALU_DEP_1) | instskip(SKIP_2) | instid1(VALU_DEP_1)
	v_lshlrev_b32_e32 v15, 2, v15
	s_waitcnt lgkmcnt(0)
	v_cmp_lt_f32_e64 s31, v16, v42
	v_cndmask_b32_e64 v16, v16, v42, s31
	ds_bpermute_b32 v42, v15, v16
	s_waitcnt lgkmcnt(0)
	v_cmp_lt_f32_e64 s31, v16, v42
	s_delay_alu instid0(VALU_DEP_1) | instskip(NEXT) | instid1(VALU_DEP_1)
	v_cndmask_b32_e64 v16, v16, v42, s31
	v_sub_f32_e32 v30, v30, v16
	v_sub_f32_e32 v25, v25, v16
	;; [unrolled: 1-line block ×6, first 2 shown]
	v_mul_f32_e32 v26, 0x3fb8aa3b, v25
	v_sub_f32_e32 v28, v28, v16
	v_dual_sub_f32 v32, v32, v16 :: v_dual_mul_f32 v31, 0x3fb8aa3b, v18
	v_sub_f32_e32 v20, v20, v16
	v_sub_f32_e32 v33, v33, v16
	;; [unrolled: 1-line block ×3, first 2 shown]
	v_dual_mul_f32 v34, 0x3fb8aa3b, v30 :: v_dual_sub_f32 v21, v21, v16
	v_fma_f32 v66, 0x3fb8aa3b, v25, -v26
	v_rndne_f32_e32 v67, v26
	v_sub_f32_e32 v47, v38, v16
	v_sub_f32_e32 v45, v37, v16
	;; [unrolled: 1-line block ×5, first 2 shown]
	v_dual_mul_f32 v29, 0x3fb8aa3b, v28 :: v_dual_sub_f32 v26, v26, v67
	v_mul_f32_e32 v38, 0x3fb8aa3b, v33
	v_dual_mul_f32 v39, 0x3fb8aa3b, v21 :: v_dual_sub_f32 v22, v22, v16
	v_rndne_f32_e32 v73, v31
	v_dual_sub_f32 v40, v41, v16 :: v_dual_mul_f32 v41, 0x3fb8aa3b, v42
	s_delay_alu instid0(VALU_DEP_3)
	v_dual_sub_f32 v43, v35, v16 :: v_dual_mul_f32 v50, 0x3fb8aa3b, v22
	v_mul_f32_e32 v35, 0x3fb8aa3b, v19
	v_fmac_f32_e32 v66, 0x32a5705f, v25
	v_mul_f32_e32 v37, 0x3fb8aa3b, v20
	v_sub_f32_e32 v17, v17, v16
	v_fma_f32 v70, 0x3fb8aa3b, v28, -v29
	v_dual_sub_f32 v23, v23, v16 :: v_dual_mul_f32 v54, 0x3fb8aa3b, v43
	v_add_f32_e32 v26, v26, v66
	v_fma_f32 v80, 0x3fb8aa3b, v20, -v37
	v_rndne_f32_e32 v81, v37
	s_delay_alu instid0(VALU_DEP_4)
	v_dual_sub_f32 v44, v36, v16 :: v_dual_mul_f32 v55, 0x3fb8aa3b, v23
	v_dual_mul_f32 v65, 0x3fb8aa3b, v49 :: v_dual_sub_f32 v24, v24, v16
	v_mul_f32_e32 v59, 0x3fb8aa3b, v46
	v_rndne_f32_e32 v71, v29
	v_dual_sub_f32 v48, v27, v16 :: v_dual_mul_f32 v27, 0x3fb8aa3b, v17
	v_fma_f32 v72, 0x3fb8aa3b, v18, -v31
	v_fma_f32 v76, 0x3fb8aa3b, v19, -v35
	s_delay_alu instid0(VALU_DEP_4) | instskip(SKIP_4) | instid1(VALU_DEP_4)
	v_sub_f32_e32 v29, v29, v71
	v_rndne_f32_e32 v77, v35
	v_rndne_f32_e32 v87, v41
	v_dual_fmac_f32 v70, 0x32a5705f, v28 :: v_dual_sub_f32 v37, v37, v81
	v_fmac_f32_e32 v80, 0x32a5705f, v20
	v_dual_mul_f32 v56, 0x3fb8aa3b, v44 :: v_dual_sub_f32 v35, v35, v77
	v_fma_f32 v68, 0x3fb8aa3b, v17, -v27
	v_rndne_f32_e32 v69, v27
	v_rndne_f32_e32 v75, v34
	v_mul_f32_e32 v57, 0x3fb8aa3b, v24
	v_fma_f32 v86, 0x3fb8aa3b, v42, -v41
	v_sub_f32_e32 v31, v31, v73
	v_sub_f32_e32 v41, v41, v87
	v_dual_fmac_f32 v76, 0x32a5705f, v19 :: v_dual_add_f32 v37, v37, v80
	v_fmac_f32_e32 v72, 0x32a5705f, v18
	v_dual_mul_f32 v36, 0x3fb8aa3b, v32 :: v_dual_add_f32 v29, v29, v70
	v_fma_f32 v74, 0x3fb8aa3b, v30, -v34
	v_fma_f32 v88, 0x3fb8aa3b, v22, -v50
	v_rndne_f32_e32 v89, v50
	v_dual_sub_f32 v27, v27, v69 :: v_dual_sub_f32 v34, v34, v75
	v_fma_f32 v70, 0x3fb8aa3b, v24, -v57
	v_dual_add_f32 v35, v35, v76 :: v_dual_fmac_f32 v68, 0x32a5705f, v17
	v_add_f32_e32 v31, v31, v72
	v_rndne_f32_e32 v72, v57
	v_rndne_f32_e32 v79, v36
	v_mul_f32_e32 v63, 0x3fb8aa3b, v52
	v_fma_f32 v82, 0x3fb8aa3b, v33, -v38
	v_dual_add_f32 v27, v27, v68 :: v_dual_fmac_f32 v74, 0x32a5705f, v30
	v_mul_f32_e32 v61, 0x3fb8aa3b, v48
	v_dual_fmac_f32 v86, 0x32a5705f, v42 :: v_dual_sub_f32 v57, v57, v72
	v_fmac_f32_e32 v88, 0x32a5705f, v22
	v_fmac_f32_e32 v70, 0x32a5705f, v24
	v_sub_f32_e32 v50, v50, v89
	v_fma_f32 v78, 0x3fb8aa3b, v32, -v36
	v_fma_f32 v90, 0x3fb8aa3b, v43, -v54
	v_add_f32_e32 v34, v34, v74
	v_dual_add_f32 v57, v57, v70 :: v_dual_sub_f32 v36, v36, v79
	v_dual_fmac_f32 v82, 0x32a5705f, v33 :: v_dual_add_f32 v41, v41, v86
	v_fma_f32 v86, 0x3fb8aa3b, v48, -v61
	v_rndne_f32_e32 v70, v63
	v_add_f32_e32 v50, v50, v88
	v_rndne_f32_e32 v88, v61
	v_rndne_f32_e32 v83, v38
	v_fma_f32 v84, 0x3fb8aa3b, v21, -v39
	v_rndne_f32_e32 v85, v39
	v_fma_f32 v92, 0x3fb8aa3b, v23, -v55
	v_rndne_f32_e32 v93, v55
	v_dual_fmac_f32 v90, 0x32a5705f, v43 :: v_dual_sub_f32 v61, v61, v88
	v_fmac_f32_e32 v86, 0x32a5705f, v48
	v_exp_f32_e32 v26, v26
	v_mul_f32_e32 v60, 0x3fb8aa3b, v47
	v_dual_fmac_f32 v78, 0x32a5705f, v32 :: v_dual_sub_f32 v39, v39, v85
	v_dual_sub_f32 v38, v38, v83 :: v_dual_sub_f32 v55, v55, v93
	v_dual_fmac_f32 v92, 0x32a5705f, v23 :: v_dual_add_f32 v61, v61, v86
	v_fmac_f32_e32 v84, 0x32a5705f, v21
	v_cvt_i32_f32_e32 v67, v67
	v_exp_f32_e32 v27, v27
	s_delay_alu instid0(VALU_DEP_3)
	v_dual_add_f32 v55, v55, v92 :: v_dual_mul_f32 v58, 0x3fb8aa3b, v45
	v_fma_f32 v66, 0x3fb8aa3b, v44, -v56
	v_rndne_f32_e32 v68, v56
	v_dual_add_f32 v36, v36, v78 :: v_dual_add_f32 v39, v39, v84
	v_rndne_f32_e32 v80, v59
	v_add_f32_e32 v38, v38, v82
	v_fma_f32 v82, 0x3fb8aa3b, v47, -v60
	v_rndne_f32_e32 v84, v60
	v_cvt_i32_f32_e32 v69, v69
	v_exp_f32_e32 v29, v29
	v_ldexp_f32 v26, v26, v67
	v_cmp_ngt_f32_e64 s31, 0xc2ce8ed0, v25
	v_sub_f32_e32 v56, v56, v68
	v_fmac_f32_e32 v82, 0x32a5705f, v47
	v_sub_f32_e32 v60, v60, v84
	v_rndne_f32_e32 v86, v65
	v_fmac_f32_e32 v66, 0x32a5705f, v44
	v_cvt_i32_f32_e32 v71, v71
	v_ldexp_f32 v27, v27, v69
	v_cndmask_b32_e64 v26, 0, v26, s31
	v_cmp_ngt_f32_e64 s31, 0xc2ce8ed0, v17
	v_add_f32_e32 v60, v60, v82
	v_fma_f32 v82, 0x3fb8aa3b, v49, -v65
	v_sub_f32_e32 v65, v65, v86
	v_add_f32_e32 v56, v56, v66
	v_fma_f32 v66, 0x3fb8aa3b, v52, -v63
	v_sub_f32_e32 v63, v63, v70
	v_exp_f32_e32 v31, v31
	v_exp_f32_e32 v50, v50
	v_ldexp_f32 v29, v29, v71
	v_cndmask_b32_e64 v27, 0, v27, s31
	v_cmp_ngt_f32_e64 s31, 0xc2ce8ed0, v28
	v_cvt_i32_f32_e32 v73, v73
	v_cvt_i32_f32_e32 v89, v89
	v_exp_f32_e32 v41, v41
	v_cvt_i32_f32_e32 v87, v87
	v_cndmask_b32_e64 v29, 0, v29, s31
	v_cmp_nlt_f32_e64 s31, 0x42b17218, v25
	v_ldexp_f32 v31, v31, v73
	v_ldexp_f32 v73, v50, v89
	v_exp_f32_e32 v34, v34
	v_exp_f32_e32 v39, v39
	v_cndmask_b32_e64 v50, 0x7f800000, v26, s31
	v_cmp_nlt_f32_e64 s31, 0x42b17218, v17
	v_ldexp_f32 v71, v41, v87
	v_cvt_i32_f32_e32 v75, v75
	v_cvt_i32_f32_e32 v85, v85
	v_fma_f32 v78, 0x3fb8aa3b, v46, -v59
	v_cndmask_b32_e64 v41, 0x7f800000, v27, s31
	v_cmp_ngt_f32_e64 s31, 0xc2ce8ed0, v18
	v_sub_f32_e32 v59, v59, v80
	v_exp_f32_e32 v35, v35
	v_exp_f32_e32 v38, v38
	v_ldexp_f32 v34, v34, v75
	v_cndmask_b32_e64 v17, 0, v31, s31
	v_cmp_nlt_f32_e64 s31, 0x42b17218, v28
	v_ldexp_f32 v69, v39, v85
	v_cvt_i32_f32_e32 v77, v77
	v_cvt_i32_f32_e32 v83, v83
	v_exp_f32_e32 v36, v36
	v_cndmask_b32_e64 v39, 0x7f800000, v29, s31
	v_cmp_ngt_f32_e64 s31, 0xc2ce8ed0, v30
	v_exp_f32_e32 v37, v37
	v_ldexp_f32 v35, v35, v77
	v_ldexp_f32 v67, v38, v83
	v_rndne_f32_e32 v91, v54
	v_cndmask_b32_e64 v26, 0, v34, s31
	v_cmp_nlt_f32_e64 s31, 0x42b17218, v18
	v_cvt_i32_f32_e32 v79, v79
	v_cvt_i32_f32_e32 v81, v81
	v_fmac_f32_e32 v66, 0x32a5705f, v52
	v_fmac_f32_e32 v78, 0x32a5705f, v46
	v_cndmask_b32_e64 v38, 0x7f800000, v17, s31
	v_cmp_ngt_f32_e64 s31, 0xc2ce8ed0, v19
	s_delay_alu instid0(VALU_DEP_4) | instskip(NEXT) | instid1(VALU_DEP_4)
	v_dual_sub_f32 v54, v54, v91 :: v_dual_add_f32 v63, v63, v66
	v_add_f32_e32 v59, v59, v78
	v_ldexp_f32 v36, v36, v79
	s_delay_alu instid0(VALU_DEP_4)
	v_cndmask_b32_e64 v18, 0, v35, s31
	v_cmp_nlt_f32_e64 s31, 0x42b17218, v30
	v_ldexp_f32 v66, v37, v81
	v_add_f32_e32 v25, v50, v41
	v_add_f32_e32 v54, v54, v90
	v_rndne_f32_e32 v76, v58
	v_cndmask_b32_e64 v37, 0x7f800000, v26, s31
	v_cmp_ngt_f32_e64 s31, 0xc2ce8ed0, v32
	v_add_f32_e32 v17, v25, v39
	v_exp_f32_e32 v54, v54
	v_cvt_i32_f32_e32 v91, v91
	v_fma_f32 v74, 0x3fb8aa3b, v45, -v58
	v_cndmask_b32_e64 v25, 0, v36, s31
	v_cmp_nlt_f32_e64 s31, 0x42b17218, v19
	v_dual_add_f32 v17, v17, v38 :: v_dual_sub_f32 v58, v58, v76
	v_exp_f32_e32 v55, v55
	v_cvt_i32_f32_e32 v93, v93
	s_delay_alu instid0(VALU_DEP_3) | instskip(NEXT) | instid1(VALU_DEP_3)
	v_cndmask_b32_e64 v36, 0x7f800000, v18, s31
	v_add_f32_e32 v17, v17, v37
	v_cmp_ngt_f32_e64 s31, 0xc2ce8ed0, v20
	v_ldexp_f32 v54, v54, v91
	v_fmac_f32_e32 v74, 0x32a5705f, v45
	v_cvt_i32_f32_e32 v68, v68
	v_add_f32_e32 v17, v17, v36
	v_cndmask_b32_e64 v18, 0, v66, s31
	v_cmp_nlt_f32_e64 s31, 0x42b17218, v32
	v_ldexp_f32 v55, v55, v93
	v_exp_f32_e32 v57, v57
	v_cvt_i32_f32_e32 v72, v72
	v_cvt_i32_f32_e32 v76, v76
	v_cndmask_b32_e64 v35, 0x7f800000, v25, s31
	v_cmp_ngt_f32_e64 s31, 0xc2ce8ed0, v33
	v_exp_f32_e32 v59, v59
	v_cvt_i32_f32_e32 v80, v80
	s_delay_alu instid0(VALU_DEP_3) | instskip(NEXT) | instid1(VALU_DEP_3)
	v_dual_mul_f32 v64, 0x3fb8aa3b, v53 :: v_dual_add_f32 v17, v17, v35
	v_cndmask_b32_e64 v19, 0, v67, s31
	v_cmp_nlt_f32_e64 s31, 0x42b17218, v20
	v_exp_f32_e32 v56, v56
	v_ldexp_f32 v57, v57, v72
	v_mul_f32_e32 v62, 0x3fb8aa3b, v51
	v_cvt_i32_f32_e32 v84, v84
	v_cndmask_b32_e64 v34, 0x7f800000, v18, s31
	v_cmp_ngt_f32_e64 s31, 0xc2ce8ed0, v21
	v_ldexp_f32 v59, v59, v80
	v_rndne_f32_e32 v92, v62
	v_fma_f32 v90, 0x3fb8aa3b, v51, -v62
	v_add_f32_e32 v17, v17, v34
	v_cndmask_b32_e64 v18, 0, v69, s31
	v_cmp_nlt_f32_e64 s31, 0x42b17218, v33
	v_ldexp_f32 v56, v56, v68
	v_exp_f32_e32 v61, v61
	v_cvt_i32_f32_e32 v88, v88
	v_rndne_f32_e32 v78, v64
	v_cndmask_b32_e64 v32, 0x7f800000, v19, s31
	v_cmp_ngt_f32_e64 s31, 0xc2ce8ed0, v42
	v_add_f32_e32 v58, v58, v74
	v_fma_f32 v74, 0x3fb8aa3b, v53, -v64
	v_exp_f32_e32 v63, v63
	v_add_f32_e32 v17, v17, v32
	v_cndmask_b32_e64 v19, 0, v71, s31
	v_cmp_nlt_f32_e64 s31, 0x42b17218, v21
	v_exp_f32_e32 v58, v58
	v_ldexp_f32 v61, v61, v88
	v_cvt_i32_f32_e32 v70, v70
	v_sub_f32_e32 v8, v8, v16
	v_cndmask_b32_e64 v31, 0x7f800000, v18, s31
	v_cmp_ngt_f32_e64 s31, 0xc2ce8ed0, v22
	s_delay_alu instid0(VALU_DEP_4) | instskip(NEXT) | instid1(VALU_DEP_3)
	v_ldexp_f32 v63, v63, v70
	v_add_f32_e32 v17, v17, v31
	s_delay_alu instid0(VALU_DEP_3) | instskip(SKIP_2) | instid1(VALU_DEP_2)
	v_cndmask_b32_e64 v18, 0, v73, s31
	v_cmp_nlt_f32_e64 s31, 0x42b17218, v42
	v_ldexp_f32 v58, v58, v76
	v_cndmask_b32_e64 v30, 0x7f800000, v19, s31
	v_cmp_ngt_f32_e64 s31, 0xc2ce8ed0, v43
	s_delay_alu instid0(VALU_DEP_2) | instskip(NEXT) | instid1(VALU_DEP_2)
	v_add_f32_e32 v17, v17, v30
	v_cndmask_b32_e64 v19, 0, v54, s31
	v_cmp_nlt_f32_e64 s31, 0x42b17218, v22
	s_delay_alu instid0(VALU_DEP_1) | instskip(SKIP_1) | instid1(VALU_DEP_2)
	v_cndmask_b32_e64 v29, 0x7f800000, v18, s31
	v_cmp_ngt_f32_e64 s31, 0xc2ce8ed0, v23
	v_add_f32_e32 v17, v17, v29
	s_delay_alu instid0(VALU_DEP_2) | instskip(SKIP_1) | instid1(VALU_DEP_1)
	v_cndmask_b32_e64 v18, 0, v55, s31
	v_cmp_nlt_f32_e64 s31, 0x42b17218, v43
	v_cndmask_b32_e64 v28, 0x7f800000, v19, s31
	v_cmp_ngt_f32_e64 s31, 0xc2ce8ed0, v44
	s_delay_alu instid0(VALU_DEP_2) | instskip(NEXT) | instid1(VALU_DEP_2)
	v_add_f32_e32 v17, v17, v28
	v_cndmask_b32_e64 v19, 0, v56, s31
	v_cmp_nlt_f32_e64 s31, 0x42b17218, v23
	v_exp_f32_e32 v60, v60
	s_delay_alu instid0(VALU_DEP_1) | instskip(SKIP_3) | instid1(VALU_DEP_4)
	v_cndmask_b32_e64 v27, 0x7f800000, v18, s31
	v_cmp_ngt_f32_e64 s31, 0xc2ce8ed0, v24
	v_sub_f32_e32 v62, v62, v92
	v_cvt_i32_f32_e32 v92, v92
	v_add_f32_e32 v17, v17, v27
	s_delay_alu instid0(VALU_DEP_4) | instskip(SKIP_1) | instid1(TRANS32_DEP_1)
	v_cndmask_b32_e64 v18, 0, v57, s31
	v_cmp_nlt_f32_e64 s31, 0x42b17218, v44
	v_ldexp_f32 v60, v60, v84
	s_delay_alu instid0(VALU_DEP_2) | instskip(SKIP_1) | instid1(VALU_DEP_2)
	v_cndmask_b32_e64 v26, 0x7f800000, v19, s31
	v_cmp_ngt_f32_e64 s31, 0xc2ce8ed0, v45
	v_dual_fmac_f32 v90, 0x32a5705f, v51 :: v_dual_add_f32 v17, v17, v26
	s_delay_alu instid0(VALU_DEP_2) | instskip(SKIP_1) | instid1(VALU_DEP_1)
	v_cndmask_b32_e64 v19, 0, v58, s31
	v_cmp_nlt_f32_e64 s31, 0x42b17218, v24
	v_cndmask_b32_e64 v25, 0x7f800000, v18, s31
	v_cmp_ngt_f32_e64 s31, 0xc2ce8ed0, v46
	s_delay_alu instid0(VALU_DEP_2) | instskip(NEXT) | instid1(VALU_DEP_2)
	v_add_f32_e32 v17, v17, v25
	v_cndmask_b32_e64 v18, 0, v59, s31
	v_cmp_nlt_f32_e64 s31, 0x42b17218, v45
	s_delay_alu instid0(VALU_DEP_1) | instskip(SKIP_1) | instid1(VALU_DEP_2)
	v_cndmask_b32_e64 v24, 0x7f800000, v19, s31
	v_cmp_ngt_f32_e64 s31, 0xc2ce8ed0, v47
	v_dual_fmac_f32 v74, 0x32a5705f, v53 :: v_dual_add_f32 v17, v17, v24
	s_delay_alu instid0(VALU_DEP_2) | instskip(SKIP_1) | instid1(VALU_DEP_1)
	v_cndmask_b32_e64 v19, 0, v60, s31
	v_cmp_nlt_f32_e64 s31, 0x42b17218, v46
	v_cndmask_b32_e64 v23, 0x7f800000, v18, s31
	v_cmp_ngt_f32_e64 s31, 0xc2ce8ed0, v48
	v_sub_f32_e32 v64, v64, v78
	v_cvt_i32_f32_e32 v78, v78
	s_delay_alu instid0(VALU_DEP_4) | instskip(NEXT) | instid1(VALU_DEP_4)
	v_add_f32_e32 v17, v17, v23
	v_cndmask_b32_e64 v18, 0, v61, s31
	v_cmp_nlt_f32_e64 s31, 0x42b17218, v47
	v_add_f32_e32 v64, v64, v74
	s_delay_alu instid0(VALU_DEP_2) | instskip(SKIP_2) | instid1(VALU_DEP_3)
	v_cndmask_b32_e64 v22, 0x7f800000, v19, s31
	v_fmac_f32_e32 v82, 0x32a5705f, v49
	v_cmp_ngt_f32_e64 s31, 0xc2ce8ed0, v51
	v_add_f32_e32 v17, v17, v22
	v_add_f32_e32 v62, v62, v90
	s_delay_alu instid0(VALU_DEP_1) | instskip(SKIP_2) | instid1(VALU_DEP_1)
	v_exp_f32_e32 v62, v62
	s_waitcnt_depctr 0xfff
	v_ldexp_f32 v62, v62, v92
	v_cndmask_b32_e64 v19, 0, v62, s31
	v_cmp_nlt_f32_e64 s31, 0x42b17218, v48
	v_sub_f32_e32 v48, v12, v16
	s_delay_alu instid0(VALU_DEP_2) | instskip(SKIP_1) | instid1(VALU_DEP_1)
	v_cndmask_b32_e64 v20, 0x7f800000, v18, s31
	v_cmp_ngt_f32_e64 s31, 0xc2ce8ed0, v52
	v_cndmask_b32_e64 v21, 0, v63, s31
	v_cmp_nlt_f32_e64 s31, 0x42b17218, v51
	s_delay_alu instid0(VALU_DEP_1) | instskip(SKIP_2) | instid1(VALU_DEP_1)
	v_cndmask_b32_e64 v18, 0x7f800000, v19, s31
	v_add_f32_e32 v19, v17, v20
	v_cmp_nlt_f32_e64 s31, 0x42b17218, v52
	v_cndmask_b32_e64 v17, 0x7f800000, v21, s31
	v_mul_f32_e32 v21, 0x3fb8aa3b, v40
	v_exp_f32_e32 v64, v64
	v_cmp_ngt_f32_e64 s31, 0xc2ce8ed0, v53
	s_delay_alu instid0(VALU_DEP_2) | instskip(SKIP_2) | instid1(VALU_DEP_2)
	v_fma_f32 v44, 0x3fb8aa3b, v40, -v21
	v_add_f32_e32 v19, v19, v18
	v_rndne_f32_e32 v45, v21
	v_dual_fmac_f32 v44, 0x32a5705f, v40 :: v_dual_add_f32 v19, v19, v17
	s_delay_alu instid0(VALU_DEP_2) | instskip(NEXT) | instid1(TRANS32_DEP_1)
	v_sub_f32_e32 v21, v21, v45
	v_ldexp_f32 v42, v64, v78
	s_delay_alu instid0(VALU_DEP_2)
	v_add_f32_e32 v21, v21, v44
	v_mul_f32_e32 v44, 0x3fb8aa3b, v48
	v_sub_f32_e32 v43, v11, v16
	v_add_f32_e32 v33, v65, v82
	v_cndmask_b32_e64 v42, 0, v42, s31
	v_cmp_nlt_f32_e64 s31, 0x42b17218, v53
	v_exp_f32_e32 v21, v21
	v_mul_f32_e32 v46, 0x3fb8aa3b, v43
	v_exp_f32_e32 v33, v33
	s_delay_alu instid0(VALU_DEP_2) | instskip(SKIP_1) | instid1(VALU_DEP_3)
	v_cndmask_b32_e64 v11, 0x7f800000, v42, s31
	v_cvt_i32_f32_e32 v42, v86
	v_rndne_f32_e32 v47, v46
	v_cmp_ngt_f32_e64 s31, 0xc2ce8ed0, v49
	s_waitcnt_depctr 0xfff
	v_ldexp_f32 v33, v33, v42
	v_fma_f32 v42, 0x3fb8aa3b, v43, -v46
	s_delay_alu instid0(VALU_DEP_2) | instskip(NEXT) | instid1(VALU_DEP_2)
	v_cndmask_b32_e64 v12, 0, v33, s31
	v_fmac_f32_e32 v42, 0x32a5705f, v43
	v_sub_f32_e32 v33, v46, v47
	v_cmp_nlt_f32_e64 s31, 0x42b17218, v49
	s_delay_alu instid0(VALU_DEP_2) | instskip(NEXT) | instid1(VALU_DEP_2)
	v_add_f32_e32 v33, v33, v42
	v_cndmask_b32_e64 v12, 0x7f800000, v12, s31
	v_fma_f32 v42, 0x3fb8aa3b, v48, -v44
	v_add_f32_e32 v19, v19, v11
	v_rndne_f32_e32 v46, v44
	v_exp_f32_e32 v33, v33
	v_cmp_ngt_f32_e64 s31, 0xc2ce8ed0, v40
	v_fmac_f32_e32 v42, 0x32a5705f, v48
	v_add_f32_e32 v51, v19, v12
	v_sub_f32_e32 v49, v10, v16
	v_cvt_i32_f32_e32 v10, v45
	v_sub_f32_e32 v44, v44, v46
	v_cvt_i32_f32_e32 v19, v47
	v_mul_f32_e32 v47, 0x3fb8aa3b, v8
	v_mul_f32_e32 v45, 0x3fb8aa3b, v49
	v_ldexp_f32 v10, v21, v10
	v_add_f32_e32 v21, v44, v42
	v_ldexp_f32 v33, v33, v19
	s_delay_alu instid0(VALU_DEP_4) | instskip(SKIP_4) | instid1(VALU_DEP_3)
	v_fma_f32 v42, 0x3fb8aa3b, v49, -v45
	v_rndne_f32_e32 v44, v45
	v_cndmask_b32_e64 v10, 0, v10, s31
	v_cmp_nlt_f32_e64 s31, 0x42b17218, v40
	v_exp_f32_e32 v21, v21
	v_dual_fmac_f32 v42, 0x32a5705f, v49 :: v_dual_sub_f32 v45, v45, v44
	s_delay_alu instid0(VALU_DEP_2) | instskip(SKIP_2) | instid1(VALU_DEP_4)
	v_cndmask_b32_e64 v19, 0x7f800000, v10, s31
	v_cmp_ngt_f32_e64 s31, 0xc2ce8ed0, v43
	v_cvt_i32_f32_e32 v10, v46
	v_dual_add_f32 v40, v45, v42 :: v_dual_sub_f32 v45, v7, v16
	s_delay_alu instid0(VALU_DEP_4) | instskip(NEXT) | instid1(VALU_DEP_4)
	v_add_f32_e32 v42, v51, v19
	v_cndmask_b32_e64 v33, 0, v33, s31
	v_cmp_nlt_f32_e64 s31, 0x42b17218, v43
	s_delay_alu instid0(TRANS32_DEP_1) | instskip(SKIP_2) | instid1(VALU_DEP_4)
	v_ldexp_f32 v21, v21, v10
	v_cvt_i32_f32_e32 v43, v44
	v_sub_f32_e32 v6, v6, v16
	v_cndmask_b32_e64 v10, 0x7f800000, v33, s31
	v_exp_f32_e32 v33, v40
	v_cmp_ngt_f32_e64 s31, 0xc2ce8ed0, v48
	v_sub_f32_e32 v40, v9, v16
	s_delay_alu instid0(VALU_DEP_3) | instskip(NEXT) | instid1(VALU_DEP_3)
	v_add_f32_e32 v42, v42, v10
	v_cndmask_b32_e64 v21, 0, v21, s31
	v_cmp_nlt_f32_e64 s31, 0x42b17218, v48
	v_rndne_f32_e32 v48, v47
	s_delay_alu instid0(TRANS32_DEP_1) | instskip(NEXT) | instid1(VALU_DEP_3)
	v_ldexp_f32 v33, v33, v43
	v_cndmask_b32_e64 v9, 0x7f800000, v21, s31
	v_cmp_ngt_f32_e64 s31, 0xc2ce8ed0, v49
	s_delay_alu instid0(VALU_DEP_2) | instskip(NEXT) | instid1(VALU_DEP_2)
	v_add_f32_e32 v42, v42, v9
	v_cndmask_b32_e64 v33, 0, v33, s31
	v_cmp_nlt_f32_e64 s31, 0x42b17218, v49
	s_delay_alu instid0(VALU_DEP_1) | instskip(SKIP_2) | instid1(VALU_DEP_3)
	v_cndmask_b32_e64 v7, 0x7f800000, v33, s31
	v_mul_f32_e32 v33, 0x3fb8aa3b, v45
	v_cmp_ngt_f32_e64 s31, 0xc2ce8ed0, v40
	v_add_f32_e32 v42, v42, v7
	s_delay_alu instid0(VALU_DEP_3) | instskip(NEXT) | instid1(VALU_DEP_1)
	v_rndne_f32_e32 v46, v33
	v_dual_mul_f32 v21, 0x3fb8aa3b, v40 :: v_dual_sub_f32 v16, v33, v46
	s_delay_alu instid0(VALU_DEP_1) | instskip(SKIP_1) | instid1(VALU_DEP_2)
	v_fma_f32 v43, 0x3fb8aa3b, v40, -v21
	v_rndne_f32_e32 v44, v21
	v_fmac_f32_e32 v43, 0x32a5705f, v40
	s_delay_alu instid0(VALU_DEP_2) | instskip(SKIP_1) | instid1(VALU_DEP_2)
	v_sub_f32_e32 v21, v21, v44
	v_cvt_i32_f32_e32 v44, v44
	v_add_f32_e32 v21, v21, v43
	v_fma_f32 v43, 0x3fb8aa3b, v45, -v33
	v_fma_f32 v33, 0x3fb8aa3b, v8, -v47
	s_delay_alu instid0(VALU_DEP_3) | instskip(NEXT) | instid1(VALU_DEP_2)
	v_exp_f32_e32 v21, v21
	v_fmac_f32_e32 v43, 0x32a5705f, v45
	s_delay_alu instid0(VALU_DEP_1)
	v_dual_fmac_f32 v33, 0x32a5705f, v8 :: v_dual_add_f32 v16, v16, v43
	v_sub_f32_e32 v43, v47, v48
	s_waitcnt_depctr 0xfff
	v_ldexp_f32 v21, v21, v44
	v_exp_f32_e32 v16, v16
	v_add_f32_e32 v33, v43, v33
	v_cvt_i32_f32_e32 v44, v46
	s_delay_alu instid0(VALU_DEP_3) | instskip(SKIP_1) | instid1(VALU_DEP_4)
	v_cndmask_b32_e64 v21, 0, v21, s31
	v_cmp_nlt_f32_e64 s31, 0x42b17218, v40
	v_exp_f32_e32 v33, v33
	v_cvt_i32_f32_e32 v40, v48
	s_delay_alu instid0(TRANS32_DEP_2) | instskip(NEXT) | instid1(VALU_DEP_3)
	v_ldexp_f32 v16, v16, v44
	v_cndmask_b32_e64 v21, 0x7f800000, v21, s31
	v_cmp_ngt_f32_e64 s31, 0xc2ce8ed0, v45
	s_waitcnt_depctr 0xfff
	v_ldexp_f32 v33, v33, v40
	v_cndmask_b32_e64 v16, 0, v16, s31
	v_cmp_nlt_f32_e64 s31, 0x42b17218, v45
	v_add_f32_e32 v42, v42, v21
	s_delay_alu instid0(VALU_DEP_2) | instskip(SKIP_1) | instid1(VALU_DEP_2)
	v_cndmask_b32_e64 v16, 0x7f800000, v16, s31
	v_cmp_ngt_f32_e64 s31, 0xc2ce8ed0, v8
	v_add_f32_e32 v42, v42, v16
	s_delay_alu instid0(VALU_DEP_2) | instskip(SKIP_1) | instid1(VALU_DEP_1)
	v_cndmask_b32_e64 v33, 0, v33, s31
	v_cmp_nlt_f32_e64 s31, 0x42b17218, v8
	v_cndmask_b32_e64 v8, 0x7f800000, v33, s31
	v_mul_f32_e32 v49, 0x3fb8aa3b, v6
	v_cmp_ngt_f32_e64 s31, 0xc2ce8ed0, v6
	s_delay_alu instid0(VALU_DEP_2) | instskip(SKIP_1) | instid1(VALU_DEP_2)
	v_fma_f32 v47, 0x3fb8aa3b, v6, -v49
	v_rndne_f32_e32 v51, v49
	v_fmac_f32_e32 v47, 0x32a5705f, v6
	s_delay_alu instid0(VALU_DEP_2) | instskip(SKIP_1) | instid1(VALU_DEP_2)
	v_sub_f32_e32 v43, v49, v51
	v_cvt_i32_f32_e32 v40, v51
	v_add_f32_e32 v43, v43, v47
	s_delay_alu instid0(VALU_DEP_1) | instskip(SKIP_2) | instid1(VALU_DEP_1)
	v_exp_f32_e32 v43, v43
	s_waitcnt_depctr 0xfff
	v_ldexp_f32 v40, v43, v40
	v_cndmask_b32_e64 v33, 0, v40, s31
	v_add_f32_e32 v40, v42, v8
	v_cmp_nlt_f32_e64 s31, 0x42b17218, v6
	s_delay_alu instid0(VALU_DEP_1) | instskip(NEXT) | instid1(VALU_DEP_1)
	v_cndmask_b32_e64 v6, 0x7f800000, v33, s31
	v_add_f32_e32 v33, v40, v6
	ds_bpermute_b32 v2, v2, v33
	s_waitcnt lgkmcnt(0)
	v_add_f32_e32 v2, v33, v2
	ds_bpermute_b32 v3, v3, v2
	s_waitcnt lgkmcnt(0)
	;; [unrolled: 3-line block ×5, first 2 shown]
	v_add_f32_e32 v2, v2, v3
	ds_bpermute_b32 v3, v15, v2
	v_cmpx_lt_i32_e32 0, v5
	s_cbranch_execz .LBB454_98
; %bb.65:
	s_and_b32 exec_lo, exec_lo, vcc_lo
	s_cbranch_execz .LBB454_98
; %bb.66:
	s_waitcnt lgkmcnt(0)
	v_add_f32_e32 v2, v2, v3
	v_lshlrev_b64 v[0:1], 2, v[0:1]
	s_delay_alu instid0(VALU_DEP_2) | instskip(SKIP_1) | instid1(VALU_DEP_2)
	v_div_scale_f32 v3, null, v2, v2, v50
	v_div_scale_f32 v13, vcc_lo, v50, v2, v50
	v_rcp_f32_e32 v4, v3
	s_waitcnt_depctr 0xfff
	v_fma_f32 v5, -v3, v4, 1.0
	s_delay_alu instid0(VALU_DEP_1) | instskip(NEXT) | instid1(VALU_DEP_1)
	v_fmac_f32_e32 v4, v5, v4
	v_mul_f32_e32 v5, v13, v4
	v_cmp_eq_f32_e64 s31, 0, v2
	s_delay_alu instid0(VALU_DEP_2) | instskip(NEXT) | instid1(VALU_DEP_1)
	v_fma_f32 v14, -v3, v5, v13
	v_fmac_f32_e32 v5, v14, v4
	s_delay_alu instid0(VALU_DEP_1) | instskip(NEXT) | instid1(VALU_DEP_1)
	v_fma_f32 v3, -v3, v5, v13
	v_div_fmas_f32 v3, v3, v4, v5
	v_add_co_u32 v0, vcc_lo, s36, v0
	v_add_co_ci_u32_e32 v1, vcc_lo, s37, v1, vcc_lo
	s_delay_alu instid0(VALU_DEP_3) | instskip(NEXT) | instid1(VALU_DEP_1)
	v_div_fixup_f32 v3, v3, v2, v50
	v_cndmask_b32_e64 v3, v3, 0x7fc00000, s31
	global_store_b32 v[0:1], v3, off
	s_and_b32 exec_lo, exec_lo, s30
	s_cbranch_execz .LBB454_98
; %bb.67:
	v_div_scale_f32 v3, null, v2, v2, v41
	s_delay_alu instid0(VALU_DEP_1) | instskip(SKIP_2) | instid1(VALU_DEP_1)
	v_rcp_f32_e32 v4, v3
	s_waitcnt_depctr 0xfff
	v_fma_f32 v5, -v3, v4, 1.0
	v_fmac_f32_e32 v4, v5, v4
	v_div_scale_f32 v5, vcc_lo, v41, v2, v41
	s_delay_alu instid0(VALU_DEP_1) | instskip(NEXT) | instid1(VALU_DEP_1)
	v_mul_f32_e32 v13, v5, v4
	v_fma_f32 v14, -v3, v13, v5
	s_delay_alu instid0(VALU_DEP_1) | instskip(NEXT) | instid1(VALU_DEP_1)
	v_fmac_f32_e32 v13, v14, v4
	v_fma_f32 v3, -v3, v13, v5
	s_delay_alu instid0(VALU_DEP_1) | instskip(NEXT) | instid1(VALU_DEP_1)
	v_div_fmas_f32 v3, v3, v4, v13
	v_div_fixup_f32 v3, v3, v2, v41
	s_delay_alu instid0(VALU_DEP_1)
	v_cndmask_b32_e64 v3, v3, 0x7fc00000, s31
	global_store_b32 v[0:1], v3, off offset:256
	s_and_b32 exec_lo, exec_lo, s29
	s_cbranch_execz .LBB454_98
; %bb.68:
	v_div_scale_f32 v3, null, v2, v2, v39
	s_delay_alu instid0(VALU_DEP_1) | instskip(SKIP_2) | instid1(VALU_DEP_1)
	v_rcp_f32_e32 v4, v3
	s_waitcnt_depctr 0xfff
	v_fma_f32 v5, -v3, v4, 1.0
	v_fmac_f32_e32 v4, v5, v4
	v_div_scale_f32 v5, vcc_lo, v39, v2, v39
	s_delay_alu instid0(VALU_DEP_1) | instskip(NEXT) | instid1(VALU_DEP_1)
	v_mul_f32_e32 v13, v5, v4
	v_fma_f32 v14, -v3, v13, v5
	s_delay_alu instid0(VALU_DEP_1) | instskip(NEXT) | instid1(VALU_DEP_1)
	v_fmac_f32_e32 v13, v14, v4
	v_fma_f32 v3, -v3, v13, v5
	s_delay_alu instid0(VALU_DEP_1) | instskip(NEXT) | instid1(VALU_DEP_1)
	v_div_fmas_f32 v3, v3, v4, v13
	v_div_fixup_f32 v3, v3, v2, v39
	s_delay_alu instid0(VALU_DEP_1)
	v_cndmask_b32_e64 v3, v3, 0x7fc00000, s31
	global_store_b32 v[0:1], v3, off offset:512
	;; [unrolled: 22-line block ×15, first 2 shown]
	s_and_b32 exec_lo, exec_lo, s15
	s_cbranch_execz .LBB454_98
; %bb.82:
	v_div_scale_f32 v3, null, v2, v2, v24
	v_div_scale_f32 v13, vcc_lo, v24, v2, v24
	s_delay_alu instid0(VALU_DEP_2) | instskip(SKIP_2) | instid1(VALU_DEP_1)
	v_rcp_f32_e32 v4, v3
	s_waitcnt_depctr 0xfff
	v_fma_f32 v5, -v3, v4, 1.0
	v_fmac_f32_e32 v4, v5, v4
	s_delay_alu instid0(VALU_DEP_1) | instskip(NEXT) | instid1(VALU_DEP_1)
	v_mul_f32_e32 v5, v13, v4
	v_fma_f32 v14, -v3, v5, v13
	s_delay_alu instid0(VALU_DEP_1) | instskip(NEXT) | instid1(VALU_DEP_1)
	v_fmac_f32_e32 v5, v14, v4
	v_fma_f32 v3, -v3, v5, v13
	s_delay_alu instid0(VALU_DEP_1) | instskip(SKIP_2) | instid1(VALU_DEP_3)
	v_div_fmas_f32 v3, v3, v4, v5
	v_add_co_u32 v0, vcc_lo, 0x1000, v0
	v_add_co_ci_u32_e32 v1, vcc_lo, 0, v1, vcc_lo
	v_div_fixup_f32 v3, v3, v2, v24
	s_delay_alu instid0(VALU_DEP_1)
	v_cndmask_b32_e64 v3, v3, 0x7fc00000, s31
	global_store_b32 v[0:1], v3, off
	s_and_b32 exec_lo, exec_lo, s14
	s_cbranch_execz .LBB454_98
; %bb.83:
	v_div_scale_f32 v3, null, v2, v2, v23
	s_delay_alu instid0(VALU_DEP_1) | instskip(SKIP_2) | instid1(VALU_DEP_1)
	v_rcp_f32_e32 v4, v3
	s_waitcnt_depctr 0xfff
	v_fma_f32 v5, -v3, v4, 1.0
	v_fmac_f32_e32 v4, v5, v4
	v_div_scale_f32 v5, vcc_lo, v23, v2, v23
	s_delay_alu instid0(VALU_DEP_1) | instskip(NEXT) | instid1(VALU_DEP_1)
	v_mul_f32_e32 v13, v5, v4
	v_fma_f32 v14, -v3, v13, v5
	s_delay_alu instid0(VALU_DEP_1) | instskip(NEXT) | instid1(VALU_DEP_1)
	v_fmac_f32_e32 v13, v14, v4
	v_fma_f32 v3, -v3, v13, v5
	s_delay_alu instid0(VALU_DEP_1) | instskip(NEXT) | instid1(VALU_DEP_1)
	v_div_fmas_f32 v3, v3, v4, v13
	v_div_fixup_f32 v3, v3, v2, v23
	s_delay_alu instid0(VALU_DEP_1)
	v_cndmask_b32_e64 v3, v3, 0x7fc00000, s31
	global_store_b32 v[0:1], v3, off offset:256
	s_and_b32 exec_lo, exec_lo, s13
	s_cbranch_execz .LBB454_98
; %bb.84:
	v_div_scale_f32 v3, null, v2, v2, v22
	s_delay_alu instid0(VALU_DEP_1) | instskip(SKIP_2) | instid1(VALU_DEP_1)
	v_rcp_f32_e32 v4, v3
	s_waitcnt_depctr 0xfff
	v_fma_f32 v5, -v3, v4, 1.0
	v_fmac_f32_e32 v4, v5, v4
	v_div_scale_f32 v5, vcc_lo, v22, v2, v22
	s_delay_alu instid0(VALU_DEP_1) | instskip(NEXT) | instid1(VALU_DEP_1)
	v_mul_f32_e32 v13, v5, v4
	v_fma_f32 v14, -v3, v13, v5
	s_delay_alu instid0(VALU_DEP_1) | instskip(NEXT) | instid1(VALU_DEP_1)
	v_fmac_f32_e32 v13, v14, v4
	v_fma_f32 v3, -v3, v13, v5
	s_delay_alu instid0(VALU_DEP_1) | instskip(NEXT) | instid1(VALU_DEP_1)
	v_div_fmas_f32 v3, v3, v4, v13
	v_div_fixup_f32 v3, v3, v2, v22
	s_delay_alu instid0(VALU_DEP_1)
	v_cndmask_b32_e64 v3, v3, 0x7fc00000, s31
	global_store_b32 v[0:1], v3, off offset:512
	;; [unrolled: 22-line block ×15, first 2 shown]
.LBB454_98:
	s_nop 0
	s_sendmsg sendmsg(MSG_DEALLOC_VGPRS)
	s_endpgm
	.section	.rodata,"a",@progbits
	.p2align	6, 0x0
	.amdhsa_kernel _ZN12_GLOBAL__N_120softmax_warp_forwardIN3c104HalfEffLi11ELb0ELb0ELi64EEEvPT0_PKT_iiiPKbib
		.amdhsa_group_segment_fixed_size 0
		.amdhsa_private_segment_fixed_size 0
		.amdhsa_kernarg_size 304
		.amdhsa_user_sgpr_count 15
		.amdhsa_user_sgpr_dispatch_ptr 0
		.amdhsa_user_sgpr_queue_ptr 0
		.amdhsa_user_sgpr_kernarg_segment_ptr 1
		.amdhsa_user_sgpr_dispatch_id 0
		.amdhsa_user_sgpr_private_segment_size 0
		.amdhsa_wavefront_size32 1
		.amdhsa_uses_dynamic_stack 0
		.amdhsa_enable_private_segment 0
		.amdhsa_system_sgpr_workgroup_id_x 1
		.amdhsa_system_sgpr_workgroup_id_y 0
		.amdhsa_system_sgpr_workgroup_id_z 0
		.amdhsa_system_sgpr_workgroup_info 0
		.amdhsa_system_vgpr_workitem_id 1
		.amdhsa_next_free_vgpr 94
		.amdhsa_next_free_sgpr 44
		.amdhsa_reserve_vcc 1
		.amdhsa_float_round_mode_32 0
		.amdhsa_float_round_mode_16_64 0
		.amdhsa_float_denorm_mode_32 3
		.amdhsa_float_denorm_mode_16_64 3
		.amdhsa_dx10_clamp 1
		.amdhsa_ieee_mode 1
		.amdhsa_fp16_overflow 0
		.amdhsa_workgroup_processor_mode 1
		.amdhsa_memory_ordered 1
		.amdhsa_forward_progress 0
		.amdhsa_shared_vgpr_count 0
		.amdhsa_exception_fp_ieee_invalid_op 0
		.amdhsa_exception_fp_denorm_src 0
		.amdhsa_exception_fp_ieee_div_zero 0
		.amdhsa_exception_fp_ieee_overflow 0
		.amdhsa_exception_fp_ieee_underflow 0
		.amdhsa_exception_fp_ieee_inexact 0
		.amdhsa_exception_int_div_zero 0
	.end_amdhsa_kernel
	.section	.text._ZN12_GLOBAL__N_120softmax_warp_forwardIN3c104HalfEffLi11ELb0ELb0ELi64EEEvPT0_PKT_iiiPKbib,"axG",@progbits,_ZN12_GLOBAL__N_120softmax_warp_forwardIN3c104HalfEffLi11ELb0ELb0ELi64EEEvPT0_PKT_iiiPKbib,comdat
.Lfunc_end454:
	.size	_ZN12_GLOBAL__N_120softmax_warp_forwardIN3c104HalfEffLi11ELb0ELb0ELi64EEEvPT0_PKT_iiiPKbib, .Lfunc_end454-_ZN12_GLOBAL__N_120softmax_warp_forwardIN3c104HalfEffLi11ELb0ELb0ELi64EEEvPT0_PKT_iiiPKbib
                                        ; -- End function
	.section	.AMDGPU.csdata,"",@progbits
; Kernel info:
; codeLenInByte = 10920
; NumSgprs: 46
; NumVgprs: 94
; ScratchSize: 0
; MemoryBound: 0
; FloatMode: 240
; IeeeMode: 1
; LDSByteSize: 0 bytes/workgroup (compile time only)
; SGPRBlocks: 5
; VGPRBlocks: 11
; NumSGPRsForWavesPerEU: 46
; NumVGPRsForWavesPerEU: 94
; Occupancy: 16
; WaveLimiterHint : 0
; COMPUTE_PGM_RSRC2:SCRATCH_EN: 0
; COMPUTE_PGM_RSRC2:USER_SGPR: 15
; COMPUTE_PGM_RSRC2:TRAP_HANDLER: 0
; COMPUTE_PGM_RSRC2:TGID_X_EN: 1
; COMPUTE_PGM_RSRC2:TGID_Y_EN: 0
; COMPUTE_PGM_RSRC2:TGID_Z_EN: 0
; COMPUTE_PGM_RSRC2:TIDIG_COMP_CNT: 1
	.section	.text._ZN12_GLOBAL__N_120softmax_warp_forwardIN3c104HalfEffLi11ELb0ELb0ELi32EEEvPT0_PKT_iiiPKbib,"axG",@progbits,_ZN12_GLOBAL__N_120softmax_warp_forwardIN3c104HalfEffLi11ELb0ELb0ELi32EEEvPT0_PKT_iiiPKbib,comdat
	.globl	_ZN12_GLOBAL__N_120softmax_warp_forwardIN3c104HalfEffLi11ELb0ELb0ELi32EEEvPT0_PKT_iiiPKbib ; -- Begin function _ZN12_GLOBAL__N_120softmax_warp_forwardIN3c104HalfEffLi11ELb0ELb0ELi32EEEvPT0_PKT_iiiPKbib
	.p2align	8
	.type	_ZN12_GLOBAL__N_120softmax_warp_forwardIN3c104HalfEffLi11ELb0ELb0ELi32EEEvPT0_PKT_iiiPKbib,@function
_ZN12_GLOBAL__N_120softmax_warp_forwardIN3c104HalfEffLi11ELb0ELb0ELi32EEEvPT0_PKT_iiiPKbib: ; @_ZN12_GLOBAL__N_120softmax_warp_forwardIN3c104HalfEffLi11ELb0ELb0ELi32EEEvPT0_PKT_iiiPKbib
; %bb.0:
	s_clause 0x1
	s_load_b32 s2, s[0:1], 0x3c
	s_load_b256 s[68:75], s[0:1], 0x0
	v_bfe_u32 v1, v0, 10, 10
	v_dual_mov_b32 v14, 0xff800000 :: v_dual_mov_b32 v13, 0xff800000
	s_waitcnt lgkmcnt(0)
	s_lshr_b32 s0, s2, 16
	s_delay_alu instid0(VALU_DEP_2) | instid1(SALU_CYCLE_1)
	v_mad_u64_u32 v[3:4], null, s15, s0, v[1:2]
	v_and_b32_e32 v2, 0x3ff, v0
	s_delay_alu instid0(VALU_DEP_1) | instskip(NEXT) | instid1(VALU_DEP_3)
	v_cmp_gt_i32_e32 vcc_lo, s74, v2
	v_mad_u64_u32 v[0:1], null, v3, s73, v[2:3]
	v_sub_nc_u32_e32 v5, s72, v3
	s_delay_alu instid0(VALU_DEP_1) | instskip(NEXT) | instid1(VALU_DEP_3)
	v_cmp_lt_i32_e64 s64, 0, v5
	v_ashrrev_i32_e32 v1, 31, v0
	s_delay_alu instid0(VALU_DEP_2) | instskip(NEXT) | instid1(VALU_DEP_1)
	s_and_b32 s1, s64, vcc_lo
	v_lshlrev_b64 v[3:4], 1, v[0:1]
	s_delay_alu instid0(VALU_DEP_1) | instskip(NEXT) | instid1(VALU_DEP_1)
	v_add_co_u32 v3, s0, s70, v3
	v_add_co_ci_u32_e64 v4, s0, s71, v4, s0
	s_and_saveexec_b32 s0, s1
	s_cbranch_execz .LBB455_2
; %bb.1:
	global_load_u16 v6, v[3:4], off
	s_waitcnt vmcnt(0)
	v_cvt_f32_f16_e32 v13, v6
.LBB455_2:
	s_or_b32 exec_lo, exec_lo, s0
	v_add_nc_u32_e32 v6, 32, v2
	s_delay_alu instid0(VALU_DEP_1) | instskip(NEXT) | instid1(VALU_DEP_1)
	v_cmp_gt_i32_e64 s63, s74, v6
	s_and_b32 s1, s64, s63
	s_delay_alu instid0(SALU_CYCLE_1)
	s_and_saveexec_b32 s0, s1
	s_cbranch_execz .LBB455_4
; %bb.3:
	global_load_u16 v6, v[3:4], off offset:64
	s_waitcnt vmcnt(0)
	v_cvt_f32_f16_e32 v14, v6
.LBB455_4:
	s_or_b32 exec_lo, exec_lo, s0
	v_add_nc_u32_e32 v6, 64, v2
	v_mov_b32_e32 v20, 0xff800000
	v_mov_b32_e32 v16, 0xff800000
	s_delay_alu instid0(VALU_DEP_3) | instskip(NEXT) | instid1(VALU_DEP_1)
	v_cmp_gt_i32_e64 s62, s74, v6
	s_and_b32 s1, s64, s62
	s_delay_alu instid0(SALU_CYCLE_1)
	s_and_saveexec_b32 s0, s1
	s_cbranch_execz .LBB455_6
; %bb.5:
	global_load_u16 v6, v[3:4], off offset:128
	s_waitcnt vmcnt(0)
	v_cvt_f32_f16_e32 v16, v6
.LBB455_6:
	s_or_b32 exec_lo, exec_lo, s0
	v_add_nc_u32_e32 v6, 0x60, v2
	s_delay_alu instid0(VALU_DEP_1) | instskip(NEXT) | instid1(VALU_DEP_1)
	v_cmp_gt_i32_e64 s61, s74, v6
	s_and_b32 s1, s64, s61
	s_delay_alu instid0(SALU_CYCLE_1)
	s_and_saveexec_b32 s0, s1
	s_cbranch_execz .LBB455_8
; %bb.7:
	global_load_u16 v6, v[3:4], off offset:192
	s_waitcnt vmcnt(0)
	v_cvt_f32_f16_e32 v20, v6
.LBB455_8:
	s_or_b32 exec_lo, exec_lo, s0
	v_add_nc_u32_e32 v6, 0x80, v2
	v_dual_mov_b32 v22, 0xff800000 :: v_dual_mov_b32 v21, 0xff800000
	s_delay_alu instid0(VALU_DEP_2) | instskip(NEXT) | instid1(VALU_DEP_1)
	v_cmp_gt_i32_e64 s60, s74, v6
	s_and_b32 s1, s64, s60
	s_delay_alu instid0(SALU_CYCLE_1)
	s_and_saveexec_b32 s0, s1
	s_cbranch_execz .LBB455_10
; %bb.9:
	global_load_u16 v6, v[3:4], off offset:256
	s_waitcnt vmcnt(0)
	v_cvt_f32_f16_e32 v21, v6
.LBB455_10:
	s_or_b32 exec_lo, exec_lo, s0
	v_add_nc_u32_e32 v6, 0xa0, v2
	s_delay_alu instid0(VALU_DEP_1) | instskip(NEXT) | instid1(VALU_DEP_1)
	v_cmp_gt_i32_e64 s59, s74, v6
	s_and_b32 s1, s64, s59
	s_delay_alu instid0(SALU_CYCLE_1)
	s_and_saveexec_b32 s0, s1
	s_cbranch_execz .LBB455_12
; %bb.11:
	global_load_u16 v6, v[3:4], off offset:320
	s_waitcnt vmcnt(0)
	v_cvt_f32_f16_e32 v22, v6
.LBB455_12:
	s_or_b32 exec_lo, exec_lo, s0
	v_add_nc_u32_e32 v6, 0xc0, v2
	v_dual_mov_b32 v24, 0xff800000 :: v_dual_mov_b32 v23, 0xff800000
	s_delay_alu instid0(VALU_DEP_2) | instskip(NEXT) | instid1(VALU_DEP_1)
	v_cmp_gt_i32_e64 s58, s74, v6
	s_and_b32 s1, s64, s58
	s_delay_alu instid0(SALU_CYCLE_1)
	s_and_saveexec_b32 s0, s1
	s_cbranch_execz .LBB455_14
; %bb.13:
	global_load_u16 v6, v[3:4], off offset:384
	s_waitcnt vmcnt(0)
	v_cvt_f32_f16_e32 v23, v6
.LBB455_14:
	s_or_b32 exec_lo, exec_lo, s0
	v_add_nc_u32_e32 v6, 0xe0, v2
	s_delay_alu instid0(VALU_DEP_1) | instskip(NEXT) | instid1(VALU_DEP_1)
	v_cmp_gt_i32_e64 s57, s74, v6
	s_and_b32 s1, s64, s57
	s_delay_alu instid0(SALU_CYCLE_1)
	s_and_saveexec_b32 s0, s1
	s_cbranch_execz .LBB455_16
; %bb.15:
	global_load_u16 v6, v[3:4], off offset:448
	s_waitcnt vmcnt(0)
	v_cvt_f32_f16_e32 v24, v6
.LBB455_16:
	s_or_b32 exec_lo, exec_lo, s0
	v_add_nc_u32_e32 v6, 0x100, v2
	v_mov_b32_e32 v31, 0xff800000
	v_mov_b32_e32 v27, 0xff800000
	s_delay_alu instid0(VALU_DEP_3) | instskip(NEXT) | instid1(VALU_DEP_1)
	v_cmp_gt_i32_e64 s56, s74, v6
	s_and_b32 s1, s64, s56
	s_delay_alu instid0(SALU_CYCLE_1)
	s_and_saveexec_b32 s0, s1
	s_cbranch_execz .LBB455_18
; %bb.17:
	global_load_u16 v6, v[3:4], off offset:512
	s_waitcnt vmcnt(0)
	v_cvt_f32_f16_e32 v27, v6
.LBB455_18:
	s_or_b32 exec_lo, exec_lo, s0
	v_add_nc_u32_e32 v6, 0x120, v2
	s_delay_alu instid0(VALU_DEP_1) | instskip(NEXT) | instid1(VALU_DEP_1)
	v_cmp_gt_i32_e64 s55, s74, v6
	s_and_b32 s1, s64, s55
	s_delay_alu instid0(SALU_CYCLE_1)
	s_and_saveexec_b32 s0, s1
	s_cbranch_execz .LBB455_20
; %bb.19:
	global_load_u16 v6, v[3:4], off offset:576
	s_waitcnt vmcnt(0)
	v_cvt_f32_f16_e32 v31, v6
.LBB455_20:
	s_or_b32 exec_lo, exec_lo, s0
	v_add_nc_u32_e32 v6, 0x140, v2
	v_dual_mov_b32 v33, 0xff800000 :: v_dual_mov_b32 v32, 0xff800000
	s_delay_alu instid0(VALU_DEP_2) | instskip(NEXT) | instid1(VALU_DEP_1)
	v_cmp_gt_i32_e64 s54, s74, v6
	s_and_b32 s1, s64, s54
	s_delay_alu instid0(SALU_CYCLE_1)
	s_and_saveexec_b32 s0, s1
	s_cbranch_execz .LBB455_22
; %bb.21:
	global_load_u16 v6, v[3:4], off offset:640
	s_waitcnt vmcnt(0)
	v_cvt_f32_f16_e32 v32, v6
.LBB455_22:
	s_or_b32 exec_lo, exec_lo, s0
	v_add_nc_u32_e32 v6, 0x160, v2
	s_delay_alu instid0(VALU_DEP_1) | instskip(NEXT) | instid1(VALU_DEP_1)
	v_cmp_gt_i32_e64 s53, s74, v6
	s_and_b32 s1, s64, s53
	s_delay_alu instid0(SALU_CYCLE_1)
	s_and_saveexec_b32 s0, s1
	s_cbranch_execz .LBB455_24
; %bb.23:
	global_load_u16 v6, v[3:4], off offset:704
	s_waitcnt vmcnt(0)
	v_cvt_f32_f16_e32 v33, v6
.LBB455_24:
	s_or_b32 exec_lo, exec_lo, s0
	v_add_nc_u32_e32 v6, 0x180, v2
	v_mov_b32_e32 v37, 0xff800000
	v_mov_b32_e32 v35, 0xff800000
	s_delay_alu instid0(VALU_DEP_3) | instskip(NEXT) | instid1(VALU_DEP_1)
	v_cmp_gt_i32_e64 s52, s74, v6
	s_and_b32 s1, s64, s52
	s_delay_alu instid0(SALU_CYCLE_1)
	s_and_saveexec_b32 s0, s1
	s_cbranch_execz .LBB455_26
; %bb.25:
	global_load_u16 v6, v[3:4], off offset:768
	s_waitcnt vmcnt(0)
	v_cvt_f32_f16_e32 v35, v6
.LBB455_26:
	s_or_b32 exec_lo, exec_lo, s0
	v_add_nc_u32_e32 v6, 0x1a0, v2
	s_delay_alu instid0(VALU_DEP_1) | instskip(NEXT) | instid1(VALU_DEP_1)
	v_cmp_gt_i32_e64 s51, s74, v6
	s_and_b32 s1, s64, s51
	s_delay_alu instid0(SALU_CYCLE_1)
	s_and_saveexec_b32 s0, s1
	s_cbranch_execz .LBB455_28
; %bb.27:
	global_load_u16 v6, v[3:4], off offset:832
	s_waitcnt vmcnt(0)
	v_cvt_f32_f16_e32 v37, v6
.LBB455_28:
	s_or_b32 exec_lo, exec_lo, s0
	v_add_nc_u32_e32 v6, 0x1c0, v2
	v_dual_mov_b32 v39, 0xff800000 :: v_dual_mov_b32 v38, 0xff800000
	s_delay_alu instid0(VALU_DEP_2) | instskip(NEXT) | instid1(VALU_DEP_1)
	v_cmp_gt_i32_e64 s50, s74, v6
	s_and_b32 s1, s64, s50
	s_delay_alu instid0(SALU_CYCLE_1)
	s_and_saveexec_b32 s0, s1
	s_cbranch_execz .LBB455_30
; %bb.29:
	global_load_u16 v6, v[3:4], off offset:896
	s_waitcnt vmcnt(0)
	v_cvt_f32_f16_e32 v38, v6
.LBB455_30:
	s_or_b32 exec_lo, exec_lo, s0
	v_add_nc_u32_e32 v6, 0x1e0, v2
	s_delay_alu instid0(VALU_DEP_1) | instskip(NEXT) | instid1(VALU_DEP_1)
	v_cmp_gt_i32_e64 s49, s74, v6
	s_and_b32 s1, s64, s49
	s_delay_alu instid0(SALU_CYCLE_1)
	s_and_saveexec_b32 s0, s1
	s_cbranch_execz .LBB455_32
; %bb.31:
	global_load_u16 v6, v[3:4], off offset:960
	s_waitcnt vmcnt(0)
	v_cvt_f32_f16_e32 v39, v6
.LBB455_32:
	s_or_b32 exec_lo, exec_lo, s0
	v_add_nc_u32_e32 v6, 0x200, v2
	v_dual_mov_b32 v41, 0xff800000 :: v_dual_mov_b32 v40, 0xff800000
	s_delay_alu instid0(VALU_DEP_2) | instskip(NEXT) | instid1(VALU_DEP_1)
	v_cmp_gt_i32_e64 s48, s74, v6
	s_and_b32 s1, s64, s48
	s_delay_alu instid0(SALU_CYCLE_1)
	s_and_saveexec_b32 s0, s1
	s_cbranch_execz .LBB455_34
; %bb.33:
	global_load_u16 v6, v[3:4], off offset:1024
	s_waitcnt vmcnt(0)
	v_cvt_f32_f16_e32 v40, v6
.LBB455_34:
	s_or_b32 exec_lo, exec_lo, s0
	v_add_nc_u32_e32 v6, 0x220, v2
	s_delay_alu instid0(VALU_DEP_1) | instskip(NEXT) | instid1(VALU_DEP_1)
	v_cmp_gt_i32_e64 s47, s74, v6
	s_and_b32 s1, s64, s47
	s_delay_alu instid0(SALU_CYCLE_1)
	s_and_saveexec_b32 s0, s1
	s_cbranch_execz .LBB455_36
; %bb.35:
	global_load_u16 v6, v[3:4], off offset:1088
	s_waitcnt vmcnt(0)
	v_cvt_f32_f16_e32 v41, v6
.LBB455_36:
	s_or_b32 exec_lo, exec_lo, s0
	v_add_nc_u32_e32 v6, 0x240, v2
	v_dual_mov_b32 v43, 0xff800000 :: v_dual_mov_b32 v42, 0xff800000
	s_delay_alu instid0(VALU_DEP_2) | instskip(NEXT) | instid1(VALU_DEP_1)
	v_cmp_gt_i32_e64 s46, s74, v6
	s_and_b32 s1, s64, s46
	s_delay_alu instid0(SALU_CYCLE_1)
	s_and_saveexec_b32 s0, s1
	s_cbranch_execz .LBB455_38
; %bb.37:
	global_load_u16 v6, v[3:4], off offset:1152
	s_waitcnt vmcnt(0)
	v_cvt_f32_f16_e32 v42, v6
.LBB455_38:
	s_or_b32 exec_lo, exec_lo, s0
	v_add_nc_u32_e32 v6, 0x260, v2
	s_delay_alu instid0(VALU_DEP_1) | instskip(NEXT) | instid1(VALU_DEP_1)
	v_cmp_gt_i32_e64 s45, s74, v6
	s_and_b32 s1, s64, s45
	s_delay_alu instid0(SALU_CYCLE_1)
	s_and_saveexec_b32 s0, s1
	s_cbranch_execz .LBB455_40
; %bb.39:
	global_load_u16 v6, v[3:4], off offset:1216
	s_waitcnt vmcnt(0)
	v_cvt_f32_f16_e32 v43, v6
.LBB455_40:
	s_or_b32 exec_lo, exec_lo, s0
	v_add_nc_u32_e32 v6, 0x280, v2
	v_dual_mov_b32 v45, 0xff800000 :: v_dual_mov_b32 v44, 0xff800000
	s_delay_alu instid0(VALU_DEP_2) | instskip(NEXT) | instid1(VALU_DEP_1)
	v_cmp_gt_i32_e64 s44, s74, v6
	s_and_b32 s1, s64, s44
	s_delay_alu instid0(SALU_CYCLE_1)
	s_and_saveexec_b32 s0, s1
	s_cbranch_execz .LBB455_42
; %bb.41:
	global_load_u16 v6, v[3:4], off offset:1280
	s_waitcnt vmcnt(0)
	v_cvt_f32_f16_e32 v44, v6
.LBB455_42:
	s_or_b32 exec_lo, exec_lo, s0
	v_add_nc_u32_e32 v6, 0x2a0, v2
	s_delay_alu instid0(VALU_DEP_1) | instskip(NEXT) | instid1(VALU_DEP_1)
	v_cmp_gt_i32_e64 s43, s74, v6
	s_and_b32 s1, s64, s43
	s_delay_alu instid0(SALU_CYCLE_1)
	s_and_saveexec_b32 s0, s1
	s_cbranch_execz .LBB455_44
; %bb.43:
	global_load_u16 v6, v[3:4], off offset:1344
	s_waitcnt vmcnt(0)
	v_cvt_f32_f16_e32 v45, v6
.LBB455_44:
	s_or_b32 exec_lo, exec_lo, s0
	v_add_nc_u32_e32 v6, 0x2c0, v2
	v_dual_mov_b32 v47, 0xff800000 :: v_dual_mov_b32 v46, 0xff800000
	s_delay_alu instid0(VALU_DEP_2) | instskip(NEXT) | instid1(VALU_DEP_1)
	v_cmp_gt_i32_e64 s42, s74, v6
	s_and_b32 s1, s64, s42
	s_delay_alu instid0(SALU_CYCLE_1)
	s_and_saveexec_b32 s0, s1
	s_cbranch_execz .LBB455_46
; %bb.45:
	global_load_u16 v6, v[3:4], off offset:1408
	s_waitcnt vmcnt(0)
	v_cvt_f32_f16_e32 v46, v6
.LBB455_46:
	s_or_b32 exec_lo, exec_lo, s0
	v_add_nc_u32_e32 v6, 0x2e0, v2
	s_delay_alu instid0(VALU_DEP_1) | instskip(NEXT) | instid1(VALU_DEP_1)
	v_cmp_gt_i32_e64 s41, s74, v6
	s_and_b32 s1, s64, s41
	s_delay_alu instid0(SALU_CYCLE_1)
	s_and_saveexec_b32 s0, s1
	s_cbranch_execz .LBB455_48
; %bb.47:
	global_load_u16 v6, v[3:4], off offset:1472
	s_waitcnt vmcnt(0)
	v_cvt_f32_f16_e32 v47, v6
.LBB455_48:
	s_or_b32 exec_lo, exec_lo, s0
	v_add_nc_u32_e32 v6, 0x300, v2
	v_dual_mov_b32 v49, 0xff800000 :: v_dual_mov_b32 v48, 0xff800000
	s_delay_alu instid0(VALU_DEP_2) | instskip(NEXT) | instid1(VALU_DEP_1)
	v_cmp_gt_i32_e64 s40, s74, v6
	s_and_b32 s1, s64, s40
	s_delay_alu instid0(SALU_CYCLE_1)
	s_and_saveexec_b32 s0, s1
	s_cbranch_execz .LBB455_50
; %bb.49:
	global_load_u16 v6, v[3:4], off offset:1536
	s_waitcnt vmcnt(0)
	v_cvt_f32_f16_e32 v48, v6
.LBB455_50:
	s_or_b32 exec_lo, exec_lo, s0
	v_add_nc_u32_e32 v6, 0x320, v2
	s_delay_alu instid0(VALU_DEP_1) | instskip(NEXT) | instid1(VALU_DEP_1)
	v_cmp_gt_i32_e64 s39, s74, v6
	s_and_b32 s1, s64, s39
	s_delay_alu instid0(SALU_CYCLE_1)
	s_and_saveexec_b32 s0, s1
	s_cbranch_execz .LBB455_52
; %bb.51:
	global_load_u16 v6, v[3:4], off offset:1600
	s_waitcnt vmcnt(0)
	v_cvt_f32_f16_e32 v49, v6
.LBB455_52:
	s_or_b32 exec_lo, exec_lo, s0
	v_add_nc_u32_e32 v6, 0x340, v2
	v_dual_mov_b32 v51, 0xff800000 :: v_dual_mov_b32 v50, 0xff800000
	s_delay_alu instid0(VALU_DEP_2) | instskip(NEXT) | instid1(VALU_DEP_1)
	v_cmp_gt_i32_e64 s38, s74, v6
	s_and_b32 s1, s64, s38
	s_delay_alu instid0(SALU_CYCLE_1)
	s_and_saveexec_b32 s0, s1
	s_cbranch_execz .LBB455_54
; %bb.53:
	global_load_u16 v6, v[3:4], off offset:1664
	s_waitcnt vmcnt(0)
	v_cvt_f32_f16_e32 v50, v6
.LBB455_54:
	s_or_b32 exec_lo, exec_lo, s0
	v_add_nc_u32_e32 v6, 0x360, v2
	s_delay_alu instid0(VALU_DEP_1) | instskip(NEXT) | instid1(VALU_DEP_1)
	v_cmp_gt_i32_e64 s37, s74, v6
	s_and_b32 s1, s64, s37
	s_delay_alu instid0(SALU_CYCLE_1)
	s_and_saveexec_b32 s0, s1
	s_cbranch_execz .LBB455_56
; %bb.55:
	global_load_u16 v6, v[3:4], off offset:1728
	s_waitcnt vmcnt(0)
	v_cvt_f32_f16_e32 v51, v6
.LBB455_56:
	s_or_b32 exec_lo, exec_lo, s0
	v_add_nc_u32_e32 v6, 0x380, v2
	v_dual_mov_b32 v59, 0xff800000 :: v_dual_mov_b32 v52, 0xff800000
	s_delay_alu instid0(VALU_DEP_2) | instskip(NEXT) | instid1(VALU_DEP_1)
	v_cmp_gt_i32_e64 s36, s74, v6
	s_and_b32 s1, s64, s36
	s_delay_alu instid0(SALU_CYCLE_1)
	s_and_saveexec_b32 s0, s1
	s_cbranch_execz .LBB455_58
; %bb.57:
	global_load_u16 v6, v[3:4], off offset:1792
	s_waitcnt vmcnt(0)
	v_cvt_f32_f16_e32 v52, v6
.LBB455_58:
	s_or_b32 exec_lo, exec_lo, s0
	v_add_nc_u32_e32 v6, 0x3a0, v2
	s_delay_alu instid0(VALU_DEP_1) | instskip(NEXT) | instid1(VALU_DEP_1)
	v_cmp_gt_i32_e64 s35, s74, v6
	s_and_b32 s1, s64, s35
	s_delay_alu instid0(SALU_CYCLE_1)
	s_and_saveexec_b32 s0, s1
	s_cbranch_execz .LBB455_60
; %bb.59:
	global_load_u16 v6, v[3:4], off offset:1856
	s_waitcnt vmcnt(0)
	v_cvt_f32_f16_e32 v59, v6
.LBB455_60:
	s_or_b32 exec_lo, exec_lo, s0
	v_add_nc_u32_e32 v6, 0x3c0, v2
	v_dual_mov_b32 v63, 0xff800000 :: v_dual_mov_b32 v60, 0xff800000
	s_delay_alu instid0(VALU_DEP_2) | instskip(NEXT) | instid1(VALU_DEP_1)
	v_cmp_gt_i32_e64 s34, s74, v6
	s_and_b32 s1, s64, s34
	s_delay_alu instid0(SALU_CYCLE_1)
	s_and_saveexec_b32 s0, s1
	s_cbranch_execz .LBB455_62
; %bb.61:
	global_load_u16 v6, v[3:4], off offset:1920
	s_waitcnt vmcnt(0)
	v_cvt_f32_f16_e32 v60, v6
.LBB455_62:
	s_or_b32 exec_lo, exec_lo, s0
	v_add_nc_u32_e32 v6, 0x3e0, v2
	s_delay_alu instid0(VALU_DEP_1) | instskip(NEXT) | instid1(VALU_DEP_1)
	v_cmp_gt_i32_e64 s33, s74, v6
	s_and_b32 s1, s64, s33
	s_delay_alu instid0(SALU_CYCLE_1)
	s_and_saveexec_b32 s0, s1
	s_cbranch_execz .LBB455_64
; %bb.63:
	global_load_u16 v6, v[3:4], off offset:1984
	s_waitcnt vmcnt(0)
	v_cvt_f32_f16_e32 v63, v6
.LBB455_64:
	s_or_b32 exec_lo, exec_lo, s0
	v_or_b32_e32 v6, 0x400, v2
	v_dual_mov_b32 v71, 0xff800000 :: v_dual_mov_b32 v70, 0xff800000
	s_delay_alu instid0(VALU_DEP_2) | instskip(NEXT) | instid1(VALU_DEP_1)
	v_cmp_gt_i32_e64 s31, s74, v6
	s_and_b32 s1, s64, s31
	s_delay_alu instid0(SALU_CYCLE_1)
	s_and_saveexec_b32 s0, s1
	s_cbranch_execz .LBB455_66
; %bb.65:
	global_load_u16 v6, v[3:4], off offset:2048
	s_waitcnt vmcnt(0)
	v_cvt_f32_f16_e32 v70, v6
.LBB455_66:
	s_or_b32 exec_lo, exec_lo, s0
	v_add_nc_u32_e32 v6, 0x420, v2
	s_delay_alu instid0(VALU_DEP_1) | instskip(NEXT) | instid1(VALU_DEP_1)
	v_cmp_gt_i32_e64 s30, s74, v6
	s_and_b32 s1, s64, s30
	s_delay_alu instid0(SALU_CYCLE_1)
	s_and_saveexec_b32 s0, s1
	s_cbranch_execz .LBB455_68
; %bb.67:
	global_load_u16 v6, v[3:4], off offset:2112
	s_waitcnt vmcnt(0)
	v_cvt_f32_f16_e32 v71, v6
.LBB455_68:
	s_or_b32 exec_lo, exec_lo, s0
	v_add_nc_u32_e32 v6, 0x440, v2
	v_mov_b32_e32 v68, 0xff800000
	v_mov_b32_e32 v72, 0xff800000
	s_delay_alu instid0(VALU_DEP_3) | instskip(NEXT) | instid1(VALU_DEP_1)
	v_cmp_gt_i32_e64 s29, s74, v6
	s_and_b32 s1, s64, s29
	s_delay_alu instid0(SALU_CYCLE_1)
	s_and_saveexec_b32 s0, s1
	s_cbranch_execz .LBB455_70
; %bb.69:
	global_load_u16 v6, v[3:4], off offset:2176
	s_waitcnt vmcnt(0)
	v_cvt_f32_f16_e32 v72, v6
.LBB455_70:
	s_or_b32 exec_lo, exec_lo, s0
	v_add_nc_u32_e32 v6, 0x460, v2
	s_delay_alu instid0(VALU_DEP_1) | instskip(NEXT) | instid1(VALU_DEP_1)
	v_cmp_gt_i32_e64 s28, s74, v6
	s_and_b32 s1, s64, s28
	s_delay_alu instid0(SALU_CYCLE_1)
	s_and_saveexec_b32 s0, s1
	s_cbranch_execz .LBB455_72
; %bb.71:
	global_load_u16 v6, v[3:4], off offset:2240
	s_waitcnt vmcnt(0)
	v_cvt_f32_f16_e32 v68, v6
.LBB455_72:
	s_or_b32 exec_lo, exec_lo, s0
	v_add_nc_u32_e32 v6, 0x480, v2
	v_mov_b32_e32 v67, 0xff800000
	v_mov_b32_e32 v69, 0xff800000
	s_delay_alu instid0(VALU_DEP_3) | instskip(NEXT) | instid1(VALU_DEP_1)
	v_cmp_gt_i32_e64 s27, s74, v6
	s_and_b32 s1, s64, s27
	s_delay_alu instid0(SALU_CYCLE_1)
	s_and_saveexec_b32 s0, s1
	s_cbranch_execz .LBB455_74
; %bb.73:
	global_load_u16 v6, v[3:4], off offset:2304
	s_waitcnt vmcnt(0)
	v_cvt_f32_f16_e32 v69, v6
.LBB455_74:
	s_or_b32 exec_lo, exec_lo, s0
	v_add_nc_u32_e32 v6, 0x4a0, v2
	s_delay_alu instid0(VALU_DEP_1) | instskip(NEXT) | instid1(VALU_DEP_1)
	v_cmp_gt_i32_e64 s26, s74, v6
	s_and_b32 s1, s64, s26
	s_delay_alu instid0(SALU_CYCLE_1)
	s_and_saveexec_b32 s0, s1
	s_cbranch_execz .LBB455_76
; %bb.75:
	global_load_u16 v6, v[3:4], off offset:2368
	s_waitcnt vmcnt(0)
	v_cvt_f32_f16_e32 v67, v6
.LBB455_76:
	s_or_b32 exec_lo, exec_lo, s0
	v_add_nc_u32_e32 v6, 0x4c0, v2
	v_dual_mov_b32 v65, 0xff800000 :: v_dual_mov_b32 v66, 0xff800000
	s_delay_alu instid0(VALU_DEP_2) | instskip(NEXT) | instid1(VALU_DEP_1)
	v_cmp_gt_i32_e64 s25, s74, v6
	s_and_b32 s1, s64, s25
	s_delay_alu instid0(SALU_CYCLE_1)
	s_and_saveexec_b32 s0, s1
	s_cbranch_execz .LBB455_78
; %bb.77:
	global_load_u16 v6, v[3:4], off offset:2432
	s_waitcnt vmcnt(0)
	v_cvt_f32_f16_e32 v66, v6
.LBB455_78:
	s_or_b32 exec_lo, exec_lo, s0
	v_add_nc_u32_e32 v6, 0x4e0, v2
	s_delay_alu instid0(VALU_DEP_1) | instskip(NEXT) | instid1(VALU_DEP_1)
	v_cmp_gt_i32_e64 s24, s74, v6
	s_and_b32 s1, s64, s24
	s_delay_alu instid0(SALU_CYCLE_1)
	s_and_saveexec_b32 s0, s1
	s_cbranch_execz .LBB455_80
; %bb.79:
	global_load_u16 v6, v[3:4], off offset:2496
	s_waitcnt vmcnt(0)
	v_cvt_f32_f16_e32 v65, v6
.LBB455_80:
	s_or_b32 exec_lo, exec_lo, s0
	v_add_nc_u32_e32 v6, 0x500, v2
	v_dual_mov_b32 v61, 0xff800000 :: v_dual_mov_b32 v64, 0xff800000
	s_delay_alu instid0(VALU_DEP_2) | instskip(NEXT) | instid1(VALU_DEP_1)
	v_cmp_gt_i32_e64 s23, s74, v6
	s_and_b32 s1, s64, s23
	s_delay_alu instid0(SALU_CYCLE_1)
	s_and_saveexec_b32 s0, s1
	s_cbranch_execz .LBB455_82
; %bb.81:
	global_load_u16 v6, v[3:4], off offset:2560
	s_waitcnt vmcnt(0)
	v_cvt_f32_f16_e32 v64, v6
.LBB455_82:
	s_or_b32 exec_lo, exec_lo, s0
	v_add_nc_u32_e32 v6, 0x520, v2
	s_delay_alu instid0(VALU_DEP_1) | instskip(NEXT) | instid1(VALU_DEP_1)
	v_cmp_gt_i32_e64 s22, s74, v6
	s_and_b32 s1, s64, s22
	s_delay_alu instid0(SALU_CYCLE_1)
	s_and_saveexec_b32 s0, s1
	s_cbranch_execz .LBB455_84
; %bb.83:
	global_load_u16 v6, v[3:4], off offset:2624
	s_waitcnt vmcnt(0)
	v_cvt_f32_f16_e32 v61, v6
.LBB455_84:
	s_or_b32 exec_lo, exec_lo, s0
	v_add_nc_u32_e32 v6, 0x540, v2
	v_mov_b32_e32 v58, 0xff800000
	v_mov_b32_e32 v62, 0xff800000
	s_delay_alu instid0(VALU_DEP_3) | instskip(NEXT) | instid1(VALU_DEP_1)
	v_cmp_gt_i32_e64 s21, s74, v6
	s_and_b32 s1, s64, s21
	s_delay_alu instid0(SALU_CYCLE_1)
	s_and_saveexec_b32 s0, s1
	s_cbranch_execz .LBB455_86
; %bb.85:
	global_load_u16 v6, v[3:4], off offset:2688
	s_waitcnt vmcnt(0)
	v_cvt_f32_f16_e32 v62, v6
.LBB455_86:
	s_or_b32 exec_lo, exec_lo, s0
	v_add_nc_u32_e32 v6, 0x560, v2
	s_delay_alu instid0(VALU_DEP_1) | instskip(NEXT) | instid1(VALU_DEP_1)
	v_cmp_gt_i32_e64 s20, s74, v6
	s_and_b32 s1, s64, s20
	s_delay_alu instid0(SALU_CYCLE_1)
	s_and_saveexec_b32 s0, s1
	s_cbranch_execz .LBB455_88
; %bb.87:
	global_load_u16 v6, v[3:4], off offset:2752
	s_waitcnt vmcnt(0)
	v_cvt_f32_f16_e32 v58, v6
.LBB455_88:
	s_or_b32 exec_lo, exec_lo, s0
	v_add_nc_u32_e32 v6, 0x580, v2
	v_dual_mov_b32 v56, 0xff800000 :: v_dual_mov_b32 v57, 0xff800000
	s_delay_alu instid0(VALU_DEP_2) | instskip(NEXT) | instid1(VALU_DEP_1)
	v_cmp_gt_i32_e64 s19, s74, v6
	s_and_b32 s1, s64, s19
	s_delay_alu instid0(SALU_CYCLE_1)
	s_and_saveexec_b32 s0, s1
	s_cbranch_execz .LBB455_90
; %bb.89:
	global_load_u16 v6, v[3:4], off offset:2816
	s_waitcnt vmcnt(0)
	v_cvt_f32_f16_e32 v57, v6
.LBB455_90:
	s_or_b32 exec_lo, exec_lo, s0
	v_add_nc_u32_e32 v6, 0x5a0, v2
	s_delay_alu instid0(VALU_DEP_1) | instskip(NEXT) | instid1(VALU_DEP_1)
	v_cmp_gt_i32_e64 s18, s74, v6
	s_and_b32 s1, s64, s18
	s_delay_alu instid0(SALU_CYCLE_1)
	s_and_saveexec_b32 s0, s1
	s_cbranch_execz .LBB455_92
; %bb.91:
	global_load_u16 v6, v[3:4], off offset:2880
	s_waitcnt vmcnt(0)
	v_cvt_f32_f16_e32 v56, v6
.LBB455_92:
	s_or_b32 exec_lo, exec_lo, s0
	v_add_nc_u32_e32 v6, 0x5c0, v2
	v_mov_b32_e32 v53, 0xff800000
	v_mov_b32_e32 v55, 0xff800000
	s_delay_alu instid0(VALU_DEP_3) | instskip(NEXT) | instid1(VALU_DEP_1)
	v_cmp_gt_i32_e64 s17, s74, v6
	s_and_b32 s1, s64, s17
	s_delay_alu instid0(SALU_CYCLE_1)
	s_and_saveexec_b32 s0, s1
	s_cbranch_execz .LBB455_94
; %bb.93:
	global_load_u16 v6, v[3:4], off offset:2944
	s_waitcnt vmcnt(0)
	v_cvt_f32_f16_e32 v55, v6
.LBB455_94:
	s_or_b32 exec_lo, exec_lo, s0
	v_add_nc_u32_e32 v6, 0x5e0, v2
	s_delay_alu instid0(VALU_DEP_1) | instskip(NEXT) | instid1(VALU_DEP_1)
	v_cmp_gt_i32_e64 s16, s74, v6
	s_and_b32 s1, s64, s16
	s_delay_alu instid0(SALU_CYCLE_1)
	s_and_saveexec_b32 s0, s1
	s_cbranch_execz .LBB455_96
; %bb.95:
	global_load_u16 v6, v[3:4], off offset:3008
	s_waitcnt vmcnt(0)
	v_cvt_f32_f16_e32 v53, v6
.LBB455_96:
	s_or_b32 exec_lo, exec_lo, s0
	v_add_nc_u32_e32 v6, 0x600, v2
	v_mov_b32_e32 v36, 0xff800000
	v_mov_b32_e32 v54, 0xff800000
	s_delay_alu instid0(VALU_DEP_3) | instskip(NEXT) | instid1(VALU_DEP_1)
	;; [unrolled: 28-line block ×5, first 2 shown]
	v_cmp_gt_i32_e64 s9, s74, v6
	s_and_b32 s1, s64, s9
	s_delay_alu instid0(SALU_CYCLE_1)
	s_and_saveexec_b32 s0, s1
	s_cbranch_execz .LBB455_110
; %bb.109:
	global_load_u16 v6, v[3:4], off offset:3456
	s_waitcnt vmcnt(0)
	v_cvt_f32_f16_e32 v26, v6
.LBB455_110:
	s_or_b32 exec_lo, exec_lo, s0
	v_add_nc_u32_e32 v6, 0x6e0, v2
	s_delay_alu instid0(VALU_DEP_1) | instskip(NEXT) | instid1(VALU_DEP_1)
	v_cmp_gt_i32_e64 s8, s74, v6
	s_and_b32 s1, s64, s8
	s_delay_alu instid0(SALU_CYCLE_1)
	s_and_saveexec_b32 s0, s1
	s_cbranch_execz .LBB455_112
; %bb.111:
	global_load_u16 v6, v[3:4], off offset:3520
	s_waitcnt vmcnt(0)
	v_cvt_f32_f16_e32 v18, v6
.LBB455_112:
	s_or_b32 exec_lo, exec_lo, s0
	v_add_nc_u32_e32 v6, 0x700, v2
	v_dual_mov_b32 v12, 0xff800000 :: v_dual_mov_b32 v17, 0xff800000
	s_delay_alu instid0(VALU_DEP_2) | instskip(NEXT) | instid1(VALU_DEP_1)
	v_cmp_gt_i32_e64 s7, s74, v6
	s_and_b32 s1, s64, s7
	s_delay_alu instid0(SALU_CYCLE_1)
	s_and_saveexec_b32 s0, s1
	s_cbranch_execz .LBB455_114
; %bb.113:
	global_load_u16 v6, v[3:4], off offset:3584
	s_waitcnt vmcnt(0)
	v_cvt_f32_f16_e32 v17, v6
.LBB455_114:
	s_or_b32 exec_lo, exec_lo, s0
	v_add_nc_u32_e32 v6, 0x720, v2
	s_delay_alu instid0(VALU_DEP_1) | instskip(NEXT) | instid1(VALU_DEP_1)
	v_cmp_gt_i32_e64 s6, s74, v6
	s_and_b32 s1, s64, s6
	s_delay_alu instid0(SALU_CYCLE_1)
	s_and_saveexec_b32 s0, s1
	s_cbranch_execz .LBB455_116
; %bb.115:
	global_load_u16 v6, v[3:4], off offset:3648
	s_waitcnt vmcnt(0)
	v_cvt_f32_f16_e32 v12, v6
.LBB455_116:
	s_or_b32 exec_lo, exec_lo, s0
	v_add_nc_u32_e32 v6, 0x740, v2
	v_dual_mov_b32 v10, 0xff800000 :: v_dual_mov_b32 v11, 0xff800000
	s_delay_alu instid0(VALU_DEP_2) | instskip(NEXT) | instid1(VALU_DEP_1)
	v_cmp_gt_i32_e64 s5, s74, v6
	s_and_b32 s1, s64, s5
	s_delay_alu instid0(SALU_CYCLE_1)
	s_and_saveexec_b32 s0, s1
	s_cbranch_execz .LBB455_118
; %bb.117:
	global_load_u16 v6, v[3:4], off offset:3712
	s_waitcnt vmcnt(0)
	v_cvt_f32_f16_e32 v11, v6
.LBB455_118:
	s_or_b32 exec_lo, exec_lo, s0
	v_add_nc_u32_e32 v6, 0x760, v2
	s_delay_alu instid0(VALU_DEP_1) | instskip(NEXT) | instid1(VALU_DEP_1)
	v_cmp_gt_i32_e64 s4, s74, v6
	s_and_b32 s1, s64, s4
	s_delay_alu instid0(SALU_CYCLE_1)
	s_and_saveexec_b32 s0, s1
	s_cbranch_execz .LBB455_120
; %bb.119:
	global_load_u16 v6, v[3:4], off offset:3776
	s_waitcnt vmcnt(0)
	v_cvt_f32_f16_e32 v10, v6
.LBB455_120:
	s_or_b32 exec_lo, exec_lo, s0
	v_add_nc_u32_e32 v6, 0x780, v2
	v_mov_b32_e32 v7, 0xff800000
	v_mov_b32_e32 v9, 0xff800000
	s_delay_alu instid0(VALU_DEP_3) | instskip(NEXT) | instid1(VALU_DEP_1)
	v_cmp_gt_i32_e64 s3, s74, v6
	s_and_b32 s1, s64, s3
	s_delay_alu instid0(SALU_CYCLE_1)
	s_and_saveexec_b32 s0, s1
	s_cbranch_execz .LBB455_122
; %bb.121:
	global_load_u16 v6, v[3:4], off offset:3840
	s_waitcnt vmcnt(0)
	v_cvt_f32_f16_e32 v9, v6
.LBB455_122:
	s_or_b32 exec_lo, exec_lo, s0
	v_add_nc_u32_e32 v6, 0x7a0, v2
	s_delay_alu instid0(VALU_DEP_1) | instskip(NEXT) | instid1(VALU_DEP_1)
	v_cmp_gt_i32_e64 s2, s74, v6
	s_and_b32 s1, s64, s2
	s_delay_alu instid0(SALU_CYCLE_1)
	s_and_saveexec_b32 s0, s1
	s_cbranch_execz .LBB455_124
; %bb.123:
	global_load_u16 v6, v[3:4], off offset:3904
	s_waitcnt vmcnt(0)
	v_cvt_f32_f16_e32 v7, v6
.LBB455_124:
	s_or_b32 exec_lo, exec_lo, s0
	v_add_nc_u32_e32 v6, 0x7c0, v2
	v_mov_b32_e32 v8, 0xff800000
	s_delay_alu instid0(VALU_DEP_2) | instskip(SKIP_1) | instid1(VALU_DEP_2)
	v_cmp_gt_i32_e64 s1, s74, v6
	v_mov_b32_e32 v6, 0xff800000
	s_and_b32 s65, s64, s1
	s_delay_alu instid0(SALU_CYCLE_1)
	s_and_saveexec_b32 s0, s65
	s_cbranch_execz .LBB455_126
; %bb.125:
	global_load_u16 v8, v[3:4], off offset:3968
	s_waitcnt vmcnt(0)
	v_cvt_f32_f16_e32 v8, v8
.LBB455_126:
	s_or_b32 exec_lo, exec_lo, s0
	v_add_nc_u32_e32 v2, 0x7e0, v2
	s_delay_alu instid0(VALU_DEP_1) | instskip(NEXT) | instid1(VALU_DEP_1)
	v_cmp_gt_i32_e64 s0, s74, v2
	s_and_b32 s65, s64, s0
	s_delay_alu instid0(SALU_CYCLE_1)
	s_and_saveexec_b32 s64, s65
	s_cbranch_execz .LBB455_128
; %bb.127:
	global_load_u16 v2, v[3:4], off offset:4032
	s_waitcnt vmcnt(0)
	v_cvt_f32_f16_e32 v6, v2
.LBB455_128:
	s_or_b32 exec_lo, exec_lo, s64
	v_cmp_gt_f32_e64 s64, v13, v14
	v_mbcnt_lo_u32_b32 v19, -1, 0
	s_mov_b32 s65, exec_lo
	s_delay_alu instid0(VALU_DEP_2) | instskip(NEXT) | instid1(VALU_DEP_1)
	v_cndmask_b32_e64 v2, v14, v13, s64
	v_cmp_gt_f32_e64 s64, v2, v16
	s_delay_alu instid0(VALU_DEP_1) | instskip(NEXT) | instid1(VALU_DEP_1)
	v_cndmask_b32_e64 v2, v16, v2, s64
	v_cmp_gt_f32_e64 s64, v2, v20
	s_delay_alu instid0(VALU_DEP_1) | instskip(NEXT) | instid1(VALU_DEP_1)
	;; [unrolled: 3-line block ×61, first 2 shown]
	v_cndmask_b32_e64 v2, v8, v2, s64
	v_cmp_gt_f32_e64 s64, v2, v6
	s_delay_alu instid0(VALU_DEP_1) | instskip(SKIP_1) | instid1(VALU_DEP_1)
	v_cndmask_b32_e64 v3, v6, v2, s64
	v_xor_b32_e32 v2, 16, v19
	v_cmp_gt_i32_e64 s64, 32, v2
	s_delay_alu instid0(VALU_DEP_1) | instskip(NEXT) | instid1(VALU_DEP_1)
	v_cndmask_b32_e64 v2, v19, v2, s64
	v_lshlrev_b32_e32 v2, 2, v2
	ds_bpermute_b32 v4, v2, v3
	s_waitcnt lgkmcnt(0)
	v_cmp_lt_f32_e64 s64, v3, v4
	s_delay_alu instid0(VALU_DEP_1) | instskip(SKIP_1) | instid1(VALU_DEP_1)
	v_cndmask_b32_e64 v4, v3, v4, s64
	v_xor_b32_e32 v3, 8, v19
	v_cmp_gt_i32_e64 s64, 32, v3
	s_delay_alu instid0(VALU_DEP_1) | instskip(NEXT) | instid1(VALU_DEP_1)
	v_cndmask_b32_e64 v3, v19, v3, s64
	v_lshlrev_b32_e32 v3, 2, v3
	ds_bpermute_b32 v15, v3, v4
	s_waitcnt lgkmcnt(0)
	v_cmp_lt_f32_e64 s64, v4, v15
	s_delay_alu instid0(VALU_DEP_1) | instskip(SKIP_1) | instid1(VALU_DEP_1)
	v_cndmask_b32_e64 v15, v4, v15, s64
	v_xor_b32_e32 v4, 4, v19
	v_cmp_gt_i32_e64 s64, 32, v4
	s_delay_alu instid0(VALU_DEP_1) | instskip(NEXT) | instid1(VALU_DEP_1)
	v_cndmask_b32_e64 v4, v19, v4, s64
	v_lshlrev_b32_e32 v4, 2, v4
	ds_bpermute_b32 v28, v4, v15
	s_waitcnt lgkmcnt(0)
	v_cmp_lt_f32_e64 s64, v15, v28
	s_delay_alu instid0(VALU_DEP_1) | instskip(SKIP_1) | instid1(VALU_DEP_1)
	v_cndmask_b32_e64 v28, v15, v28, s64
	v_xor_b32_e32 v15, 2, v19
	v_cmp_gt_i32_e64 s64, 32, v15
	s_delay_alu instid0(VALU_DEP_1) | instskip(NEXT) | instid1(VALU_DEP_1)
	v_cndmask_b32_e64 v15, v19, v15, s64
	v_lshlrev_b32_e32 v15, 2, v15
	ds_bpermute_b32 v73, v15, v28
	s_waitcnt lgkmcnt(0)
	v_cmp_lt_f32_e64 s64, v28, v73
	s_delay_alu instid0(VALU_DEP_1) | instskip(SKIP_1) | instid1(VALU_DEP_1)
	v_cndmask_b32_e64 v28, v28, v73, s64
	v_xor_b32_e32 v73, 1, v19
	v_cmp_gt_i32_e64 s64, 32, v73
	s_delay_alu instid0(VALU_DEP_1) | instskip(NEXT) | instid1(VALU_DEP_1)
	v_cndmask_b32_e64 v19, v19, v73, s64
	v_lshlrev_b32_e32 v19, 2, v19
	ds_bpermute_b32 v73, v19, v28
	s_waitcnt lgkmcnt(0)
	v_cmp_lt_f32_e64 s64, v28, v73
	s_delay_alu instid0(VALU_DEP_1) | instskip(NEXT) | instid1(VALU_DEP_1)
	v_cndmask_b32_e64 v28, v28, v73, s64
	v_sub_f32_e32 v13, v13, v28
	v_sub_f32_e32 v14, v14, v28
	;; [unrolled: 1-line block ×5, first 2 shown]
	v_mul_f32_e32 v73, 0x3fb8aa3b, v13
	v_cmp_ngt_f32_e64 s64, 0xc2ce8ed0, v13
	v_sub_f32_e32 v22, v22, v28
	v_sub_f32_e32 v27, v27, v28
	;; [unrolled: 1-line block ×3, first 2 shown]
	v_fma_f32 v74, 0x3fb8aa3b, v13, -v73
	v_rndne_f32_e32 v75, v73
	v_sub_f32_e32 v16, v16, v28
	v_sub_f32_e32 v31, v31, v28
	;; [unrolled: 1-line block ×3, first 2 shown]
	s_delay_alu instid0(VALU_DEP_4) | instskip(SKIP_3) | instid1(VALU_DEP_4)
	v_dual_fmac_f32 v74, 0x32a5705f, v13 :: v_dual_sub_f32 v73, v73, v75
	v_sub_f32_e32 v33, v33, v28
	v_sub_f32_e32 v35, v35, v28
	;; [unrolled: 1-line block ×3, first 2 shown]
	v_dual_sub_f32 v38, v38, v28 :: v_dual_add_f32 v73, v73, v74
	v_cvt_i32_f32_e32 v74, v75
	v_sub_f32_e32 v39, v39, v28
	v_sub_f32_e32 v47, v47, v28
	;; [unrolled: 1-line block ×3, first 2 shown]
	v_exp_f32_e32 v73, v73
	v_sub_f32_e32 v40, v40, v28
	v_sub_f32_e32 v45, v45, v28
	;; [unrolled: 1-line block ×9, first 2 shown]
	v_ldexp_f32 v73, v73, v74
	v_sub_f32_e32 v66, v66, v28
	v_sub_f32_e32 v52, v52, v28
	v_sub_f32_e32 v59, v59, v28
	v_sub_f32_e32 v63, v63, v28
	v_cndmask_b32_e64 v73, 0, v73, s64
	v_cmp_nlt_f32_e64 s64, 0x42b17218, v13
	v_sub_f32_e32 v60, v60, v28
	v_sub_f32_e32 v71, v71, v28
	;; [unrolled: 1-line block ×4, first 2 shown]
	v_cndmask_b32_e64 v13, 0x7f800000, v73, s64
	v_mul_f32_e32 v73, 0x3fb8aa3b, v14
	v_cmp_ngt_f32_e64 s64, 0xc2ce8ed0, v14
	v_sub_f32_e32 v20, v20, v28
	v_sub_f32_e32 v67, v67, v28
	;; [unrolled: 1-line block ×3, first 2 shown]
	v_fma_f32 v74, 0x3fb8aa3b, v14, -v73
	v_rndne_f32_e32 v75, v73
	v_sub_f32_e32 v68, v68, v28
	v_sub_f32_e32 v65, v65, v28
	;; [unrolled: 1-line block ×3, first 2 shown]
	s_delay_alu instid0(VALU_DEP_4) | instskip(SKIP_3) | instid1(VALU_DEP_4)
	v_dual_fmac_f32 v74, 0x32a5705f, v14 :: v_dual_sub_f32 v73, v73, v75
	v_sub_f32_e32 v64, v64, v28
	v_sub_f32_e32 v61, v61, v28
	;; [unrolled: 1-line block ×3, first 2 shown]
	v_dual_sub_f32 v58, v58, v28 :: v_dual_add_f32 v73, v73, v74
	v_cvt_i32_f32_e32 v74, v75
	v_sub_f32_e32 v57, v57, v28
	v_sub_f32_e32 v55, v55, v28
	;; [unrolled: 1-line block ×3, first 2 shown]
	v_exp_f32_e32 v73, v73
	v_sub_f32_e32 v54, v54, v28
	v_sub_f32_e32 v30, v30, v28
	;; [unrolled: 1-line block ×9, first 2 shown]
	v_ldexp_f32 v73, v73, v74
	v_mul_f32_e32 v74, 0x3fb8aa3b, v16
	v_sub_f32_e32 v41, v41, v28
	v_sub_f32_e32 v43, v43, v28
	;; [unrolled: 1-line block ×3, first 2 shown]
	v_cndmask_b32_e64 v73, 0, v73, s64
	v_fma_f32 v75, 0x3fb8aa3b, v16, -v74
	v_rndne_f32_e32 v76, v74
	v_cmp_nlt_f32_e64 s64, 0x42b17218, v14
	v_sub_f32_e32 v29, v29, v28
	v_sub_f32_e32 v25, v25, v28
	v_fmac_f32_e32 v75, 0x32a5705f, v16
	v_sub_f32_e32 v74, v74, v76
	v_cndmask_b32_e64 v14, 0x7f800000, v73, s64
	v_cmp_ngt_f32_e64 s64, 0xc2ce8ed0, v16
	v_sub_f32_e32 v9, v9, v28
	s_delay_alu instid0(VALU_DEP_4) | instskip(SKIP_3) | instid1(VALU_DEP_4)
	v_dual_sub_f32 v7, v7, v28 :: v_dual_add_f32 v74, v74, v75
	v_cvt_i32_f32_e32 v75, v76
	v_add_f32_e32 v73, v13, v14
	v_mul_f32_e32 v28, 0x3fb8aa3b, v6
	v_exp_f32_e32 v74, v74
	s_waitcnt_depctr 0xfff
	v_ldexp_f32 v74, v74, v75
	s_delay_alu instid0(VALU_DEP_1) | instskip(SKIP_1) | instid1(VALU_DEP_1)
	v_cndmask_b32_e64 v74, 0, v74, s64
	v_cmp_nlt_f32_e64 s64, 0x42b17218, v16
	v_cndmask_b32_e64 v16, 0x7f800000, v74, s64
	v_mul_f32_e32 v74, 0x3fb8aa3b, v20
	v_cmp_ngt_f32_e64 s64, 0xc2ce8ed0, v20
	s_delay_alu instid0(VALU_DEP_2) | instskip(SKIP_1) | instid1(VALU_DEP_2)
	v_fma_f32 v75, 0x3fb8aa3b, v20, -v74
	v_rndne_f32_e32 v76, v74
	v_fmac_f32_e32 v75, 0x32a5705f, v20
	s_delay_alu instid0(VALU_DEP_2) | instskip(NEXT) | instid1(VALU_DEP_1)
	v_sub_f32_e32 v74, v74, v76
	v_dual_add_f32 v73, v73, v16 :: v_dual_add_f32 v74, v74, v75
	v_cvt_i32_f32_e32 v75, v76
	s_delay_alu instid0(VALU_DEP_2) | instskip(SKIP_2) | instid1(VALU_DEP_1)
	v_exp_f32_e32 v74, v74
	s_waitcnt_depctr 0xfff
	v_ldexp_f32 v74, v74, v75
	v_cndmask_b32_e64 v74, 0, v74, s64
	v_cmp_nlt_f32_e64 s64, 0x42b17218, v20
	s_delay_alu instid0(VALU_DEP_1) | instskip(NEXT) | instid1(VALU_DEP_1)
	v_cndmask_b32_e64 v20, 0x7f800000, v74, s64
	v_dual_mul_f32 v74, 0x3fb8aa3b, v21 :: v_dual_add_f32 v73, v73, v20
	s_delay_alu instid0(VALU_DEP_1) | instskip(SKIP_1) | instid1(VALU_DEP_1)
	v_fma_f32 v75, 0x3fb8aa3b, v21, -v74
	v_rndne_f32_e32 v76, v74
	v_dual_fmac_f32 v75, 0x32a5705f, v21 :: v_dual_sub_f32 v74, v74, v76
	s_delay_alu instid0(VALU_DEP_1) | instskip(SKIP_2) | instid1(VALU_DEP_3)
	v_add_f32_e32 v74, v74, v75
	v_cvt_i32_f32_e32 v75, v76
	v_cmp_ngt_f32_e64 s64, 0xc2ce8ed0, v21
	v_exp_f32_e32 v74, v74
	s_waitcnt_depctr 0xfff
	v_ldexp_f32 v74, v74, v75
	s_delay_alu instid0(VALU_DEP_1) | instskip(SKIP_1) | instid1(VALU_DEP_1)
	v_cndmask_b32_e64 v74, 0, v74, s64
	v_cmp_nlt_f32_e64 s64, 0x42b17218, v21
	v_cndmask_b32_e64 v21, 0x7f800000, v74, s64
	v_mul_f32_e32 v74, 0x3fb8aa3b, v22
	v_cmp_ngt_f32_e64 s64, 0xc2ce8ed0, v22
	s_delay_alu instid0(VALU_DEP_3) | instskip(NEXT) | instid1(VALU_DEP_3)
	v_add_f32_e32 v73, v73, v21
	v_fma_f32 v75, 0x3fb8aa3b, v22, -v74
	v_rndne_f32_e32 v76, v74
	s_delay_alu instid0(VALU_DEP_1) | instskip(NEXT) | instid1(VALU_DEP_1)
	v_dual_fmac_f32 v75, 0x32a5705f, v22 :: v_dual_sub_f32 v74, v74, v76
	v_add_f32_e32 v74, v74, v75
	v_cvt_i32_f32_e32 v75, v76
	s_delay_alu instid0(VALU_DEP_2) | instskip(SKIP_2) | instid1(VALU_DEP_1)
	v_exp_f32_e32 v74, v74
	s_waitcnt_depctr 0xfff
	v_ldexp_f32 v74, v74, v75
	v_cndmask_b32_e64 v74, 0, v74, s64
	v_cmp_nlt_f32_e64 s64, 0x42b17218, v22
	s_delay_alu instid0(VALU_DEP_1) | instskip(NEXT) | instid1(VALU_DEP_1)
	v_cndmask_b32_e64 v22, 0x7f800000, v74, s64
	v_dual_mul_f32 v74, 0x3fb8aa3b, v23 :: v_dual_add_f32 v73, v73, v22
	s_delay_alu instid0(VALU_DEP_1) | instskip(SKIP_1) | instid1(VALU_DEP_1)
	v_fma_f32 v75, 0x3fb8aa3b, v23, -v74
	v_rndne_f32_e32 v76, v74
	v_dual_fmac_f32 v75, 0x32a5705f, v23 :: v_dual_sub_f32 v74, v74, v76
	s_delay_alu instid0(VALU_DEP_1) | instskip(SKIP_2) | instid1(VALU_DEP_3)
	v_add_f32_e32 v74, v74, v75
	v_cvt_i32_f32_e32 v75, v76
	v_cmp_ngt_f32_e64 s64, 0xc2ce8ed0, v23
	v_exp_f32_e32 v74, v74
	s_waitcnt_depctr 0xfff
	v_ldexp_f32 v74, v74, v75
	s_delay_alu instid0(VALU_DEP_1) | instskip(SKIP_1) | instid1(VALU_DEP_1)
	v_cndmask_b32_e64 v74, 0, v74, s64
	v_cmp_nlt_f32_e64 s64, 0x42b17218, v23
	v_cndmask_b32_e64 v23, 0x7f800000, v74, s64
	v_mul_f32_e32 v74, 0x3fb8aa3b, v24
	v_cmp_ngt_f32_e64 s64, 0xc2ce8ed0, v24
	s_delay_alu instid0(VALU_DEP_3) | instskip(NEXT) | instid1(VALU_DEP_3)
	v_add_f32_e32 v73, v73, v23
	v_fma_f32 v75, 0x3fb8aa3b, v24, -v74
	v_rndne_f32_e32 v76, v74
	s_delay_alu instid0(VALU_DEP_2) | instskip(NEXT) | instid1(VALU_DEP_2)
	v_fmac_f32_e32 v75, 0x32a5705f, v24
	v_sub_f32_e32 v74, v74, v76
	s_delay_alu instid0(VALU_DEP_1) | instskip(SKIP_1) | instid1(VALU_DEP_2)
	v_add_f32_e32 v74, v74, v75
	v_cvt_i32_f32_e32 v75, v76
	v_exp_f32_e32 v74, v74
	s_waitcnt_depctr 0xfff
	v_ldexp_f32 v74, v74, v75
	s_delay_alu instid0(VALU_DEP_1) | instskip(SKIP_1) | instid1(VALU_DEP_1)
	v_cndmask_b32_e64 v74, 0, v74, s64
	v_cmp_nlt_f32_e64 s64, 0x42b17218, v24
	v_cndmask_b32_e64 v24, 0x7f800000, v74, s64
	s_delay_alu instid0(VALU_DEP_1) | instskip(NEXT) | instid1(VALU_DEP_1)
	v_dual_mul_f32 v74, 0x3fb8aa3b, v27 :: v_dual_add_f32 v73, v73, v24
	v_fma_f32 v75, 0x3fb8aa3b, v27, -v74
	v_rndne_f32_e32 v76, v74
	s_delay_alu instid0(VALU_DEP_1) | instskip(NEXT) | instid1(VALU_DEP_1)
	v_dual_fmac_f32 v75, 0x32a5705f, v27 :: v_dual_sub_f32 v74, v74, v76
	v_add_f32_e32 v74, v74, v75
	v_cvt_i32_f32_e32 v75, v76
	v_cmp_ngt_f32_e64 s64, 0xc2ce8ed0, v27
	s_delay_alu instid0(VALU_DEP_3) | instskip(SKIP_2) | instid1(VALU_DEP_1)
	v_exp_f32_e32 v74, v74
	s_waitcnt_depctr 0xfff
	v_ldexp_f32 v74, v74, v75
	v_cndmask_b32_e64 v74, 0, v74, s64
	v_cmp_nlt_f32_e64 s64, 0x42b17218, v27
	s_delay_alu instid0(VALU_DEP_1) | instskip(SKIP_1) | instid1(VALU_DEP_2)
	v_cndmask_b32_e64 v27, 0x7f800000, v74, s64
	v_mul_f32_e32 v74, 0x3fb8aa3b, v31
	v_add_f32_e32 v73, v73, v27
	s_delay_alu instid0(VALU_DEP_2) | instskip(SKIP_1) | instid1(VALU_DEP_1)
	v_fma_f32 v75, 0x3fb8aa3b, v31, -v74
	v_rndne_f32_e32 v76, v74
	v_dual_fmac_f32 v75, 0x32a5705f, v31 :: v_dual_sub_f32 v74, v74, v76
	s_delay_alu instid0(VALU_DEP_1) | instskip(SKIP_2) | instid1(VALU_DEP_3)
	v_add_f32_e32 v74, v74, v75
	v_cvt_i32_f32_e32 v75, v76
	v_cmp_ngt_f32_e64 s64, 0xc2ce8ed0, v31
	v_exp_f32_e32 v74, v74
	s_waitcnt_depctr 0xfff
	v_ldexp_f32 v74, v74, v75
	s_delay_alu instid0(VALU_DEP_1) | instskip(SKIP_1) | instid1(VALU_DEP_1)
	v_cndmask_b32_e64 v74, 0, v74, s64
	v_cmp_nlt_f32_e64 s64, 0x42b17218, v31
	v_cndmask_b32_e64 v31, 0x7f800000, v74, s64
	v_mul_f32_e32 v74, 0x3fb8aa3b, v32
	v_cmp_ngt_f32_e64 s64, 0xc2ce8ed0, v32
	s_delay_alu instid0(VALU_DEP_3) | instskip(NEXT) | instid1(VALU_DEP_3)
	v_add_f32_e32 v73, v73, v31
	v_fma_f32 v75, 0x3fb8aa3b, v32, -v74
	v_rndne_f32_e32 v76, v74
	s_delay_alu instid0(VALU_DEP_2) | instskip(NEXT) | instid1(VALU_DEP_2)
	v_fmac_f32_e32 v75, 0x32a5705f, v32
	v_sub_f32_e32 v74, v74, v76
	s_delay_alu instid0(VALU_DEP_1) | instskip(SKIP_1) | instid1(VALU_DEP_2)
	v_add_f32_e32 v74, v74, v75
	v_cvt_i32_f32_e32 v75, v76
	v_exp_f32_e32 v74, v74
	s_waitcnt_depctr 0xfff
	v_ldexp_f32 v74, v74, v75
	s_delay_alu instid0(VALU_DEP_1) | instskip(SKIP_1) | instid1(VALU_DEP_1)
	v_cndmask_b32_e64 v74, 0, v74, s64
	v_cmp_nlt_f32_e64 s64, 0x42b17218, v32
	v_cndmask_b32_e64 v32, 0x7f800000, v74, s64
	s_delay_alu instid0(VALU_DEP_1) | instskip(NEXT) | instid1(VALU_DEP_1)
	v_dual_mul_f32 v74, 0x3fb8aa3b, v33 :: v_dual_add_f32 v73, v73, v32
	v_fma_f32 v75, 0x3fb8aa3b, v33, -v74
	v_rndne_f32_e32 v76, v74
	s_delay_alu instid0(VALU_DEP_1) | instskip(NEXT) | instid1(VALU_DEP_1)
	v_dual_fmac_f32 v75, 0x32a5705f, v33 :: v_dual_sub_f32 v74, v74, v76
	v_add_f32_e32 v74, v74, v75
	v_cvt_i32_f32_e32 v75, v76
	v_cmp_ngt_f32_e64 s64, 0xc2ce8ed0, v33
	s_delay_alu instid0(VALU_DEP_3) | instskip(SKIP_2) | instid1(VALU_DEP_1)
	v_exp_f32_e32 v74, v74
	s_waitcnt_depctr 0xfff
	v_ldexp_f32 v74, v74, v75
	v_cndmask_b32_e64 v74, 0, v74, s64
	v_cmp_nlt_f32_e64 s64, 0x42b17218, v33
	s_delay_alu instid0(VALU_DEP_1) | instskip(NEXT) | instid1(VALU_DEP_1)
	v_cndmask_b32_e64 v33, 0x7f800000, v74, s64
	v_dual_mul_f32 v74, 0x3fb8aa3b, v35 :: v_dual_add_f32 v73, v73, v33
	s_delay_alu instid0(VALU_DEP_1) | instskip(SKIP_1) | instid1(VALU_DEP_1)
	v_fma_f32 v75, 0x3fb8aa3b, v35, -v74
	v_rndne_f32_e32 v76, v74
	v_dual_fmac_f32 v75, 0x32a5705f, v35 :: v_dual_sub_f32 v74, v74, v76
	s_delay_alu instid0(VALU_DEP_1) | instskip(SKIP_2) | instid1(VALU_DEP_3)
	v_add_f32_e32 v74, v74, v75
	v_cvt_i32_f32_e32 v75, v76
	v_cmp_ngt_f32_e64 s64, 0xc2ce8ed0, v35
	v_exp_f32_e32 v74, v74
	s_waitcnt_depctr 0xfff
	v_ldexp_f32 v74, v74, v75
	s_delay_alu instid0(VALU_DEP_1) | instskip(SKIP_1) | instid1(VALU_DEP_1)
	v_cndmask_b32_e64 v74, 0, v74, s64
	v_cmp_nlt_f32_e64 s64, 0x42b17218, v35
	v_cndmask_b32_e64 v35, 0x7f800000, v74, s64
	s_delay_alu instid0(VALU_DEP_1) | instskip(NEXT) | instid1(VALU_DEP_1)
	v_dual_mul_f32 v74, 0x3fb8aa3b, v37 :: v_dual_add_f32 v73, v73, v35
	v_fma_f32 v75, 0x3fb8aa3b, v37, -v74
	v_rndne_f32_e32 v76, v74
	s_delay_alu instid0(VALU_DEP_1) | instskip(NEXT) | instid1(VALU_DEP_1)
	v_dual_fmac_f32 v75, 0x32a5705f, v37 :: v_dual_sub_f32 v74, v74, v76
	v_add_f32_e32 v74, v74, v75
	v_cvt_i32_f32_e32 v75, v76
	v_cmp_ngt_f32_e64 s64, 0xc2ce8ed0, v37
	s_delay_alu instid0(VALU_DEP_3) | instskip(SKIP_2) | instid1(VALU_DEP_1)
	v_exp_f32_e32 v74, v74
	s_waitcnt_depctr 0xfff
	v_ldexp_f32 v74, v74, v75
	v_cndmask_b32_e64 v74, 0, v74, s64
	v_cmp_nlt_f32_e64 s64, 0x42b17218, v37
	s_delay_alu instid0(VALU_DEP_1) | instskip(SKIP_2) | instid1(VALU_DEP_3)
	v_cndmask_b32_e64 v37, 0x7f800000, v74, s64
	v_mul_f32_e32 v74, 0x3fb8aa3b, v38
	v_cmp_ngt_f32_e64 s64, 0xc2ce8ed0, v38
	v_add_f32_e32 v73, v73, v37
	s_delay_alu instid0(VALU_DEP_3) | instskip(SKIP_1) | instid1(VALU_DEP_1)
	v_fma_f32 v75, 0x3fb8aa3b, v38, -v74
	v_rndne_f32_e32 v76, v74
	v_dual_fmac_f32 v75, 0x32a5705f, v38 :: v_dual_sub_f32 v74, v74, v76
	s_delay_alu instid0(VALU_DEP_1) | instskip(SKIP_1) | instid1(VALU_DEP_2)
	v_add_f32_e32 v74, v74, v75
	v_cvt_i32_f32_e32 v75, v76
	v_exp_f32_e32 v74, v74
	s_waitcnt_depctr 0xfff
	v_ldexp_f32 v74, v74, v75
	s_delay_alu instid0(VALU_DEP_1) | instskip(SKIP_1) | instid1(VALU_DEP_1)
	v_cndmask_b32_e64 v74, 0, v74, s64
	v_cmp_nlt_f32_e64 s64, 0x42b17218, v38
	v_cndmask_b32_e64 v38, 0x7f800000, v74, s64
	s_delay_alu instid0(VALU_DEP_1) | instskip(NEXT) | instid1(VALU_DEP_1)
	v_dual_mul_f32 v74, 0x3fb8aa3b, v39 :: v_dual_add_f32 v73, v73, v38
	v_fma_f32 v75, 0x3fb8aa3b, v39, -v74
	v_rndne_f32_e32 v76, v74
	s_delay_alu instid0(VALU_DEP_1) | instskip(NEXT) | instid1(VALU_DEP_1)
	v_dual_fmac_f32 v75, 0x32a5705f, v39 :: v_dual_sub_f32 v74, v74, v76
	v_add_f32_e32 v74, v74, v75
	v_cvt_i32_f32_e32 v75, v76
	v_cmp_ngt_f32_e64 s64, 0xc2ce8ed0, v39
	s_delay_alu instid0(VALU_DEP_3) | instskip(SKIP_2) | instid1(VALU_DEP_1)
	v_exp_f32_e32 v74, v74
	s_waitcnt_depctr 0xfff
	v_ldexp_f32 v74, v74, v75
	v_cndmask_b32_e64 v74, 0, v74, s64
	v_cmp_nlt_f32_e64 s64, 0x42b17218, v39
	s_delay_alu instid0(VALU_DEP_1) | instskip(SKIP_2) | instid1(VALU_DEP_3)
	v_cndmask_b32_e64 v39, 0x7f800000, v74, s64
	v_mul_f32_e32 v74, 0x3fb8aa3b, v40
	v_cmp_ngt_f32_e64 s64, 0xc2ce8ed0, v40
	v_add_f32_e32 v73, v73, v39
	s_delay_alu instid0(VALU_DEP_3) | instskip(SKIP_1) | instid1(VALU_DEP_2)
	v_fma_f32 v75, 0x3fb8aa3b, v40, -v74
	v_rndne_f32_e32 v76, v74
	v_fmac_f32_e32 v75, 0x32a5705f, v40
	s_delay_alu instid0(VALU_DEP_2) | instskip(NEXT) | instid1(VALU_DEP_1)
	v_sub_f32_e32 v74, v74, v76
	v_add_f32_e32 v74, v74, v75
	v_cvt_i32_f32_e32 v75, v76
	s_delay_alu instid0(VALU_DEP_2) | instskip(SKIP_2) | instid1(VALU_DEP_1)
	v_exp_f32_e32 v74, v74
	s_waitcnt_depctr 0xfff
	v_ldexp_f32 v74, v74, v75
	v_cndmask_b32_e64 v74, 0, v74, s64
	v_cmp_nlt_f32_e64 s64, 0x42b17218, v40
	s_delay_alu instid0(VALU_DEP_1) | instskip(SKIP_2) | instid1(VALU_DEP_3)
	v_cndmask_b32_e64 v40, 0x7f800000, v74, s64
	v_mul_f32_e32 v74, 0x3fb8aa3b, v41
	v_cmp_ngt_f32_e64 s64, 0xc2ce8ed0, v41
	v_add_f32_e32 v73, v73, v40
	s_delay_alu instid0(VALU_DEP_3) | instskip(SKIP_1) | instid1(VALU_DEP_1)
	v_fma_f32 v75, 0x3fb8aa3b, v41, -v74
	v_rndne_f32_e32 v76, v74
	v_dual_fmac_f32 v75, 0x32a5705f, v41 :: v_dual_sub_f32 v74, v74, v76
	s_delay_alu instid0(VALU_DEP_1) | instskip(SKIP_1) | instid1(VALU_DEP_2)
	v_add_f32_e32 v74, v74, v75
	v_cvt_i32_f32_e32 v75, v76
	v_exp_f32_e32 v74, v74
	s_waitcnt_depctr 0xfff
	v_ldexp_f32 v74, v74, v75
	s_delay_alu instid0(VALU_DEP_1) | instskip(SKIP_1) | instid1(VALU_DEP_1)
	v_cndmask_b32_e64 v74, 0, v74, s64
	v_cmp_nlt_f32_e64 s64, 0x42b17218, v41
	v_cndmask_b32_e64 v41, 0x7f800000, v74, s64
	v_mul_f32_e32 v74, 0x3fb8aa3b, v42
	v_cmp_ngt_f32_e64 s64, 0xc2ce8ed0, v42
	s_delay_alu instid0(VALU_DEP_3) | instskip(NEXT) | instid1(VALU_DEP_3)
	v_add_f32_e32 v73, v73, v41
	v_fma_f32 v75, 0x3fb8aa3b, v42, -v74
	v_rndne_f32_e32 v76, v74
	s_delay_alu instid0(VALU_DEP_1) | instskip(NEXT) | instid1(VALU_DEP_1)
	v_dual_fmac_f32 v75, 0x32a5705f, v42 :: v_dual_sub_f32 v74, v74, v76
	v_add_f32_e32 v74, v74, v75
	v_cvt_i32_f32_e32 v75, v76
	s_delay_alu instid0(VALU_DEP_2) | instskip(SKIP_2) | instid1(VALU_DEP_1)
	v_exp_f32_e32 v74, v74
	s_waitcnt_depctr 0xfff
	v_ldexp_f32 v74, v74, v75
	v_cndmask_b32_e64 v74, 0, v74, s64
	v_cmp_nlt_f32_e64 s64, 0x42b17218, v42
	s_delay_alu instid0(VALU_DEP_1) | instskip(SKIP_2) | instid1(VALU_DEP_3)
	v_cndmask_b32_e64 v42, 0x7f800000, v74, s64
	v_mul_f32_e32 v74, 0x3fb8aa3b, v43
	v_cmp_ngt_f32_e64 s64, 0xc2ce8ed0, v43
	v_add_f32_e32 v73, v73, v42
	s_delay_alu instid0(VALU_DEP_3) | instskip(SKIP_1) | instid1(VALU_DEP_1)
	v_fma_f32 v75, 0x3fb8aa3b, v43, -v74
	v_rndne_f32_e32 v76, v74
	v_dual_fmac_f32 v75, 0x32a5705f, v43 :: v_dual_sub_f32 v74, v74, v76
	s_delay_alu instid0(VALU_DEP_1) | instskip(SKIP_1) | instid1(VALU_DEP_2)
	v_add_f32_e32 v74, v74, v75
	v_cvt_i32_f32_e32 v75, v76
	v_exp_f32_e32 v74, v74
	s_waitcnt_depctr 0xfff
	v_ldexp_f32 v74, v74, v75
	s_delay_alu instid0(VALU_DEP_1) | instskip(SKIP_1) | instid1(VALU_DEP_1)
	v_cndmask_b32_e64 v74, 0, v74, s64
	v_cmp_nlt_f32_e64 s64, 0x42b17218, v43
	v_cndmask_b32_e64 v43, 0x7f800000, v74, s64
	v_mul_f32_e32 v74, 0x3fb8aa3b, v44
	v_cmp_ngt_f32_e64 s64, 0xc2ce8ed0, v44
	s_delay_alu instid0(VALU_DEP_3) | instskip(NEXT) | instid1(VALU_DEP_3)
	v_add_f32_e32 v73, v73, v43
	v_fma_f32 v75, 0x3fb8aa3b, v44, -v74
	v_rndne_f32_e32 v76, v74
	s_delay_alu instid0(VALU_DEP_2) | instskip(NEXT) | instid1(VALU_DEP_2)
	v_fmac_f32_e32 v75, 0x32a5705f, v44
	v_sub_f32_e32 v74, v74, v76
	s_delay_alu instid0(VALU_DEP_1) | instskip(SKIP_1) | instid1(VALU_DEP_2)
	v_add_f32_e32 v74, v74, v75
	v_cvt_i32_f32_e32 v75, v76
	v_exp_f32_e32 v74, v74
	s_waitcnt_depctr 0xfff
	v_ldexp_f32 v74, v74, v75
	s_delay_alu instid0(VALU_DEP_1) | instskip(SKIP_1) | instid1(VALU_DEP_1)
	v_cndmask_b32_e64 v74, 0, v74, s64
	v_cmp_nlt_f32_e64 s64, 0x42b17218, v44
	v_cndmask_b32_e64 v44, 0x7f800000, v74, s64
	s_delay_alu instid0(VALU_DEP_1) | instskip(NEXT) | instid1(VALU_DEP_1)
	v_dual_mul_f32 v74, 0x3fb8aa3b, v45 :: v_dual_add_f32 v73, v73, v44
	v_fma_f32 v75, 0x3fb8aa3b, v45, -v74
	v_rndne_f32_e32 v76, v74
	s_delay_alu instid0(VALU_DEP_1) | instskip(NEXT) | instid1(VALU_DEP_1)
	v_dual_fmac_f32 v75, 0x32a5705f, v45 :: v_dual_sub_f32 v74, v74, v76
	v_add_f32_e32 v74, v74, v75
	v_cvt_i32_f32_e32 v75, v76
	v_cmp_ngt_f32_e64 s64, 0xc2ce8ed0, v45
	s_delay_alu instid0(VALU_DEP_3) | instskip(SKIP_2) | instid1(VALU_DEP_1)
	v_exp_f32_e32 v74, v74
	s_waitcnt_depctr 0xfff
	v_ldexp_f32 v74, v74, v75
	v_cndmask_b32_e64 v74, 0, v74, s64
	v_cmp_nlt_f32_e64 s64, 0x42b17218, v45
	s_delay_alu instid0(VALU_DEP_1) | instskip(SKIP_2) | instid1(VALU_DEP_3)
	v_cndmask_b32_e64 v45, 0x7f800000, v74, s64
	v_mul_f32_e32 v74, 0x3fb8aa3b, v46
	v_cmp_ngt_f32_e64 s64, 0xc2ce8ed0, v46
	v_add_f32_e32 v73, v73, v45
	s_delay_alu instid0(VALU_DEP_3) | instskip(SKIP_1) | instid1(VALU_DEP_1)
	v_fma_f32 v75, 0x3fb8aa3b, v46, -v74
	v_rndne_f32_e32 v76, v74
	v_dual_fmac_f32 v75, 0x32a5705f, v46 :: v_dual_sub_f32 v74, v74, v76
	s_delay_alu instid0(VALU_DEP_1) | instskip(SKIP_1) | instid1(VALU_DEP_2)
	v_add_f32_e32 v74, v74, v75
	v_cvt_i32_f32_e32 v75, v76
	v_exp_f32_e32 v74, v74
	s_waitcnt_depctr 0xfff
	v_ldexp_f32 v74, v74, v75
	s_delay_alu instid0(VALU_DEP_1) | instskip(SKIP_1) | instid1(VALU_DEP_1)
	v_cndmask_b32_e64 v74, 0, v74, s64
	v_cmp_nlt_f32_e64 s64, 0x42b17218, v46
	v_cndmask_b32_e64 v46, 0x7f800000, v74, s64
	s_delay_alu instid0(VALU_DEP_1) | instskip(NEXT) | instid1(VALU_DEP_1)
	v_dual_mul_f32 v74, 0x3fb8aa3b, v47 :: v_dual_add_f32 v73, v73, v46
	v_fma_f32 v75, 0x3fb8aa3b, v47, -v74
	v_rndne_f32_e32 v76, v74
	s_delay_alu instid0(VALU_DEP_1) | instskip(NEXT) | instid1(VALU_DEP_1)
	v_dual_fmac_f32 v75, 0x32a5705f, v47 :: v_dual_sub_f32 v74, v74, v76
	v_add_f32_e32 v74, v74, v75
	v_cvt_i32_f32_e32 v75, v76
	v_cmp_ngt_f32_e64 s64, 0xc2ce8ed0, v47
	s_delay_alu instid0(VALU_DEP_3) | instskip(SKIP_2) | instid1(VALU_DEP_1)
	v_exp_f32_e32 v74, v74
	s_waitcnt_depctr 0xfff
	v_ldexp_f32 v74, v74, v75
	v_cndmask_b32_e64 v74, 0, v74, s64
	v_cmp_nlt_f32_e64 s64, 0x42b17218, v47
	s_delay_alu instid0(VALU_DEP_1) | instskip(SKIP_2) | instid1(VALU_DEP_3)
	v_cndmask_b32_e64 v47, 0x7f800000, v74, s64
	v_mul_f32_e32 v74, 0x3fb8aa3b, v48
	v_cmp_ngt_f32_e64 s64, 0xc2ce8ed0, v48
	v_add_f32_e32 v73, v73, v47
	s_delay_alu instid0(VALU_DEP_3) | instskip(SKIP_1) | instid1(VALU_DEP_2)
	v_fma_f32 v75, 0x3fb8aa3b, v48, -v74
	v_rndne_f32_e32 v76, v74
	v_fmac_f32_e32 v75, 0x32a5705f, v48
	s_delay_alu instid0(VALU_DEP_2) | instskip(NEXT) | instid1(VALU_DEP_1)
	v_sub_f32_e32 v74, v74, v76
	v_add_f32_e32 v74, v74, v75
	v_cvt_i32_f32_e32 v75, v76
	s_delay_alu instid0(VALU_DEP_2) | instskip(SKIP_2) | instid1(VALU_DEP_1)
	v_exp_f32_e32 v74, v74
	s_waitcnt_depctr 0xfff
	v_ldexp_f32 v74, v74, v75
	v_cndmask_b32_e64 v74, 0, v74, s64
	v_cmp_nlt_f32_e64 s64, 0x42b17218, v48
	s_delay_alu instid0(VALU_DEP_1) | instskip(NEXT) | instid1(VALU_DEP_1)
	v_cndmask_b32_e64 v48, 0x7f800000, v74, s64
	v_dual_mul_f32 v74, 0x3fb8aa3b, v49 :: v_dual_add_f32 v73, v73, v48
	s_delay_alu instid0(VALU_DEP_1) | instskip(SKIP_1) | instid1(VALU_DEP_1)
	v_fma_f32 v75, 0x3fb8aa3b, v49, -v74
	v_rndne_f32_e32 v76, v74
	v_dual_fmac_f32 v75, 0x32a5705f, v49 :: v_dual_sub_f32 v74, v74, v76
	s_delay_alu instid0(VALU_DEP_1) | instskip(SKIP_2) | instid1(VALU_DEP_3)
	v_add_f32_e32 v74, v74, v75
	v_cvt_i32_f32_e32 v75, v76
	v_cmp_ngt_f32_e64 s64, 0xc2ce8ed0, v49
	v_exp_f32_e32 v74, v74
	s_waitcnt_depctr 0xfff
	v_ldexp_f32 v74, v74, v75
	s_delay_alu instid0(VALU_DEP_1) | instskip(SKIP_1) | instid1(VALU_DEP_1)
	v_cndmask_b32_e64 v74, 0, v74, s64
	v_cmp_nlt_f32_e64 s64, 0x42b17218, v49
	v_cndmask_b32_e64 v49, 0x7f800000, v74, s64
	v_mul_f32_e32 v74, 0x3fb8aa3b, v50
	v_cmp_ngt_f32_e64 s64, 0xc2ce8ed0, v50
	s_delay_alu instid0(VALU_DEP_3) | instskip(NEXT) | instid1(VALU_DEP_3)
	v_add_f32_e32 v73, v73, v49
	v_fma_f32 v75, 0x3fb8aa3b, v50, -v74
	v_rndne_f32_e32 v76, v74
	s_delay_alu instid0(VALU_DEP_1) | instskip(NEXT) | instid1(VALU_DEP_1)
	v_dual_fmac_f32 v75, 0x32a5705f, v50 :: v_dual_sub_f32 v74, v74, v76
	v_add_f32_e32 v74, v74, v75
	v_cvt_i32_f32_e32 v75, v76
	s_delay_alu instid0(VALU_DEP_2) | instskip(SKIP_2) | instid1(VALU_DEP_1)
	v_exp_f32_e32 v74, v74
	s_waitcnt_depctr 0xfff
	v_ldexp_f32 v74, v74, v75
	v_cndmask_b32_e64 v74, 0, v74, s64
	v_cmp_nlt_f32_e64 s64, 0x42b17218, v50
	s_delay_alu instid0(VALU_DEP_1) | instskip(NEXT) | instid1(VALU_DEP_1)
	v_cndmask_b32_e64 v50, 0x7f800000, v74, s64
	v_dual_mul_f32 v74, 0x3fb8aa3b, v51 :: v_dual_add_f32 v73, v73, v50
	s_delay_alu instid0(VALU_DEP_1) | instskip(SKIP_1) | instid1(VALU_DEP_1)
	v_fma_f32 v75, 0x3fb8aa3b, v51, -v74
	v_rndne_f32_e32 v76, v74
	v_dual_fmac_f32 v75, 0x32a5705f, v51 :: v_dual_sub_f32 v74, v74, v76
	s_delay_alu instid0(VALU_DEP_1) | instskip(SKIP_2) | instid1(VALU_DEP_3)
	v_add_f32_e32 v74, v74, v75
	v_cvt_i32_f32_e32 v75, v76
	v_cmp_ngt_f32_e64 s64, 0xc2ce8ed0, v51
	v_exp_f32_e32 v74, v74
	s_waitcnt_depctr 0xfff
	v_ldexp_f32 v74, v74, v75
	s_delay_alu instid0(VALU_DEP_1) | instskip(SKIP_1) | instid1(VALU_DEP_1)
	v_cndmask_b32_e64 v74, 0, v74, s64
	v_cmp_nlt_f32_e64 s64, 0x42b17218, v51
	v_cndmask_b32_e64 v51, 0x7f800000, v74, s64
	v_mul_f32_e32 v74, 0x3fb8aa3b, v52
	v_cmp_ngt_f32_e64 s64, 0xc2ce8ed0, v52
	s_delay_alu instid0(VALU_DEP_3) | instskip(NEXT) | instid1(VALU_DEP_3)
	v_add_f32_e32 v73, v73, v51
	v_fma_f32 v75, 0x3fb8aa3b, v52, -v74
	v_rndne_f32_e32 v76, v74
	s_delay_alu instid0(VALU_DEP_2) | instskip(NEXT) | instid1(VALU_DEP_2)
	v_fmac_f32_e32 v75, 0x32a5705f, v52
	v_sub_f32_e32 v74, v74, v76
	s_delay_alu instid0(VALU_DEP_1) | instskip(SKIP_1) | instid1(VALU_DEP_2)
	v_add_f32_e32 v74, v74, v75
	v_cvt_i32_f32_e32 v75, v76
	v_exp_f32_e32 v74, v74
	s_waitcnt_depctr 0xfff
	v_ldexp_f32 v74, v74, v75
	s_delay_alu instid0(VALU_DEP_1) | instskip(SKIP_1) | instid1(VALU_DEP_1)
	v_cndmask_b32_e64 v74, 0, v74, s64
	v_cmp_nlt_f32_e64 s64, 0x42b17218, v52
	v_cndmask_b32_e64 v52, 0x7f800000, v74, s64
	s_delay_alu instid0(VALU_DEP_1) | instskip(NEXT) | instid1(VALU_DEP_1)
	v_dual_mul_f32 v74, 0x3fb8aa3b, v59 :: v_dual_add_f32 v73, v73, v52
	v_fma_f32 v75, 0x3fb8aa3b, v59, -v74
	v_rndne_f32_e32 v76, v74
	s_delay_alu instid0(VALU_DEP_1) | instskip(NEXT) | instid1(VALU_DEP_1)
	v_dual_fmac_f32 v75, 0x32a5705f, v59 :: v_dual_sub_f32 v74, v74, v76
	v_add_f32_e32 v74, v74, v75
	v_cvt_i32_f32_e32 v75, v76
	v_cmp_ngt_f32_e64 s64, 0xc2ce8ed0, v59
	s_delay_alu instid0(VALU_DEP_3) | instskip(SKIP_2) | instid1(VALU_DEP_1)
	v_exp_f32_e32 v74, v74
	s_waitcnt_depctr 0xfff
	v_ldexp_f32 v74, v74, v75
	v_cndmask_b32_e64 v74, 0, v74, s64
	v_cmp_nlt_f32_e64 s64, 0x42b17218, v59
	s_delay_alu instid0(VALU_DEP_1) | instskip(SKIP_2) | instid1(VALU_DEP_3)
	v_cndmask_b32_e64 v59, 0x7f800000, v74, s64
	v_mul_f32_e32 v74, 0x3fb8aa3b, v60
	v_cmp_ngt_f32_e64 s64, 0xc2ce8ed0, v60
	v_add_f32_e32 v73, v73, v59
	s_delay_alu instid0(VALU_DEP_3) | instskip(SKIP_1) | instid1(VALU_DEP_2)
	v_fma_f32 v75, 0x3fb8aa3b, v60, -v74
	v_rndne_f32_e32 v76, v74
	v_fmac_f32_e32 v75, 0x32a5705f, v60
	s_delay_alu instid0(VALU_DEP_2) | instskip(NEXT) | instid1(VALU_DEP_1)
	v_sub_f32_e32 v74, v74, v76
	v_add_f32_e32 v74, v74, v75
	v_cvt_i32_f32_e32 v75, v76
	s_delay_alu instid0(VALU_DEP_2) | instskip(SKIP_2) | instid1(VALU_DEP_1)
	v_exp_f32_e32 v74, v74
	s_waitcnt_depctr 0xfff
	v_ldexp_f32 v74, v74, v75
	v_cndmask_b32_e64 v74, 0, v74, s64
	v_cmp_nlt_f32_e64 s64, 0x42b17218, v60
	s_delay_alu instid0(VALU_DEP_1) | instskip(NEXT) | instid1(VALU_DEP_1)
	v_cndmask_b32_e64 v60, 0x7f800000, v74, s64
	v_dual_mul_f32 v74, 0x3fb8aa3b, v63 :: v_dual_add_f32 v73, v73, v60
	s_delay_alu instid0(VALU_DEP_1) | instskip(SKIP_1) | instid1(VALU_DEP_1)
	v_fma_f32 v75, 0x3fb8aa3b, v63, -v74
	v_rndne_f32_e32 v76, v74
	v_dual_fmac_f32 v75, 0x32a5705f, v63 :: v_dual_sub_f32 v74, v74, v76
	s_delay_alu instid0(VALU_DEP_1) | instskip(SKIP_2) | instid1(VALU_DEP_3)
	v_add_f32_e32 v74, v74, v75
	v_cvt_i32_f32_e32 v75, v76
	v_cmp_ngt_f32_e64 s64, 0xc2ce8ed0, v63
	v_exp_f32_e32 v74, v74
	s_waitcnt_depctr 0xfff
	v_ldexp_f32 v74, v74, v75
	s_delay_alu instid0(VALU_DEP_1) | instskip(SKIP_1) | instid1(VALU_DEP_1)
	v_cndmask_b32_e64 v74, 0, v74, s64
	v_cmp_nlt_f32_e64 s64, 0x42b17218, v63
	v_cndmask_b32_e64 v63, 0x7f800000, v74, s64
	v_mul_f32_e32 v74, 0x3fb8aa3b, v70
	v_cmp_ngt_f32_e64 s64, 0xc2ce8ed0, v70
	s_delay_alu instid0(VALU_DEP_3) | instskip(NEXT) | instid1(VALU_DEP_3)
	v_add_f32_e32 v73, v73, v63
	v_fma_f32 v75, 0x3fb8aa3b, v70, -v74
	v_rndne_f32_e32 v76, v74
	s_delay_alu instid0(VALU_DEP_1) | instskip(NEXT) | instid1(VALU_DEP_1)
	v_dual_fmac_f32 v75, 0x32a5705f, v70 :: v_dual_sub_f32 v74, v74, v76
	v_add_f32_e32 v74, v74, v75
	v_cvt_i32_f32_e32 v75, v76
	s_delay_alu instid0(VALU_DEP_2) | instskip(SKIP_2) | instid1(VALU_DEP_1)
	v_exp_f32_e32 v74, v74
	s_waitcnt_depctr 0xfff
	v_ldexp_f32 v74, v74, v75
	v_cndmask_b32_e64 v74, 0, v74, s64
	v_cmp_nlt_f32_e64 s64, 0x42b17218, v70
	s_delay_alu instid0(VALU_DEP_1) | instskip(NEXT) | instid1(VALU_DEP_1)
	v_cndmask_b32_e64 v70, 0x7f800000, v74, s64
	v_dual_mul_f32 v74, 0x3fb8aa3b, v71 :: v_dual_add_f32 v73, v73, v70
	s_delay_alu instid0(VALU_DEP_1) | instskip(SKIP_1) | instid1(VALU_DEP_1)
	v_fma_f32 v75, 0x3fb8aa3b, v71, -v74
	v_rndne_f32_e32 v76, v74
	v_dual_fmac_f32 v75, 0x32a5705f, v71 :: v_dual_sub_f32 v74, v74, v76
	s_delay_alu instid0(VALU_DEP_1) | instskip(SKIP_2) | instid1(VALU_DEP_3)
	v_add_f32_e32 v74, v74, v75
	v_cvt_i32_f32_e32 v75, v76
	v_cmp_ngt_f32_e64 s64, 0xc2ce8ed0, v71
	v_exp_f32_e32 v74, v74
	s_waitcnt_depctr 0xfff
	v_ldexp_f32 v74, v74, v75
	s_delay_alu instid0(VALU_DEP_1) | instskip(SKIP_1) | instid1(VALU_DEP_1)
	v_cndmask_b32_e64 v74, 0, v74, s64
	v_cmp_nlt_f32_e64 s64, 0x42b17218, v71
	v_cndmask_b32_e64 v71, 0x7f800000, v74, s64
	v_mul_f32_e32 v74, 0x3fb8aa3b, v72
	v_cmp_ngt_f32_e64 s64, 0xc2ce8ed0, v72
	s_delay_alu instid0(VALU_DEP_3) | instskip(NEXT) | instid1(VALU_DEP_3)
	v_add_f32_e32 v73, v73, v71
	v_fma_f32 v75, 0x3fb8aa3b, v72, -v74
	v_rndne_f32_e32 v76, v74
	s_delay_alu instid0(VALU_DEP_2) | instskip(NEXT) | instid1(VALU_DEP_2)
	v_fmac_f32_e32 v75, 0x32a5705f, v72
	v_sub_f32_e32 v74, v74, v76
	s_delay_alu instid0(VALU_DEP_1) | instskip(SKIP_1) | instid1(VALU_DEP_2)
	v_add_f32_e32 v74, v74, v75
	v_cvt_i32_f32_e32 v75, v76
	v_exp_f32_e32 v74, v74
	s_waitcnt_depctr 0xfff
	v_ldexp_f32 v74, v74, v75
	s_delay_alu instid0(VALU_DEP_1) | instskip(SKIP_1) | instid1(VALU_DEP_1)
	v_cndmask_b32_e64 v74, 0, v74, s64
	v_cmp_nlt_f32_e64 s64, 0x42b17218, v72
	v_cndmask_b32_e64 v72, 0x7f800000, v74, s64
	v_mul_f32_e32 v74, 0x3fb8aa3b, v68
	v_cmp_ngt_f32_e64 s64, 0xc2ce8ed0, v68
	s_delay_alu instid0(VALU_DEP_3) | instskip(NEXT) | instid1(VALU_DEP_3)
	v_add_f32_e32 v73, v73, v72
	v_fma_f32 v75, 0x3fb8aa3b, v68, -v74
	v_rndne_f32_e32 v76, v74
	s_delay_alu instid0(VALU_DEP_2) | instskip(NEXT) | instid1(VALU_DEP_2)
	v_fmac_f32_e32 v75, 0x32a5705f, v68
	v_sub_f32_e32 v74, v74, v76
	s_delay_alu instid0(VALU_DEP_1) | instskip(SKIP_1) | instid1(VALU_DEP_2)
	v_add_f32_e32 v74, v74, v75
	v_cvt_i32_f32_e32 v75, v76
	v_exp_f32_e32 v74, v74
	s_waitcnt_depctr 0xfff
	v_ldexp_f32 v74, v74, v75
	s_delay_alu instid0(VALU_DEP_1) | instskip(SKIP_1) | instid1(VALU_DEP_1)
	v_cndmask_b32_e64 v74, 0, v74, s64
	v_cmp_nlt_f32_e64 s64, 0x42b17218, v68
	v_cndmask_b32_e64 v68, 0x7f800000, v74, s64
	s_delay_alu instid0(VALU_DEP_1) | instskip(NEXT) | instid1(VALU_DEP_1)
	v_dual_mul_f32 v74, 0x3fb8aa3b, v69 :: v_dual_add_f32 v73, v73, v68
	v_fma_f32 v75, 0x3fb8aa3b, v69, -v74
	v_rndne_f32_e32 v76, v74
	s_delay_alu instid0(VALU_DEP_1) | instskip(NEXT) | instid1(VALU_DEP_1)
	v_dual_fmac_f32 v75, 0x32a5705f, v69 :: v_dual_sub_f32 v74, v74, v76
	v_add_f32_e32 v74, v74, v75
	v_cvt_i32_f32_e32 v75, v76
	v_cmp_ngt_f32_e64 s64, 0xc2ce8ed0, v69
	s_delay_alu instid0(VALU_DEP_3) | instskip(SKIP_2) | instid1(VALU_DEP_1)
	v_exp_f32_e32 v74, v74
	s_waitcnt_depctr 0xfff
	v_ldexp_f32 v74, v74, v75
	v_cndmask_b32_e64 v74, 0, v74, s64
	v_cmp_nlt_f32_e64 s64, 0x42b17218, v69
	s_delay_alu instid0(VALU_DEP_1) | instskip(NEXT) | instid1(VALU_DEP_1)
	v_cndmask_b32_e64 v69, 0x7f800000, v74, s64
	v_dual_mul_f32 v74, 0x3fb8aa3b, v67 :: v_dual_add_f32 v73, v73, v69
	s_delay_alu instid0(VALU_DEP_1) | instskip(SKIP_1) | instid1(VALU_DEP_1)
	v_fma_f32 v75, 0x3fb8aa3b, v67, -v74
	v_rndne_f32_e32 v76, v74
	v_dual_fmac_f32 v75, 0x32a5705f, v67 :: v_dual_sub_f32 v74, v74, v76
	s_delay_alu instid0(VALU_DEP_1) | instskip(SKIP_2) | instid1(VALU_DEP_3)
	v_add_f32_e32 v74, v74, v75
	v_cvt_i32_f32_e32 v75, v76
	v_cmp_ngt_f32_e64 s64, 0xc2ce8ed0, v67
	v_exp_f32_e32 v74, v74
	s_waitcnt_depctr 0xfff
	v_ldexp_f32 v74, v74, v75
	s_delay_alu instid0(VALU_DEP_1) | instskip(SKIP_1) | instid1(VALU_DEP_1)
	v_cndmask_b32_e64 v74, 0, v74, s64
	v_cmp_nlt_f32_e64 s64, 0x42b17218, v67
	v_cndmask_b32_e64 v67, 0x7f800000, v74, s64
	v_mul_f32_e32 v74, 0x3fb8aa3b, v66
	v_cmp_ngt_f32_e64 s64, 0xc2ce8ed0, v66
	s_delay_alu instid0(VALU_DEP_3) | instskip(NEXT) | instid1(VALU_DEP_3)
	v_add_f32_e32 v73, v73, v67
	v_fma_f32 v75, 0x3fb8aa3b, v66, -v74
	v_rndne_f32_e32 v76, v74
	s_delay_alu instid0(VALU_DEP_1) | instskip(NEXT) | instid1(VALU_DEP_1)
	v_dual_fmac_f32 v75, 0x32a5705f, v66 :: v_dual_sub_f32 v74, v74, v76
	v_add_f32_e32 v74, v74, v75
	v_cvt_i32_f32_e32 v75, v76
	s_delay_alu instid0(VALU_DEP_2) | instskip(SKIP_2) | instid1(VALU_DEP_1)
	v_exp_f32_e32 v74, v74
	s_waitcnt_depctr 0xfff
	v_ldexp_f32 v74, v74, v75
	v_cndmask_b32_e64 v74, 0, v74, s64
	v_cmp_nlt_f32_e64 s64, 0x42b17218, v66
	s_delay_alu instid0(VALU_DEP_1) | instskip(NEXT) | instid1(VALU_DEP_1)
	v_cndmask_b32_e64 v66, 0x7f800000, v74, s64
	v_dual_mul_f32 v74, 0x3fb8aa3b, v65 :: v_dual_add_f32 v73, v73, v66
	s_delay_alu instid0(VALU_DEP_1) | instskip(SKIP_1) | instid1(VALU_DEP_1)
	v_fma_f32 v75, 0x3fb8aa3b, v65, -v74
	v_rndne_f32_e32 v76, v74
	v_dual_fmac_f32 v75, 0x32a5705f, v65 :: v_dual_sub_f32 v74, v74, v76
	s_delay_alu instid0(VALU_DEP_1) | instskip(SKIP_2) | instid1(VALU_DEP_3)
	v_add_f32_e32 v74, v74, v75
	v_cvt_i32_f32_e32 v75, v76
	v_cmp_ngt_f32_e64 s64, 0xc2ce8ed0, v65
	v_exp_f32_e32 v74, v74
	s_waitcnt_depctr 0xfff
	v_ldexp_f32 v74, v74, v75
	s_delay_alu instid0(VALU_DEP_1) | instskip(SKIP_1) | instid1(VALU_DEP_1)
	v_cndmask_b32_e64 v74, 0, v74, s64
	v_cmp_nlt_f32_e64 s64, 0x42b17218, v65
	v_cndmask_b32_e64 v65, 0x7f800000, v74, s64
	v_mul_f32_e32 v74, 0x3fb8aa3b, v64
	v_cmp_ngt_f32_e64 s64, 0xc2ce8ed0, v64
	s_delay_alu instid0(VALU_DEP_3) | instskip(NEXT) | instid1(VALU_DEP_3)
	v_add_f32_e32 v73, v73, v65
	v_fma_f32 v75, 0x3fb8aa3b, v64, -v74
	v_rndne_f32_e32 v76, v74
	s_delay_alu instid0(VALU_DEP_2) | instskip(NEXT) | instid1(VALU_DEP_2)
	v_fmac_f32_e32 v75, 0x32a5705f, v64
	v_sub_f32_e32 v74, v74, v76
	s_delay_alu instid0(VALU_DEP_1) | instskip(SKIP_1) | instid1(VALU_DEP_2)
	v_add_f32_e32 v74, v74, v75
	v_cvt_i32_f32_e32 v75, v76
	v_exp_f32_e32 v74, v74
	s_waitcnt_depctr 0xfff
	v_ldexp_f32 v74, v74, v75
	s_delay_alu instid0(VALU_DEP_1) | instskip(SKIP_1) | instid1(VALU_DEP_1)
	v_cndmask_b32_e64 v74, 0, v74, s64
	v_cmp_nlt_f32_e64 s64, 0x42b17218, v64
	v_cndmask_b32_e64 v64, 0x7f800000, v74, s64
	s_delay_alu instid0(VALU_DEP_1) | instskip(NEXT) | instid1(VALU_DEP_1)
	v_dual_mul_f32 v74, 0x3fb8aa3b, v61 :: v_dual_add_f32 v73, v73, v64
	v_fma_f32 v75, 0x3fb8aa3b, v61, -v74
	v_rndne_f32_e32 v76, v74
	s_delay_alu instid0(VALU_DEP_1) | instskip(NEXT) | instid1(VALU_DEP_1)
	v_dual_fmac_f32 v75, 0x32a5705f, v61 :: v_dual_sub_f32 v74, v74, v76
	v_add_f32_e32 v74, v74, v75
	v_cvt_i32_f32_e32 v75, v76
	v_cmp_ngt_f32_e64 s64, 0xc2ce8ed0, v61
	s_delay_alu instid0(VALU_DEP_3) | instskip(SKIP_2) | instid1(VALU_DEP_1)
	v_exp_f32_e32 v74, v74
	s_waitcnt_depctr 0xfff
	v_ldexp_f32 v74, v74, v75
	v_cndmask_b32_e64 v74, 0, v74, s64
	v_cmp_nlt_f32_e64 s64, 0x42b17218, v61
	s_delay_alu instid0(VALU_DEP_1) | instskip(SKIP_2) | instid1(VALU_DEP_3)
	v_cndmask_b32_e64 v61, 0x7f800000, v74, s64
	v_mul_f32_e32 v74, 0x3fb8aa3b, v62
	v_cmp_ngt_f32_e64 s64, 0xc2ce8ed0, v62
	v_add_f32_e32 v73, v73, v61
	s_delay_alu instid0(VALU_DEP_3) | instskip(SKIP_1) | instid1(VALU_DEP_1)
	v_fma_f32 v75, 0x3fb8aa3b, v62, -v74
	v_rndne_f32_e32 v76, v74
	v_dual_fmac_f32 v75, 0x32a5705f, v62 :: v_dual_sub_f32 v74, v74, v76
	s_delay_alu instid0(VALU_DEP_1) | instskip(SKIP_1) | instid1(VALU_DEP_2)
	v_add_f32_e32 v74, v74, v75
	v_cvt_i32_f32_e32 v75, v76
	v_exp_f32_e32 v74, v74
	s_waitcnt_depctr 0xfff
	v_ldexp_f32 v74, v74, v75
	s_delay_alu instid0(VALU_DEP_1) | instskip(SKIP_1) | instid1(VALU_DEP_1)
	v_cndmask_b32_e64 v74, 0, v74, s64
	v_cmp_nlt_f32_e64 s64, 0x42b17218, v62
	v_cndmask_b32_e64 v62, 0x7f800000, v74, s64
	v_mul_f32_e32 v74, 0x3fb8aa3b, v58
	v_cmp_ngt_f32_e64 s64, 0xc2ce8ed0, v58
	s_delay_alu instid0(VALU_DEP_3) | instskip(NEXT) | instid1(VALU_DEP_3)
	v_add_f32_e32 v73, v73, v62
	v_fma_f32 v75, 0x3fb8aa3b, v58, -v74
	v_rndne_f32_e32 v76, v74
	s_delay_alu instid0(VALU_DEP_1) | instskip(NEXT) | instid1(VALU_DEP_1)
	v_dual_fmac_f32 v75, 0x32a5705f, v58 :: v_dual_sub_f32 v74, v74, v76
	v_add_f32_e32 v74, v74, v75
	v_cvt_i32_f32_e32 v75, v76
	s_delay_alu instid0(VALU_DEP_2) | instskip(SKIP_2) | instid1(VALU_DEP_1)
	v_exp_f32_e32 v74, v74
	s_waitcnt_depctr 0xfff
	v_ldexp_f32 v74, v74, v75
	v_cndmask_b32_e64 v74, 0, v74, s64
	v_cmp_nlt_f32_e64 s64, 0x42b17218, v58
	s_delay_alu instid0(VALU_DEP_1) | instskip(NEXT) | instid1(VALU_DEP_1)
	v_cndmask_b32_e64 v58, 0x7f800000, v74, s64
	v_dual_mul_f32 v74, 0x3fb8aa3b, v57 :: v_dual_add_f32 v73, v73, v58
	s_delay_alu instid0(VALU_DEP_1) | instskip(SKIP_1) | instid1(VALU_DEP_1)
	v_fma_f32 v75, 0x3fb8aa3b, v57, -v74
	v_rndne_f32_e32 v76, v74
	v_dual_fmac_f32 v75, 0x32a5705f, v57 :: v_dual_sub_f32 v74, v74, v76
	s_delay_alu instid0(VALU_DEP_1) | instskip(SKIP_2) | instid1(VALU_DEP_3)
	v_add_f32_e32 v74, v74, v75
	v_cvt_i32_f32_e32 v75, v76
	v_cmp_ngt_f32_e64 s64, 0xc2ce8ed0, v57
	v_exp_f32_e32 v74, v74
	s_waitcnt_depctr 0xfff
	v_ldexp_f32 v74, v74, v75
	s_delay_alu instid0(VALU_DEP_1) | instskip(SKIP_1) | instid1(VALU_DEP_1)
	v_cndmask_b32_e64 v74, 0, v74, s64
	v_cmp_nlt_f32_e64 s64, 0x42b17218, v57
	v_cndmask_b32_e64 v57, 0x7f800000, v74, s64
	v_mul_f32_e32 v74, 0x3fb8aa3b, v56
	v_cmp_ngt_f32_e64 s64, 0xc2ce8ed0, v56
	s_delay_alu instid0(VALU_DEP_3) | instskip(NEXT) | instid1(VALU_DEP_3)
	v_add_f32_e32 v73, v73, v57
	v_fma_f32 v75, 0x3fb8aa3b, v56, -v74
	v_rndne_f32_e32 v76, v74
	s_delay_alu instid0(VALU_DEP_2) | instskip(NEXT) | instid1(VALU_DEP_2)
	v_fmac_f32_e32 v75, 0x32a5705f, v56
	v_sub_f32_e32 v74, v74, v76
	s_delay_alu instid0(VALU_DEP_1) | instskip(SKIP_1) | instid1(VALU_DEP_2)
	v_add_f32_e32 v74, v74, v75
	v_cvt_i32_f32_e32 v75, v76
	v_exp_f32_e32 v74, v74
	s_waitcnt_depctr 0xfff
	v_ldexp_f32 v74, v74, v75
	s_delay_alu instid0(VALU_DEP_1) | instskip(SKIP_1) | instid1(VALU_DEP_1)
	v_cndmask_b32_e64 v74, 0, v74, s64
	v_cmp_nlt_f32_e64 s64, 0x42b17218, v56
	v_cndmask_b32_e64 v56, 0x7f800000, v74, s64
	s_delay_alu instid0(VALU_DEP_1) | instskip(NEXT) | instid1(VALU_DEP_1)
	v_dual_mul_f32 v74, 0x3fb8aa3b, v55 :: v_dual_add_f32 v73, v73, v56
	v_fma_f32 v75, 0x3fb8aa3b, v55, -v74
	v_rndne_f32_e32 v76, v74
	s_delay_alu instid0(VALU_DEP_1) | instskip(NEXT) | instid1(VALU_DEP_1)
	v_dual_fmac_f32 v75, 0x32a5705f, v55 :: v_dual_sub_f32 v74, v74, v76
	v_add_f32_e32 v74, v74, v75
	v_cvt_i32_f32_e32 v75, v76
	v_cmp_ngt_f32_e64 s64, 0xc2ce8ed0, v55
	s_delay_alu instid0(VALU_DEP_3) | instskip(SKIP_2) | instid1(VALU_DEP_1)
	v_exp_f32_e32 v74, v74
	s_waitcnt_depctr 0xfff
	v_ldexp_f32 v74, v74, v75
	v_cndmask_b32_e64 v74, 0, v74, s64
	v_cmp_nlt_f32_e64 s64, 0x42b17218, v55
	s_delay_alu instid0(VALU_DEP_1) | instskip(SKIP_2) | instid1(VALU_DEP_3)
	v_cndmask_b32_e64 v55, 0x7f800000, v74, s64
	v_mul_f32_e32 v74, 0x3fb8aa3b, v53
	v_cmp_ngt_f32_e64 s64, 0xc2ce8ed0, v53
	v_add_f32_e32 v73, v73, v55
	s_delay_alu instid0(VALU_DEP_3) | instskip(SKIP_1) | instid1(VALU_DEP_1)
	v_fma_f32 v75, 0x3fb8aa3b, v53, -v74
	v_rndne_f32_e32 v76, v74
	v_dual_fmac_f32 v75, 0x32a5705f, v53 :: v_dual_sub_f32 v74, v74, v76
	s_delay_alu instid0(VALU_DEP_1) | instskip(SKIP_1) | instid1(VALU_DEP_2)
	v_add_f32_e32 v74, v74, v75
	v_cvt_i32_f32_e32 v75, v76
	v_exp_f32_e32 v74, v74
	s_waitcnt_depctr 0xfff
	v_ldexp_f32 v74, v74, v75
	s_delay_alu instid0(VALU_DEP_1) | instskip(SKIP_1) | instid1(VALU_DEP_1)
	v_cndmask_b32_e64 v74, 0, v74, s64
	v_cmp_nlt_f32_e64 s64, 0x42b17218, v53
	v_cndmask_b32_e64 v53, 0x7f800000, v74, s64
	v_mul_f32_e32 v74, 0x3fb8aa3b, v54
	v_cmp_ngt_f32_e64 s64, 0xc2ce8ed0, v54
	s_delay_alu instid0(VALU_DEP_3) | instskip(NEXT) | instid1(VALU_DEP_3)
	v_add_f32_e32 v73, v73, v53
	v_fma_f32 v75, 0x3fb8aa3b, v54, -v74
	v_rndne_f32_e32 v76, v74
	s_delay_alu instid0(VALU_DEP_1) | instskip(NEXT) | instid1(VALU_DEP_1)
	v_dual_fmac_f32 v75, 0x32a5705f, v54 :: v_dual_sub_f32 v74, v74, v76
	v_add_f32_e32 v74, v74, v75
	v_cvt_i32_f32_e32 v75, v76
	s_delay_alu instid0(VALU_DEP_2) | instskip(SKIP_2) | instid1(VALU_DEP_1)
	v_exp_f32_e32 v74, v74
	s_waitcnt_depctr 0xfff
	v_ldexp_f32 v74, v74, v75
	v_cndmask_b32_e64 v74, 0, v74, s64
	v_cmp_nlt_f32_e64 s64, 0x42b17218, v54
	s_delay_alu instid0(VALU_DEP_1) | instskip(SKIP_2) | instid1(VALU_DEP_3)
	v_cndmask_b32_e64 v54, 0x7f800000, v74, s64
	v_mul_f32_e32 v74, 0x3fb8aa3b, v36
	v_cmp_ngt_f32_e64 s64, 0xc2ce8ed0, v36
	v_add_f32_e32 v73, v73, v54
	s_delay_alu instid0(VALU_DEP_3) | instskip(SKIP_1) | instid1(VALU_DEP_2)
	v_fma_f32 v75, 0x3fb8aa3b, v36, -v74
	v_rndne_f32_e32 v76, v74
	v_fmac_f32_e32 v75, 0x32a5705f, v36
	s_delay_alu instid0(VALU_DEP_2) | instskip(NEXT) | instid1(VALU_DEP_1)
	v_sub_f32_e32 v74, v74, v76
	v_add_f32_e32 v74, v74, v75
	v_cvt_i32_f32_e32 v75, v76
	s_delay_alu instid0(VALU_DEP_2) | instskip(SKIP_2) | instid1(VALU_DEP_1)
	v_exp_f32_e32 v74, v74
	s_waitcnt_depctr 0xfff
	v_ldexp_f32 v74, v74, v75
	v_cndmask_b32_e64 v74, 0, v74, s64
	v_cmp_nlt_f32_e64 s64, 0x42b17218, v36
	s_delay_alu instid0(VALU_DEP_1) | instskip(SKIP_2) | instid1(VALU_DEP_3)
	v_cndmask_b32_e64 v36, 0x7f800000, v74, s64
	v_mul_f32_e32 v74, 0x3fb8aa3b, v34
	v_cmp_ngt_f32_e64 s64, 0xc2ce8ed0, v34
	v_add_f32_e32 v73, v73, v36
	s_delay_alu instid0(VALU_DEP_3) | instskip(SKIP_1) | instid1(VALU_DEP_1)
	v_fma_f32 v75, 0x3fb8aa3b, v34, -v74
	v_rndne_f32_e32 v76, v74
	v_dual_fmac_f32 v75, 0x32a5705f, v34 :: v_dual_sub_f32 v74, v74, v76
	s_delay_alu instid0(VALU_DEP_1) | instskip(SKIP_1) | instid1(VALU_DEP_2)
	v_add_f32_e32 v74, v74, v75
	v_cvt_i32_f32_e32 v75, v76
	v_exp_f32_e32 v74, v74
	s_waitcnt_depctr 0xfff
	v_ldexp_f32 v74, v74, v75
	s_delay_alu instid0(VALU_DEP_1) | instskip(SKIP_1) | instid1(VALU_DEP_1)
	v_cndmask_b32_e64 v74, 0, v74, s64
	v_cmp_nlt_f32_e64 s64, 0x42b17218, v34
	v_cndmask_b32_e64 v34, 0x7f800000, v74, s64
	v_mul_f32_e32 v74, 0x3fb8aa3b, v30
	v_cmp_ngt_f32_e64 s64, 0xc2ce8ed0, v30
	s_delay_alu instid0(VALU_DEP_3) | instskip(NEXT) | instid1(VALU_DEP_3)
	v_add_f32_e32 v73, v73, v34
	v_fma_f32 v75, 0x3fb8aa3b, v30, -v74
	v_rndne_f32_e32 v76, v74
	s_delay_alu instid0(VALU_DEP_1) | instskip(NEXT) | instid1(VALU_DEP_1)
	v_dual_fmac_f32 v75, 0x32a5705f, v30 :: v_dual_sub_f32 v74, v74, v76
	v_add_f32_e32 v74, v74, v75
	v_cvt_i32_f32_e32 v75, v76
	s_delay_alu instid0(VALU_DEP_2) | instskip(SKIP_2) | instid1(VALU_DEP_1)
	v_exp_f32_e32 v74, v74
	s_waitcnt_depctr 0xfff
	v_ldexp_f32 v74, v74, v75
	v_cndmask_b32_e64 v74, 0, v74, s64
	v_cmp_nlt_f32_e64 s64, 0x42b17218, v30
	s_delay_alu instid0(VALU_DEP_1) | instskip(SKIP_2) | instid1(VALU_DEP_3)
	v_cndmask_b32_e64 v30, 0x7f800000, v74, s64
	v_mul_f32_e32 v74, 0x3fb8aa3b, v29
	v_cmp_ngt_f32_e64 s64, 0xc2ce8ed0, v29
	v_add_f32_e32 v73, v73, v30
	s_delay_alu instid0(VALU_DEP_3) | instskip(SKIP_1) | instid1(VALU_DEP_1)
	v_fma_f32 v75, 0x3fb8aa3b, v29, -v74
	v_rndne_f32_e32 v76, v74
	v_dual_fmac_f32 v75, 0x32a5705f, v29 :: v_dual_sub_f32 v74, v74, v76
	s_delay_alu instid0(VALU_DEP_1) | instskip(SKIP_1) | instid1(VALU_DEP_2)
	v_add_f32_e32 v74, v74, v75
	v_cvt_i32_f32_e32 v75, v76
	v_exp_f32_e32 v74, v74
	s_waitcnt_depctr 0xfff
	v_ldexp_f32 v74, v74, v75
	s_delay_alu instid0(VALU_DEP_1) | instskip(SKIP_1) | instid1(VALU_DEP_1)
	v_cndmask_b32_e64 v74, 0, v74, s64
	v_cmp_nlt_f32_e64 s64, 0x42b17218, v29
	v_cndmask_b32_e64 v29, 0x7f800000, v74, s64
	v_mul_f32_e32 v74, 0x3fb8aa3b, v25
	v_cmp_ngt_f32_e64 s64, 0xc2ce8ed0, v25
	s_delay_alu instid0(VALU_DEP_3) | instskip(NEXT) | instid1(VALU_DEP_3)
	v_add_f32_e32 v73, v73, v29
	v_fma_f32 v75, 0x3fb8aa3b, v25, -v74
	v_rndne_f32_e32 v76, v74
	s_delay_alu instid0(VALU_DEP_1) | instskip(NEXT) | instid1(VALU_DEP_1)
	v_dual_fmac_f32 v75, 0x32a5705f, v25 :: v_dual_sub_f32 v74, v74, v76
	;; [unrolled: 35-line block ×3, first 2 shown]
	v_add_f32_e32 v74, v74, v75
	v_cvt_i32_f32_e32 v75, v76
	s_delay_alu instid0(VALU_DEP_2) | instskip(SKIP_2) | instid1(VALU_DEP_1)
	v_exp_f32_e32 v74, v74
	s_waitcnt_depctr 0xfff
	v_ldexp_f32 v74, v74, v75
	v_cndmask_b32_e64 v74, 0, v74, s64
	v_cmp_nlt_f32_e64 s64, 0x42b17218, v18
	s_delay_alu instid0(VALU_DEP_1) | instskip(NEXT) | instid1(VALU_DEP_1)
	v_cndmask_b32_e64 v18, 0x7f800000, v74, s64
	v_dual_mul_f32 v74, 0x3fb8aa3b, v17 :: v_dual_add_f32 v73, v73, v18
	s_delay_alu instid0(VALU_DEP_1) | instskip(SKIP_1) | instid1(VALU_DEP_1)
	v_fma_f32 v75, 0x3fb8aa3b, v17, -v74
	v_rndne_f32_e32 v76, v74
	v_dual_fmac_f32 v75, 0x32a5705f, v17 :: v_dual_sub_f32 v74, v74, v76
	s_delay_alu instid0(VALU_DEP_1) | instskip(SKIP_2) | instid1(VALU_DEP_3)
	v_add_f32_e32 v74, v74, v75
	v_cvt_i32_f32_e32 v75, v76
	v_cmp_ngt_f32_e64 s64, 0xc2ce8ed0, v17
	v_exp_f32_e32 v74, v74
	s_waitcnt_depctr 0xfff
	v_ldexp_f32 v74, v74, v75
	s_delay_alu instid0(VALU_DEP_1) | instskip(SKIP_1) | instid1(VALU_DEP_1)
	v_cndmask_b32_e64 v74, 0, v74, s64
	v_cmp_nlt_f32_e64 s64, 0x42b17218, v17
	v_cndmask_b32_e64 v17, 0x7f800000, v74, s64
	v_mul_f32_e32 v74, 0x3fb8aa3b, v12
	v_cmp_ngt_f32_e64 s64, 0xc2ce8ed0, v12
	s_delay_alu instid0(VALU_DEP_3) | instskip(NEXT) | instid1(VALU_DEP_3)
	v_add_f32_e32 v73, v73, v17
	v_fma_f32 v75, 0x3fb8aa3b, v12, -v74
	v_rndne_f32_e32 v76, v74
	s_delay_alu instid0(VALU_DEP_2) | instskip(NEXT) | instid1(VALU_DEP_2)
	v_fmac_f32_e32 v75, 0x32a5705f, v12
	v_sub_f32_e32 v74, v74, v76
	s_delay_alu instid0(VALU_DEP_1) | instskip(SKIP_1) | instid1(VALU_DEP_2)
	v_add_f32_e32 v74, v74, v75
	v_cvt_i32_f32_e32 v75, v76
	v_exp_f32_e32 v74, v74
	s_waitcnt_depctr 0xfff
	v_ldexp_f32 v74, v74, v75
	s_delay_alu instid0(VALU_DEP_1) | instskip(SKIP_1) | instid1(VALU_DEP_1)
	v_cndmask_b32_e64 v74, 0, v74, s64
	v_cmp_nlt_f32_e64 s64, 0x42b17218, v12
	v_cndmask_b32_e64 v12, 0x7f800000, v74, s64
	s_delay_alu instid0(VALU_DEP_1) | instskip(NEXT) | instid1(VALU_DEP_1)
	v_dual_mul_f32 v74, 0x3fb8aa3b, v11 :: v_dual_add_f32 v73, v73, v12
	v_fma_f32 v75, 0x3fb8aa3b, v11, -v74
	v_rndne_f32_e32 v76, v74
	s_delay_alu instid0(VALU_DEP_1) | instskip(NEXT) | instid1(VALU_DEP_1)
	v_dual_fmac_f32 v75, 0x32a5705f, v11 :: v_dual_sub_f32 v74, v74, v76
	v_add_f32_e32 v74, v74, v75
	v_cvt_i32_f32_e32 v75, v76
	v_cmp_ngt_f32_e64 s64, 0xc2ce8ed0, v11
	s_delay_alu instid0(VALU_DEP_3) | instskip(SKIP_2) | instid1(VALU_DEP_1)
	v_exp_f32_e32 v74, v74
	s_waitcnt_depctr 0xfff
	v_ldexp_f32 v74, v74, v75
	v_cndmask_b32_e64 v74, 0, v74, s64
	v_cmp_nlt_f32_e64 s64, 0x42b17218, v11
	s_delay_alu instid0(VALU_DEP_1) | instskip(SKIP_2) | instid1(VALU_DEP_3)
	v_cndmask_b32_e64 v11, 0x7f800000, v74, s64
	v_mul_f32_e32 v74, 0x3fb8aa3b, v10
	v_cmp_ngt_f32_e64 s64, 0xc2ce8ed0, v10
	v_add_f32_e32 v73, v73, v11
	s_delay_alu instid0(VALU_DEP_3) | instskip(SKIP_1) | instid1(VALU_DEP_1)
	v_fma_f32 v75, 0x3fb8aa3b, v10, -v74
	v_rndne_f32_e32 v76, v74
	v_dual_fmac_f32 v75, 0x32a5705f, v10 :: v_dual_sub_f32 v74, v74, v76
	s_delay_alu instid0(VALU_DEP_1) | instskip(SKIP_1) | instid1(VALU_DEP_2)
	v_add_f32_e32 v74, v74, v75
	v_cvt_i32_f32_e32 v75, v76
	v_exp_f32_e32 v74, v74
	s_waitcnt_depctr 0xfff
	v_ldexp_f32 v74, v74, v75
	s_delay_alu instid0(VALU_DEP_1) | instskip(SKIP_1) | instid1(VALU_DEP_1)
	v_cndmask_b32_e64 v74, 0, v74, s64
	v_cmp_nlt_f32_e64 s64, 0x42b17218, v10
	v_cndmask_b32_e64 v10, 0x7f800000, v74, s64
	v_mul_f32_e32 v74, 0x3fb8aa3b, v9
	v_cmp_ngt_f32_e64 s64, 0xc2ce8ed0, v9
	s_delay_alu instid0(VALU_DEP_3) | instskip(NEXT) | instid1(VALU_DEP_3)
	v_add_f32_e32 v73, v73, v10
	v_fma_f32 v75, 0x3fb8aa3b, v9, -v74
	v_rndne_f32_e32 v76, v74
	s_delay_alu instid0(VALU_DEP_1) | instskip(NEXT) | instid1(VALU_DEP_1)
	v_dual_fmac_f32 v75, 0x32a5705f, v9 :: v_dual_sub_f32 v74, v74, v76
	v_add_f32_e32 v74, v74, v75
	v_cvt_i32_f32_e32 v75, v76
	s_delay_alu instid0(VALU_DEP_2) | instskip(SKIP_2) | instid1(VALU_DEP_1)
	v_exp_f32_e32 v74, v74
	s_waitcnt_depctr 0xfff
	v_ldexp_f32 v74, v74, v75
	v_cndmask_b32_e64 v74, 0, v74, s64
	v_cmp_nlt_f32_e64 s64, 0x42b17218, v9
	s_delay_alu instid0(VALU_DEP_1) | instskip(SKIP_2) | instid1(VALU_DEP_3)
	v_cndmask_b32_e64 v9, 0x7f800000, v74, s64
	v_mul_f32_e32 v74, 0x3fb8aa3b, v7
	v_cmp_ngt_f32_e64 s64, 0xc2ce8ed0, v7
	v_add_f32_e32 v73, v73, v9
	s_delay_alu instid0(VALU_DEP_3) | instskip(SKIP_1) | instid1(VALU_DEP_1)
	v_fma_f32 v75, 0x3fb8aa3b, v7, -v74
	v_rndne_f32_e32 v76, v74
	v_dual_fmac_f32 v75, 0x32a5705f, v7 :: v_dual_sub_f32 v74, v74, v76
	s_delay_alu instid0(VALU_DEP_1) | instskip(SKIP_1) | instid1(VALU_DEP_2)
	v_add_f32_e32 v74, v74, v75
	v_cvt_i32_f32_e32 v75, v76
	v_exp_f32_e32 v74, v74
	s_waitcnt_depctr 0xfff
	v_ldexp_f32 v74, v74, v75
	s_delay_alu instid0(VALU_DEP_1) | instskip(SKIP_1) | instid1(VALU_DEP_1)
	v_cndmask_b32_e64 v74, 0, v74, s64
	v_cmp_nlt_f32_e64 s64, 0x42b17218, v7
	v_cndmask_b32_e64 v7, 0x7f800000, v74, s64
	v_mul_f32_e32 v74, 0x3fb8aa3b, v8
	v_cmp_ngt_f32_e64 s64, 0xc2ce8ed0, v8
	s_delay_alu instid0(VALU_DEP_3) | instskip(NEXT) | instid1(VALU_DEP_3)
	v_add_f32_e32 v73, v73, v7
	v_fma_f32 v75, 0x3fb8aa3b, v8, -v74
	v_rndne_f32_e32 v76, v74
	s_delay_alu instid0(VALU_DEP_2) | instskip(NEXT) | instid1(VALU_DEP_2)
	v_fmac_f32_e32 v75, 0x32a5705f, v8
	v_sub_f32_e32 v74, v74, v76
	s_delay_alu instid0(VALU_DEP_1) | instskip(SKIP_1) | instid1(VALU_DEP_2)
	v_add_f32_e32 v74, v74, v75
	v_cvt_i32_f32_e32 v75, v76
	v_exp_f32_e32 v74, v74
	s_waitcnt_depctr 0xfff
	v_ldexp_f32 v74, v74, v75
	v_rndne_f32_e32 v75, v28
	s_delay_alu instid0(VALU_DEP_2) | instskip(SKIP_1) | instid1(VALU_DEP_1)
	v_cndmask_b32_e64 v74, 0, v74, s64
	v_cmp_nlt_f32_e64 s64, 0x42b17218, v8
	v_cndmask_b32_e64 v8, 0x7f800000, v74, s64
	v_fma_f32 v74, 0x3fb8aa3b, v6, -v28
	v_sub_f32_e32 v28, v28, v75
	v_cmp_ngt_f32_e64 s64, 0xc2ce8ed0, v6
	s_delay_alu instid0(VALU_DEP_3) | instskip(NEXT) | instid1(VALU_DEP_1)
	v_dual_add_f32 v73, v73, v8 :: v_dual_fmac_f32 v74, 0x32a5705f, v6
	v_add_f32_e32 v28, v28, v74
	v_cvt_i32_f32_e32 v74, v75
	s_delay_alu instid0(VALU_DEP_2) | instskip(SKIP_2) | instid1(VALU_DEP_1)
	v_exp_f32_e32 v28, v28
	s_waitcnt_depctr 0xfff
	v_ldexp_f32 v28, v28, v74
	v_cndmask_b32_e64 v28, 0, v28, s64
	v_cmp_nlt_f32_e64 s64, 0x42b17218, v6
	s_delay_alu instid0(VALU_DEP_1) | instskip(NEXT) | instid1(VALU_DEP_1)
	v_cndmask_b32_e64 v6, 0x7f800000, v28, s64
	v_add_f32_e32 v28, v73, v6
	ds_bpermute_b32 v2, v2, v28
	s_waitcnt lgkmcnt(0)
	v_add_f32_e32 v2, v28, v2
	ds_bpermute_b32 v3, v3, v2
	s_waitcnt lgkmcnt(0)
	;; [unrolled: 3-line block ×4, first 2 shown]
	v_add_f32_e32 v2, v2, v3
	ds_bpermute_b32 v3, v19, v2
	v_cmpx_lt_i32_e32 0, v5
	s_cbranch_execz .LBB455_194
; %bb.129:
	s_and_b32 exec_lo, exec_lo, vcc_lo
	s_cbranch_execz .LBB455_194
; %bb.130:
	s_waitcnt lgkmcnt(0)
	v_add_f32_e32 v2, v2, v3
	v_lshlrev_b64 v[0:1], 2, v[0:1]
	s_delay_alu instid0(VALU_DEP_2) | instskip(SKIP_1) | instid1(VALU_DEP_2)
	v_div_scale_f32 v3, null, v2, v2, v13
	v_div_scale_f32 v15, vcc_lo, v13, v2, v13
	v_rcp_f32_e32 v4, v3
	s_waitcnt_depctr 0xfff
	v_fma_f32 v5, -v3, v4, 1.0
	s_delay_alu instid0(VALU_DEP_1) | instskip(NEXT) | instid1(VALU_DEP_1)
	v_fmac_f32_e32 v4, v5, v4
	v_mul_f32_e32 v5, v15, v4
	v_cmp_eq_f32_e64 s64, 0, v2
	s_delay_alu instid0(VALU_DEP_2) | instskip(NEXT) | instid1(VALU_DEP_1)
	v_fma_f32 v19, -v3, v5, v15
	v_fmac_f32_e32 v5, v19, v4
	s_delay_alu instid0(VALU_DEP_1) | instskip(NEXT) | instid1(VALU_DEP_1)
	v_fma_f32 v3, -v3, v5, v15
	v_div_fmas_f32 v3, v3, v4, v5
	v_add_co_u32 v0, vcc_lo, s68, v0
	v_add_co_ci_u32_e32 v1, vcc_lo, s69, v1, vcc_lo
	s_delay_alu instid0(VALU_DEP_3) | instskip(NEXT) | instid1(VALU_DEP_1)
	v_div_fixup_f32 v3, v3, v2, v13
	v_cndmask_b32_e64 v3, v3, 0x7fc00000, s64
	global_store_b32 v[0:1], v3, off
	s_and_b32 exec_lo, exec_lo, s63
	s_cbranch_execz .LBB455_194
; %bb.131:
	v_div_scale_f32 v3, null, v2, v2, v14
	s_delay_alu instid0(VALU_DEP_1) | instskip(SKIP_2) | instid1(VALU_DEP_1)
	v_rcp_f32_e32 v4, v3
	s_waitcnt_depctr 0xfff
	v_fma_f32 v5, -v3, v4, 1.0
	v_fmac_f32_e32 v4, v5, v4
	v_div_scale_f32 v5, vcc_lo, v14, v2, v14
	s_delay_alu instid0(VALU_DEP_1) | instskip(NEXT) | instid1(VALU_DEP_1)
	v_mul_f32_e32 v13, v5, v4
	v_fma_f32 v15, -v3, v13, v5
	s_delay_alu instid0(VALU_DEP_1) | instskip(NEXT) | instid1(VALU_DEP_1)
	v_fmac_f32_e32 v13, v15, v4
	v_fma_f32 v3, -v3, v13, v5
	s_delay_alu instid0(VALU_DEP_1) | instskip(NEXT) | instid1(VALU_DEP_1)
	v_div_fmas_f32 v3, v3, v4, v13
	v_div_fixup_f32 v3, v3, v2, v14
	s_delay_alu instid0(VALU_DEP_1)
	v_cndmask_b32_e64 v3, v3, 0x7fc00000, s64
	global_store_b32 v[0:1], v3, off offset:128
	s_and_b32 exec_lo, exec_lo, s62
	s_cbranch_execz .LBB455_194
; %bb.132:
	v_div_scale_f32 v3, null, v2, v2, v16
	s_delay_alu instid0(VALU_DEP_1) | instskip(SKIP_2) | instid1(VALU_DEP_1)
	v_rcp_f32_e32 v4, v3
	s_waitcnt_depctr 0xfff
	v_fma_f32 v5, -v3, v4, 1.0
	v_fmac_f32_e32 v4, v5, v4
	v_div_scale_f32 v5, vcc_lo, v16, v2, v16
	s_delay_alu instid0(VALU_DEP_1) | instskip(NEXT) | instid1(VALU_DEP_1)
	v_mul_f32_e32 v13, v5, v4
	v_fma_f32 v14, -v3, v13, v5
	s_delay_alu instid0(VALU_DEP_1) | instskip(NEXT) | instid1(VALU_DEP_1)
	v_fmac_f32_e32 v13, v14, v4
	v_fma_f32 v3, -v3, v13, v5
	s_delay_alu instid0(VALU_DEP_1) | instskip(NEXT) | instid1(VALU_DEP_1)
	v_div_fmas_f32 v3, v3, v4, v13
	v_div_fixup_f32 v3, v3, v2, v16
	s_delay_alu instid0(VALU_DEP_1)
	v_cndmask_b32_e64 v3, v3, 0x7fc00000, s64
	global_store_b32 v[0:1], v3, off offset:256
	;; [unrolled: 22-line block ×31, first 2 shown]
	s_and_b32 exec_lo, exec_lo, s31
	s_cbranch_execz .LBB455_194
; %bb.162:
	v_div_scale_f32 v3, null, v2, v2, v70
	v_div_scale_f32 v13, vcc_lo, v70, v2, v70
	s_delay_alu instid0(VALU_DEP_2) | instskip(SKIP_2) | instid1(VALU_DEP_1)
	v_rcp_f32_e32 v4, v3
	s_waitcnt_depctr 0xfff
	v_fma_f32 v5, -v3, v4, 1.0
	v_fmac_f32_e32 v4, v5, v4
	s_delay_alu instid0(VALU_DEP_1) | instskip(NEXT) | instid1(VALU_DEP_1)
	v_mul_f32_e32 v5, v13, v4
	v_fma_f32 v14, -v3, v5, v13
	s_delay_alu instid0(VALU_DEP_1) | instskip(NEXT) | instid1(VALU_DEP_1)
	v_fmac_f32_e32 v5, v14, v4
	v_fma_f32 v3, -v3, v5, v13
	s_delay_alu instid0(VALU_DEP_1) | instskip(SKIP_2) | instid1(VALU_DEP_3)
	v_div_fmas_f32 v3, v3, v4, v5
	v_add_co_u32 v0, vcc_lo, 0x1000, v0
	v_add_co_ci_u32_e32 v1, vcc_lo, 0, v1, vcc_lo
	v_div_fixup_f32 v3, v3, v2, v70
	s_delay_alu instid0(VALU_DEP_1)
	v_cndmask_b32_e64 v3, v3, 0x7fc00000, s64
	global_store_b32 v[0:1], v3, off
	s_and_b32 exec_lo, exec_lo, s30
	s_cbranch_execz .LBB455_194
; %bb.163:
	v_div_scale_f32 v3, null, v2, v2, v71
	s_delay_alu instid0(VALU_DEP_1) | instskip(SKIP_2) | instid1(VALU_DEP_1)
	v_rcp_f32_e32 v4, v3
	s_waitcnt_depctr 0xfff
	v_fma_f32 v5, -v3, v4, 1.0
	v_fmac_f32_e32 v4, v5, v4
	v_div_scale_f32 v5, vcc_lo, v71, v2, v71
	s_delay_alu instid0(VALU_DEP_1) | instskip(NEXT) | instid1(VALU_DEP_1)
	v_mul_f32_e32 v13, v5, v4
	v_fma_f32 v14, -v3, v13, v5
	s_delay_alu instid0(VALU_DEP_1) | instskip(NEXT) | instid1(VALU_DEP_1)
	v_fmac_f32_e32 v13, v14, v4
	v_fma_f32 v3, -v3, v13, v5
	s_delay_alu instid0(VALU_DEP_1) | instskip(NEXT) | instid1(VALU_DEP_1)
	v_div_fmas_f32 v3, v3, v4, v13
	v_div_fixup_f32 v3, v3, v2, v71
	s_delay_alu instid0(VALU_DEP_1)
	v_cndmask_b32_e64 v3, v3, 0x7fc00000, s64
	global_store_b32 v[0:1], v3, off offset:128
	s_and_b32 exec_lo, exec_lo, s29
	s_cbranch_execz .LBB455_194
; %bb.164:
	v_div_scale_f32 v3, null, v2, v2, v72
	s_delay_alu instid0(VALU_DEP_1) | instskip(SKIP_2) | instid1(VALU_DEP_1)
	v_rcp_f32_e32 v4, v3
	s_waitcnt_depctr 0xfff
	v_fma_f32 v5, -v3, v4, 1.0
	v_fmac_f32_e32 v4, v5, v4
	v_div_scale_f32 v5, vcc_lo, v72, v2, v72
	s_delay_alu instid0(VALU_DEP_1) | instskip(NEXT) | instid1(VALU_DEP_1)
	v_mul_f32_e32 v13, v5, v4
	v_fma_f32 v14, -v3, v13, v5
	s_delay_alu instid0(VALU_DEP_1) | instskip(NEXT) | instid1(VALU_DEP_1)
	v_fmac_f32_e32 v13, v14, v4
	v_fma_f32 v3, -v3, v13, v5
	s_delay_alu instid0(VALU_DEP_1) | instskip(NEXT) | instid1(VALU_DEP_1)
	v_div_fmas_f32 v3, v3, v4, v13
	v_div_fixup_f32 v3, v3, v2, v72
	s_delay_alu instid0(VALU_DEP_1)
	v_cndmask_b32_e64 v3, v3, 0x7fc00000, s64
	global_store_b32 v[0:1], v3, off offset:256
	;; [unrolled: 22-line block ×31, first 2 shown]
.LBB455_194:
	s_nop 0
	s_sendmsg sendmsg(MSG_DEALLOC_VGPRS)
	s_endpgm
	.section	.rodata,"a",@progbits
	.p2align	6, 0x0
	.amdhsa_kernel _ZN12_GLOBAL__N_120softmax_warp_forwardIN3c104HalfEffLi11ELb0ELb0ELi32EEEvPT0_PKT_iiiPKbib
		.amdhsa_group_segment_fixed_size 0
		.amdhsa_private_segment_fixed_size 0
		.amdhsa_kernarg_size 304
		.amdhsa_user_sgpr_count 15
		.amdhsa_user_sgpr_dispatch_ptr 0
		.amdhsa_user_sgpr_queue_ptr 0
		.amdhsa_user_sgpr_kernarg_segment_ptr 1
		.amdhsa_user_sgpr_dispatch_id 0
		.amdhsa_user_sgpr_private_segment_size 0
		.amdhsa_wavefront_size32 1
		.amdhsa_uses_dynamic_stack 0
		.amdhsa_enable_private_segment 0
		.amdhsa_system_sgpr_workgroup_id_x 1
		.amdhsa_system_sgpr_workgroup_id_y 0
		.amdhsa_system_sgpr_workgroup_id_z 0
		.amdhsa_system_sgpr_workgroup_info 0
		.amdhsa_system_vgpr_workitem_id 1
		.amdhsa_next_free_vgpr 77
		.amdhsa_next_free_sgpr 76
		.amdhsa_reserve_vcc 1
		.amdhsa_float_round_mode_32 0
		.amdhsa_float_round_mode_16_64 0
		.amdhsa_float_denorm_mode_32 3
		.amdhsa_float_denorm_mode_16_64 3
		.amdhsa_dx10_clamp 1
		.amdhsa_ieee_mode 1
		.amdhsa_fp16_overflow 0
		.amdhsa_workgroup_processor_mode 1
		.amdhsa_memory_ordered 1
		.amdhsa_forward_progress 0
		.amdhsa_shared_vgpr_count 0
		.amdhsa_exception_fp_ieee_invalid_op 0
		.amdhsa_exception_fp_denorm_src 0
		.amdhsa_exception_fp_ieee_div_zero 0
		.amdhsa_exception_fp_ieee_overflow 0
		.amdhsa_exception_fp_ieee_underflow 0
		.amdhsa_exception_fp_ieee_inexact 0
		.amdhsa_exception_int_div_zero 0
	.end_amdhsa_kernel
	.section	.text._ZN12_GLOBAL__N_120softmax_warp_forwardIN3c104HalfEffLi11ELb0ELb0ELi32EEEvPT0_PKT_iiiPKbib,"axG",@progbits,_ZN12_GLOBAL__N_120softmax_warp_forwardIN3c104HalfEffLi11ELb0ELb0ELi32EEEvPT0_PKT_iiiPKbib,comdat
.Lfunc_end455:
	.size	_ZN12_GLOBAL__N_120softmax_warp_forwardIN3c104HalfEffLi11ELb0ELb0ELi32EEEvPT0_PKT_iiiPKbib, .Lfunc_end455-_ZN12_GLOBAL__N_120softmax_warp_forwardIN3c104HalfEffLi11ELb0ELb0ELi32EEEvPT0_PKT_iiiPKbib
                                        ; -- End function
	.section	.AMDGPU.csdata,"",@progbits
; Kernel info:
; codeLenInByte = 21816
; NumSgprs: 78
; NumVgprs: 77
; ScratchSize: 0
; MemoryBound: 0
; FloatMode: 240
; IeeeMode: 1
; LDSByteSize: 0 bytes/workgroup (compile time only)
; SGPRBlocks: 9
; VGPRBlocks: 9
; NumSGPRsForWavesPerEU: 78
; NumVGPRsForWavesPerEU: 77
; Occupancy: 16
; WaveLimiterHint : 0
; COMPUTE_PGM_RSRC2:SCRATCH_EN: 0
; COMPUTE_PGM_RSRC2:USER_SGPR: 15
; COMPUTE_PGM_RSRC2:TRAP_HANDLER: 0
; COMPUTE_PGM_RSRC2:TGID_X_EN: 1
; COMPUTE_PGM_RSRC2:TGID_Y_EN: 0
; COMPUTE_PGM_RSRC2:TGID_Z_EN: 0
; COMPUTE_PGM_RSRC2:TIDIG_COMP_CNT: 1
	.section	.text._ZN2at6native12_GLOBAL__N_123cunn_SoftMaxForwardGmemILi8EN3c104HalfEffNS1_29SoftMaxForwardWithMulEpilogueElEEvPT2_PKT0_T4_,"axG",@progbits,_ZN2at6native12_GLOBAL__N_123cunn_SoftMaxForwardGmemILi8EN3c104HalfEffNS1_29SoftMaxForwardWithMulEpilogueElEEvPT2_PKT0_T4_,comdat
	.globl	_ZN2at6native12_GLOBAL__N_123cunn_SoftMaxForwardGmemILi8EN3c104HalfEffNS1_29SoftMaxForwardWithMulEpilogueElEEvPT2_PKT0_T4_ ; -- Begin function _ZN2at6native12_GLOBAL__N_123cunn_SoftMaxForwardGmemILi8EN3c104HalfEffNS1_29SoftMaxForwardWithMulEpilogueElEEvPT2_PKT0_T4_
	.p2align	8
	.type	_ZN2at6native12_GLOBAL__N_123cunn_SoftMaxForwardGmemILi8EN3c104HalfEffNS1_29SoftMaxForwardWithMulEpilogueElEEvPT2_PKT0_T4_,@function
_ZN2at6native12_GLOBAL__N_123cunn_SoftMaxForwardGmemILi8EN3c104HalfEffNS1_29SoftMaxForwardWithMulEpilogueElEEvPT2_PKT0_T4_: ; @_ZN2at6native12_GLOBAL__N_123cunn_SoftMaxForwardGmemILi8EN3c104HalfEffNS1_29SoftMaxForwardWithMulEpilogueElEEvPT2_PKT0_T4_
; %bb.0:
	s_clause 0x1
	s_load_b64 s[6:7], s[0:1], 0x10
	s_load_b128 s[8:11], s[0:1], 0x0
	v_dual_mov_b32 v1, 0 :: v_dual_lshlrev_b32 v2, 3, v0
	v_mov_b32_e32 v7, 0xff7fffff
	s_mov_b32 s4, 0
	s_delay_alu instid0(VALU_DEP_2) | instskip(SKIP_1) | instid1(VALU_DEP_1)
	v_dual_mov_b32 v3, v1 :: v_dual_lshlrev_b32 v6, 4, v0
	s_waitcnt lgkmcnt(0)
	v_cmp_gt_i64_e64 s2, s[6:7], v[2:3]
	s_mul_i32 s14, s7, s15
	s_mul_hi_u32 s16, s6, s15
	s_mul_i32 s12, s6, s15
	s_delay_alu instid0(VALU_DEP_1)
	s_and_saveexec_b32 s5, s2
	s_cbranch_execz .LBB456_4
; %bb.1:
	s_load_b32 s3, s[0:1], 0x24
	s_add_i32 s13, s16, s14
	v_mov_b32_e32 v5, v1
	s_lshl_b64 s[18:19], s[12:13], 1
	v_dual_mov_b32 v7, 0xff7fffff :: v_dual_mov_b32 v4, v0
	s_waitcnt lgkmcnt(0)
	s_and_b32 s13, s3, 0xffff
	s_add_u32 s3, s10, s18
	s_addc_u32 s15, s11, s19
	v_add_co_u32 v2, s3, s3, v6
	s_delay_alu instid0(VALU_DEP_1) | instskip(SKIP_1) | instid1(VALU_DEP_2)
	v_add_co_ci_u32_e64 v3, null, s15, 0, s3
	s_lshl_b32 s15, s13, 4
	v_add_co_u32 v2, vcc_lo, v2, 14
	s_delay_alu instid0(VALU_DEP_2)
	v_add_co_ci_u32_e32 v3, vcc_lo, 0, v3, vcc_lo
	s_set_inst_prefetch_distance 0x1
	.p2align	6
.LBB456_2:                              ; =>This Inner Loop Header: Depth=1
	global_load_b128 v[8:11], v[2:3], off offset:-14
	v_add_co_u32 v4, vcc_lo, v4, s13
	v_add_co_ci_u32_e32 v5, vcc_lo, 0, v5, vcc_lo
	v_add_co_u32 v2, s3, v2, s15
	s_delay_alu instid0(VALU_DEP_1)
	v_add_co_ci_u32_e64 v3, s3, 0, v3, s3
	s_waitcnt vmcnt(0)
	v_lshrrev_b32_e32 v12, 16, v8
	v_lshrrev_b32_e32 v13, 16, v9
	v_cvt_f32_f16_e32 v8, v8
	v_lshrrev_b32_e32 v14, 16, v10
	v_cvt_f32_f16_e32 v9, v9
	v_cvt_f32_f16_e32 v12, v12
	;; [unrolled: 1-line block ×3, first 2 shown]
	v_lshrrev_b32_e32 v15, 16, v11
	v_cvt_f32_f16_e32 v10, v10
	v_cvt_f32_f16_e32 v14, v14
	v_max3_f32 v12, v7, v8, v12
	v_lshlrev_b64 v[7:8], 3, v[4:5]
	s_delay_alu instid0(VALU_DEP_2) | instskip(NEXT) | instid1(VALU_DEP_2)
	v_max3_f32 v9, v12, v9, v13
	v_cmp_le_i64_e32 vcc_lo, s[6:7], v[7:8]
	v_cvt_f32_f16_e32 v7, v11
	v_cvt_f32_f16_e32 v8, v15
	s_delay_alu instid0(VALU_DEP_4) | instskip(SKIP_1) | instid1(VALU_DEP_1)
	v_max3_f32 v9, v9, v10, v14
	s_or_b32 s4, vcc_lo, s4
	v_max3_f32 v7, v9, v7, v8
	s_and_not1_b32 exec_lo, exec_lo, s4
	s_cbranch_execnz .LBB456_2
; %bb.3:
	s_set_inst_prefetch_distance 0x2
	s_or_b32 exec_lo, exec_lo, s4
.LBB456_4:
	s_delay_alu instid0(SALU_CYCLE_1)
	s_or_b32 exec_lo, exec_lo, s5
	v_mbcnt_lo_u32_b32 v2, -1, 0
	v_lshrrev_b32_e32 v13, 3, v0
	s_barrier
	buffer_gl0_inv
	v_cmp_gt_u32_e32 vcc_lo, 16, v2
	v_cndmask_b32_e64 v3, 0, 1, vcc_lo
	v_cmp_gt_u32_e32 vcc_lo, 24, v2
	s_delay_alu instid0(VALU_DEP_2) | instskip(SKIP_1) | instid1(VALU_DEP_2)
	v_lshlrev_b32_e32 v3, 4, v3
	v_cndmask_b32_e64 v4, 0, 1, vcc_lo
	v_add_lshl_u32 v8, v3, v2, 2
	ds_bpermute_b32 v3, v8, v7
	s_waitcnt lgkmcnt(0)
	v_cmp_lt_f32_e32 vcc_lo, v7, v3
	v_dual_cndmask_b32 v3, v7, v3 :: v_dual_lshlrev_b32 v4, 3, v4
	s_delay_alu instid0(VALU_DEP_1) | instskip(SKIP_3) | instid1(VALU_DEP_1)
	v_add_lshl_u32 v9, v4, v2, 2
	v_cmp_gt_u32_e32 vcc_lo, 28, v2
	ds_bpermute_b32 v4, v9, v3
	v_cndmask_b32_e64 v5, 0, 1, vcc_lo
	v_lshlrev_b32_e32 v5, 2, v5
	s_delay_alu instid0(VALU_DEP_1)
	v_add_lshl_u32 v10, v5, v2, 2
	s_waitcnt lgkmcnt(0)
	v_cmp_lt_f32_e32 vcc_lo, v3, v4
	v_cndmask_b32_e32 v3, v3, v4, vcc_lo
	v_cmp_gt_u32_e32 vcc_lo, 30, v2
	ds_bpermute_b32 v4, v10, v3
	v_cndmask_b32_e64 v5, 0, 1, vcc_lo
	s_delay_alu instid0(VALU_DEP_1) | instskip(NEXT) | instid1(VALU_DEP_1)
	v_lshlrev_b32_e32 v5, 1, v5
	v_add_lshl_u32 v11, v5, v2, 2
	s_waitcnt lgkmcnt(0)
	v_cmp_lt_f32_e32 vcc_lo, v3, v4
	v_cndmask_b32_e32 v3, v3, v4, vcc_lo
	v_cmp_ne_u32_e32 vcc_lo, 31, v2
	ds_bpermute_b32 v4, v11, v3
	v_add_co_ci_u32_e32 v5, vcc_lo, 0, v2, vcc_lo
	s_delay_alu instid0(VALU_DEP_1)
	v_lshlrev_b32_e32 v12, 2, v5
	s_waitcnt lgkmcnt(0)
	v_cmp_lt_f32_e32 vcc_lo, v3, v4
	v_cndmask_b32_e32 v2, v3, v4, vcc_lo
	v_and_b32_e32 v3, 31, v0
	ds_bpermute_b32 v4, v12, v2
	v_cmp_eq_u32_e32 vcc_lo, 0, v3
	s_and_saveexec_b32 s4, vcc_lo
	s_cbranch_execz .LBB456_6
; %bb.5:
	s_waitcnt lgkmcnt(0)
	v_cmp_lt_f32_e64 s3, v2, v4
	v_add_nc_u32_e32 v5, 0, v13
	s_delay_alu instid0(VALU_DEP_2)
	v_cndmask_b32_e64 v2, v2, v4, s3
	ds_store_b32 v5, v2
.LBB456_6:
	s_or_b32 exec_lo, exec_lo, s4
	s_waitcnt lgkmcnt(0)
	s_barrier
	buffer_gl0_inv
	s_load_b32 s15, s[0:1], 0x24
	v_mov_b32_e32 v2, 0xff7fffff
	v_lshl_add_u32 v14, v3, 2, 0
	s_waitcnt lgkmcnt(0)
	s_bfe_u32 s0, s15, 0xb0005
	s_delay_alu instid0(SALU_CYCLE_1) | instskip(NEXT) | instid1(VALU_DEP_1)
	v_cmp_gt_u32_e64 s0, s0, v0
	s_and_saveexec_b32 s1, s0
	s_cbranch_execnz .LBB456_24
; %bb.7:
	s_or_b32 exec_lo, exec_lo, s1
	v_cmp_gt_u32_e64 s1, 32, v0
	s_delay_alu instid0(VALU_DEP_1)
	s_and_saveexec_b32 s4, s1
	s_cbranch_execnz .LBB456_25
.LBB456_8:
	s_or_b32 exec_lo, exec_lo, s4
	v_cmp_eq_u32_e64 s3, 0, v0
	s_delay_alu instid0(VALU_DEP_1)
	s_and_saveexec_b32 s4, s3
	s_cbranch_execz .LBB456_10
.LBB456_9:
	v_mov_b32_e32 v3, 0
	s_waitcnt lgkmcnt(0)
	ds_store_b32 v3, v2
.LBB456_10:
	s_or_b32 exec_lo, exec_lo, s4
	v_mov_b32_e32 v15, 0
	s_waitcnt lgkmcnt(0)
	s_barrier
	buffer_gl0_inv
	s_mov_b32 s18, 0
	ds_load_b32 v7, v15
	s_and_saveexec_b32 s17, s2
	s_cbranch_execz .LBB456_14
; %bb.11:
	s_add_i32 s13, s16, s14
	v_mov_b32_e32 v5, v1
	s_lshl_b64 s[4:5], s[12:13], 1
	s_and_b32 s13, s15, 0xffff
	s_add_u32 s4, s10, s4
	s_addc_u32 s5, s11, s5
	v_add_co_u32 v2, s4, s4, v6
	s_delay_alu instid0(VALU_DEP_1) | instskip(SKIP_1) | instid1(VALU_DEP_3)
	v_add_co_ci_u32_e64 v3, null, s5, 0, s4
	v_dual_mov_b32 v15, 0 :: v_dual_mov_b32 v4, v0
	v_add_co_u32 v2, s4, v2, 14
	s_delay_alu instid0(VALU_DEP_1)
	v_add_co_ci_u32_e64 v3, s4, 0, v3, s4
	s_lshl_b32 s19, s13, 4
.LBB456_12:                             ; =>This Inner Loop Header: Depth=1
	global_load_b128 v[16:19], v[2:3], off offset:-14
	v_add_co_u32 v4, s4, v4, s13
	s_delay_alu instid0(VALU_DEP_1) | instskip(SKIP_1) | instid1(VALU_DEP_1)
	v_add_co_ci_u32_e64 v5, s4, 0, v5, s4
	v_add_co_u32 v2, s5, v2, s19
	v_add_co_ci_u32_e64 v3, s5, 0, v3, s5
	s_waitcnt vmcnt(0)
	v_lshrrev_b32_e32 v20, 16, v16
	v_lshrrev_b32_e32 v21, 16, v17
	v_cvt_f32_f16_e32 v16, v16
	v_cvt_f32_f16_e32 v17, v17
	v_lshrrev_b32_e32 v22, 16, v18
	v_cvt_f32_f16_e32 v18, v18
	v_cvt_f32_f16_e32 v20, v20
	;; [unrolled: 1-line block ×3, first 2 shown]
	s_waitcnt lgkmcnt(0)
	v_sub_f32_e32 v17, v17, v7
	v_sub_f32_e32 v16, v16, v7
	v_lshrrev_b32_e32 v23, 16, v19
	v_cvt_f32_f16_e32 v19, v19
	v_cvt_f32_f16_e32 v22, v22
	s_delay_alu instid0(VALU_DEP_4) | instskip(NEXT) | instid1(VALU_DEP_3)
	v_dual_mul_f32 v17, 0x3fb8aa3b, v17 :: v_dual_mul_f32 v16, 0x3fb8aa3b, v16
	v_sub_f32_e32 v19, v19, v7
	s_delay_alu instid0(VALU_DEP_2) | instskip(NEXT) | instid1(VALU_DEP_2)
	v_exp_f32_e32 v17, v17
	v_exp_f32_e32 v16, v16
	v_sub_f32_e32 v18, v18, v7
	v_sub_f32_e32 v21, v21, v7
	s_waitcnt_depctr 0xfff
	v_dual_add_f32 v15, v15, v16 :: v_dual_mul_f32 v16, 0x3fb8aa3b, v18
	v_dual_sub_f32 v20, v20, v7 :: v_dual_mul_f32 v21, 0x3fb8aa3b, v21
	s_delay_alu instid0(VALU_DEP_2) | instskip(NEXT) | instid1(VALU_DEP_1)
	v_exp_f32_e32 v16, v16
	v_mul_f32_e32 v20, 0x3fb8aa3b, v20
	s_delay_alu instid0(VALU_DEP_2) | instskip(NEXT) | instid1(VALU_DEP_1)
	v_exp_f32_e32 v21, v21
	v_exp_f32_e32 v20, v20
	s_waitcnt_depctr 0xfff
	v_dual_sub_f32 v18, v22, v7 :: v_dual_add_f32 v15, v15, v20
	v_cvt_f32_f16_e32 v20, v23
	s_delay_alu instid0(VALU_DEP_2) | instskip(NEXT) | instid1(VALU_DEP_1)
	v_dual_mul_f32 v18, 0x3fb8aa3b, v18 :: v_dual_add_f32 v15, v15, v17
	v_exp_f32_e32 v18, v18
	s_delay_alu instid0(VALU_DEP_1) | instskip(SKIP_1) | instid1(VALU_DEP_2)
	v_add_f32_e32 v15, v15, v21
	v_mul_f32_e32 v17, 0x3fb8aa3b, v19
	v_dual_sub_f32 v19, v20, v7 :: v_dual_add_f32 v20, v15, v16
	s_delay_alu instid0(VALU_DEP_2) | instskip(NEXT) | instid1(VALU_DEP_1)
	v_exp_f32_e32 v17, v17
	v_mul_f32_e32 v19, 0x3fb8aa3b, v19
	v_lshlrev_b64 v[15:16], 3, v[4:5]
	s_delay_alu instid0(TRANS32_DEP_2) | instid1(VALU_DEP_3)
	v_add_f32_e32 v18, v20, v18
	s_delay_alu instid0(VALU_DEP_3) | instskip(NEXT) | instid1(VALU_DEP_2)
	v_exp_f32_e32 v19, v19
	v_cmp_le_i64_e64 s4, s[6:7], v[15:16]
	s_waitcnt_depctr 0xfff
	v_add_f32_e32 v15, v18, v17
	s_or_b32 s18, s4, s18
	s_delay_alu instid0(VALU_DEP_1)
	v_add_f32_e32 v15, v15, v19
	s_and_not1_b32 exec_lo, exec_lo, s18
	s_cbranch_execnz .LBB456_12
; %bb.13:
	s_or_b32 exec_lo, exec_lo, s18
.LBB456_14:
	s_delay_alu instid0(SALU_CYCLE_1)
	s_or_b32 exec_lo, exec_lo, s17
	ds_bpermute_b32 v2, v8, v15
	s_waitcnt lgkmcnt(0)
	s_barrier
	buffer_gl0_inv
	v_add_f32_e32 v2, v15, v2
	ds_bpermute_b32 v3, v9, v2
	s_waitcnt lgkmcnt(0)
	v_add_f32_e32 v2, v2, v3
	ds_bpermute_b32 v3, v10, v2
	s_waitcnt lgkmcnt(0)
	;; [unrolled: 3-line block ×3, first 2 shown]
	v_add_f32_e32 v2, v2, v3
	ds_bpermute_b32 v3, v12, v2
	s_and_saveexec_b32 s4, vcc_lo
	s_cbranch_execz .LBB456_16
; %bb.15:
	v_add_nc_u32_e32 v4, 0, v13
	s_waitcnt lgkmcnt(0)
	v_add_f32_e32 v2, v2, v3
	ds_store_b32 v4, v2
.LBB456_16:
	s_or_b32 exec_lo, exec_lo, s4
	v_mov_b32_e32 v2, 0
	s_waitcnt lgkmcnt(0)
	s_barrier
	buffer_gl0_inv
	s_and_saveexec_b32 s4, s0
	s_cbranch_execnz .LBB456_26
; %bb.17:
	s_or_b32 exec_lo, exec_lo, s4
	s_and_saveexec_b32 s0, s1
	s_cbranch_execnz .LBB456_27
.LBB456_18:
	s_or_b32 exec_lo, exec_lo, s0
	s_and_saveexec_b32 s0, s3
	s_cbranch_execz .LBB456_20
.LBB456_19:
	s_waitcnt lgkmcnt(0)
	v_div_scale_f32 v3, null, v2, v2, 1.0
	v_div_scale_f32 v8, vcc_lo, 1.0, v2, 1.0
	s_delay_alu instid0(VALU_DEP_2) | instskip(SKIP_2) | instid1(VALU_DEP_1)
	v_rcp_f32_e32 v4, v3
	s_waitcnt_depctr 0xfff
	v_fma_f32 v5, -v3, v4, 1.0
	v_fmac_f32_e32 v4, v5, v4
	s_delay_alu instid0(VALU_DEP_1) | instskip(NEXT) | instid1(VALU_DEP_1)
	v_mul_f32_e32 v5, v8, v4
	v_fma_f32 v9, -v3, v5, v8
	s_delay_alu instid0(VALU_DEP_1) | instskip(NEXT) | instid1(VALU_DEP_1)
	v_fmac_f32_e32 v5, v9, v4
	v_fma_f32 v3, -v3, v5, v8
	s_delay_alu instid0(VALU_DEP_1) | instskip(NEXT) | instid1(VALU_DEP_1)
	v_div_fmas_f32 v3, v3, v4, v5
	v_div_fixup_f32 v2, v3, v2, 1.0
	v_mov_b32_e32 v3, 0
	ds_store_b32 v3, v2
.LBB456_20:
	s_or_b32 exec_lo, exec_lo, s0
	s_waitcnt lgkmcnt(0)
	s_barrier
	buffer_gl0_inv
	s_and_saveexec_b32 s0, s2
	s_cbranch_execz .LBB456_23
; %bb.21:
	v_mov_b32_e32 v2, 0
	s_add_i32 s13, s16, s14
	s_and_b32 s1, s15, 0xffff
	s_lshl_b64 s[2:3], s[12:13], 1
	v_lshlrev_b32_e32 v4, 5, v0
	ds_load_b32 v8, v2
	s_add_u32 s0, s10, s2
	s_addc_u32 s2, s11, s3
	v_add_co_u32 v2, s0, s0, v6
	s_lshl_b64 s[4:5], s[12:13], 2
	v_add_co_ci_u32_e64 v3, null, s2, 0, s0
	s_lshl_b32 s2, s1, 4
	s_add_u32 s0, s8, s4
	s_addc_u32 s3, s9, s5
	v_add_co_u32 v4, s0, s0, v4
	s_delay_alu instid0(VALU_DEP_1) | instskip(SKIP_2) | instid1(VALU_DEP_4)
	v_add_co_ci_u32_e64 v5, null, s3, 0, s0
	v_add_co_u32 v2, vcc_lo, v2, 14
	v_add_co_ci_u32_e32 v3, vcc_lo, 0, v3, vcc_lo
	v_add_co_u32 v4, vcc_lo, v4, 16
	s_delay_alu instid0(VALU_DEP_4)
	v_add_co_ci_u32_e32 v5, vcc_lo, 0, v5, vcc_lo
	s_mov_b32 s3, 0
	s_lshl_b32 s4, s1, 5
.LBB456_22:                             ; =>This Inner Loop Header: Depth=1
	global_load_b128 v[9:12], v[2:3], off offset:-14
	v_add_co_u32 v0, vcc_lo, v0, s1
	v_add_co_ci_u32_e32 v1, vcc_lo, 0, v1, vcc_lo
	v_add_co_u32 v2, vcc_lo, v2, s2
	v_add_co_ci_u32_e32 v3, vcc_lo, 0, v3, vcc_lo
	s_delay_alu instid0(VALU_DEP_3) | instskip(NEXT) | instid1(VALU_DEP_1)
	v_lshlrev_b64 v[13:14], 3, v[0:1]
	v_cmp_le_i64_e32 vcc_lo, s[6:7], v[13:14]
	s_or_b32 s3, vcc_lo, s3
	s_waitcnt vmcnt(0)
	v_lshrrev_b32_e32 v6, 16, v9
	v_lshrrev_b32_e32 v13, 16, v10
	v_cvt_f32_f16_e32 v9, v9
	v_cvt_f32_f16_e32 v10, v10
	v_lshrrev_b32_e32 v14, 16, v11
	v_cvt_f32_f16_e32 v6, v6
	v_cvt_f32_f16_e32 v13, v13
	v_lshrrev_b32_e32 v15, 16, v12
	v_sub_f32_e32 v10, v10, v7
	v_sub_f32_e32 v9, v9, v7
	v_cvt_f32_f16_e32 v14, v14
	v_cvt_f32_f16_e32 v11, v11
	;; [unrolled: 1-line block ×3, first 2 shown]
	s_delay_alu instid0(VALU_DEP_4) | instskip(SKIP_1) | instid1(VALU_DEP_2)
	v_dual_mul_f32 v10, 0x3fb8aa3b, v10 :: v_dual_mul_f32 v9, 0x3fb8aa3b, v9
	v_cvt_f32_f16_e32 v15, v15
	v_exp_f32_e32 v10, v10
	s_delay_alu instid0(VALU_DEP_2)
	v_exp_f32_e32 v9, v9
	s_waitcnt lgkmcnt(0)
	s_waitcnt_depctr 0xfff
	v_dual_sub_f32 v14, v14, v7 :: v_dual_mul_f32 v9, v8, v9
	v_sub_f32_e32 v6, v6, v7
	v_sub_f32_e32 v13, v13, v7
	s_delay_alu instid0(VALU_DEP_1) | instskip(NEXT) | instid1(VALU_DEP_1)
	v_dual_sub_f32 v12, v12, v7 :: v_dual_mul_f32 v13, 0x3fb8aa3b, v13
	v_dual_sub_f32 v11, v11, v7 :: v_dual_mul_f32 v12, 0x3fb8aa3b, v12
	s_delay_alu instid0(VALU_DEP_2) | instskip(NEXT) | instid1(VALU_DEP_1)
	v_exp_f32_e32 v17, v13
	v_mul_f32_e32 v11, 0x3fb8aa3b, v11
	v_sub_f32_e32 v15, v15, v7
	s_delay_alu instid0(VALU_DEP_3) | instskip(NEXT) | instid1(VALU_DEP_2)
	v_exp_f32_e32 v12, v12
	v_exp_f32_e32 v16, v11
	v_mul_f32_e32 v11, 0x3fb8aa3b, v14
	v_mul_f32_e32 v6, 0x3fb8aa3b, v6
	;; [unrolled: 1-line block ×3, first 2 shown]
	s_delay_alu instid0(VALU_DEP_3) | instskip(SKIP_1) | instid1(VALU_DEP_3)
	v_exp_f32_e32 v18, v11
	v_mul_f32_e32 v11, v8, v10
	v_exp_f32_e32 v6, v6
	s_delay_alu instid0(VALU_DEP_2) | instskip(SKIP_3) | instid1(TRANS32_DEP_3)
	v_exp_f32_e32 v19, v14
	v_mul_f32_e32 v15, v8, v12
	v_mul_f32_e32 v12, v8, v17
	v_mul_f32_e32 v13, v8, v16
	v_mul_f32_e32 v14, v8, v18
	s_waitcnt_depctr 0xfff
	v_mul_f32_e32 v10, v8, v6
	v_mul_f32_e32 v16, v8, v19
	s_clause 0x1
	global_store_b128 v[4:5], v[9:12], off offset:-16
	global_store_b128 v[4:5], v[13:16], off
	v_add_co_u32 v4, s0, v4, s4
	s_delay_alu instid0(VALU_DEP_1)
	v_add_co_ci_u32_e64 v5, s0, 0, v5, s0
	s_and_not1_b32 exec_lo, exec_lo, s3
	s_cbranch_execnz .LBB456_22
.LBB456_23:
	s_nop 0
	s_sendmsg sendmsg(MSG_DEALLOC_VGPRS)
	s_endpgm
.LBB456_24:
	ds_load_b32 v2, v14
	s_or_b32 exec_lo, exec_lo, s1
	v_cmp_gt_u32_e64 s1, 32, v0
	s_delay_alu instid0(VALU_DEP_1)
	s_and_saveexec_b32 s4, s1
	s_cbranch_execz .LBB456_8
.LBB456_25:
	s_waitcnt lgkmcnt(0)
	ds_bpermute_b32 v3, v8, v2
	s_waitcnt lgkmcnt(0)
	v_cmp_lt_f32_e64 s3, v2, v3
	s_delay_alu instid0(VALU_DEP_1) | instskip(SKIP_3) | instid1(VALU_DEP_1)
	v_cndmask_b32_e64 v2, v2, v3, s3
	ds_bpermute_b32 v3, v9, v2
	s_waitcnt lgkmcnt(0)
	v_cmp_lt_f32_e64 s3, v2, v3
	v_cndmask_b32_e64 v2, v2, v3, s3
	ds_bpermute_b32 v3, v10, v2
	s_waitcnt lgkmcnt(0)
	v_cmp_lt_f32_e64 s3, v2, v3
	s_delay_alu instid0(VALU_DEP_1) | instskip(SKIP_3) | instid1(VALU_DEP_1)
	v_cndmask_b32_e64 v2, v2, v3, s3
	ds_bpermute_b32 v3, v11, v2
	s_waitcnt lgkmcnt(0)
	v_cmp_lt_f32_e64 s3, v2, v3
	v_cndmask_b32_e64 v2, v2, v3, s3
	ds_bpermute_b32 v3, v12, v2
	s_waitcnt lgkmcnt(0)
	v_cmp_lt_f32_e64 s3, v2, v3
	s_delay_alu instid0(VALU_DEP_1) | instskip(SKIP_2) | instid1(VALU_DEP_1)
	v_cndmask_b32_e64 v2, v2, v3, s3
	s_or_b32 exec_lo, exec_lo, s4
	v_cmp_eq_u32_e64 s3, 0, v0
	s_and_saveexec_b32 s4, s3
	s_cbranch_execnz .LBB456_9
	s_branch .LBB456_10
.LBB456_26:
	ds_load_b32 v2, v14
	s_or_b32 exec_lo, exec_lo, s4
	s_and_saveexec_b32 s0, s1
	s_cbranch_execz .LBB456_18
.LBB456_27:
	s_waitcnt lgkmcnt(0)
	ds_bpermute_b32 v3, v8, v2
	s_waitcnt lgkmcnt(0)
	v_add_f32_e32 v2, v2, v3
	ds_bpermute_b32 v3, v9, v2
	s_waitcnt lgkmcnt(0)
	v_add_f32_e32 v2, v2, v3
	;; [unrolled: 3-line block ×5, first 2 shown]
	s_or_b32 exec_lo, exec_lo, s0
	s_and_saveexec_b32 s0, s3
	s_cbranch_execnz .LBB456_19
	s_branch .LBB456_20
	.section	.rodata,"a",@progbits
	.p2align	6, 0x0
	.amdhsa_kernel _ZN2at6native12_GLOBAL__N_123cunn_SoftMaxForwardGmemILi8EN3c104HalfEffNS1_29SoftMaxForwardWithMulEpilogueElEEvPT2_PKT0_T4_
		.amdhsa_group_segment_fixed_size 0
		.amdhsa_private_segment_fixed_size 0
		.amdhsa_kernarg_size 280
		.amdhsa_user_sgpr_count 15
		.amdhsa_user_sgpr_dispatch_ptr 0
		.amdhsa_user_sgpr_queue_ptr 0
		.amdhsa_user_sgpr_kernarg_segment_ptr 1
		.amdhsa_user_sgpr_dispatch_id 0
		.amdhsa_user_sgpr_private_segment_size 0
		.amdhsa_wavefront_size32 1
		.amdhsa_uses_dynamic_stack 0
		.amdhsa_enable_private_segment 0
		.amdhsa_system_sgpr_workgroup_id_x 1
		.amdhsa_system_sgpr_workgroup_id_y 0
		.amdhsa_system_sgpr_workgroup_id_z 0
		.amdhsa_system_sgpr_workgroup_info 0
		.amdhsa_system_vgpr_workitem_id 0
		.amdhsa_next_free_vgpr 24
		.amdhsa_next_free_sgpr 20
		.amdhsa_reserve_vcc 1
		.amdhsa_float_round_mode_32 0
		.amdhsa_float_round_mode_16_64 0
		.amdhsa_float_denorm_mode_32 3
		.amdhsa_float_denorm_mode_16_64 3
		.amdhsa_dx10_clamp 1
		.amdhsa_ieee_mode 1
		.amdhsa_fp16_overflow 0
		.amdhsa_workgroup_processor_mode 1
		.amdhsa_memory_ordered 1
		.amdhsa_forward_progress 0
		.amdhsa_shared_vgpr_count 0
		.amdhsa_exception_fp_ieee_invalid_op 0
		.amdhsa_exception_fp_denorm_src 0
		.amdhsa_exception_fp_ieee_div_zero 0
		.amdhsa_exception_fp_ieee_overflow 0
		.amdhsa_exception_fp_ieee_underflow 0
		.amdhsa_exception_fp_ieee_inexact 0
		.amdhsa_exception_int_div_zero 0
	.end_amdhsa_kernel
	.section	.text._ZN2at6native12_GLOBAL__N_123cunn_SoftMaxForwardGmemILi8EN3c104HalfEffNS1_29SoftMaxForwardWithMulEpilogueElEEvPT2_PKT0_T4_,"axG",@progbits,_ZN2at6native12_GLOBAL__N_123cunn_SoftMaxForwardGmemILi8EN3c104HalfEffNS1_29SoftMaxForwardWithMulEpilogueElEEvPT2_PKT0_T4_,comdat
.Lfunc_end456:
	.size	_ZN2at6native12_GLOBAL__N_123cunn_SoftMaxForwardGmemILi8EN3c104HalfEffNS1_29SoftMaxForwardWithMulEpilogueElEEvPT2_PKT0_T4_, .Lfunc_end456-_ZN2at6native12_GLOBAL__N_123cunn_SoftMaxForwardGmemILi8EN3c104HalfEffNS1_29SoftMaxForwardWithMulEpilogueElEEvPT2_PKT0_T4_
                                        ; -- End function
	.section	.AMDGPU.csdata,"",@progbits
; Kernel info:
; codeLenInByte = 2384
; NumSgprs: 22
; NumVgprs: 24
; ScratchSize: 0
; MemoryBound: 0
; FloatMode: 240
; IeeeMode: 1
; LDSByteSize: 0 bytes/workgroup (compile time only)
; SGPRBlocks: 2
; VGPRBlocks: 2
; NumSGPRsForWavesPerEU: 22
; NumVGPRsForWavesPerEU: 24
; Occupancy: 16
; WaveLimiterHint : 0
; COMPUTE_PGM_RSRC2:SCRATCH_EN: 0
; COMPUTE_PGM_RSRC2:USER_SGPR: 15
; COMPUTE_PGM_RSRC2:TRAP_HANDLER: 0
; COMPUTE_PGM_RSRC2:TGID_X_EN: 1
; COMPUTE_PGM_RSRC2:TGID_Y_EN: 0
; COMPUTE_PGM_RSRC2:TGID_Z_EN: 0
; COMPUTE_PGM_RSRC2:TIDIG_COMP_CNT: 0
	.section	.text._ZN2at6native12_GLOBAL__N_123cunn_SoftMaxForwardFastILi8EN3c104HalfEffNS1_29SoftMaxForwardWithMulEpilogueEEEvPT2_PKT0_i,"axG",@progbits,_ZN2at6native12_GLOBAL__N_123cunn_SoftMaxForwardFastILi8EN3c104HalfEffNS1_29SoftMaxForwardWithMulEpilogueEEEvPT2_PKT0_i,comdat
	.globl	_ZN2at6native12_GLOBAL__N_123cunn_SoftMaxForwardFastILi8EN3c104HalfEffNS1_29SoftMaxForwardWithMulEpilogueEEEvPT2_PKT0_i ; -- Begin function _ZN2at6native12_GLOBAL__N_123cunn_SoftMaxForwardFastILi8EN3c104HalfEffNS1_29SoftMaxForwardWithMulEpilogueEEEvPT2_PKT0_i
	.p2align	8
	.type	_ZN2at6native12_GLOBAL__N_123cunn_SoftMaxForwardFastILi8EN3c104HalfEffNS1_29SoftMaxForwardWithMulEpilogueEEEvPT2_PKT0_i,@function
_ZN2at6native12_GLOBAL__N_123cunn_SoftMaxForwardFastILi8EN3c104HalfEffNS1_29SoftMaxForwardWithMulEpilogueEEEvPT2_PKT0_i: ; @_ZN2at6native12_GLOBAL__N_123cunn_SoftMaxForwardFastILi8EN3c104HalfEffNS1_29SoftMaxForwardWithMulEpilogueEEEvPT2_PKT0_i
; %bb.0:
	s_clause 0x1
	s_load_b32 s14, s[0:1], 0x10
	s_load_b128 s[8:11], s[0:1], 0x0
	s_mov_b32 s5, 0
	s_waitcnt lgkmcnt(0)
	s_ashr_i32 s2, s14, 31
	s_mul_hi_u32 s3, s14, s15
	s_mul_i32 s2, s2, s15
	s_mul_i32 s12, s14, s15
	s_add_i32 s13, s3, s2
	s_delay_alu instid0(SALU_CYCLE_1) | instskip(NEXT) | instid1(SALU_CYCLE_1)
	s_lshl_b64 s[2:3], s[12:13], 1
	s_add_u32 s6, s10, s2
	s_addc_u32 s7, s11, s3
	s_bfe_u32 s4, s6, 0x30001
	s_delay_alu instid0(SALU_CYCLE_1) | instskip(SKIP_2) | instid1(SALU_CYCLE_1)
	s_cmp_lg_u32 s4, 0
	v_cmp_le_u32_e64 s2, s4, v0
	s_cselect_b32 s19, -1, 0
	s_and_b32 vcc_lo, exec_lo, s19
	s_cbranch_vccz .LBB457_25
; %bb.1:
	s_lshl_b64 s[10:11], s[4:5], 1
	v_mov_b32_e32 v5, 0xff7fffff
	s_sub_u32 s16, s6, s10
	s_subb_u32 s17, s7, s11
	s_add_i32 s3, s4, s14
	s_delay_alu instid0(SALU_CYCLE_1) | instskip(SKIP_1) | instid1(SALU_CYCLE_1)
	v_cmp_gt_i32_e32 vcc_lo, s3, v0
	s_and_b32 s5, s2, vcc_lo
	s_and_saveexec_b32 s2, s5
	s_cbranch_execz .LBB457_3
; %bb.2:
	v_lshlrev_b32_e32 v1, 1, v0
	global_load_u16 v1, v1, s[16:17]
	s_waitcnt vmcnt(0)
	v_cvt_f32_f16_e32 v1, v1
	s_delay_alu instid0(VALU_DEP_1)
	v_max_f32_e32 v5, 0xff7fffff, v1
.LBB457_3:
	s_or_b32 exec_lo, exec_lo, s2
	s_load_b32 s2, s[0:1], 0x24
	s_add_u32 s10, s0, 24
	s_addc_u32 s11, s1, 0
	s_waitcnt lgkmcnt(0)
	s_and_b32 s2, s2, 0xffff
	s_delay_alu instid0(SALU_CYCLE_1) | instskip(SKIP_1) | instid1(SALU_CYCLE_1)
	v_sub_nc_u32_e64 v1, s3, s2 clamp
	s_lshl_b32 s2, s2, 1
	s_add_u32 s2, s16, s2
	s_addc_u32 s3, s17, 0
	s_delay_alu instid0(VALU_DEP_1)
	v_readfirstlane_b32 s5, v1
	s_branch .LBB457_5
.LBB457_4:
	v_mov_b32_e32 v5, 0xff7fffff
	s_add_u32 s10, s0, 24
	s_addc_u32 s11, s1, 0
	s_mov_b32 s5, s14
	s_mov_b64 s[2:3], s[6:7]
.LBB457_5:
	s_load_b32 s16, s[10:11], 0x0
	v_mov_b32_e32 v1, 0
	v_lshlrev_b32_e32 v11, 3, v0
	s_waitcnt lgkmcnt(0)
	s_cmp_lt_u32 s15, s16
	s_cselect_b32 s16, 12, 18
	s_delay_alu instid0(SALU_CYCLE_1) | instskip(SKIP_4) | instid1(VALU_DEP_1)
	s_add_u32 s10, s10, s16
	s_addc_u32 s11, s11, 0
	global_load_u16 v3, v1, s[10:11]
	s_waitcnt vmcnt(0)
	v_readfirstlane_b32 s10, v3
	s_lshl_b32 s10, s10, 3
	s_delay_alu instid0(SALU_CYCLE_1) | instskip(SKIP_1) | instid1(VALU_DEP_1)
	v_cvt_f32_u32_e32 v1, s10
	s_sub_i32 s16, 0, s10
	v_rcp_iflag_f32_e32 v1, v1
	s_waitcnt_depctr 0xfff
	v_mul_f32_e32 v1, 0x4f7ffffe, v1
	s_delay_alu instid0(VALU_DEP_1) | instskip(NEXT) | instid1(VALU_DEP_1)
	v_cvt_u32_f32_e32 v1, v1
	v_readfirstlane_b32 s11, v1
	s_delay_alu instid0(VALU_DEP_1) | instskip(NEXT) | instid1(SALU_CYCLE_1)
	s_mul_i32 s16, s16, s11
	s_mul_hi_u32 s16, s11, s16
	s_delay_alu instid0(SALU_CYCLE_1) | instskip(NEXT) | instid1(SALU_CYCLE_1)
	s_add_i32 s11, s11, s16
	s_mul_hi_u32 s11, s5, s11
	s_delay_alu instid0(SALU_CYCLE_1) | instskip(NEXT) | instid1(SALU_CYCLE_1)
	s_mul_i32 s11, s11, s10
	s_sub_i32 s11, s5, s11
	s_delay_alu instid0(SALU_CYCLE_1) | instskip(SKIP_2) | instid1(SALU_CYCLE_1)
	s_sub_i32 s16, s11, s10
	s_cmp_ge_u32 s11, s10
	s_cselect_b32 s11, s16, s11
	s_sub_i32 s16, s11, s10
	s_cmp_ge_u32 s11, s10
	s_cselect_b32 s10, s16, s11
	s_mov_b32 s16, 0
	s_sub_i32 s10, s5, s10
	s_mov_b32 s11, exec_lo
	v_cmpx_gt_i32_e64 s10, v11
	s_cbranch_execz .LBB457_9
; %bb.6:
	v_mov_b32_e32 v1, v0
	s_set_inst_prefetch_distance 0x1
	.p2align	6
.LBB457_7:                              ; =>This Inner Loop Header: Depth=1
	s_delay_alu instid0(VALU_DEP_1) | instskip(NEXT) | instid1(VALU_DEP_1)
	v_ashrrev_i32_e32 v2, 31, v1
	v_lshlrev_b64 v[6:7], 4, v[1:2]
	v_add_nc_u32_e32 v1, v1, v3
	s_delay_alu instid0(VALU_DEP_2) | instskip(NEXT) | instid1(VALU_DEP_3)
	v_add_co_u32 v6, vcc_lo, s2, v6
	v_add_co_ci_u32_e32 v7, vcc_lo, s3, v7, vcc_lo
	global_load_b128 v[6:9], v[6:7], off
	s_waitcnt vmcnt(0)
	v_lshrrev_b32_e32 v2, 16, v6
	v_lshrrev_b32_e32 v4, 16, v7
	v_cvt_f32_f16_e32 v6, v6
	v_lshrrev_b32_e32 v10, 16, v8
	v_cvt_f32_f16_e32 v7, v7
	v_cvt_f32_f16_e32 v2, v2
	;; [unrolled: 1-line block ×3, first 2 shown]
	s_delay_alu instid0(VALU_DEP_2) | instskip(SKIP_3) | instid1(VALU_DEP_4)
	v_max3_f32 v2, v5, v6, v2
	v_lshrrev_b32_e32 v5, 16, v9
	v_cvt_f32_f16_e32 v6, v8
	v_cvt_f32_f16_e32 v8, v10
	v_max3_f32 v2, v2, v7, v4
	v_lshlrev_b32_e32 v4, 3, v1
	v_cvt_f32_f16_e32 v7, v9
	v_cvt_f32_f16_e32 v5, v5
	s_delay_alu instid0(VALU_DEP_4) | instskip(NEXT) | instid1(VALU_DEP_4)
	v_max3_f32 v2, v2, v6, v8
	v_cmp_le_i32_e32 vcc_lo, s10, v4
	s_delay_alu instid0(VALU_DEP_2) | instskip(SKIP_1) | instid1(SALU_CYCLE_1)
	v_max3_f32 v5, v2, v7, v5
	s_or_b32 s16, vcc_lo, s16
	s_and_not1_b32 exec_lo, exec_lo, s16
	s_cbranch_execnz .LBB457_7
; %bb.8:
	s_set_inst_prefetch_distance 0x2
	s_or_b32 exec_lo, exec_lo, s16
.LBB457_9:
	s_delay_alu instid0(SALU_CYCLE_1) | instskip(SKIP_2) | instid1(VALU_DEP_1)
	s_or_b32 exec_lo, exec_lo, s11
	v_add_nc_u32_e32 v1, s10, v0
	s_mov_b32 s10, exec_lo
	v_cmpx_gt_i32_e64 s5, v1
	s_cbranch_execz .LBB457_13
; %bb.10:
	s_mov_b32 s11, 0
.LBB457_11:                             ; =>This Inner Loop Header: Depth=1
	v_ashrrev_i32_e32 v2, 31, v1
	s_delay_alu instid0(VALU_DEP_2) | instskip(NEXT) | instid1(VALU_DEP_2)
	v_max_f32_e32 v4, v5, v5
	v_lshlrev_b64 v[6:7], 1, v[1:2]
	v_add_nc_u32_e32 v1, v1, v3
	s_delay_alu instid0(VALU_DEP_2) | instskip(NEXT) | instid1(VALU_DEP_3)
	v_add_co_u32 v6, vcc_lo, s2, v6
	v_add_co_ci_u32_e32 v7, vcc_lo, s3, v7, vcc_lo
	s_delay_alu instid0(VALU_DEP_3) | instskip(SKIP_4) | instid1(VALU_DEP_1)
	v_cmp_le_i32_e32 vcc_lo, s5, v1
	global_load_u16 v2, v[6:7], off
	s_or_b32 s11, vcc_lo, s11
	s_waitcnt vmcnt(0)
	v_cvt_f32_f16_e32 v2, v2
	v_max_f32_e32 v5, v4, v2
	s_and_not1_b32 exec_lo, exec_lo, s11
	s_cbranch_execnz .LBB457_11
; %bb.12:
	s_or_b32 exec_lo, exec_lo, s11
.LBB457_13:
	s_delay_alu instid0(SALU_CYCLE_1)
	s_or_b32 exec_lo, exec_lo, s10
	v_mbcnt_lo_u32_b32 v1, -1, 0
	v_lshrrev_b32_e32 v9, 3, v0
	s_barrier
	buffer_gl0_inv
	v_cmp_gt_u32_e32 vcc_lo, 16, v1
	v_cndmask_b32_e64 v2, 0, 1, vcc_lo
	v_cmp_gt_u32_e32 vcc_lo, 24, v1
	s_delay_alu instid0(VALU_DEP_2) | instskip(SKIP_1) | instid1(VALU_DEP_2)
	v_lshlrev_b32_e32 v2, 4, v2
	v_cndmask_b32_e64 v4, 0, 1, vcc_lo
	v_add_lshl_u32 v3, v2, v1, 2
	s_delay_alu instid0(VALU_DEP_2)
	v_lshlrev_b32_e32 v4, 3, v4
	ds_bpermute_b32 v2, v3, v5
	v_add_lshl_u32 v4, v4, v1, 2
	s_waitcnt lgkmcnt(0)
	v_cmp_lt_f32_e32 vcc_lo, v5, v2
	v_cndmask_b32_e32 v2, v5, v2, vcc_lo
	v_cmp_gt_u32_e32 vcc_lo, 28, v1
	v_cndmask_b32_e64 v5, 0, 1, vcc_lo
	s_delay_alu instid0(VALU_DEP_1)
	v_lshlrev_b32_e32 v5, 2, v5
	ds_bpermute_b32 v6, v4, v2
	v_add_lshl_u32 v5, v5, v1, 2
	s_waitcnt lgkmcnt(0)
	v_cmp_lt_f32_e32 vcc_lo, v2, v6
	v_cndmask_b32_e32 v2, v2, v6, vcc_lo
	v_cmp_gt_u32_e32 vcc_lo, 30, v1
	ds_bpermute_b32 v7, v5, v2
	v_cndmask_b32_e64 v6, 0, 1, vcc_lo
	s_delay_alu instid0(VALU_DEP_1) | instskip(NEXT) | instid1(VALU_DEP_1)
	v_lshlrev_b32_e32 v6, 1, v6
	v_add_lshl_u32 v6, v6, v1, 2
	s_waitcnt lgkmcnt(0)
	v_cmp_lt_f32_e32 vcc_lo, v2, v7
	v_cndmask_b32_e32 v2, v2, v7, vcc_lo
	v_cmp_ne_u32_e32 vcc_lo, 31, v1
	ds_bpermute_b32 v7, v6, v2
	v_add_co_ci_u32_e32 v8, vcc_lo, 0, v1, vcc_lo
	s_waitcnt lgkmcnt(0)
	v_cmp_lt_f32_e32 vcc_lo, v2, v7
	v_cndmask_b32_e32 v1, v2, v7, vcc_lo
	s_delay_alu instid0(VALU_DEP_3) | instskip(SKIP_3) | instid1(VALU_DEP_1)
	v_lshlrev_b32_e32 v7, 2, v8
	v_and_b32_e32 v2, 31, v0
	ds_bpermute_b32 v8, v7, v1
	v_cmp_eq_u32_e64 s2, 0, v2
	s_and_saveexec_b32 s3, s2
	s_cbranch_execz .LBB457_15
; %bb.14:
	s_waitcnt lgkmcnt(0)
	v_cmp_lt_f32_e32 vcc_lo, v1, v8
	v_dual_cndmask_b32 v1, v1, v8 :: v_dual_add_nc_u32 v10, 0, v9
	ds_store_b32 v10, v1
.LBB457_15:
	s_or_b32 exec_lo, exec_lo, s3
	s_waitcnt lgkmcnt(0)
	s_barrier
	buffer_gl0_inv
	s_load_b32 s5, s[0:1], 0x24
	s_add_u32 s10, s0, 24
	s_addc_u32 s11, s1, 0
	v_mov_b32_e32 v1, 0xff7fffff
	v_lshl_add_u32 v10, v2, 2, 0
	s_waitcnt lgkmcnt(0)
	s_bfe_u32 s0, s5, 0xb0005
	s_delay_alu instid0(SALU_CYCLE_1) | instskip(NEXT) | instid1(VALU_DEP_1)
	v_cmp_gt_u32_e64 s0, s0, v0
	s_and_saveexec_b32 s1, s0
	s_cbranch_execnz .LBB457_23
; %bb.16:
	s_or_b32 exec_lo, exec_lo, s1
	v_cmp_gt_u32_e64 s1, 32, v0
	s_delay_alu instid0(VALU_DEP_1)
	s_and_saveexec_b32 s3, s1
	s_cbranch_execnz .LBB457_24
.LBB457_17:
	s_or_b32 exec_lo, exec_lo, s3
	v_cmp_eq_u32_e64 s3, 0, v0
	s_delay_alu instid0(VALU_DEP_1)
	s_and_saveexec_b32 s16, s3
	s_cbranch_execz .LBB457_19
.LBB457_18:
	v_mov_b32_e32 v2, 0
	s_waitcnt lgkmcnt(0)
	ds_store_b32 v2, v1
.LBB457_19:
	s_or_b32 exec_lo, exec_lo, s16
	v_mov_b32_e32 v12, 0
	s_waitcnt lgkmcnt(0)
	s_barrier
	buffer_gl0_inv
	s_and_b32 s18, s5, 0xffff
	ds_load_b32 v8, v12
	s_and_not1_b32 vcc_lo, exec_lo, s19
	s_mov_b32 s5, 0
	s_cbranch_vccnz .LBB457_26
; %bb.20:
	s_lshl_b64 s[16:17], s[4:5], 1
	v_cmp_le_u32_e32 vcc_lo, s4, v0
	s_sub_u32 s16, s6, s16
	s_subb_u32 s17, s7, s17
	s_add_i32 s5, s4, s14
	v_mov_b32_e32 v12, 0
	v_cmp_gt_i32_e64 s4, s5, v0
	s_delay_alu instid0(VALU_DEP_1) | instskip(NEXT) | instid1(SALU_CYCLE_1)
	s_and_b32 s19, vcc_lo, s4
	s_and_saveexec_b32 s4, s19
	s_cbranch_execz .LBB457_22
; %bb.21:
	v_lshlrev_b32_e32 v1, 1, v0
	global_load_u16 v1, v1, s[16:17]
	s_waitcnt vmcnt(0)
	v_cvt_f32_f16_e32 v1, v1
	s_waitcnt lgkmcnt(0)
	s_delay_alu instid0(VALU_DEP_1) | instskip(NEXT) | instid1(VALU_DEP_1)
	v_sub_f32_e32 v1, v1, v8
	v_mul_f32_e32 v1, 0x3fb8aa3b, v1
	s_delay_alu instid0(VALU_DEP_1)
	v_exp_f32_e32 v1, v1
	s_waitcnt_depctr 0xfff
	v_add_f32_e32 v12, 0, v1
.LBB457_22:
	s_or_b32 exec_lo, exec_lo, s4
	v_sub_nc_u32_e64 v1, s5, s18 clamp
	s_lshl_b32 s4, s18, 1
	s_delay_alu instid0(SALU_CYCLE_1) | instskip(SKIP_1) | instid1(VALU_DEP_1)
	s_add_u32 s4, s16, s4
	s_addc_u32 s5, s17, 0
	v_readfirstlane_b32 s19, v1
	s_branch .LBB457_27
.LBB457_23:
	ds_load_b32 v1, v10
	s_or_b32 exec_lo, exec_lo, s1
	v_cmp_gt_u32_e64 s1, 32, v0
	s_delay_alu instid0(VALU_DEP_1)
	s_and_saveexec_b32 s3, s1
	s_cbranch_execz .LBB457_17
.LBB457_24:
	s_waitcnt lgkmcnt(0)
	ds_bpermute_b32 v2, v3, v1
	s_waitcnt lgkmcnt(0)
	v_cmp_lt_f32_e32 vcc_lo, v1, v2
	v_cndmask_b32_e32 v1, v1, v2, vcc_lo
	ds_bpermute_b32 v2, v4, v1
	s_waitcnt lgkmcnt(0)
	v_cmp_lt_f32_e32 vcc_lo, v1, v2
	v_cndmask_b32_e32 v1, v1, v2, vcc_lo
	ds_bpermute_b32 v2, v5, v1
	s_waitcnt lgkmcnt(0)
	v_cmp_lt_f32_e32 vcc_lo, v1, v2
	v_cndmask_b32_e32 v1, v1, v2, vcc_lo
	ds_bpermute_b32 v2, v6, v1
	s_waitcnt lgkmcnt(0)
	v_cmp_lt_f32_e32 vcc_lo, v1, v2
	v_cndmask_b32_e32 v1, v1, v2, vcc_lo
	ds_bpermute_b32 v2, v7, v1
	s_waitcnt lgkmcnt(0)
	v_cmp_lt_f32_e32 vcc_lo, v1, v2
	v_cndmask_b32_e32 v1, v1, v2, vcc_lo
	s_or_b32 exec_lo, exec_lo, s3
	v_cmp_eq_u32_e64 s3, 0, v0
	s_delay_alu instid0(VALU_DEP_1)
	s_and_saveexec_b32 s16, s3
	s_cbranch_execnz .LBB457_18
	s_branch .LBB457_19
.LBB457_25:
                                        ; implicit-def: $sgpr2_sgpr3
                                        ; implicit-def: $sgpr5
                                        ; implicit-def: $vgpr5
                                        ; implicit-def: $sgpr10_sgpr11
	s_cbranch_execnz .LBB457_4
	s_branch .LBB457_5
.LBB457_26:
	s_mov_b64 s[4:5], s[6:7]
	s_mov_b32 s19, s14
.LBB457_27:
	s_load_b32 s16, s[10:11], 0x0
	v_mov_b32_e32 v1, 0
	s_waitcnt lgkmcnt(0)
	s_cmp_lt_u32 s15, s16
	s_cselect_b32 s15, 12, 18
	s_delay_alu instid0(SALU_CYCLE_1) | instskip(SKIP_4) | instid1(VALU_DEP_1)
	s_add_u32 s10, s10, s15
	s_addc_u32 s11, s11, 0
	global_load_u16 v13, v1, s[10:11]
	s_waitcnt vmcnt(0)
	v_readfirstlane_b32 s10, v13
	s_lshl_b32 s10, s10, 3
	s_delay_alu instid0(SALU_CYCLE_1) | instskip(SKIP_1) | instid1(VALU_DEP_1)
	v_cvt_f32_u32_e32 v1, s10
	s_sub_i32 s15, 0, s10
	v_rcp_iflag_f32_e32 v1, v1
	s_waitcnt_depctr 0xfff
	v_mul_f32_e32 v1, 0x4f7ffffe, v1
	s_delay_alu instid0(VALU_DEP_1) | instskip(NEXT) | instid1(VALU_DEP_1)
	v_cvt_u32_f32_e32 v1, v1
	v_readfirstlane_b32 s11, v1
	s_delay_alu instid0(VALU_DEP_1) | instskip(NEXT) | instid1(SALU_CYCLE_1)
	s_mul_i32 s15, s15, s11
	s_mul_hi_u32 s15, s11, s15
	s_delay_alu instid0(SALU_CYCLE_1) | instskip(NEXT) | instid1(SALU_CYCLE_1)
	s_add_i32 s11, s11, s15
	s_mul_hi_u32 s11, s19, s11
	s_delay_alu instid0(SALU_CYCLE_1) | instskip(NEXT) | instid1(SALU_CYCLE_1)
	s_mul_i32 s11, s11, s10
	s_sub_i32 s11, s19, s11
	s_delay_alu instid0(SALU_CYCLE_1) | instskip(SKIP_2) | instid1(SALU_CYCLE_1)
	s_sub_i32 s15, s11, s10
	s_cmp_ge_u32 s11, s10
	s_cselect_b32 s11, s15, s11
	s_sub_i32 s15, s11, s10
	s_cmp_ge_u32 s11, s10
	s_cselect_b32 s10, s15, s11
	s_mov_b32 s15, 0
	s_sub_i32 s10, s19, s10
	s_mov_b32 s11, exec_lo
	v_cmpx_gt_i32_e64 s10, v11
	s_cbranch_execz .LBB457_31
; %bb.28:
	v_mov_b32_e32 v1, v0
.LBB457_29:                             ; =>This Inner Loop Header: Depth=1
	s_delay_alu instid0(VALU_DEP_1) | instskip(NEXT) | instid1(VALU_DEP_1)
	v_ashrrev_i32_e32 v2, 31, v1
	v_lshlrev_b64 v[14:15], 4, v[1:2]
	v_add_nc_u32_e32 v1, v1, v13
	s_delay_alu instid0(VALU_DEP_2) | instskip(NEXT) | instid1(VALU_DEP_3)
	v_add_co_u32 v14, vcc_lo, s4, v14
	v_add_co_ci_u32_e32 v15, vcc_lo, s5, v15, vcc_lo
	global_load_b128 v[14:17], v[14:15], off
	s_waitcnt vmcnt(0)
	v_cvt_f32_f16_e32 v2, v14
	v_lshrrev_b32_e32 v11, 16, v14
	v_cvt_f32_f16_e32 v14, v15
	v_lshrrev_b32_e32 v15, 16, v15
	v_lshrrev_b32_e32 v18, 16, v16
	v_cvt_f32_f16_e32 v16, v16
	v_cvt_f32_f16_e32 v11, v11
	v_sub_f32_e32 v14, v14, v8
	v_cvt_f32_f16_e32 v15, v15
	v_cvt_f32_f16_e32 v18, v18
	v_lshrrev_b32_e32 v19, 16, v17
	s_delay_alu instid0(VALU_DEP_4) | instskip(SKIP_2) | instid1(VALU_DEP_3)
	v_dual_sub_f32 v11, v11, v8 :: v_dual_mul_f32 v14, 0x3fb8aa3b, v14
	v_sub_f32_e32 v2, v2, v8
	v_sub_f32_e32 v15, v15, v8
	v_mul_f32_e32 v11, 0x3fb8aa3b, v11
	s_delay_alu instid0(VALU_DEP_4) | instskip(NEXT) | instid1(VALU_DEP_2)
	v_exp_f32_e32 v14, v14
	v_dual_mul_f32 v2, 0x3fb8aa3b, v2 :: v_dual_mul_f32 v15, 0x3fb8aa3b, v15
	s_delay_alu instid0(VALU_DEP_2) | instskip(NEXT) | instid1(VALU_DEP_1)
	v_exp_f32_e32 v11, v11
	v_exp_f32_e32 v2, v2
	s_delay_alu instid0(VALU_DEP_1)
	v_exp_f32_e32 v15, v15
	s_waitcnt_depctr 0xfff
	v_add_f32_e32 v2, v12, v2
	v_cvt_f32_f16_e32 v12, v17
	v_sub_f32_e32 v17, v18, v8
	v_sub_f32_e32 v16, v16, v8
	s_delay_alu instid0(VALU_DEP_3) | instskip(NEXT) | instid1(VALU_DEP_2)
	v_dual_add_f32 v2, v2, v11 :: v_dual_sub_f32 v11, v12, v8
	v_dual_mul_f32 v17, 0x3fb8aa3b, v17 :: v_dual_mul_f32 v16, 0x3fb8aa3b, v16
	v_cvt_f32_f16_e32 v12, v19
	s_delay_alu instid0(VALU_DEP_3) | instskip(NEXT) | instid1(VALU_DEP_3)
	v_dual_add_f32 v2, v2, v14 :: v_dual_mul_f32 v11, 0x3fb8aa3b, v11
	v_exp_f32_e32 v14, v17
	s_delay_alu instid0(VALU_DEP_3) | instskip(NEXT) | instid1(VALU_DEP_2)
	v_exp_f32_e32 v16, v16
	v_sub_f32_e32 v12, v12, v8
	s_delay_alu instid0(VALU_DEP_2) | instskip(SKIP_1) | instid1(VALU_DEP_2)
	v_add_f32_e32 v2, v2, v15
	v_exp_f32_e32 v11, v11
	v_mul_f32_e32 v12, 0x3fb8aa3b, v12
	s_waitcnt_depctr 0xfff
	v_add_f32_e32 v2, v2, v16
	v_exp_f32_e32 v12, v12
	s_delay_alu instid0(VALU_DEP_1) | instskip(SKIP_1) | instid1(VALU_DEP_2)
	v_add_f32_e32 v2, v2, v14
	v_lshlrev_b32_e32 v14, 3, v1
	v_add_f32_e32 v2, v2, v11
	s_delay_alu instid0(VALU_DEP_2) | instskip(SKIP_3) | instid1(SALU_CYCLE_1)
	v_cmp_le_i32_e32 vcc_lo, s10, v14
	s_waitcnt_depctr 0xfff
	v_add_f32_e32 v12, v2, v12
	s_or_b32 s15, vcc_lo, s15
	s_and_not1_b32 exec_lo, exec_lo, s15
	s_cbranch_execnz .LBB457_29
; %bb.30:
	s_or_b32 exec_lo, exec_lo, s15
.LBB457_31:
	s_delay_alu instid0(SALU_CYCLE_1) | instskip(SKIP_2) | instid1(VALU_DEP_1)
	s_or_b32 exec_lo, exec_lo, s11
	v_add_nc_u32_e32 v1, s10, v0
	s_mov_b32 s10, exec_lo
	v_cmpx_gt_i32_e64 s19, v1
	s_cbranch_execz .LBB457_35
; %bb.32:
	s_mov_b32 s11, 0
	.p2align	6
.LBB457_33:                             ; =>This Inner Loop Header: Depth=1
	v_ashrrev_i32_e32 v2, 31, v1
	s_waitcnt_depctr 0xfff
	v_lshlrev_b64 v[14:15], 1, v[1:2]
	v_add_nc_u32_e32 v1, v1, v13
	s_delay_alu instid0(VALU_DEP_2) | instskip(NEXT) | instid1(VALU_DEP_3)
	v_add_co_u32 v14, vcc_lo, s4, v14
	v_add_co_ci_u32_e32 v15, vcc_lo, s5, v15, vcc_lo
	s_delay_alu instid0(VALU_DEP_3) | instskip(SKIP_4) | instid1(VALU_DEP_1)
	v_cmp_le_i32_e32 vcc_lo, s19, v1
	global_load_u16 v2, v[14:15], off
	s_or_b32 s11, vcc_lo, s11
	s_waitcnt vmcnt(0)
	v_cvt_f32_f16_e32 v2, v2
	v_sub_f32_e32 v2, v2, v8
	s_delay_alu instid0(VALU_DEP_1) | instskip(NEXT) | instid1(VALU_DEP_1)
	v_mul_f32_e32 v2, 0x3fb8aa3b, v2
	v_exp_f32_e32 v2, v2
	s_waitcnt_depctr 0xfff
	v_add_f32_e32 v12, v12, v2
	s_and_not1_b32 exec_lo, exec_lo, s11
	s_cbranch_execnz .LBB457_33
; %bb.34:
	s_or_b32 exec_lo, exec_lo, s11
.LBB457_35:
	s_delay_alu instid0(SALU_CYCLE_1)
	s_or_b32 exec_lo, exec_lo, s10
	ds_bpermute_b32 v1, v3, v12
	s_waitcnt lgkmcnt(0)
	s_barrier
	buffer_gl0_inv
	v_add_f32_e32 v1, v12, v1
	ds_bpermute_b32 v2, v4, v1
	s_waitcnt lgkmcnt(0)
	v_add_f32_e32 v1, v1, v2
	ds_bpermute_b32 v2, v5, v1
	s_waitcnt lgkmcnt(0)
	;; [unrolled: 3-line block ×3, first 2 shown]
	v_add_f32_e32 v1, v1, v2
	ds_bpermute_b32 v2, v7, v1
	s_and_saveexec_b32 s4, s2
	s_cbranch_execz .LBB457_37
; %bb.36:
	v_add_nc_u32_e32 v9, 0, v9
	s_waitcnt lgkmcnt(0)
	v_add_f32_e32 v1, v1, v2
	ds_store_b32 v9, v1
.LBB457_37:
	s_or_b32 exec_lo, exec_lo, s4
	v_mov_b32_e32 v1, 0
	s_waitcnt lgkmcnt(0)
	s_barrier
	buffer_gl0_inv
	s_and_saveexec_b32 s2, s0
	s_cbranch_execnz .LBB457_45
; %bb.38:
	s_or_b32 exec_lo, exec_lo, s2
	s_and_saveexec_b32 s0, s1
	s_cbranch_execnz .LBB457_46
.LBB457_39:
	s_or_b32 exec_lo, exec_lo, s0
	s_and_saveexec_b32 s0, s3
	s_cbranch_execz .LBB457_41
.LBB457_40:
	s_waitcnt lgkmcnt(0)
	v_div_scale_f32 v2, null, v1, v1, 1.0
	v_div_scale_f32 v5, vcc_lo, 1.0, v1, 1.0
	s_delay_alu instid0(VALU_DEP_2) | instskip(SKIP_2) | instid1(VALU_DEP_1)
	v_rcp_f32_e32 v3, v2
	s_waitcnt_depctr 0xfff
	v_fma_f32 v4, -v2, v3, 1.0
	v_fmac_f32_e32 v3, v4, v3
	s_delay_alu instid0(VALU_DEP_1) | instskip(NEXT) | instid1(VALU_DEP_1)
	v_mul_f32_e32 v4, v5, v3
	v_fma_f32 v6, -v2, v4, v5
	s_delay_alu instid0(VALU_DEP_1) | instskip(NEXT) | instid1(VALU_DEP_1)
	v_fmac_f32_e32 v4, v6, v3
	v_fma_f32 v2, -v2, v4, v5
	s_delay_alu instid0(VALU_DEP_1) | instskip(NEXT) | instid1(VALU_DEP_1)
	v_div_fmas_f32 v2, v2, v3, v4
	v_div_fixup_f32 v1, v2, v1, 1.0
	v_mov_b32_e32 v2, 0
	ds_store_b32 v2, v1
.LBB457_41:
	s_or_b32 exec_lo, exec_lo, s0
	s_waitcnt lgkmcnt(0)
	s_barrier
	buffer_gl0_inv
	s_mov_b32 s0, exec_lo
	v_cmpx_gt_i32_e64 s14, v0
	s_cbranch_execz .LBB457_44
; %bb.42:
	v_mov_b32_e32 v1, 0
	s_lshl_b64 s[2:3], s[12:13], 2
	s_mov_b32 s1, 0
	s_add_u32 s2, s8, s2
	s_addc_u32 s3, s9, s3
	ds_load_b32 v2, v1
	.p2align	6
.LBB457_43:                             ; =>This Inner Loop Header: Depth=1
	v_ashrrev_i32_e32 v1, 31, v0
	s_delay_alu instid0(VALU_DEP_1) | instskip(NEXT) | instid1(VALU_DEP_1)
	v_lshlrev_b64 v[3:4], 1, v[0:1]
	v_add_co_u32 v3, vcc_lo, s6, v3
	s_delay_alu instid0(VALU_DEP_2) | instskip(SKIP_3) | instid1(VALU_DEP_1)
	v_add_co_ci_u32_e32 v4, vcc_lo, s7, v4, vcc_lo
	global_load_u16 v3, v[3:4], off
	s_waitcnt vmcnt(0)
	v_cvt_f32_f16_e32 v3, v3
	v_sub_f32_e32 v3, v3, v8
	s_delay_alu instid0(VALU_DEP_1) | instskip(NEXT) | instid1(VALU_DEP_1)
	v_mul_f32_e32 v3, 0x3fb8aa3b, v3
	v_exp_f32_e32 v5, v3
	v_lshlrev_b64 v[3:4], 2, v[0:1]
	v_add_nc_u32_e32 v0, s18, v0
	s_delay_alu instid0(VALU_DEP_1) | instskip(NEXT) | instid1(VALU_DEP_3)
	v_cmp_le_i32_e32 vcc_lo, s14, v0
	v_add_co_u32 v3, s0, s2, v3
	s_waitcnt lgkmcnt(0)
	s_waitcnt_depctr 0xfff
	v_mul_f32_e32 v1, v2, v5
	v_add_co_ci_u32_e64 v4, s0, s3, v4, s0
	s_or_b32 s1, vcc_lo, s1
	global_store_b32 v[3:4], v1, off
	s_and_not1_b32 exec_lo, exec_lo, s1
	s_cbranch_execnz .LBB457_43
.LBB457_44:
	s_nop 0
	s_sendmsg sendmsg(MSG_DEALLOC_VGPRS)
	s_endpgm
.LBB457_45:
	ds_load_b32 v1, v10
	s_or_b32 exec_lo, exec_lo, s2
	s_and_saveexec_b32 s0, s1
	s_cbranch_execz .LBB457_39
.LBB457_46:
	s_waitcnt lgkmcnt(0)
	ds_bpermute_b32 v2, v3, v1
	s_waitcnt lgkmcnt(0)
	v_add_f32_e32 v1, v1, v2
	ds_bpermute_b32 v2, v4, v1
	s_waitcnt lgkmcnt(0)
	v_add_f32_e32 v1, v1, v2
	;; [unrolled: 3-line block ×5, first 2 shown]
	s_or_b32 exec_lo, exec_lo, s0
	s_and_saveexec_b32 s0, s3
	s_cbranch_execnz .LBB457_40
	s_branch .LBB457_41
	.section	.rodata,"a",@progbits
	.p2align	6, 0x0
	.amdhsa_kernel _ZN2at6native12_GLOBAL__N_123cunn_SoftMaxForwardFastILi8EN3c104HalfEffNS1_29SoftMaxForwardWithMulEpilogueEEEvPT2_PKT0_i
		.amdhsa_group_segment_fixed_size 0
		.amdhsa_private_segment_fixed_size 0
		.amdhsa_kernarg_size 280
		.amdhsa_user_sgpr_count 15
		.amdhsa_user_sgpr_dispatch_ptr 0
		.amdhsa_user_sgpr_queue_ptr 0
		.amdhsa_user_sgpr_kernarg_segment_ptr 1
		.amdhsa_user_sgpr_dispatch_id 0
		.amdhsa_user_sgpr_private_segment_size 0
		.amdhsa_wavefront_size32 1
		.amdhsa_uses_dynamic_stack 0
		.amdhsa_enable_private_segment 0
		.amdhsa_system_sgpr_workgroup_id_x 1
		.amdhsa_system_sgpr_workgroup_id_y 0
		.amdhsa_system_sgpr_workgroup_id_z 0
		.amdhsa_system_sgpr_workgroup_info 0
		.amdhsa_system_vgpr_workitem_id 0
		.amdhsa_next_free_vgpr 20
		.amdhsa_next_free_sgpr 20
		.amdhsa_reserve_vcc 1
		.amdhsa_float_round_mode_32 0
		.amdhsa_float_round_mode_16_64 0
		.amdhsa_float_denorm_mode_32 3
		.amdhsa_float_denorm_mode_16_64 3
		.amdhsa_dx10_clamp 1
		.amdhsa_ieee_mode 1
		.amdhsa_fp16_overflow 0
		.amdhsa_workgroup_processor_mode 1
		.amdhsa_memory_ordered 1
		.amdhsa_forward_progress 0
		.amdhsa_shared_vgpr_count 0
		.amdhsa_exception_fp_ieee_invalid_op 0
		.amdhsa_exception_fp_denorm_src 0
		.amdhsa_exception_fp_ieee_div_zero 0
		.amdhsa_exception_fp_ieee_overflow 0
		.amdhsa_exception_fp_ieee_underflow 0
		.amdhsa_exception_fp_ieee_inexact 0
		.amdhsa_exception_int_div_zero 0
	.end_amdhsa_kernel
	.section	.text._ZN2at6native12_GLOBAL__N_123cunn_SoftMaxForwardFastILi8EN3c104HalfEffNS1_29SoftMaxForwardWithMulEpilogueEEEvPT2_PKT0_i,"axG",@progbits,_ZN2at6native12_GLOBAL__N_123cunn_SoftMaxForwardFastILi8EN3c104HalfEffNS1_29SoftMaxForwardWithMulEpilogueEEEvPT2_PKT0_i,comdat
.Lfunc_end457:
	.size	_ZN2at6native12_GLOBAL__N_123cunn_SoftMaxForwardFastILi8EN3c104HalfEffNS1_29SoftMaxForwardWithMulEpilogueEEEvPT2_PKT0_i, .Lfunc_end457-_ZN2at6native12_GLOBAL__N_123cunn_SoftMaxForwardFastILi8EN3c104HalfEffNS1_29SoftMaxForwardWithMulEpilogueEEEvPT2_PKT0_i
                                        ; -- End function
	.section	.AMDGPU.csdata,"",@progbits
; Kernel info:
; codeLenInByte = 2824
; NumSgprs: 22
; NumVgprs: 20
; ScratchSize: 0
; MemoryBound: 0
; FloatMode: 240
; IeeeMode: 1
; LDSByteSize: 0 bytes/workgroup (compile time only)
; SGPRBlocks: 2
; VGPRBlocks: 2
; NumSGPRsForWavesPerEU: 22
; NumVGPRsForWavesPerEU: 20
; Occupancy: 16
; WaveLimiterHint : 0
; COMPUTE_PGM_RSRC2:SCRATCH_EN: 0
; COMPUTE_PGM_RSRC2:USER_SGPR: 15
; COMPUTE_PGM_RSRC2:TRAP_HANDLER: 0
; COMPUTE_PGM_RSRC2:TGID_X_EN: 1
; COMPUTE_PGM_RSRC2:TGID_Y_EN: 0
; COMPUTE_PGM_RSRC2:TGID_Z_EN: 0
; COMPUTE_PGM_RSRC2:TIDIG_COMP_CNT: 0
	.section	.text._ZN12_GLOBAL__N_120softmax_warp_forwardIN3c108BFloat16ES2_fLi0ELb0ELb0ELi64EEEvPT0_PKT_iiiPKbib,"axG",@progbits,_ZN12_GLOBAL__N_120softmax_warp_forwardIN3c108BFloat16ES2_fLi0ELb0ELb0ELi64EEEvPT0_PKT_iiiPKbib,comdat
	.globl	_ZN12_GLOBAL__N_120softmax_warp_forwardIN3c108BFloat16ES2_fLi0ELb0ELb0ELi64EEEvPT0_PKT_iiiPKbib ; -- Begin function _ZN12_GLOBAL__N_120softmax_warp_forwardIN3c108BFloat16ES2_fLi0ELb0ELb0ELi64EEEvPT0_PKT_iiiPKbib
	.p2align	8
	.type	_ZN12_GLOBAL__N_120softmax_warp_forwardIN3c108BFloat16ES2_fLi0ELb0ELb0ELi64EEEvPT0_PKT_iiiPKbib,@function
_ZN12_GLOBAL__N_120softmax_warp_forwardIN3c108BFloat16ES2_fLi0ELb0ELb0ELi64EEEvPT0_PKT_iiiPKbib: ; @_ZN12_GLOBAL__N_120softmax_warp_forwardIN3c108BFloat16ES2_fLi0ELb0ELb0ELi64EEEvPT0_PKT_iiiPKbib
; %bb.0:
	s_clause 0x1
	s_load_b32 s2, s[0:1], 0x3c
	s_load_b256 s[4:11], s[0:1], 0x0
	v_bfe_u32 v1, v0, 10, 10
	v_and_b32_e32 v2, 0x3ff, v0
	v_dual_mov_b32 v5, 0xff800000 :: v_dual_mov_b32 v6, 0xff800000
	s_waitcnt lgkmcnt(0)
	s_lshr_b32 s0, s2, 16
	s_delay_alu instid0(SALU_CYCLE_1) | instskip(SKIP_2) | instid1(VALU_DEP_1)
	s_mul_i32 s15, s15, s0
	v_cmp_gt_i32_e64 s0, s10, v2
	v_add_lshl_u32 v3, s15, v1, 1
	v_mad_u64_u32 v[0:1], null, v3, s9, v[2:3]
	v_sub_nc_u32_e32 v4, s8, v3
	s_delay_alu instid0(VALU_DEP_1) | instskip(NEXT) | instid1(VALU_DEP_3)
	v_cmp_lt_i32_e32 vcc_lo, 0, v4
	v_ashrrev_i32_e32 v1, 31, v0
	s_and_b32 s2, s0, vcc_lo
	s_delay_alu instid0(VALU_DEP_1) | instskip(NEXT) | instid1(VALU_DEP_1)
	v_lshlrev_b64 v[0:1], 1, v[0:1]
	v_add_co_u32 v2, s1, s6, v0
	s_delay_alu instid0(VALU_DEP_1)
	v_add_co_ci_u32_e64 v3, s1, s7, v1, s1
	s_and_saveexec_b32 s1, s2
	s_cbranch_execz .LBB458_2
; %bb.1:
	global_load_u16 v6, v[2:3], off
	s_waitcnt vmcnt(0)
	v_lshlrev_b32_e32 v6, 16, v6
.LBB458_2:
	s_or_b32 exec_lo, exec_lo, s1
	v_cmp_lt_i32_e64 s1, 1, v4
	s_delay_alu instid0(VALU_DEP_1) | instskip(NEXT) | instid1(SALU_CYCLE_1)
	s_and_b32 s1, s0, s1
	s_and_saveexec_b32 s2, s1
	s_cbranch_execz .LBB458_4
; %bb.3:
	s_mov_b32 s11, 0
	s_delay_alu instid0(SALU_CYCLE_1) | instskip(NEXT) | instid1(SALU_CYCLE_1)
	s_lshl_b64 s[6:7], s[10:11], 1
	v_add_co_u32 v2, s1, v2, s6
	s_delay_alu instid0(VALU_DEP_1)
	v_add_co_ci_u32_e64 v3, s1, s7, v3, s1
	global_load_u16 v2, v[2:3], off
	s_waitcnt vmcnt(0)
	v_lshlrev_b32_e32 v5, 16, v2
.LBB458_4:
	s_or_b32 exec_lo, exec_lo, s2
	s_and_saveexec_b32 s1, vcc_lo
	s_cbranch_execz .LBB458_12
; %bb.5:
	v_add_co_u32 v0, vcc_lo, s4, v0
	v_add_co_ci_u32_e32 v1, vcc_lo, s5, v1, vcc_lo
	s_and_saveexec_b32 s1, s0
	s_cbranch_execz .LBB458_9
; %bb.6:
	v_sub_f32_e32 v2, v6, v6
	s_mov_b32 s2, exec_lo
	s_delay_alu instid0(VALU_DEP_1) | instskip(NEXT) | instid1(VALU_DEP_1)
	v_mul_f32_e32 v3, 0x3fb8aa3b, v2
	v_rndne_f32_e32 v6, v3
	v_fma_f32 v7, 0x3fb8aa3b, v2, -v3
	s_delay_alu instid0(VALU_DEP_2) | instskip(NEXT) | instid1(VALU_DEP_2)
	v_sub_f32_e32 v3, v3, v6
	v_fmamk_f32 v7, v2, 0x32a5705f, v7
	v_cvt_i32_f32_e32 v6, v6
	s_delay_alu instid0(VALU_DEP_2) | instskip(SKIP_1) | instid1(VALU_DEP_2)
	v_add_f32_e32 v3, v3, v7
	v_cmp_ngt_f32_e32 vcc_lo, 0xc2ce8ed0, v2
	v_exp_f32_e32 v3, v3
	s_waitcnt_depctr 0xfff
	v_ldexp_f32 v3, v3, v6
	s_delay_alu instid0(VALU_DEP_1) | instskip(SKIP_1) | instid1(VALU_DEP_2)
	v_cndmask_b32_e32 v3, 0, v3, vcc_lo
	v_cmp_nlt_f32_e32 vcc_lo, 0x42b17218, v2
	v_cndmask_b32_e32 v2, 0x7f800000, v3, vcc_lo
	v_mov_b32_e32 v3, 0x7fc0
	s_delay_alu instid0(VALU_DEP_2)
	v_cmpx_neq_f32_e32 0, v2
	s_cbranch_execz .LBB458_8
; %bb.7:
	v_div_scale_f32 v3, vcc_lo, v2, v2, v2
	s_delay_alu instid0(VALU_DEP_1) | instskip(SKIP_2) | instid1(VALU_DEP_1)
	v_rcp_f32_e32 v6, v3
	s_waitcnt_depctr 0xfff
	v_fma_f32 v7, -v3, v6, 1.0
	v_fmac_f32_e32 v6, v7, v6
	s_delay_alu instid0(VALU_DEP_1) | instskip(NEXT) | instid1(VALU_DEP_1)
	v_mul_f32_e32 v7, v3, v6
	v_fma_f32 v8, -v3, v7, v3
	s_delay_alu instid0(VALU_DEP_1) | instskip(NEXT) | instid1(VALU_DEP_1)
	v_fmac_f32_e32 v7, v8, v6
	v_fma_f32 v3, -v3, v7, v3
	s_delay_alu instid0(VALU_DEP_1) | instskip(NEXT) | instid1(VALU_DEP_1)
	v_div_fmas_f32 v3, v3, v6, v7
	v_div_fixup_f32 v2, v3, v2, v2
	s_delay_alu instid0(VALU_DEP_1) | instskip(SKIP_1) | instid1(VALU_DEP_2)
	v_bfe_u32 v3, v2, 16, 1
	v_cmp_o_f32_e32 vcc_lo, v2, v2
	v_add3_u32 v3, v2, v3, 0x7fff
	s_delay_alu instid0(VALU_DEP_1) | instskip(NEXT) | instid1(VALU_DEP_1)
	v_lshrrev_b32_e32 v3, 16, v3
	v_cndmask_b32_e32 v3, 0x7fc0, v3, vcc_lo
.LBB458_8:
	s_or_b32 exec_lo, exec_lo, s2
	global_store_b16 v[0:1], v3, off
.LBB458_9:
	s_or_b32 exec_lo, exec_lo, s1
	v_cmp_ne_u32_e32 vcc_lo, 1, v4
	s_and_b32 exec_lo, exec_lo, vcc_lo
	s_cbranch_execz .LBB458_12
; %bb.10:
	s_and_b32 exec_lo, exec_lo, s0
	s_cbranch_execz .LBB458_12
; %bb.11:
	v_sub_f32_e32 v2, v5, v5
	s_mov_b32 s11, 0
	s_delay_alu instid0(SALU_CYCLE_1) | instskip(NEXT) | instid1(SALU_CYCLE_1)
	s_lshl_b64 s[2:3], s[10:11], 1
	v_add_co_u32 v0, s1, v0, s2
	s_delay_alu instid0(VALU_DEP_2) | instskip(SKIP_1) | instid1(VALU_DEP_2)
	v_mul_f32_e32 v3, 0x3fb8aa3b, v2
	v_add_co_ci_u32_e64 v1, s1, s3, v1, s1
	v_rndne_f32_e32 v4, v3
	v_fma_f32 v5, 0x3fb8aa3b, v2, -v3
	s_delay_alu instid0(VALU_DEP_2) | instskip(NEXT) | instid1(VALU_DEP_2)
	v_sub_f32_e32 v3, v3, v4
	v_fmamk_f32 v5, v2, 0x32a5705f, v5
	v_cvt_i32_f32_e32 v4, v4
	v_cmp_ngt_f32_e32 vcc_lo, 0xc2ce8ed0, v2
	s_delay_alu instid0(VALU_DEP_3) | instskip(NEXT) | instid1(VALU_DEP_1)
	v_add_f32_e32 v3, v3, v5
	v_exp_f32_e32 v3, v3
	s_waitcnt_depctr 0xfff
	v_ldexp_f32 v3, v3, v4
	s_delay_alu instid0(VALU_DEP_1) | instskip(SKIP_1) | instid1(VALU_DEP_2)
	v_cndmask_b32_e32 v3, 0, v3, vcc_lo
	v_cmp_nlt_f32_e32 vcc_lo, 0x42b17218, v2
	v_cndmask_b32_e32 v2, 0x7f800000, v3, vcc_lo
	s_delay_alu instid0(VALU_DEP_1) | instskip(NEXT) | instid1(VALU_DEP_1)
	v_div_scale_f32 v3, vcc_lo, v2, v2, v2
	v_rcp_f32_e32 v4, v3
	s_waitcnt_depctr 0xfff
	v_fma_f32 v5, -v3, v4, 1.0
	s_delay_alu instid0(VALU_DEP_1) | instskip(NEXT) | instid1(VALU_DEP_1)
	v_fmac_f32_e32 v4, v5, v4
	v_mul_f32_e32 v5, v3, v4
	s_delay_alu instid0(VALU_DEP_1) | instskip(NEXT) | instid1(VALU_DEP_1)
	v_fma_f32 v6, -v3, v5, v3
	v_fmac_f32_e32 v5, v6, v4
	s_delay_alu instid0(VALU_DEP_1) | instskip(NEXT) | instid1(VALU_DEP_1)
	v_fma_f32 v3, -v3, v5, v3
	v_div_fmas_f32 v3, v3, v4, v5
	v_cmp_eq_f32_e32 vcc_lo, 0, v2
	s_delay_alu instid0(VALU_DEP_2) | instskip(NEXT) | instid1(VALU_DEP_1)
	v_div_fixup_f32 v3, v3, v2, v2
	v_bfe_u32 v4, v3, 16, 1
	v_cmp_u_f32_e64 s0, v3, v3
	s_delay_alu instid0(VALU_DEP_2) | instskip(NEXT) | instid1(VALU_DEP_2)
	v_add3_u32 v4, v3, v4, 0x7fff
	s_or_b32 s0, vcc_lo, s0
	s_delay_alu instid0(VALU_DEP_1) | instskip(NEXT) | instid1(VALU_DEP_1)
	v_lshrrev_b32_e32 v2, 16, v4
	v_cndmask_b32_e64 v2, v2, 0x7fc0, s0
	global_store_b16 v[0:1], v2, off
.LBB458_12:
	s_nop 0
	s_sendmsg sendmsg(MSG_DEALLOC_VGPRS)
	s_endpgm
	.section	.rodata,"a",@progbits
	.p2align	6, 0x0
	.amdhsa_kernel _ZN12_GLOBAL__N_120softmax_warp_forwardIN3c108BFloat16ES2_fLi0ELb0ELb0ELi64EEEvPT0_PKT_iiiPKbib
		.amdhsa_group_segment_fixed_size 0
		.amdhsa_private_segment_fixed_size 0
		.amdhsa_kernarg_size 304
		.amdhsa_user_sgpr_count 15
		.amdhsa_user_sgpr_dispatch_ptr 0
		.amdhsa_user_sgpr_queue_ptr 0
		.amdhsa_user_sgpr_kernarg_segment_ptr 1
		.amdhsa_user_sgpr_dispatch_id 0
		.amdhsa_user_sgpr_private_segment_size 0
		.amdhsa_wavefront_size32 1
		.amdhsa_uses_dynamic_stack 0
		.amdhsa_enable_private_segment 0
		.amdhsa_system_sgpr_workgroup_id_x 1
		.amdhsa_system_sgpr_workgroup_id_y 0
		.amdhsa_system_sgpr_workgroup_id_z 0
		.amdhsa_system_sgpr_workgroup_info 0
		.amdhsa_system_vgpr_workitem_id 1
		.amdhsa_next_free_vgpr 9
		.amdhsa_next_free_sgpr 16
		.amdhsa_reserve_vcc 1
		.amdhsa_float_round_mode_32 0
		.amdhsa_float_round_mode_16_64 0
		.amdhsa_float_denorm_mode_32 3
		.amdhsa_float_denorm_mode_16_64 3
		.amdhsa_dx10_clamp 1
		.amdhsa_ieee_mode 1
		.amdhsa_fp16_overflow 0
		.amdhsa_workgroup_processor_mode 1
		.amdhsa_memory_ordered 1
		.amdhsa_forward_progress 0
		.amdhsa_shared_vgpr_count 0
		.amdhsa_exception_fp_ieee_invalid_op 0
		.amdhsa_exception_fp_denorm_src 0
		.amdhsa_exception_fp_ieee_div_zero 0
		.amdhsa_exception_fp_ieee_overflow 0
		.amdhsa_exception_fp_ieee_underflow 0
		.amdhsa_exception_fp_ieee_inexact 0
		.amdhsa_exception_int_div_zero 0
	.end_amdhsa_kernel
	.section	.text._ZN12_GLOBAL__N_120softmax_warp_forwardIN3c108BFloat16ES2_fLi0ELb0ELb0ELi64EEEvPT0_PKT_iiiPKbib,"axG",@progbits,_ZN12_GLOBAL__N_120softmax_warp_forwardIN3c108BFloat16ES2_fLi0ELb0ELb0ELi64EEEvPT0_PKT_iiiPKbib,comdat
.Lfunc_end458:
	.size	_ZN12_GLOBAL__N_120softmax_warp_forwardIN3c108BFloat16ES2_fLi0ELb0ELb0ELi64EEEvPT0_PKT_iiiPKbib, .Lfunc_end458-_ZN12_GLOBAL__N_120softmax_warp_forwardIN3c108BFloat16ES2_fLi0ELb0ELb0ELi64EEEvPT0_PKT_iiiPKbib
                                        ; -- End function
	.section	.AMDGPU.csdata,"",@progbits
; Kernel info:
; codeLenInByte = 872
; NumSgprs: 18
; NumVgprs: 9
; ScratchSize: 0
; MemoryBound: 0
; FloatMode: 240
; IeeeMode: 1
; LDSByteSize: 0 bytes/workgroup (compile time only)
; SGPRBlocks: 2
; VGPRBlocks: 1
; NumSGPRsForWavesPerEU: 18
; NumVGPRsForWavesPerEU: 9
; Occupancy: 16
; WaveLimiterHint : 0
; COMPUTE_PGM_RSRC2:SCRATCH_EN: 0
; COMPUTE_PGM_RSRC2:USER_SGPR: 15
; COMPUTE_PGM_RSRC2:TRAP_HANDLER: 0
; COMPUTE_PGM_RSRC2:TGID_X_EN: 1
; COMPUTE_PGM_RSRC2:TGID_Y_EN: 0
; COMPUTE_PGM_RSRC2:TGID_Z_EN: 0
; COMPUTE_PGM_RSRC2:TIDIG_COMP_CNT: 1
	.section	.text._ZN12_GLOBAL__N_120softmax_warp_forwardIN3c108BFloat16ES2_fLi0ELb0ELb0ELi32EEEvPT0_PKT_iiiPKbib,"axG",@progbits,_ZN12_GLOBAL__N_120softmax_warp_forwardIN3c108BFloat16ES2_fLi0ELb0ELb0ELi32EEEvPT0_PKT_iiiPKbib,comdat
	.globl	_ZN12_GLOBAL__N_120softmax_warp_forwardIN3c108BFloat16ES2_fLi0ELb0ELb0ELi32EEEvPT0_PKT_iiiPKbib ; -- Begin function _ZN12_GLOBAL__N_120softmax_warp_forwardIN3c108BFloat16ES2_fLi0ELb0ELb0ELi32EEEvPT0_PKT_iiiPKbib
	.p2align	8
	.type	_ZN12_GLOBAL__N_120softmax_warp_forwardIN3c108BFloat16ES2_fLi0ELb0ELb0ELi32EEEvPT0_PKT_iiiPKbib,@function
_ZN12_GLOBAL__N_120softmax_warp_forwardIN3c108BFloat16ES2_fLi0ELb0ELb0ELi32EEEvPT0_PKT_iiiPKbib: ; @_ZN12_GLOBAL__N_120softmax_warp_forwardIN3c108BFloat16ES2_fLi0ELb0ELb0ELi32EEEvPT0_PKT_iiiPKbib
; %bb.0:
	s_clause 0x1
	s_load_b32 s2, s[0:1], 0x3c
	s_load_b256 s[4:11], s[0:1], 0x0
	v_bfe_u32 v1, v0, 10, 10
	v_and_b32_e32 v2, 0x3ff, v0
	v_dual_mov_b32 v5, 0xff800000 :: v_dual_mov_b32 v6, 0xff800000
	s_waitcnt lgkmcnt(0)
	s_lshr_b32 s0, s2, 16
	s_delay_alu instid0(SALU_CYCLE_1) | instskip(SKIP_2) | instid1(VALU_DEP_1)
	s_mul_i32 s15, s15, s0
	v_cmp_gt_i32_e64 s0, s10, v2
	v_add_lshl_u32 v3, s15, v1, 1
	v_mad_u64_u32 v[0:1], null, v3, s9, v[2:3]
	v_sub_nc_u32_e32 v4, s8, v3
	s_delay_alu instid0(VALU_DEP_1) | instskip(NEXT) | instid1(VALU_DEP_3)
	v_cmp_lt_i32_e32 vcc_lo, 0, v4
	v_ashrrev_i32_e32 v1, 31, v0
	s_and_b32 s2, s0, vcc_lo
	s_delay_alu instid0(VALU_DEP_1) | instskip(NEXT) | instid1(VALU_DEP_1)
	v_lshlrev_b64 v[0:1], 1, v[0:1]
	v_add_co_u32 v2, s1, s6, v0
	s_delay_alu instid0(VALU_DEP_1)
	v_add_co_ci_u32_e64 v3, s1, s7, v1, s1
	s_and_saveexec_b32 s1, s2
	s_cbranch_execz .LBB459_2
; %bb.1:
	global_load_u16 v6, v[2:3], off
	s_waitcnt vmcnt(0)
	v_lshlrev_b32_e32 v6, 16, v6
.LBB459_2:
	s_or_b32 exec_lo, exec_lo, s1
	v_cmp_lt_i32_e64 s1, 1, v4
	s_delay_alu instid0(VALU_DEP_1) | instskip(NEXT) | instid1(SALU_CYCLE_1)
	s_and_b32 s1, s0, s1
	s_and_saveexec_b32 s2, s1
	s_cbranch_execz .LBB459_4
; %bb.3:
	s_mov_b32 s11, 0
	s_delay_alu instid0(SALU_CYCLE_1) | instskip(NEXT) | instid1(SALU_CYCLE_1)
	s_lshl_b64 s[6:7], s[10:11], 1
	v_add_co_u32 v2, s1, v2, s6
	s_delay_alu instid0(VALU_DEP_1)
	v_add_co_ci_u32_e64 v3, s1, s7, v3, s1
	global_load_u16 v2, v[2:3], off
	s_waitcnt vmcnt(0)
	v_lshlrev_b32_e32 v5, 16, v2
.LBB459_4:
	s_or_b32 exec_lo, exec_lo, s2
	s_and_saveexec_b32 s1, vcc_lo
	s_cbranch_execz .LBB459_12
; %bb.5:
	v_add_co_u32 v0, vcc_lo, s4, v0
	v_add_co_ci_u32_e32 v1, vcc_lo, s5, v1, vcc_lo
	s_and_saveexec_b32 s1, s0
	s_cbranch_execz .LBB459_9
; %bb.6:
	v_sub_f32_e32 v2, v6, v6
	s_mov_b32 s2, exec_lo
	s_delay_alu instid0(VALU_DEP_1) | instskip(NEXT) | instid1(VALU_DEP_1)
	v_mul_f32_e32 v3, 0x3fb8aa3b, v2
	v_rndne_f32_e32 v6, v3
	v_fma_f32 v7, 0x3fb8aa3b, v2, -v3
	s_delay_alu instid0(VALU_DEP_2) | instskip(NEXT) | instid1(VALU_DEP_2)
	v_sub_f32_e32 v3, v3, v6
	v_fmamk_f32 v7, v2, 0x32a5705f, v7
	v_cvt_i32_f32_e32 v6, v6
	s_delay_alu instid0(VALU_DEP_2) | instskip(SKIP_1) | instid1(VALU_DEP_2)
	v_add_f32_e32 v3, v3, v7
	v_cmp_ngt_f32_e32 vcc_lo, 0xc2ce8ed0, v2
	v_exp_f32_e32 v3, v3
	s_waitcnt_depctr 0xfff
	v_ldexp_f32 v3, v3, v6
	s_delay_alu instid0(VALU_DEP_1) | instskip(SKIP_1) | instid1(VALU_DEP_2)
	v_cndmask_b32_e32 v3, 0, v3, vcc_lo
	v_cmp_nlt_f32_e32 vcc_lo, 0x42b17218, v2
	v_cndmask_b32_e32 v2, 0x7f800000, v3, vcc_lo
	v_mov_b32_e32 v3, 0x7fc0
	s_delay_alu instid0(VALU_DEP_2)
	v_cmpx_neq_f32_e32 0, v2
	s_cbranch_execz .LBB459_8
; %bb.7:
	v_div_scale_f32 v3, vcc_lo, v2, v2, v2
	s_delay_alu instid0(VALU_DEP_1) | instskip(SKIP_2) | instid1(VALU_DEP_1)
	v_rcp_f32_e32 v6, v3
	s_waitcnt_depctr 0xfff
	v_fma_f32 v7, -v3, v6, 1.0
	v_fmac_f32_e32 v6, v7, v6
	s_delay_alu instid0(VALU_DEP_1) | instskip(NEXT) | instid1(VALU_DEP_1)
	v_mul_f32_e32 v7, v3, v6
	v_fma_f32 v8, -v3, v7, v3
	s_delay_alu instid0(VALU_DEP_1) | instskip(NEXT) | instid1(VALU_DEP_1)
	v_fmac_f32_e32 v7, v8, v6
	v_fma_f32 v3, -v3, v7, v3
	s_delay_alu instid0(VALU_DEP_1) | instskip(NEXT) | instid1(VALU_DEP_1)
	v_div_fmas_f32 v3, v3, v6, v7
	v_div_fixup_f32 v2, v3, v2, v2
	s_delay_alu instid0(VALU_DEP_1) | instskip(SKIP_1) | instid1(VALU_DEP_2)
	v_bfe_u32 v3, v2, 16, 1
	v_cmp_o_f32_e32 vcc_lo, v2, v2
	v_add3_u32 v3, v2, v3, 0x7fff
	s_delay_alu instid0(VALU_DEP_1) | instskip(NEXT) | instid1(VALU_DEP_1)
	v_lshrrev_b32_e32 v3, 16, v3
	v_cndmask_b32_e32 v3, 0x7fc0, v3, vcc_lo
.LBB459_8:
	s_or_b32 exec_lo, exec_lo, s2
	global_store_b16 v[0:1], v3, off
.LBB459_9:
	s_or_b32 exec_lo, exec_lo, s1
	v_cmp_ne_u32_e32 vcc_lo, 1, v4
	s_and_b32 exec_lo, exec_lo, vcc_lo
	s_cbranch_execz .LBB459_12
; %bb.10:
	s_and_b32 exec_lo, exec_lo, s0
	s_cbranch_execz .LBB459_12
; %bb.11:
	v_sub_f32_e32 v2, v5, v5
	s_mov_b32 s11, 0
	s_delay_alu instid0(SALU_CYCLE_1) | instskip(NEXT) | instid1(SALU_CYCLE_1)
	s_lshl_b64 s[2:3], s[10:11], 1
	v_add_co_u32 v0, s1, v0, s2
	s_delay_alu instid0(VALU_DEP_2) | instskip(SKIP_1) | instid1(VALU_DEP_2)
	v_mul_f32_e32 v3, 0x3fb8aa3b, v2
	v_add_co_ci_u32_e64 v1, s1, s3, v1, s1
	v_rndne_f32_e32 v4, v3
	v_fma_f32 v5, 0x3fb8aa3b, v2, -v3
	s_delay_alu instid0(VALU_DEP_2) | instskip(NEXT) | instid1(VALU_DEP_2)
	v_sub_f32_e32 v3, v3, v4
	v_fmamk_f32 v5, v2, 0x32a5705f, v5
	v_cvt_i32_f32_e32 v4, v4
	v_cmp_ngt_f32_e32 vcc_lo, 0xc2ce8ed0, v2
	s_delay_alu instid0(VALU_DEP_3) | instskip(NEXT) | instid1(VALU_DEP_1)
	v_add_f32_e32 v3, v3, v5
	v_exp_f32_e32 v3, v3
	s_waitcnt_depctr 0xfff
	v_ldexp_f32 v3, v3, v4
	s_delay_alu instid0(VALU_DEP_1) | instskip(SKIP_1) | instid1(VALU_DEP_2)
	v_cndmask_b32_e32 v3, 0, v3, vcc_lo
	v_cmp_nlt_f32_e32 vcc_lo, 0x42b17218, v2
	v_cndmask_b32_e32 v2, 0x7f800000, v3, vcc_lo
	s_delay_alu instid0(VALU_DEP_1) | instskip(NEXT) | instid1(VALU_DEP_1)
	v_div_scale_f32 v3, vcc_lo, v2, v2, v2
	v_rcp_f32_e32 v4, v3
	s_waitcnt_depctr 0xfff
	v_fma_f32 v5, -v3, v4, 1.0
	s_delay_alu instid0(VALU_DEP_1) | instskip(NEXT) | instid1(VALU_DEP_1)
	v_fmac_f32_e32 v4, v5, v4
	v_mul_f32_e32 v5, v3, v4
	s_delay_alu instid0(VALU_DEP_1) | instskip(NEXT) | instid1(VALU_DEP_1)
	v_fma_f32 v6, -v3, v5, v3
	v_fmac_f32_e32 v5, v6, v4
	s_delay_alu instid0(VALU_DEP_1) | instskip(NEXT) | instid1(VALU_DEP_1)
	v_fma_f32 v3, -v3, v5, v3
	v_div_fmas_f32 v3, v3, v4, v5
	v_cmp_eq_f32_e32 vcc_lo, 0, v2
	s_delay_alu instid0(VALU_DEP_2) | instskip(NEXT) | instid1(VALU_DEP_1)
	v_div_fixup_f32 v3, v3, v2, v2
	v_bfe_u32 v4, v3, 16, 1
	v_cmp_u_f32_e64 s0, v3, v3
	s_delay_alu instid0(VALU_DEP_2) | instskip(NEXT) | instid1(VALU_DEP_2)
	v_add3_u32 v4, v3, v4, 0x7fff
	s_or_b32 s0, vcc_lo, s0
	s_delay_alu instid0(VALU_DEP_1) | instskip(NEXT) | instid1(VALU_DEP_1)
	v_lshrrev_b32_e32 v2, 16, v4
	v_cndmask_b32_e64 v2, v2, 0x7fc0, s0
	global_store_b16 v[0:1], v2, off
.LBB459_12:
	s_nop 0
	s_sendmsg sendmsg(MSG_DEALLOC_VGPRS)
	s_endpgm
	.section	.rodata,"a",@progbits
	.p2align	6, 0x0
	.amdhsa_kernel _ZN12_GLOBAL__N_120softmax_warp_forwardIN3c108BFloat16ES2_fLi0ELb0ELb0ELi32EEEvPT0_PKT_iiiPKbib
		.amdhsa_group_segment_fixed_size 0
		.amdhsa_private_segment_fixed_size 0
		.amdhsa_kernarg_size 304
		.amdhsa_user_sgpr_count 15
		.amdhsa_user_sgpr_dispatch_ptr 0
		.amdhsa_user_sgpr_queue_ptr 0
		.amdhsa_user_sgpr_kernarg_segment_ptr 1
		.amdhsa_user_sgpr_dispatch_id 0
		.amdhsa_user_sgpr_private_segment_size 0
		.amdhsa_wavefront_size32 1
		.amdhsa_uses_dynamic_stack 0
		.amdhsa_enable_private_segment 0
		.amdhsa_system_sgpr_workgroup_id_x 1
		.amdhsa_system_sgpr_workgroup_id_y 0
		.amdhsa_system_sgpr_workgroup_id_z 0
		.amdhsa_system_sgpr_workgroup_info 0
		.amdhsa_system_vgpr_workitem_id 1
		.amdhsa_next_free_vgpr 9
		.amdhsa_next_free_sgpr 16
		.amdhsa_reserve_vcc 1
		.amdhsa_float_round_mode_32 0
		.amdhsa_float_round_mode_16_64 0
		.amdhsa_float_denorm_mode_32 3
		.amdhsa_float_denorm_mode_16_64 3
		.amdhsa_dx10_clamp 1
		.amdhsa_ieee_mode 1
		.amdhsa_fp16_overflow 0
		.amdhsa_workgroup_processor_mode 1
		.amdhsa_memory_ordered 1
		.amdhsa_forward_progress 0
		.amdhsa_shared_vgpr_count 0
		.amdhsa_exception_fp_ieee_invalid_op 0
		.amdhsa_exception_fp_denorm_src 0
		.amdhsa_exception_fp_ieee_div_zero 0
		.amdhsa_exception_fp_ieee_overflow 0
		.amdhsa_exception_fp_ieee_underflow 0
		.amdhsa_exception_fp_ieee_inexact 0
		.amdhsa_exception_int_div_zero 0
	.end_amdhsa_kernel
	.section	.text._ZN12_GLOBAL__N_120softmax_warp_forwardIN3c108BFloat16ES2_fLi0ELb0ELb0ELi32EEEvPT0_PKT_iiiPKbib,"axG",@progbits,_ZN12_GLOBAL__N_120softmax_warp_forwardIN3c108BFloat16ES2_fLi0ELb0ELb0ELi32EEEvPT0_PKT_iiiPKbib,comdat
.Lfunc_end459:
	.size	_ZN12_GLOBAL__N_120softmax_warp_forwardIN3c108BFloat16ES2_fLi0ELb0ELb0ELi32EEEvPT0_PKT_iiiPKbib, .Lfunc_end459-_ZN12_GLOBAL__N_120softmax_warp_forwardIN3c108BFloat16ES2_fLi0ELb0ELb0ELi32EEEvPT0_PKT_iiiPKbib
                                        ; -- End function
	.section	.AMDGPU.csdata,"",@progbits
; Kernel info:
; codeLenInByte = 872
; NumSgprs: 18
; NumVgprs: 9
; ScratchSize: 0
; MemoryBound: 0
; FloatMode: 240
; IeeeMode: 1
; LDSByteSize: 0 bytes/workgroup (compile time only)
; SGPRBlocks: 2
; VGPRBlocks: 1
; NumSGPRsForWavesPerEU: 18
; NumVGPRsForWavesPerEU: 9
; Occupancy: 16
; WaveLimiterHint : 0
; COMPUTE_PGM_RSRC2:SCRATCH_EN: 0
; COMPUTE_PGM_RSRC2:USER_SGPR: 15
; COMPUTE_PGM_RSRC2:TRAP_HANDLER: 0
; COMPUTE_PGM_RSRC2:TGID_X_EN: 1
; COMPUTE_PGM_RSRC2:TGID_Y_EN: 0
; COMPUTE_PGM_RSRC2:TGID_Z_EN: 0
; COMPUTE_PGM_RSRC2:TIDIG_COMP_CNT: 1
	.section	.text._ZN12_GLOBAL__N_120softmax_warp_forwardIN3c108BFloat16ES2_fLi1ELb0ELb0ELi64EEEvPT0_PKT_iiiPKbib,"axG",@progbits,_ZN12_GLOBAL__N_120softmax_warp_forwardIN3c108BFloat16ES2_fLi1ELb0ELb0ELi64EEEvPT0_PKT_iiiPKbib,comdat
	.globl	_ZN12_GLOBAL__N_120softmax_warp_forwardIN3c108BFloat16ES2_fLi1ELb0ELb0ELi64EEEvPT0_PKT_iiiPKbib ; -- Begin function _ZN12_GLOBAL__N_120softmax_warp_forwardIN3c108BFloat16ES2_fLi1ELb0ELb0ELi64EEEvPT0_PKT_iiiPKbib
	.p2align	8
	.type	_ZN12_GLOBAL__N_120softmax_warp_forwardIN3c108BFloat16ES2_fLi1ELb0ELb0ELi64EEEvPT0_PKT_iiiPKbib,@function
_ZN12_GLOBAL__N_120softmax_warp_forwardIN3c108BFloat16ES2_fLi1ELb0ELb0ELi64EEEvPT0_PKT_iiiPKbib: ; @_ZN12_GLOBAL__N_120softmax_warp_forwardIN3c108BFloat16ES2_fLi1ELb0ELb0ELi64EEEvPT0_PKT_iiiPKbib
; %bb.0:
	s_clause 0x1
	s_load_b32 s2, s[0:1], 0x3c
	s_load_b256 s[4:11], s[0:1], 0x0
	v_bfe_u32 v1, v0, 10, 10
	v_and_b32_e32 v2, 0x3ff, v0
	v_dual_mov_b32 v5, 0xff800000 :: v_dual_mov_b32 v6, 0xff800000
	s_waitcnt lgkmcnt(0)
	s_lshr_b32 s0, s2, 16
	s_delay_alu instid0(SALU_CYCLE_1) | instskip(SKIP_2) | instid1(VALU_DEP_1)
	s_mul_i32 s15, s15, s0
	v_cmp_gt_i32_e64 s0, s10, v2
	v_add_lshl_u32 v3, s15, v1, 1
	v_mad_u64_u32 v[0:1], null, v3, s9, v[2:3]
	v_sub_nc_u32_e32 v4, s8, v3
	s_delay_alu instid0(VALU_DEP_1) | instskip(NEXT) | instid1(VALU_DEP_3)
	v_cmp_lt_i32_e32 vcc_lo, 0, v4
	v_ashrrev_i32_e32 v1, 31, v0
	s_and_b32 s2, s0, vcc_lo
	s_delay_alu instid0(VALU_DEP_1) | instskip(NEXT) | instid1(VALU_DEP_1)
	v_lshlrev_b64 v[0:1], 1, v[0:1]
	v_add_co_u32 v2, s1, s6, v0
	s_delay_alu instid0(VALU_DEP_1)
	v_add_co_ci_u32_e64 v3, s1, s7, v1, s1
	s_and_saveexec_b32 s1, s2
	s_cbranch_execz .LBB460_2
; %bb.1:
	global_load_u16 v6, v[2:3], off
	s_waitcnt vmcnt(0)
	v_lshlrev_b32_e32 v6, 16, v6
.LBB460_2:
	s_or_b32 exec_lo, exec_lo, s1
	v_cmp_lt_i32_e64 s1, 1, v4
	s_delay_alu instid0(VALU_DEP_1) | instskip(NEXT) | instid1(SALU_CYCLE_1)
	s_and_b32 s1, s0, s1
	s_and_saveexec_b32 s2, s1
	s_cbranch_execz .LBB460_4
; %bb.3:
	s_mov_b32 s11, 0
	s_delay_alu instid0(SALU_CYCLE_1) | instskip(NEXT) | instid1(SALU_CYCLE_1)
	s_lshl_b64 s[6:7], s[10:11], 1
	v_add_co_u32 v2, s1, v2, s6
	s_delay_alu instid0(VALU_DEP_1)
	v_add_co_ci_u32_e64 v3, s1, s7, v3, s1
	global_load_u16 v2, v[2:3], off
	s_waitcnt vmcnt(0)
	v_lshlrev_b32_e32 v5, 16, v2
.LBB460_4:
	s_or_b32 exec_lo, exec_lo, s2
	v_mbcnt_lo_u32_b32 v2, -1, 0
	s_delay_alu instid0(VALU_DEP_1) | instskip(SKIP_1) | instid1(VALU_DEP_2)
	v_and_b32_e32 v3, 30, v2
	v_xor_b32_e32 v7, 1, v2
	v_add_nc_u32_e32 v3, 2, v3
	s_delay_alu instid0(VALU_DEP_1) | instskip(NEXT) | instid1(VALU_DEP_1)
	v_cmp_lt_i32_e64 s1, v7, v3
	v_cndmask_b32_e64 v2, v2, v7, s1
	s_delay_alu instid0(VALU_DEP_1) | instskip(SKIP_4) | instid1(VALU_DEP_1)
	v_lshlrev_b32_e32 v3, 2, v2
	ds_bpermute_b32 v2, v3, v6
	ds_bpermute_b32 v7, v3, v5
	s_waitcnt lgkmcnt(1)
	v_cmp_lt_f32_e64 s1, v6, v2
	v_cndmask_b32_e64 v2, v6, v2, s1
	s_waitcnt lgkmcnt(0)
	v_cmp_lt_f32_e64 s1, v5, v7
	s_delay_alu instid0(VALU_DEP_2) | instskip(NEXT) | instid1(VALU_DEP_2)
	v_sub_f32_e32 v2, v6, v2
	v_cndmask_b32_e64 v7, v5, v7, s1
	s_delay_alu instid0(VALU_DEP_2) | instskip(NEXT) | instid1(VALU_DEP_2)
	v_cmp_ngt_f32_e64 s1, 0xc2ce8ed0, v2
	v_dual_sub_f32 v6, v5, v7 :: v_dual_mul_f32 v5, 0x3fb8aa3b, v2
	s_delay_alu instid0(VALU_DEP_1) | instskip(NEXT) | instid1(VALU_DEP_2)
	v_mul_f32_e32 v7, 0x3fb8aa3b, v6
	v_fma_f32 v8, 0x3fb8aa3b, v2, -v5
	v_rndne_f32_e32 v9, v5
	s_delay_alu instid0(VALU_DEP_3) | instskip(SKIP_1) | instid1(VALU_DEP_3)
	v_fma_f32 v10, 0x3fb8aa3b, v6, -v7
	v_rndne_f32_e32 v11, v7
	v_dual_fmac_f32 v8, 0x32a5705f, v2 :: v_dual_sub_f32 v5, v5, v9
	s_delay_alu instid0(VALU_DEP_2) | instskip(NEXT) | instid1(VALU_DEP_2)
	v_dual_fmac_f32 v10, 0x32a5705f, v6 :: v_dual_sub_f32 v7, v7, v11
	v_add_f32_e32 v5, v5, v8
	v_cvt_i32_f32_e32 v8, v9
	v_cvt_i32_f32_e32 v9, v11
	s_delay_alu instid0(VALU_DEP_4) | instskip(NEXT) | instid1(VALU_DEP_4)
	v_add_f32_e32 v7, v7, v10
	v_exp_f32_e32 v5, v5
	s_delay_alu instid0(VALU_DEP_1) | instskip(SKIP_3) | instid1(VALU_DEP_2)
	v_exp_f32_e32 v7, v7
	s_waitcnt_depctr 0xfff
	v_ldexp_f32 v5, v5, v8
	v_ldexp_f32 v7, v7, v9
	v_cndmask_b32_e64 v5, 0, v5, s1
	v_cmp_ngt_f32_e64 s1, 0xc2ce8ed0, v6
	s_delay_alu instid0(VALU_DEP_1) | instskip(SKIP_1) | instid1(VALU_DEP_1)
	v_cndmask_b32_e64 v7, 0, v7, s1
	v_cmp_nlt_f32_e64 s1, 0x42b17218, v2
	v_cndmask_b32_e64 v5, 0x7f800000, v5, s1
	v_cmp_nlt_f32_e64 s1, 0x42b17218, v6
	ds_bpermute_b32 v6, v3, v5
	v_cndmask_b32_e64 v2, 0x7f800000, v7, s1
	ds_bpermute_b32 v3, v3, v2
	s_and_saveexec_b32 s1, vcc_lo
	s_cbranch_execz .LBB460_12
; %bb.5:
	v_add_co_u32 v0, vcc_lo, s4, v0
	v_add_co_ci_u32_e32 v1, vcc_lo, s5, v1, vcc_lo
	s_and_saveexec_b32 s1, s0
	s_cbranch_execz .LBB460_9
; %bb.6:
	s_waitcnt lgkmcnt(1)
	v_dual_add_f32 v6, v5, v6 :: v_dual_mov_b32 v7, 0x7fc0
	s_mov_b32 s2, exec_lo
	s_delay_alu instid0(VALU_DEP_1)
	v_cmpx_neq_f32_e32 0, v6
	s_cbranch_execz .LBB460_8
; %bb.7:
	v_div_scale_f32 v7, null, v6, v6, v5
	s_delay_alu instid0(VALU_DEP_1) | instskip(SKIP_2) | instid1(VALU_DEP_1)
	v_rcp_f32_e32 v8, v7
	s_waitcnt_depctr 0xfff
	v_fma_f32 v9, -v7, v8, 1.0
	v_fmac_f32_e32 v8, v9, v8
	v_div_scale_f32 v9, vcc_lo, v5, v6, v5
	s_delay_alu instid0(VALU_DEP_1) | instskip(NEXT) | instid1(VALU_DEP_1)
	v_mul_f32_e32 v10, v9, v8
	v_fma_f32 v11, -v7, v10, v9
	s_delay_alu instid0(VALU_DEP_1) | instskip(NEXT) | instid1(VALU_DEP_1)
	v_fmac_f32_e32 v10, v11, v8
	v_fma_f32 v7, -v7, v10, v9
	s_delay_alu instid0(VALU_DEP_1) | instskip(NEXT) | instid1(VALU_DEP_1)
	v_div_fmas_f32 v7, v7, v8, v10
	v_div_fixup_f32 v5, v7, v6, v5
	s_delay_alu instid0(VALU_DEP_1) | instskip(SKIP_1) | instid1(VALU_DEP_2)
	v_bfe_u32 v6, v5, 16, 1
	v_cmp_o_f32_e32 vcc_lo, v5, v5
	v_add3_u32 v6, v5, v6, 0x7fff
	s_delay_alu instid0(VALU_DEP_1) | instskip(NEXT) | instid1(VALU_DEP_1)
	v_lshrrev_b32_e32 v6, 16, v6
	v_cndmask_b32_e32 v7, 0x7fc0, v6, vcc_lo
.LBB460_8:
	s_or_b32 exec_lo, exec_lo, s2
	global_store_b16 v[0:1], v7, off
.LBB460_9:
	s_or_b32 exec_lo, exec_lo, s1
	v_cmp_ne_u32_e32 vcc_lo, 1, v4
	s_and_b32 exec_lo, exec_lo, vcc_lo
	s_cbranch_execz .LBB460_12
; %bb.10:
	s_and_b32 exec_lo, exec_lo, s0
	s_cbranch_execz .LBB460_12
; %bb.11:
	s_waitcnt lgkmcnt(0)
	v_add_f32_e32 v3, v2, v3
	s_mov_b32 s11, 0
	s_delay_alu instid0(SALU_CYCLE_1) | instskip(NEXT) | instid1(SALU_CYCLE_1)
	s_lshl_b64 s[2:3], s[10:11], 1
	v_add_co_u32 v0, s1, v0, s2
	s_delay_alu instid0(VALU_DEP_2) | instskip(SKIP_2) | instid1(VALU_DEP_3)
	v_div_scale_f32 v4, null, v3, v3, v2
	v_div_scale_f32 v7, vcc_lo, v2, v3, v2
	v_add_co_ci_u32_e64 v1, s1, s3, v1, s1
	v_rcp_f32_e32 v5, v4
	s_waitcnt_depctr 0xfff
	v_fma_f32 v6, -v4, v5, 1.0
	s_delay_alu instid0(VALU_DEP_1) | instskip(NEXT) | instid1(VALU_DEP_1)
	v_fmac_f32_e32 v5, v6, v5
	v_mul_f32_e32 v6, v7, v5
	s_delay_alu instid0(VALU_DEP_1) | instskip(NEXT) | instid1(VALU_DEP_1)
	v_fma_f32 v8, -v4, v6, v7
	v_fmac_f32_e32 v6, v8, v5
	s_delay_alu instid0(VALU_DEP_1) | instskip(NEXT) | instid1(VALU_DEP_1)
	v_fma_f32 v4, -v4, v6, v7
	v_div_fmas_f32 v4, v4, v5, v6
	v_cmp_eq_f32_e32 vcc_lo, 0, v3
	s_delay_alu instid0(VALU_DEP_2) | instskip(NEXT) | instid1(VALU_DEP_1)
	v_div_fixup_f32 v2, v4, v3, v2
	v_bfe_u32 v4, v2, 16, 1
	v_cmp_u_f32_e64 s0, v2, v2
	s_delay_alu instid0(VALU_DEP_2) | instskip(NEXT) | instid1(VALU_DEP_2)
	v_add3_u32 v4, v2, v4, 0x7fff
	s_or_b32 s0, vcc_lo, s0
	s_delay_alu instid0(VALU_DEP_1) | instskip(NEXT) | instid1(VALU_DEP_1)
	v_lshrrev_b32_e32 v2, 16, v4
	v_cndmask_b32_e64 v2, v2, 0x7fc0, s0
	global_store_b16 v[0:1], v2, off
.LBB460_12:
	s_nop 0
	s_sendmsg sendmsg(MSG_DEALLOC_VGPRS)
	s_endpgm
	.section	.rodata,"a",@progbits
	.p2align	6, 0x0
	.amdhsa_kernel _ZN12_GLOBAL__N_120softmax_warp_forwardIN3c108BFloat16ES2_fLi1ELb0ELb0ELi64EEEvPT0_PKT_iiiPKbib
		.amdhsa_group_segment_fixed_size 0
		.amdhsa_private_segment_fixed_size 0
		.amdhsa_kernarg_size 304
		.amdhsa_user_sgpr_count 15
		.amdhsa_user_sgpr_dispatch_ptr 0
		.amdhsa_user_sgpr_queue_ptr 0
		.amdhsa_user_sgpr_kernarg_segment_ptr 1
		.amdhsa_user_sgpr_dispatch_id 0
		.amdhsa_user_sgpr_private_segment_size 0
		.amdhsa_wavefront_size32 1
		.amdhsa_uses_dynamic_stack 0
		.amdhsa_enable_private_segment 0
		.amdhsa_system_sgpr_workgroup_id_x 1
		.amdhsa_system_sgpr_workgroup_id_y 0
		.amdhsa_system_sgpr_workgroup_id_z 0
		.amdhsa_system_sgpr_workgroup_info 0
		.amdhsa_system_vgpr_workitem_id 1
		.amdhsa_next_free_vgpr 12
		.amdhsa_next_free_sgpr 16
		.amdhsa_reserve_vcc 1
		.amdhsa_float_round_mode_32 0
		.amdhsa_float_round_mode_16_64 0
		.amdhsa_float_denorm_mode_32 3
		.amdhsa_float_denorm_mode_16_64 3
		.amdhsa_dx10_clamp 1
		.amdhsa_ieee_mode 1
		.amdhsa_fp16_overflow 0
		.amdhsa_workgroup_processor_mode 1
		.amdhsa_memory_ordered 1
		.amdhsa_forward_progress 0
		.amdhsa_shared_vgpr_count 0
		.amdhsa_exception_fp_ieee_invalid_op 0
		.amdhsa_exception_fp_denorm_src 0
		.amdhsa_exception_fp_ieee_div_zero 0
		.amdhsa_exception_fp_ieee_overflow 0
		.amdhsa_exception_fp_ieee_underflow 0
		.amdhsa_exception_fp_ieee_inexact 0
		.amdhsa_exception_int_div_zero 0
	.end_amdhsa_kernel
	.section	.text._ZN12_GLOBAL__N_120softmax_warp_forwardIN3c108BFloat16ES2_fLi1ELb0ELb0ELi64EEEvPT0_PKT_iiiPKbib,"axG",@progbits,_ZN12_GLOBAL__N_120softmax_warp_forwardIN3c108BFloat16ES2_fLi1ELb0ELb0ELi64EEEvPT0_PKT_iiiPKbib,comdat
.Lfunc_end460:
	.size	_ZN12_GLOBAL__N_120softmax_warp_forwardIN3c108BFloat16ES2_fLi1ELb0ELb0ELi64EEEvPT0_PKT_iiiPKbib, .Lfunc_end460-_ZN12_GLOBAL__N_120softmax_warp_forwardIN3c108BFloat16ES2_fLi1ELb0ELb0ELi64EEEvPT0_PKT_iiiPKbib
                                        ; -- End function
	.section	.AMDGPU.csdata,"",@progbits
; Kernel info:
; codeLenInByte = 1056
; NumSgprs: 18
; NumVgprs: 12
; ScratchSize: 0
; MemoryBound: 0
; FloatMode: 240
; IeeeMode: 1
; LDSByteSize: 0 bytes/workgroup (compile time only)
; SGPRBlocks: 2
; VGPRBlocks: 1
; NumSGPRsForWavesPerEU: 18
; NumVGPRsForWavesPerEU: 12
; Occupancy: 16
; WaveLimiterHint : 0
; COMPUTE_PGM_RSRC2:SCRATCH_EN: 0
; COMPUTE_PGM_RSRC2:USER_SGPR: 15
; COMPUTE_PGM_RSRC2:TRAP_HANDLER: 0
; COMPUTE_PGM_RSRC2:TGID_X_EN: 1
; COMPUTE_PGM_RSRC2:TGID_Y_EN: 0
; COMPUTE_PGM_RSRC2:TGID_Z_EN: 0
; COMPUTE_PGM_RSRC2:TIDIG_COMP_CNT: 1
	.section	.text._ZN12_GLOBAL__N_120softmax_warp_forwardIN3c108BFloat16ES2_fLi1ELb0ELb0ELi32EEEvPT0_PKT_iiiPKbib,"axG",@progbits,_ZN12_GLOBAL__N_120softmax_warp_forwardIN3c108BFloat16ES2_fLi1ELb0ELb0ELi32EEEvPT0_PKT_iiiPKbib,comdat
	.globl	_ZN12_GLOBAL__N_120softmax_warp_forwardIN3c108BFloat16ES2_fLi1ELb0ELb0ELi32EEEvPT0_PKT_iiiPKbib ; -- Begin function _ZN12_GLOBAL__N_120softmax_warp_forwardIN3c108BFloat16ES2_fLi1ELb0ELb0ELi32EEEvPT0_PKT_iiiPKbib
	.p2align	8
	.type	_ZN12_GLOBAL__N_120softmax_warp_forwardIN3c108BFloat16ES2_fLi1ELb0ELb0ELi32EEEvPT0_PKT_iiiPKbib,@function
_ZN12_GLOBAL__N_120softmax_warp_forwardIN3c108BFloat16ES2_fLi1ELb0ELb0ELi32EEEvPT0_PKT_iiiPKbib: ; @_ZN12_GLOBAL__N_120softmax_warp_forwardIN3c108BFloat16ES2_fLi1ELb0ELb0ELi32EEEvPT0_PKT_iiiPKbib
; %bb.0:
	s_clause 0x1
	s_load_b32 s2, s[0:1], 0x3c
	s_load_b256 s[4:11], s[0:1], 0x0
	v_bfe_u32 v1, v0, 10, 10
	v_and_b32_e32 v2, 0x3ff, v0
	v_dual_mov_b32 v5, 0xff800000 :: v_dual_mov_b32 v6, 0xff800000
	s_waitcnt lgkmcnt(0)
	s_lshr_b32 s0, s2, 16
	s_delay_alu instid0(SALU_CYCLE_1) | instskip(SKIP_2) | instid1(VALU_DEP_1)
	s_mul_i32 s15, s15, s0
	v_cmp_gt_i32_e64 s0, s10, v2
	v_add_lshl_u32 v3, s15, v1, 1
	v_mad_u64_u32 v[0:1], null, v3, s9, v[2:3]
	v_sub_nc_u32_e32 v4, s8, v3
	s_delay_alu instid0(VALU_DEP_1) | instskip(NEXT) | instid1(VALU_DEP_3)
	v_cmp_lt_i32_e32 vcc_lo, 0, v4
	v_ashrrev_i32_e32 v1, 31, v0
	s_and_b32 s2, s0, vcc_lo
	s_delay_alu instid0(VALU_DEP_1) | instskip(NEXT) | instid1(VALU_DEP_1)
	v_lshlrev_b64 v[0:1], 1, v[0:1]
	v_add_co_u32 v2, s1, s6, v0
	s_delay_alu instid0(VALU_DEP_1)
	v_add_co_ci_u32_e64 v3, s1, s7, v1, s1
	s_and_saveexec_b32 s1, s2
	s_cbranch_execz .LBB461_2
; %bb.1:
	global_load_u16 v6, v[2:3], off
	s_waitcnt vmcnt(0)
	v_lshlrev_b32_e32 v6, 16, v6
.LBB461_2:
	s_or_b32 exec_lo, exec_lo, s1
	v_cmp_lt_i32_e64 s1, 1, v4
	s_delay_alu instid0(VALU_DEP_1) | instskip(NEXT) | instid1(SALU_CYCLE_1)
	s_and_b32 s1, s0, s1
	s_and_saveexec_b32 s2, s1
	s_cbranch_execz .LBB461_4
; %bb.3:
	s_mov_b32 s11, 0
	s_delay_alu instid0(SALU_CYCLE_1) | instskip(NEXT) | instid1(SALU_CYCLE_1)
	s_lshl_b64 s[6:7], s[10:11], 1
	v_add_co_u32 v2, s1, v2, s6
	s_delay_alu instid0(VALU_DEP_1)
	v_add_co_ci_u32_e64 v3, s1, s7, v3, s1
	global_load_u16 v2, v[2:3], off
	s_waitcnt vmcnt(0)
	v_lshlrev_b32_e32 v5, 16, v2
.LBB461_4:
	s_or_b32 exec_lo, exec_lo, s2
	v_mbcnt_lo_u32_b32 v2, -1, 0
	s_delay_alu instid0(VALU_DEP_1) | instskip(SKIP_1) | instid1(VALU_DEP_2)
	v_and_b32_e32 v3, 30, v2
	v_xor_b32_e32 v7, 1, v2
	v_add_nc_u32_e32 v3, 2, v3
	s_delay_alu instid0(VALU_DEP_1) | instskip(NEXT) | instid1(VALU_DEP_1)
	v_cmp_lt_i32_e64 s1, v7, v3
	v_cndmask_b32_e64 v2, v2, v7, s1
	s_delay_alu instid0(VALU_DEP_1) | instskip(SKIP_4) | instid1(VALU_DEP_1)
	v_lshlrev_b32_e32 v3, 2, v2
	ds_bpermute_b32 v2, v3, v6
	ds_bpermute_b32 v7, v3, v5
	s_waitcnt lgkmcnt(1)
	v_cmp_lt_f32_e64 s1, v6, v2
	v_cndmask_b32_e64 v2, v6, v2, s1
	s_waitcnt lgkmcnt(0)
	v_cmp_lt_f32_e64 s1, v5, v7
	s_delay_alu instid0(VALU_DEP_2) | instskip(NEXT) | instid1(VALU_DEP_2)
	v_sub_f32_e32 v2, v6, v2
	v_cndmask_b32_e64 v7, v5, v7, s1
	s_delay_alu instid0(VALU_DEP_2) | instskip(NEXT) | instid1(VALU_DEP_2)
	v_cmp_ngt_f32_e64 s1, 0xc2ce8ed0, v2
	v_dual_sub_f32 v6, v5, v7 :: v_dual_mul_f32 v5, 0x3fb8aa3b, v2
	s_delay_alu instid0(VALU_DEP_1) | instskip(NEXT) | instid1(VALU_DEP_2)
	v_mul_f32_e32 v7, 0x3fb8aa3b, v6
	v_fma_f32 v8, 0x3fb8aa3b, v2, -v5
	v_rndne_f32_e32 v9, v5
	s_delay_alu instid0(VALU_DEP_3) | instskip(SKIP_1) | instid1(VALU_DEP_3)
	v_fma_f32 v10, 0x3fb8aa3b, v6, -v7
	v_rndne_f32_e32 v11, v7
	v_dual_fmac_f32 v8, 0x32a5705f, v2 :: v_dual_sub_f32 v5, v5, v9
	s_delay_alu instid0(VALU_DEP_2) | instskip(NEXT) | instid1(VALU_DEP_2)
	v_dual_fmac_f32 v10, 0x32a5705f, v6 :: v_dual_sub_f32 v7, v7, v11
	v_add_f32_e32 v5, v5, v8
	v_cvt_i32_f32_e32 v8, v9
	v_cvt_i32_f32_e32 v9, v11
	s_delay_alu instid0(VALU_DEP_4) | instskip(NEXT) | instid1(VALU_DEP_4)
	v_add_f32_e32 v7, v7, v10
	v_exp_f32_e32 v5, v5
	s_delay_alu instid0(VALU_DEP_1) | instskip(SKIP_3) | instid1(VALU_DEP_2)
	v_exp_f32_e32 v7, v7
	s_waitcnt_depctr 0xfff
	v_ldexp_f32 v5, v5, v8
	v_ldexp_f32 v7, v7, v9
	v_cndmask_b32_e64 v5, 0, v5, s1
	v_cmp_ngt_f32_e64 s1, 0xc2ce8ed0, v6
	s_delay_alu instid0(VALU_DEP_1) | instskip(SKIP_1) | instid1(VALU_DEP_1)
	v_cndmask_b32_e64 v7, 0, v7, s1
	v_cmp_nlt_f32_e64 s1, 0x42b17218, v2
	v_cndmask_b32_e64 v5, 0x7f800000, v5, s1
	v_cmp_nlt_f32_e64 s1, 0x42b17218, v6
	ds_bpermute_b32 v6, v3, v5
	v_cndmask_b32_e64 v2, 0x7f800000, v7, s1
	ds_bpermute_b32 v3, v3, v2
	s_and_saveexec_b32 s1, vcc_lo
	s_cbranch_execz .LBB461_12
; %bb.5:
	v_add_co_u32 v0, vcc_lo, s4, v0
	v_add_co_ci_u32_e32 v1, vcc_lo, s5, v1, vcc_lo
	s_and_saveexec_b32 s1, s0
	s_cbranch_execz .LBB461_9
; %bb.6:
	s_waitcnt lgkmcnt(1)
	v_dual_add_f32 v6, v5, v6 :: v_dual_mov_b32 v7, 0x7fc0
	s_mov_b32 s2, exec_lo
	s_delay_alu instid0(VALU_DEP_1)
	v_cmpx_neq_f32_e32 0, v6
	s_cbranch_execz .LBB461_8
; %bb.7:
	v_div_scale_f32 v7, null, v6, v6, v5
	s_delay_alu instid0(VALU_DEP_1) | instskip(SKIP_2) | instid1(VALU_DEP_1)
	v_rcp_f32_e32 v8, v7
	s_waitcnt_depctr 0xfff
	v_fma_f32 v9, -v7, v8, 1.0
	v_fmac_f32_e32 v8, v9, v8
	v_div_scale_f32 v9, vcc_lo, v5, v6, v5
	s_delay_alu instid0(VALU_DEP_1) | instskip(NEXT) | instid1(VALU_DEP_1)
	v_mul_f32_e32 v10, v9, v8
	v_fma_f32 v11, -v7, v10, v9
	s_delay_alu instid0(VALU_DEP_1) | instskip(NEXT) | instid1(VALU_DEP_1)
	v_fmac_f32_e32 v10, v11, v8
	v_fma_f32 v7, -v7, v10, v9
	s_delay_alu instid0(VALU_DEP_1) | instskip(NEXT) | instid1(VALU_DEP_1)
	v_div_fmas_f32 v7, v7, v8, v10
	v_div_fixup_f32 v5, v7, v6, v5
	s_delay_alu instid0(VALU_DEP_1) | instskip(SKIP_1) | instid1(VALU_DEP_2)
	v_bfe_u32 v6, v5, 16, 1
	v_cmp_o_f32_e32 vcc_lo, v5, v5
	v_add3_u32 v6, v5, v6, 0x7fff
	s_delay_alu instid0(VALU_DEP_1) | instskip(NEXT) | instid1(VALU_DEP_1)
	v_lshrrev_b32_e32 v6, 16, v6
	v_cndmask_b32_e32 v7, 0x7fc0, v6, vcc_lo
.LBB461_8:
	s_or_b32 exec_lo, exec_lo, s2
	global_store_b16 v[0:1], v7, off
.LBB461_9:
	s_or_b32 exec_lo, exec_lo, s1
	v_cmp_ne_u32_e32 vcc_lo, 1, v4
	s_and_b32 exec_lo, exec_lo, vcc_lo
	s_cbranch_execz .LBB461_12
; %bb.10:
	s_and_b32 exec_lo, exec_lo, s0
	s_cbranch_execz .LBB461_12
; %bb.11:
	s_waitcnt lgkmcnt(0)
	v_add_f32_e32 v3, v2, v3
	s_mov_b32 s11, 0
	s_delay_alu instid0(SALU_CYCLE_1) | instskip(NEXT) | instid1(SALU_CYCLE_1)
	s_lshl_b64 s[2:3], s[10:11], 1
	v_add_co_u32 v0, s1, v0, s2
	s_delay_alu instid0(VALU_DEP_2) | instskip(SKIP_2) | instid1(VALU_DEP_3)
	v_div_scale_f32 v4, null, v3, v3, v2
	v_div_scale_f32 v7, vcc_lo, v2, v3, v2
	v_add_co_ci_u32_e64 v1, s1, s3, v1, s1
	v_rcp_f32_e32 v5, v4
	s_waitcnt_depctr 0xfff
	v_fma_f32 v6, -v4, v5, 1.0
	s_delay_alu instid0(VALU_DEP_1) | instskip(NEXT) | instid1(VALU_DEP_1)
	v_fmac_f32_e32 v5, v6, v5
	v_mul_f32_e32 v6, v7, v5
	s_delay_alu instid0(VALU_DEP_1) | instskip(NEXT) | instid1(VALU_DEP_1)
	v_fma_f32 v8, -v4, v6, v7
	v_fmac_f32_e32 v6, v8, v5
	s_delay_alu instid0(VALU_DEP_1) | instskip(NEXT) | instid1(VALU_DEP_1)
	v_fma_f32 v4, -v4, v6, v7
	v_div_fmas_f32 v4, v4, v5, v6
	v_cmp_eq_f32_e32 vcc_lo, 0, v3
	s_delay_alu instid0(VALU_DEP_2) | instskip(NEXT) | instid1(VALU_DEP_1)
	v_div_fixup_f32 v2, v4, v3, v2
	v_bfe_u32 v4, v2, 16, 1
	v_cmp_u_f32_e64 s0, v2, v2
	s_delay_alu instid0(VALU_DEP_2) | instskip(NEXT) | instid1(VALU_DEP_2)
	v_add3_u32 v4, v2, v4, 0x7fff
	s_or_b32 s0, vcc_lo, s0
	s_delay_alu instid0(VALU_DEP_1) | instskip(NEXT) | instid1(VALU_DEP_1)
	v_lshrrev_b32_e32 v2, 16, v4
	v_cndmask_b32_e64 v2, v2, 0x7fc0, s0
	global_store_b16 v[0:1], v2, off
.LBB461_12:
	s_nop 0
	s_sendmsg sendmsg(MSG_DEALLOC_VGPRS)
	s_endpgm
	.section	.rodata,"a",@progbits
	.p2align	6, 0x0
	.amdhsa_kernel _ZN12_GLOBAL__N_120softmax_warp_forwardIN3c108BFloat16ES2_fLi1ELb0ELb0ELi32EEEvPT0_PKT_iiiPKbib
		.amdhsa_group_segment_fixed_size 0
		.amdhsa_private_segment_fixed_size 0
		.amdhsa_kernarg_size 304
		.amdhsa_user_sgpr_count 15
		.amdhsa_user_sgpr_dispatch_ptr 0
		.amdhsa_user_sgpr_queue_ptr 0
		.amdhsa_user_sgpr_kernarg_segment_ptr 1
		.amdhsa_user_sgpr_dispatch_id 0
		.amdhsa_user_sgpr_private_segment_size 0
		.amdhsa_wavefront_size32 1
		.amdhsa_uses_dynamic_stack 0
		.amdhsa_enable_private_segment 0
		.amdhsa_system_sgpr_workgroup_id_x 1
		.amdhsa_system_sgpr_workgroup_id_y 0
		.amdhsa_system_sgpr_workgroup_id_z 0
		.amdhsa_system_sgpr_workgroup_info 0
		.amdhsa_system_vgpr_workitem_id 1
		.amdhsa_next_free_vgpr 12
		.amdhsa_next_free_sgpr 16
		.amdhsa_reserve_vcc 1
		.amdhsa_float_round_mode_32 0
		.amdhsa_float_round_mode_16_64 0
		.amdhsa_float_denorm_mode_32 3
		.amdhsa_float_denorm_mode_16_64 3
		.amdhsa_dx10_clamp 1
		.amdhsa_ieee_mode 1
		.amdhsa_fp16_overflow 0
		.amdhsa_workgroup_processor_mode 1
		.amdhsa_memory_ordered 1
		.amdhsa_forward_progress 0
		.amdhsa_shared_vgpr_count 0
		.amdhsa_exception_fp_ieee_invalid_op 0
		.amdhsa_exception_fp_denorm_src 0
		.amdhsa_exception_fp_ieee_div_zero 0
		.amdhsa_exception_fp_ieee_overflow 0
		.amdhsa_exception_fp_ieee_underflow 0
		.amdhsa_exception_fp_ieee_inexact 0
		.amdhsa_exception_int_div_zero 0
	.end_amdhsa_kernel
	.section	.text._ZN12_GLOBAL__N_120softmax_warp_forwardIN3c108BFloat16ES2_fLi1ELb0ELb0ELi32EEEvPT0_PKT_iiiPKbib,"axG",@progbits,_ZN12_GLOBAL__N_120softmax_warp_forwardIN3c108BFloat16ES2_fLi1ELb0ELb0ELi32EEEvPT0_PKT_iiiPKbib,comdat
.Lfunc_end461:
	.size	_ZN12_GLOBAL__N_120softmax_warp_forwardIN3c108BFloat16ES2_fLi1ELb0ELb0ELi32EEEvPT0_PKT_iiiPKbib, .Lfunc_end461-_ZN12_GLOBAL__N_120softmax_warp_forwardIN3c108BFloat16ES2_fLi1ELb0ELb0ELi32EEEvPT0_PKT_iiiPKbib
                                        ; -- End function
	.section	.AMDGPU.csdata,"",@progbits
; Kernel info:
; codeLenInByte = 1056
; NumSgprs: 18
; NumVgprs: 12
; ScratchSize: 0
; MemoryBound: 0
; FloatMode: 240
; IeeeMode: 1
; LDSByteSize: 0 bytes/workgroup (compile time only)
; SGPRBlocks: 2
; VGPRBlocks: 1
; NumSGPRsForWavesPerEU: 18
; NumVGPRsForWavesPerEU: 12
; Occupancy: 16
; WaveLimiterHint : 0
; COMPUTE_PGM_RSRC2:SCRATCH_EN: 0
; COMPUTE_PGM_RSRC2:USER_SGPR: 15
; COMPUTE_PGM_RSRC2:TRAP_HANDLER: 0
; COMPUTE_PGM_RSRC2:TGID_X_EN: 1
; COMPUTE_PGM_RSRC2:TGID_Y_EN: 0
; COMPUTE_PGM_RSRC2:TGID_Z_EN: 0
; COMPUTE_PGM_RSRC2:TIDIG_COMP_CNT: 1
	.section	.text._ZN12_GLOBAL__N_120softmax_warp_forwardIN3c108BFloat16ES2_fLi2ELb0ELb0ELi64EEEvPT0_PKT_iiiPKbib,"axG",@progbits,_ZN12_GLOBAL__N_120softmax_warp_forwardIN3c108BFloat16ES2_fLi2ELb0ELb0ELi64EEEvPT0_PKT_iiiPKbib,comdat
	.globl	_ZN12_GLOBAL__N_120softmax_warp_forwardIN3c108BFloat16ES2_fLi2ELb0ELb0ELi64EEEvPT0_PKT_iiiPKbib ; -- Begin function _ZN12_GLOBAL__N_120softmax_warp_forwardIN3c108BFloat16ES2_fLi2ELb0ELb0ELi64EEEvPT0_PKT_iiiPKbib
	.p2align	8
	.type	_ZN12_GLOBAL__N_120softmax_warp_forwardIN3c108BFloat16ES2_fLi2ELb0ELb0ELi64EEEvPT0_PKT_iiiPKbib,@function
_ZN12_GLOBAL__N_120softmax_warp_forwardIN3c108BFloat16ES2_fLi2ELb0ELb0ELi64EEEvPT0_PKT_iiiPKbib: ; @_ZN12_GLOBAL__N_120softmax_warp_forwardIN3c108BFloat16ES2_fLi2ELb0ELb0ELi64EEEvPT0_PKT_iiiPKbib
; %bb.0:
	s_clause 0x1
	s_load_b32 s2, s[0:1], 0x3c
	s_load_b256 s[4:11], s[0:1], 0x0
	v_bfe_u32 v1, v0, 10, 10
	v_and_b32_e32 v2, 0x3ff, v0
	v_dual_mov_b32 v5, 0xff800000 :: v_dual_mov_b32 v6, 0xff800000
	s_waitcnt lgkmcnt(0)
	s_lshr_b32 s0, s2, 16
	s_delay_alu instid0(SALU_CYCLE_1) | instskip(SKIP_2) | instid1(VALU_DEP_1)
	s_mul_i32 s15, s15, s0
	v_cmp_gt_i32_e64 s0, s10, v2
	v_add_lshl_u32 v3, s15, v1, 1
	v_mad_u64_u32 v[0:1], null, v3, s9, v[2:3]
	v_sub_nc_u32_e32 v4, s8, v3
	s_delay_alu instid0(VALU_DEP_1) | instskip(NEXT) | instid1(VALU_DEP_3)
	v_cmp_lt_i32_e32 vcc_lo, 0, v4
	v_ashrrev_i32_e32 v1, 31, v0
	s_and_b32 s2, s0, vcc_lo
	s_delay_alu instid0(VALU_DEP_1) | instskip(NEXT) | instid1(VALU_DEP_1)
	v_lshlrev_b64 v[0:1], 1, v[0:1]
	v_add_co_u32 v2, s1, s6, v0
	s_delay_alu instid0(VALU_DEP_1)
	v_add_co_ci_u32_e64 v3, s1, s7, v1, s1
	s_and_saveexec_b32 s1, s2
	s_cbranch_execz .LBB462_2
; %bb.1:
	global_load_u16 v6, v[2:3], off
	s_waitcnt vmcnt(0)
	v_lshlrev_b32_e32 v6, 16, v6
.LBB462_2:
	s_or_b32 exec_lo, exec_lo, s1
	v_cmp_lt_i32_e64 s1, 1, v4
	s_delay_alu instid0(VALU_DEP_1) | instskip(NEXT) | instid1(SALU_CYCLE_1)
	s_and_b32 s1, s0, s1
	s_and_saveexec_b32 s2, s1
	s_cbranch_execz .LBB462_4
; %bb.3:
	s_mov_b32 s11, 0
	s_delay_alu instid0(SALU_CYCLE_1) | instskip(NEXT) | instid1(SALU_CYCLE_1)
	s_lshl_b64 s[6:7], s[10:11], 1
	v_add_co_u32 v2, s1, v2, s6
	s_delay_alu instid0(VALU_DEP_1)
	v_add_co_ci_u32_e64 v3, s1, s7, v3, s1
	global_load_u16 v2, v[2:3], off
	s_waitcnt vmcnt(0)
	v_lshlrev_b32_e32 v5, 16, v2
.LBB462_4:
	s_or_b32 exec_lo, exec_lo, s2
	v_mbcnt_lo_u32_b32 v2, -1, 0
	s_delay_alu instid0(VALU_DEP_1) | instskip(SKIP_2) | instid1(VALU_DEP_3)
	v_and_b32_e32 v3, 28, v2
	v_xor_b32_e32 v7, 2, v2
	v_xor_b32_e32 v10, 1, v2
	v_add_nc_u32_e32 v3, 4, v3
	s_delay_alu instid0(VALU_DEP_1) | instskip(NEXT) | instid1(VALU_DEP_1)
	v_cmp_lt_i32_e64 s1, v7, v3
	v_cndmask_b32_e64 v7, v2, v7, s1
	s_delay_alu instid0(VALU_DEP_4) | instskip(NEXT) | instid1(VALU_DEP_2)
	v_cmp_lt_i32_e64 s1, v10, v3
	v_lshlrev_b32_e32 v7, 2, v7
	s_delay_alu instid0(VALU_DEP_2)
	v_cndmask_b32_e64 v2, v2, v10, s1
	ds_bpermute_b32 v8, v7, v6
	ds_bpermute_b32 v9, v7, v5
	v_lshlrev_b32_e32 v10, 2, v2
	s_waitcnt lgkmcnt(1)
	v_cmp_lt_f32_e64 s1, v6, v8
	s_delay_alu instid0(VALU_DEP_1)
	v_cndmask_b32_e64 v2, v6, v8, s1
	s_waitcnt lgkmcnt(0)
	v_cmp_lt_f32_e64 s1, v5, v9
	ds_bpermute_b32 v8, v10, v2
	v_cndmask_b32_e64 v3, v5, v9, s1
	ds_bpermute_b32 v9, v10, v3
	s_waitcnt lgkmcnt(1)
	v_cmp_lt_f32_e64 s1, v2, v8
	s_delay_alu instid0(VALU_DEP_1) | instskip(SKIP_2) | instid1(VALU_DEP_2)
	v_cndmask_b32_e64 v2, v2, v8, s1
	s_waitcnt lgkmcnt(0)
	v_cmp_lt_f32_e64 s1, v3, v9
	v_sub_f32_e32 v2, v6, v2
	s_delay_alu instid0(VALU_DEP_2) | instskip(NEXT) | instid1(VALU_DEP_2)
	v_cndmask_b32_e64 v3, v3, v9, s1
	v_cmp_ngt_f32_e64 s1, 0xc2ce8ed0, v2
	s_delay_alu instid0(VALU_DEP_2) | instskip(NEXT) | instid1(VALU_DEP_1)
	v_sub_f32_e32 v3, v5, v3
	v_dual_mul_f32 v5, 0x3fb8aa3b, v2 :: v_dual_mul_f32 v6, 0x3fb8aa3b, v3
	s_delay_alu instid0(VALU_DEP_1) | instskip(SKIP_1) | instid1(VALU_DEP_3)
	v_fma_f32 v8, 0x3fb8aa3b, v2, -v5
	v_rndne_f32_e32 v9, v5
	v_fma_f32 v11, 0x3fb8aa3b, v3, -v6
	v_rndne_f32_e32 v12, v6
	s_delay_alu instid0(VALU_DEP_2) | instskip(NEXT) | instid1(VALU_DEP_2)
	v_dual_fmac_f32 v8, 0x32a5705f, v2 :: v_dual_fmac_f32 v11, 0x32a5705f, v3
	v_dual_sub_f32 v6, v6, v12 :: v_dual_sub_f32 v5, v5, v9
	s_delay_alu instid0(VALU_DEP_1) | instskip(SKIP_2) | instid1(VALU_DEP_3)
	v_dual_add_f32 v6, v6, v11 :: v_dual_add_f32 v5, v5, v8
	v_cvt_i32_f32_e32 v8, v9
	v_cvt_i32_f32_e32 v9, v12
	v_exp_f32_e32 v6, v6
	s_delay_alu instid0(VALU_DEP_3) | instskip(SKIP_3) | instid1(VALU_DEP_1)
	v_exp_f32_e32 v5, v5
	s_waitcnt_depctr 0xfff
	v_ldexp_f32 v6, v6, v9
	v_ldexp_f32 v5, v5, v8
	v_cndmask_b32_e64 v5, 0, v5, s1
	v_cmp_ngt_f32_e64 s1, 0xc2ce8ed0, v3
	s_delay_alu instid0(VALU_DEP_1) | instskip(SKIP_1) | instid1(VALU_DEP_1)
	v_cndmask_b32_e64 v8, 0, v6, s1
	v_cmp_nlt_f32_e64 s1, 0x42b17218, v2
	v_cndmask_b32_e64 v6, 0x7f800000, v5, s1
	v_cmp_nlt_f32_e64 s1, 0x42b17218, v3
	ds_bpermute_b32 v3, v7, v6
	v_cndmask_b32_e64 v2, 0x7f800000, v8, s1
	ds_bpermute_b32 v5, v7, v2
	s_waitcnt lgkmcnt(1)
	v_add_f32_e32 v7, v6, v3
	ds_bpermute_b32 v8, v10, v7
	s_waitcnt lgkmcnt(1)
	v_add_f32_e32 v3, v2, v5
	ds_bpermute_b32 v5, v10, v3
	s_and_saveexec_b32 s1, vcc_lo
	s_cbranch_execz .LBB462_12
; %bb.5:
	v_add_co_u32 v0, vcc_lo, s4, v0
	v_add_co_ci_u32_e32 v1, vcc_lo, s5, v1, vcc_lo
	s_and_saveexec_b32 s1, s0
	s_cbranch_execz .LBB462_9
; %bb.6:
	s_waitcnt lgkmcnt(1)
	v_dual_add_f32 v7, v7, v8 :: v_dual_mov_b32 v8, 0x7fc0
	s_mov_b32 s2, exec_lo
	s_delay_alu instid0(VALU_DEP_1)
	v_cmpx_neq_f32_e32 0, v7
	s_cbranch_execz .LBB462_8
; %bb.7:
	v_div_scale_f32 v8, null, v7, v7, v6
	s_delay_alu instid0(VALU_DEP_1) | instskip(SKIP_2) | instid1(VALU_DEP_1)
	v_rcp_f32_e32 v9, v8
	s_waitcnt_depctr 0xfff
	v_fma_f32 v10, -v8, v9, 1.0
	v_fmac_f32_e32 v9, v10, v9
	v_div_scale_f32 v10, vcc_lo, v6, v7, v6
	s_delay_alu instid0(VALU_DEP_1) | instskip(NEXT) | instid1(VALU_DEP_1)
	v_mul_f32_e32 v11, v10, v9
	v_fma_f32 v12, -v8, v11, v10
	s_delay_alu instid0(VALU_DEP_1) | instskip(NEXT) | instid1(VALU_DEP_1)
	v_fmac_f32_e32 v11, v12, v9
	v_fma_f32 v8, -v8, v11, v10
	s_delay_alu instid0(VALU_DEP_1) | instskip(NEXT) | instid1(VALU_DEP_1)
	v_div_fmas_f32 v8, v8, v9, v11
	v_div_fixup_f32 v6, v8, v7, v6
	s_delay_alu instid0(VALU_DEP_1) | instskip(SKIP_1) | instid1(VALU_DEP_2)
	v_bfe_u32 v7, v6, 16, 1
	v_cmp_o_f32_e32 vcc_lo, v6, v6
	v_add3_u32 v7, v6, v7, 0x7fff
	s_delay_alu instid0(VALU_DEP_1) | instskip(NEXT) | instid1(VALU_DEP_1)
	v_lshrrev_b32_e32 v7, 16, v7
	v_cndmask_b32_e32 v8, 0x7fc0, v7, vcc_lo
.LBB462_8:
	s_or_b32 exec_lo, exec_lo, s2
	global_store_b16 v[0:1], v8, off
.LBB462_9:
	s_or_b32 exec_lo, exec_lo, s1
	v_cmp_ne_u32_e32 vcc_lo, 1, v4
	s_and_b32 exec_lo, exec_lo, vcc_lo
	s_cbranch_execz .LBB462_12
; %bb.10:
	s_and_b32 exec_lo, exec_lo, s0
	s_cbranch_execz .LBB462_12
; %bb.11:
	s_waitcnt lgkmcnt(0)
	v_add_f32_e32 v3, v3, v5
	s_mov_b32 s11, 0
	s_delay_alu instid0(SALU_CYCLE_1) | instskip(NEXT) | instid1(SALU_CYCLE_1)
	s_lshl_b64 s[2:3], s[10:11], 1
	v_add_co_u32 v0, s1, v0, s2
	s_delay_alu instid0(VALU_DEP_2) | instskip(SKIP_2) | instid1(VALU_DEP_3)
	v_div_scale_f32 v4, null, v3, v3, v2
	v_div_scale_f32 v7, vcc_lo, v2, v3, v2
	v_add_co_ci_u32_e64 v1, s1, s3, v1, s1
	v_rcp_f32_e32 v5, v4
	s_waitcnt_depctr 0xfff
	v_fma_f32 v6, -v4, v5, 1.0
	s_delay_alu instid0(VALU_DEP_1) | instskip(NEXT) | instid1(VALU_DEP_1)
	v_fmac_f32_e32 v5, v6, v5
	v_mul_f32_e32 v6, v7, v5
	s_delay_alu instid0(VALU_DEP_1) | instskip(NEXT) | instid1(VALU_DEP_1)
	v_fma_f32 v8, -v4, v6, v7
	v_fmac_f32_e32 v6, v8, v5
	s_delay_alu instid0(VALU_DEP_1) | instskip(NEXT) | instid1(VALU_DEP_1)
	v_fma_f32 v4, -v4, v6, v7
	v_div_fmas_f32 v4, v4, v5, v6
	v_cmp_eq_f32_e32 vcc_lo, 0, v3
	s_delay_alu instid0(VALU_DEP_2) | instskip(NEXT) | instid1(VALU_DEP_1)
	v_div_fixup_f32 v2, v4, v3, v2
	v_bfe_u32 v4, v2, 16, 1
	v_cmp_u_f32_e64 s0, v2, v2
	s_delay_alu instid0(VALU_DEP_2) | instskip(NEXT) | instid1(VALU_DEP_2)
	v_add3_u32 v4, v2, v4, 0x7fff
	s_or_b32 s0, vcc_lo, s0
	s_delay_alu instid0(VALU_DEP_1) | instskip(NEXT) | instid1(VALU_DEP_1)
	v_lshrrev_b32_e32 v2, 16, v4
	v_cndmask_b32_e64 v2, v2, 0x7fc0, s0
	global_store_b16 v[0:1], v2, off
.LBB462_12:
	s_nop 0
	s_sendmsg sendmsg(MSG_DEALLOC_VGPRS)
	s_endpgm
	.section	.rodata,"a",@progbits
	.p2align	6, 0x0
	.amdhsa_kernel _ZN12_GLOBAL__N_120softmax_warp_forwardIN3c108BFloat16ES2_fLi2ELb0ELb0ELi64EEEvPT0_PKT_iiiPKbib
		.amdhsa_group_segment_fixed_size 0
		.amdhsa_private_segment_fixed_size 0
		.amdhsa_kernarg_size 304
		.amdhsa_user_sgpr_count 15
		.amdhsa_user_sgpr_dispatch_ptr 0
		.amdhsa_user_sgpr_queue_ptr 0
		.amdhsa_user_sgpr_kernarg_segment_ptr 1
		.amdhsa_user_sgpr_dispatch_id 0
		.amdhsa_user_sgpr_private_segment_size 0
		.amdhsa_wavefront_size32 1
		.amdhsa_uses_dynamic_stack 0
		.amdhsa_enable_private_segment 0
		.amdhsa_system_sgpr_workgroup_id_x 1
		.amdhsa_system_sgpr_workgroup_id_y 0
		.amdhsa_system_sgpr_workgroup_id_z 0
		.amdhsa_system_sgpr_workgroup_info 0
		.amdhsa_system_vgpr_workitem_id 1
		.amdhsa_next_free_vgpr 13
		.amdhsa_next_free_sgpr 16
		.amdhsa_reserve_vcc 1
		.amdhsa_float_round_mode_32 0
		.amdhsa_float_round_mode_16_64 0
		.amdhsa_float_denorm_mode_32 3
		.amdhsa_float_denorm_mode_16_64 3
		.amdhsa_dx10_clamp 1
		.amdhsa_ieee_mode 1
		.amdhsa_fp16_overflow 0
		.amdhsa_workgroup_processor_mode 1
		.amdhsa_memory_ordered 1
		.amdhsa_forward_progress 0
		.amdhsa_shared_vgpr_count 0
		.amdhsa_exception_fp_ieee_invalid_op 0
		.amdhsa_exception_fp_denorm_src 0
		.amdhsa_exception_fp_ieee_div_zero 0
		.amdhsa_exception_fp_ieee_overflow 0
		.amdhsa_exception_fp_ieee_underflow 0
		.amdhsa_exception_fp_ieee_inexact 0
		.amdhsa_exception_int_div_zero 0
	.end_amdhsa_kernel
	.section	.text._ZN12_GLOBAL__N_120softmax_warp_forwardIN3c108BFloat16ES2_fLi2ELb0ELb0ELi64EEEvPT0_PKT_iiiPKbib,"axG",@progbits,_ZN12_GLOBAL__N_120softmax_warp_forwardIN3c108BFloat16ES2_fLi2ELb0ELb0ELi64EEEvPT0_PKT_iiiPKbib,comdat
.Lfunc_end462:
	.size	_ZN12_GLOBAL__N_120softmax_warp_forwardIN3c108BFloat16ES2_fLi2ELb0ELb0ELi64EEEvPT0_PKT_iiiPKbib, .Lfunc_end462-_ZN12_GLOBAL__N_120softmax_warp_forwardIN3c108BFloat16ES2_fLi2ELb0ELb0ELi64EEEvPT0_PKT_iiiPKbib
                                        ; -- End function
	.section	.AMDGPU.csdata,"",@progbits
; Kernel info:
; codeLenInByte = 1168
; NumSgprs: 18
; NumVgprs: 13
; ScratchSize: 0
; MemoryBound: 0
; FloatMode: 240
; IeeeMode: 1
; LDSByteSize: 0 bytes/workgroup (compile time only)
; SGPRBlocks: 2
; VGPRBlocks: 1
; NumSGPRsForWavesPerEU: 18
; NumVGPRsForWavesPerEU: 13
; Occupancy: 16
; WaveLimiterHint : 0
; COMPUTE_PGM_RSRC2:SCRATCH_EN: 0
; COMPUTE_PGM_RSRC2:USER_SGPR: 15
; COMPUTE_PGM_RSRC2:TRAP_HANDLER: 0
; COMPUTE_PGM_RSRC2:TGID_X_EN: 1
; COMPUTE_PGM_RSRC2:TGID_Y_EN: 0
; COMPUTE_PGM_RSRC2:TGID_Z_EN: 0
; COMPUTE_PGM_RSRC2:TIDIG_COMP_CNT: 1
	.section	.text._ZN12_GLOBAL__N_120softmax_warp_forwardIN3c108BFloat16ES2_fLi2ELb0ELb0ELi32EEEvPT0_PKT_iiiPKbib,"axG",@progbits,_ZN12_GLOBAL__N_120softmax_warp_forwardIN3c108BFloat16ES2_fLi2ELb0ELb0ELi32EEEvPT0_PKT_iiiPKbib,comdat
	.globl	_ZN12_GLOBAL__N_120softmax_warp_forwardIN3c108BFloat16ES2_fLi2ELb0ELb0ELi32EEEvPT0_PKT_iiiPKbib ; -- Begin function _ZN12_GLOBAL__N_120softmax_warp_forwardIN3c108BFloat16ES2_fLi2ELb0ELb0ELi32EEEvPT0_PKT_iiiPKbib
	.p2align	8
	.type	_ZN12_GLOBAL__N_120softmax_warp_forwardIN3c108BFloat16ES2_fLi2ELb0ELb0ELi32EEEvPT0_PKT_iiiPKbib,@function
_ZN12_GLOBAL__N_120softmax_warp_forwardIN3c108BFloat16ES2_fLi2ELb0ELb0ELi32EEEvPT0_PKT_iiiPKbib: ; @_ZN12_GLOBAL__N_120softmax_warp_forwardIN3c108BFloat16ES2_fLi2ELb0ELb0ELi32EEEvPT0_PKT_iiiPKbib
; %bb.0:
	s_clause 0x1
	s_load_b32 s2, s[0:1], 0x3c
	s_load_b256 s[4:11], s[0:1], 0x0
	v_bfe_u32 v1, v0, 10, 10
	v_and_b32_e32 v2, 0x3ff, v0
	v_dual_mov_b32 v5, 0xff800000 :: v_dual_mov_b32 v6, 0xff800000
	s_waitcnt lgkmcnt(0)
	s_lshr_b32 s0, s2, 16
	s_delay_alu instid0(SALU_CYCLE_1) | instskip(SKIP_2) | instid1(VALU_DEP_1)
	s_mul_i32 s15, s15, s0
	v_cmp_gt_i32_e64 s0, s10, v2
	v_add_lshl_u32 v3, s15, v1, 1
	v_mad_u64_u32 v[0:1], null, v3, s9, v[2:3]
	v_sub_nc_u32_e32 v4, s8, v3
	s_delay_alu instid0(VALU_DEP_1) | instskip(NEXT) | instid1(VALU_DEP_3)
	v_cmp_lt_i32_e32 vcc_lo, 0, v4
	v_ashrrev_i32_e32 v1, 31, v0
	s_and_b32 s2, s0, vcc_lo
	s_delay_alu instid0(VALU_DEP_1) | instskip(NEXT) | instid1(VALU_DEP_1)
	v_lshlrev_b64 v[0:1], 1, v[0:1]
	v_add_co_u32 v2, s1, s6, v0
	s_delay_alu instid0(VALU_DEP_1)
	v_add_co_ci_u32_e64 v3, s1, s7, v1, s1
	s_and_saveexec_b32 s1, s2
	s_cbranch_execz .LBB463_2
; %bb.1:
	global_load_u16 v6, v[2:3], off
	s_waitcnt vmcnt(0)
	v_lshlrev_b32_e32 v6, 16, v6
.LBB463_2:
	s_or_b32 exec_lo, exec_lo, s1
	v_cmp_lt_i32_e64 s1, 1, v4
	s_delay_alu instid0(VALU_DEP_1) | instskip(NEXT) | instid1(SALU_CYCLE_1)
	s_and_b32 s1, s0, s1
	s_and_saveexec_b32 s2, s1
	s_cbranch_execz .LBB463_4
; %bb.3:
	s_mov_b32 s11, 0
	s_delay_alu instid0(SALU_CYCLE_1) | instskip(NEXT) | instid1(SALU_CYCLE_1)
	s_lshl_b64 s[6:7], s[10:11], 1
	v_add_co_u32 v2, s1, v2, s6
	s_delay_alu instid0(VALU_DEP_1)
	v_add_co_ci_u32_e64 v3, s1, s7, v3, s1
	global_load_u16 v2, v[2:3], off
	s_waitcnt vmcnt(0)
	v_lshlrev_b32_e32 v5, 16, v2
.LBB463_4:
	s_or_b32 exec_lo, exec_lo, s2
	v_mbcnt_lo_u32_b32 v2, -1, 0
	s_delay_alu instid0(VALU_DEP_1) | instskip(SKIP_2) | instid1(VALU_DEP_3)
	v_and_b32_e32 v3, 28, v2
	v_xor_b32_e32 v7, 2, v2
	v_xor_b32_e32 v10, 1, v2
	v_add_nc_u32_e32 v3, 4, v3
	s_delay_alu instid0(VALU_DEP_1) | instskip(NEXT) | instid1(VALU_DEP_1)
	v_cmp_lt_i32_e64 s1, v7, v3
	v_cndmask_b32_e64 v7, v2, v7, s1
	s_delay_alu instid0(VALU_DEP_4) | instskip(NEXT) | instid1(VALU_DEP_2)
	v_cmp_lt_i32_e64 s1, v10, v3
	v_lshlrev_b32_e32 v7, 2, v7
	s_delay_alu instid0(VALU_DEP_2)
	v_cndmask_b32_e64 v2, v2, v10, s1
	ds_bpermute_b32 v8, v7, v6
	ds_bpermute_b32 v9, v7, v5
	v_lshlrev_b32_e32 v10, 2, v2
	s_waitcnt lgkmcnt(1)
	v_cmp_lt_f32_e64 s1, v6, v8
	s_delay_alu instid0(VALU_DEP_1)
	v_cndmask_b32_e64 v2, v6, v8, s1
	s_waitcnt lgkmcnt(0)
	v_cmp_lt_f32_e64 s1, v5, v9
	ds_bpermute_b32 v8, v10, v2
	v_cndmask_b32_e64 v3, v5, v9, s1
	ds_bpermute_b32 v9, v10, v3
	s_waitcnt lgkmcnt(1)
	v_cmp_lt_f32_e64 s1, v2, v8
	s_delay_alu instid0(VALU_DEP_1) | instskip(SKIP_2) | instid1(VALU_DEP_2)
	v_cndmask_b32_e64 v2, v2, v8, s1
	s_waitcnt lgkmcnt(0)
	v_cmp_lt_f32_e64 s1, v3, v9
	v_sub_f32_e32 v2, v6, v2
	s_delay_alu instid0(VALU_DEP_2) | instskip(NEXT) | instid1(VALU_DEP_2)
	v_cndmask_b32_e64 v3, v3, v9, s1
	v_cmp_ngt_f32_e64 s1, 0xc2ce8ed0, v2
	s_delay_alu instid0(VALU_DEP_2) | instskip(NEXT) | instid1(VALU_DEP_1)
	v_sub_f32_e32 v3, v5, v3
	v_dual_mul_f32 v5, 0x3fb8aa3b, v2 :: v_dual_mul_f32 v6, 0x3fb8aa3b, v3
	s_delay_alu instid0(VALU_DEP_1) | instskip(SKIP_1) | instid1(VALU_DEP_3)
	v_fma_f32 v8, 0x3fb8aa3b, v2, -v5
	v_rndne_f32_e32 v9, v5
	v_fma_f32 v11, 0x3fb8aa3b, v3, -v6
	v_rndne_f32_e32 v12, v6
	s_delay_alu instid0(VALU_DEP_2) | instskip(NEXT) | instid1(VALU_DEP_2)
	v_dual_fmac_f32 v8, 0x32a5705f, v2 :: v_dual_fmac_f32 v11, 0x32a5705f, v3
	v_dual_sub_f32 v6, v6, v12 :: v_dual_sub_f32 v5, v5, v9
	s_delay_alu instid0(VALU_DEP_1) | instskip(SKIP_2) | instid1(VALU_DEP_3)
	v_dual_add_f32 v6, v6, v11 :: v_dual_add_f32 v5, v5, v8
	v_cvt_i32_f32_e32 v8, v9
	v_cvt_i32_f32_e32 v9, v12
	v_exp_f32_e32 v6, v6
	s_delay_alu instid0(VALU_DEP_3) | instskip(SKIP_3) | instid1(VALU_DEP_1)
	v_exp_f32_e32 v5, v5
	s_waitcnt_depctr 0xfff
	v_ldexp_f32 v6, v6, v9
	v_ldexp_f32 v5, v5, v8
	v_cndmask_b32_e64 v5, 0, v5, s1
	v_cmp_ngt_f32_e64 s1, 0xc2ce8ed0, v3
	s_delay_alu instid0(VALU_DEP_1) | instskip(SKIP_1) | instid1(VALU_DEP_1)
	v_cndmask_b32_e64 v8, 0, v6, s1
	v_cmp_nlt_f32_e64 s1, 0x42b17218, v2
	v_cndmask_b32_e64 v6, 0x7f800000, v5, s1
	v_cmp_nlt_f32_e64 s1, 0x42b17218, v3
	ds_bpermute_b32 v3, v7, v6
	v_cndmask_b32_e64 v2, 0x7f800000, v8, s1
	ds_bpermute_b32 v5, v7, v2
	s_waitcnt lgkmcnt(1)
	v_add_f32_e32 v7, v6, v3
	ds_bpermute_b32 v8, v10, v7
	s_waitcnt lgkmcnt(1)
	v_add_f32_e32 v3, v2, v5
	ds_bpermute_b32 v5, v10, v3
	s_and_saveexec_b32 s1, vcc_lo
	s_cbranch_execz .LBB463_12
; %bb.5:
	v_add_co_u32 v0, vcc_lo, s4, v0
	v_add_co_ci_u32_e32 v1, vcc_lo, s5, v1, vcc_lo
	s_and_saveexec_b32 s1, s0
	s_cbranch_execz .LBB463_9
; %bb.6:
	s_waitcnt lgkmcnt(1)
	v_dual_add_f32 v7, v7, v8 :: v_dual_mov_b32 v8, 0x7fc0
	s_mov_b32 s2, exec_lo
	s_delay_alu instid0(VALU_DEP_1)
	v_cmpx_neq_f32_e32 0, v7
	s_cbranch_execz .LBB463_8
; %bb.7:
	v_div_scale_f32 v8, null, v7, v7, v6
	s_delay_alu instid0(VALU_DEP_1) | instskip(SKIP_2) | instid1(VALU_DEP_1)
	v_rcp_f32_e32 v9, v8
	s_waitcnt_depctr 0xfff
	v_fma_f32 v10, -v8, v9, 1.0
	v_fmac_f32_e32 v9, v10, v9
	v_div_scale_f32 v10, vcc_lo, v6, v7, v6
	s_delay_alu instid0(VALU_DEP_1) | instskip(NEXT) | instid1(VALU_DEP_1)
	v_mul_f32_e32 v11, v10, v9
	v_fma_f32 v12, -v8, v11, v10
	s_delay_alu instid0(VALU_DEP_1) | instskip(NEXT) | instid1(VALU_DEP_1)
	v_fmac_f32_e32 v11, v12, v9
	v_fma_f32 v8, -v8, v11, v10
	s_delay_alu instid0(VALU_DEP_1) | instskip(NEXT) | instid1(VALU_DEP_1)
	v_div_fmas_f32 v8, v8, v9, v11
	v_div_fixup_f32 v6, v8, v7, v6
	s_delay_alu instid0(VALU_DEP_1) | instskip(SKIP_1) | instid1(VALU_DEP_2)
	v_bfe_u32 v7, v6, 16, 1
	v_cmp_o_f32_e32 vcc_lo, v6, v6
	v_add3_u32 v7, v6, v7, 0x7fff
	s_delay_alu instid0(VALU_DEP_1) | instskip(NEXT) | instid1(VALU_DEP_1)
	v_lshrrev_b32_e32 v7, 16, v7
	v_cndmask_b32_e32 v8, 0x7fc0, v7, vcc_lo
.LBB463_8:
	s_or_b32 exec_lo, exec_lo, s2
	global_store_b16 v[0:1], v8, off
.LBB463_9:
	s_or_b32 exec_lo, exec_lo, s1
	v_cmp_ne_u32_e32 vcc_lo, 1, v4
	s_and_b32 exec_lo, exec_lo, vcc_lo
	s_cbranch_execz .LBB463_12
; %bb.10:
	s_and_b32 exec_lo, exec_lo, s0
	s_cbranch_execz .LBB463_12
; %bb.11:
	s_waitcnt lgkmcnt(0)
	v_add_f32_e32 v3, v3, v5
	s_mov_b32 s11, 0
	s_delay_alu instid0(SALU_CYCLE_1) | instskip(NEXT) | instid1(SALU_CYCLE_1)
	s_lshl_b64 s[2:3], s[10:11], 1
	v_add_co_u32 v0, s1, v0, s2
	s_delay_alu instid0(VALU_DEP_2) | instskip(SKIP_2) | instid1(VALU_DEP_3)
	v_div_scale_f32 v4, null, v3, v3, v2
	v_div_scale_f32 v7, vcc_lo, v2, v3, v2
	v_add_co_ci_u32_e64 v1, s1, s3, v1, s1
	v_rcp_f32_e32 v5, v4
	s_waitcnt_depctr 0xfff
	v_fma_f32 v6, -v4, v5, 1.0
	s_delay_alu instid0(VALU_DEP_1) | instskip(NEXT) | instid1(VALU_DEP_1)
	v_fmac_f32_e32 v5, v6, v5
	v_mul_f32_e32 v6, v7, v5
	s_delay_alu instid0(VALU_DEP_1) | instskip(NEXT) | instid1(VALU_DEP_1)
	v_fma_f32 v8, -v4, v6, v7
	v_fmac_f32_e32 v6, v8, v5
	s_delay_alu instid0(VALU_DEP_1) | instskip(NEXT) | instid1(VALU_DEP_1)
	v_fma_f32 v4, -v4, v6, v7
	v_div_fmas_f32 v4, v4, v5, v6
	v_cmp_eq_f32_e32 vcc_lo, 0, v3
	s_delay_alu instid0(VALU_DEP_2) | instskip(NEXT) | instid1(VALU_DEP_1)
	v_div_fixup_f32 v2, v4, v3, v2
	v_bfe_u32 v4, v2, 16, 1
	v_cmp_u_f32_e64 s0, v2, v2
	s_delay_alu instid0(VALU_DEP_2) | instskip(NEXT) | instid1(VALU_DEP_2)
	v_add3_u32 v4, v2, v4, 0x7fff
	s_or_b32 s0, vcc_lo, s0
	s_delay_alu instid0(VALU_DEP_1) | instskip(NEXT) | instid1(VALU_DEP_1)
	v_lshrrev_b32_e32 v2, 16, v4
	v_cndmask_b32_e64 v2, v2, 0x7fc0, s0
	global_store_b16 v[0:1], v2, off
.LBB463_12:
	s_nop 0
	s_sendmsg sendmsg(MSG_DEALLOC_VGPRS)
	s_endpgm
	.section	.rodata,"a",@progbits
	.p2align	6, 0x0
	.amdhsa_kernel _ZN12_GLOBAL__N_120softmax_warp_forwardIN3c108BFloat16ES2_fLi2ELb0ELb0ELi32EEEvPT0_PKT_iiiPKbib
		.amdhsa_group_segment_fixed_size 0
		.amdhsa_private_segment_fixed_size 0
		.amdhsa_kernarg_size 304
		.amdhsa_user_sgpr_count 15
		.amdhsa_user_sgpr_dispatch_ptr 0
		.amdhsa_user_sgpr_queue_ptr 0
		.amdhsa_user_sgpr_kernarg_segment_ptr 1
		.amdhsa_user_sgpr_dispatch_id 0
		.amdhsa_user_sgpr_private_segment_size 0
		.amdhsa_wavefront_size32 1
		.amdhsa_uses_dynamic_stack 0
		.amdhsa_enable_private_segment 0
		.amdhsa_system_sgpr_workgroup_id_x 1
		.amdhsa_system_sgpr_workgroup_id_y 0
		.amdhsa_system_sgpr_workgroup_id_z 0
		.amdhsa_system_sgpr_workgroup_info 0
		.amdhsa_system_vgpr_workitem_id 1
		.amdhsa_next_free_vgpr 13
		.amdhsa_next_free_sgpr 16
		.amdhsa_reserve_vcc 1
		.amdhsa_float_round_mode_32 0
		.amdhsa_float_round_mode_16_64 0
		.amdhsa_float_denorm_mode_32 3
		.amdhsa_float_denorm_mode_16_64 3
		.amdhsa_dx10_clamp 1
		.amdhsa_ieee_mode 1
		.amdhsa_fp16_overflow 0
		.amdhsa_workgroup_processor_mode 1
		.amdhsa_memory_ordered 1
		.amdhsa_forward_progress 0
		.amdhsa_shared_vgpr_count 0
		.amdhsa_exception_fp_ieee_invalid_op 0
		.amdhsa_exception_fp_denorm_src 0
		.amdhsa_exception_fp_ieee_div_zero 0
		.amdhsa_exception_fp_ieee_overflow 0
		.amdhsa_exception_fp_ieee_underflow 0
		.amdhsa_exception_fp_ieee_inexact 0
		.amdhsa_exception_int_div_zero 0
	.end_amdhsa_kernel
	.section	.text._ZN12_GLOBAL__N_120softmax_warp_forwardIN3c108BFloat16ES2_fLi2ELb0ELb0ELi32EEEvPT0_PKT_iiiPKbib,"axG",@progbits,_ZN12_GLOBAL__N_120softmax_warp_forwardIN3c108BFloat16ES2_fLi2ELb0ELb0ELi32EEEvPT0_PKT_iiiPKbib,comdat
.Lfunc_end463:
	.size	_ZN12_GLOBAL__N_120softmax_warp_forwardIN3c108BFloat16ES2_fLi2ELb0ELb0ELi32EEEvPT0_PKT_iiiPKbib, .Lfunc_end463-_ZN12_GLOBAL__N_120softmax_warp_forwardIN3c108BFloat16ES2_fLi2ELb0ELb0ELi32EEEvPT0_PKT_iiiPKbib
                                        ; -- End function
	.section	.AMDGPU.csdata,"",@progbits
; Kernel info:
; codeLenInByte = 1168
; NumSgprs: 18
; NumVgprs: 13
; ScratchSize: 0
; MemoryBound: 0
; FloatMode: 240
; IeeeMode: 1
; LDSByteSize: 0 bytes/workgroup (compile time only)
; SGPRBlocks: 2
; VGPRBlocks: 1
; NumSGPRsForWavesPerEU: 18
; NumVGPRsForWavesPerEU: 13
; Occupancy: 16
; WaveLimiterHint : 0
; COMPUTE_PGM_RSRC2:SCRATCH_EN: 0
; COMPUTE_PGM_RSRC2:USER_SGPR: 15
; COMPUTE_PGM_RSRC2:TRAP_HANDLER: 0
; COMPUTE_PGM_RSRC2:TGID_X_EN: 1
; COMPUTE_PGM_RSRC2:TGID_Y_EN: 0
; COMPUTE_PGM_RSRC2:TGID_Z_EN: 0
; COMPUTE_PGM_RSRC2:TIDIG_COMP_CNT: 1
	.section	.text._ZN12_GLOBAL__N_120softmax_warp_forwardIN3c108BFloat16ES2_fLi3ELb0ELb0ELi64EEEvPT0_PKT_iiiPKbib,"axG",@progbits,_ZN12_GLOBAL__N_120softmax_warp_forwardIN3c108BFloat16ES2_fLi3ELb0ELb0ELi64EEEvPT0_PKT_iiiPKbib,comdat
	.globl	_ZN12_GLOBAL__N_120softmax_warp_forwardIN3c108BFloat16ES2_fLi3ELb0ELb0ELi64EEEvPT0_PKT_iiiPKbib ; -- Begin function _ZN12_GLOBAL__N_120softmax_warp_forwardIN3c108BFloat16ES2_fLi3ELb0ELb0ELi64EEEvPT0_PKT_iiiPKbib
	.p2align	8
	.type	_ZN12_GLOBAL__N_120softmax_warp_forwardIN3c108BFloat16ES2_fLi3ELb0ELb0ELi64EEEvPT0_PKT_iiiPKbib,@function
_ZN12_GLOBAL__N_120softmax_warp_forwardIN3c108BFloat16ES2_fLi3ELb0ELb0ELi64EEEvPT0_PKT_iiiPKbib: ; @_ZN12_GLOBAL__N_120softmax_warp_forwardIN3c108BFloat16ES2_fLi3ELb0ELb0ELi64EEEvPT0_PKT_iiiPKbib
; %bb.0:
	s_clause 0x1
	s_load_b32 s2, s[0:1], 0x3c
	s_load_b256 s[4:11], s[0:1], 0x0
	v_bfe_u32 v1, v0, 10, 10
	v_and_b32_e32 v2, 0x3ff, v0
	v_dual_mov_b32 v5, 0xff800000 :: v_dual_mov_b32 v6, 0xff800000
	s_waitcnt lgkmcnt(0)
	s_lshr_b32 s0, s2, 16
	s_delay_alu instid0(SALU_CYCLE_1) | instskip(SKIP_2) | instid1(VALU_DEP_1)
	s_mul_i32 s15, s15, s0
	v_cmp_gt_i32_e64 s0, s10, v2
	v_add_lshl_u32 v3, s15, v1, 1
	v_mad_u64_u32 v[0:1], null, v3, s9, v[2:3]
	v_sub_nc_u32_e32 v4, s8, v3
	s_delay_alu instid0(VALU_DEP_1) | instskip(NEXT) | instid1(VALU_DEP_3)
	v_cmp_lt_i32_e32 vcc_lo, 0, v4
	v_ashrrev_i32_e32 v1, 31, v0
	s_and_b32 s2, s0, vcc_lo
	s_delay_alu instid0(VALU_DEP_1) | instskip(NEXT) | instid1(VALU_DEP_1)
	v_lshlrev_b64 v[0:1], 1, v[0:1]
	v_add_co_u32 v2, s1, s6, v0
	s_delay_alu instid0(VALU_DEP_1)
	v_add_co_ci_u32_e64 v3, s1, s7, v1, s1
	s_and_saveexec_b32 s1, s2
	s_cbranch_execz .LBB464_2
; %bb.1:
	global_load_u16 v6, v[2:3], off
	s_waitcnt vmcnt(0)
	v_lshlrev_b32_e32 v6, 16, v6
.LBB464_2:
	s_or_b32 exec_lo, exec_lo, s1
	v_cmp_lt_i32_e64 s1, 1, v4
	s_delay_alu instid0(VALU_DEP_1) | instskip(NEXT) | instid1(SALU_CYCLE_1)
	s_and_b32 s1, s0, s1
	s_and_saveexec_b32 s2, s1
	s_cbranch_execz .LBB464_4
; %bb.3:
	s_mov_b32 s11, 0
	s_delay_alu instid0(SALU_CYCLE_1) | instskip(NEXT) | instid1(SALU_CYCLE_1)
	s_lshl_b64 s[6:7], s[10:11], 1
	v_add_co_u32 v2, s1, v2, s6
	s_delay_alu instid0(VALU_DEP_1)
	v_add_co_ci_u32_e64 v3, s1, s7, v3, s1
	global_load_u16 v2, v[2:3], off
	s_waitcnt vmcnt(0)
	v_lshlrev_b32_e32 v5, 16, v2
.LBB464_4:
	s_or_b32 exec_lo, exec_lo, s2
	v_mbcnt_lo_u32_b32 v2, -1, 0
	s_delay_alu instid0(VALU_DEP_1) | instskip(SKIP_3) | instid1(VALU_DEP_4)
	v_and_b32_e32 v3, 24, v2
	v_xor_b32_e32 v7, 4, v2
	v_xor_b32_e32 v10, 2, v2
	;; [unrolled: 1-line block ×3, first 2 shown]
	v_add_nc_u32_e32 v3, 8, v3
	s_delay_alu instid0(VALU_DEP_1) | instskip(NEXT) | instid1(VALU_DEP_1)
	v_cmp_lt_i32_e64 s1, v7, v3
	v_cndmask_b32_e64 v7, v2, v7, s1
	v_cmp_lt_i32_e64 s1, v10, v3
	s_delay_alu instid0(VALU_DEP_2) | instskip(NEXT) | instid1(VALU_DEP_2)
	v_lshlrev_b32_e32 v7, 2, v7
	v_cndmask_b32_e64 v10, v2, v10, s1
	ds_bpermute_b32 v8, v7, v6
	ds_bpermute_b32 v9, v7, v5
	v_lshlrev_b32_e32 v10, 2, v10
	s_waitcnt lgkmcnt(1)
	v_cmp_lt_f32_e64 s1, v6, v8
	s_delay_alu instid0(VALU_DEP_1)
	v_cndmask_b32_e64 v8, v6, v8, s1
	s_waitcnt lgkmcnt(0)
	v_cmp_lt_f32_e64 s1, v5, v9
	ds_bpermute_b32 v11, v10, v8
	v_cndmask_b32_e64 v9, v5, v9, s1
	v_cmp_lt_i32_e64 s1, v13, v3
	ds_bpermute_b32 v12, v10, v9
	v_cndmask_b32_e64 v2, v2, v13, s1
	s_delay_alu instid0(VALU_DEP_1) | instskip(SKIP_2) | instid1(VALU_DEP_1)
	v_lshlrev_b32_e32 v13, 2, v2
	s_waitcnt lgkmcnt(1)
	v_cmp_lt_f32_e64 s1, v8, v11
	v_cndmask_b32_e64 v2, v8, v11, s1
	s_waitcnt lgkmcnt(0)
	v_cmp_lt_f32_e64 s1, v9, v12
	ds_bpermute_b32 v8, v13, v2
	v_cndmask_b32_e64 v3, v9, v12, s1
	ds_bpermute_b32 v9, v13, v3
	s_waitcnt lgkmcnt(1)
	v_cmp_lt_f32_e64 s1, v2, v8
	s_delay_alu instid0(VALU_DEP_1) | instskip(SKIP_2) | instid1(VALU_DEP_2)
	v_cndmask_b32_e64 v2, v2, v8, s1
	s_waitcnt lgkmcnt(0)
	v_cmp_lt_f32_e64 s1, v3, v9
	v_sub_f32_e32 v2, v6, v2
	s_delay_alu instid0(VALU_DEP_2) | instskip(NEXT) | instid1(VALU_DEP_2)
	v_cndmask_b32_e64 v3, v3, v9, s1
	v_cmp_ngt_f32_e64 s1, 0xc2ce8ed0, v2
	s_delay_alu instid0(VALU_DEP_2) | instskip(NEXT) | instid1(VALU_DEP_1)
	v_sub_f32_e32 v3, v5, v3
	v_mul_f32_e32 v6, 0x3fb8aa3b, v3
	s_delay_alu instid0(VALU_DEP_1) | instskip(SKIP_1) | instid1(VALU_DEP_1)
	v_fma_f32 v11, 0x3fb8aa3b, v3, -v6
	v_rndne_f32_e32 v12, v6
	v_dual_fmac_f32 v11, 0x32a5705f, v3 :: v_dual_sub_f32 v6, v6, v12
	s_delay_alu instid0(VALU_DEP_1) | instskip(NEXT) | instid1(VALU_DEP_1)
	v_dual_mul_f32 v5, 0x3fb8aa3b, v2 :: v_dual_add_f32 v6, v6, v11
	v_fma_f32 v8, 0x3fb8aa3b, v2, -v5
	v_rndne_f32_e32 v9, v5
	s_delay_alu instid0(VALU_DEP_3) | instskip(NEXT) | instid1(VALU_DEP_1)
	v_exp_f32_e32 v6, v6
	v_dual_fmac_f32 v8, 0x32a5705f, v2 :: v_dual_sub_f32 v5, v5, v9
	s_delay_alu instid0(VALU_DEP_1) | instskip(SKIP_2) | instid1(VALU_DEP_3)
	v_add_f32_e32 v5, v5, v8
	v_cvt_i32_f32_e32 v8, v9
	v_cvt_i32_f32_e32 v9, v12
	v_exp_f32_e32 v5, v5
	s_waitcnt_depctr 0xfff
	v_ldexp_f32 v6, v6, v9
	v_ldexp_f32 v5, v5, v8
	s_delay_alu instid0(VALU_DEP_1) | instskip(SKIP_1) | instid1(VALU_DEP_1)
	v_cndmask_b32_e64 v5, 0, v5, s1
	v_cmp_ngt_f32_e64 s1, 0xc2ce8ed0, v3
	v_cndmask_b32_e64 v8, 0, v6, s1
	v_cmp_nlt_f32_e64 s1, 0x42b17218, v2
	s_delay_alu instid0(VALU_DEP_1)
	v_cndmask_b32_e64 v6, 0x7f800000, v5, s1
	v_cmp_nlt_f32_e64 s1, 0x42b17218, v3
	ds_bpermute_b32 v3, v7, v6
	v_cndmask_b32_e64 v2, 0x7f800000, v8, s1
	ds_bpermute_b32 v5, v7, v2
	s_waitcnt lgkmcnt(1)
	v_add_f32_e32 v3, v6, v3
	ds_bpermute_b32 v7, v10, v3
	s_waitcnt lgkmcnt(1)
	v_add_f32_e32 v5, v2, v5
	;; [unrolled: 3-line block ×3, first 2 shown]
	s_waitcnt lgkmcnt(0)
	v_add_f32_e32 v3, v5, v8
	ds_bpermute_b32 v8, v13, v7
	ds_bpermute_b32 v5, v13, v3
	s_and_saveexec_b32 s1, vcc_lo
	s_cbranch_execz .LBB464_12
; %bb.5:
	v_add_co_u32 v0, vcc_lo, s4, v0
	v_add_co_ci_u32_e32 v1, vcc_lo, s5, v1, vcc_lo
	s_and_saveexec_b32 s1, s0
	s_cbranch_execz .LBB464_9
; %bb.6:
	s_waitcnt lgkmcnt(1)
	v_dual_add_f32 v7, v7, v8 :: v_dual_mov_b32 v8, 0x7fc0
	s_mov_b32 s2, exec_lo
	s_delay_alu instid0(VALU_DEP_1)
	v_cmpx_neq_f32_e32 0, v7
	s_cbranch_execz .LBB464_8
; %bb.7:
	v_div_scale_f32 v8, null, v7, v7, v6
	s_delay_alu instid0(VALU_DEP_1) | instskip(SKIP_2) | instid1(VALU_DEP_1)
	v_rcp_f32_e32 v9, v8
	s_waitcnt_depctr 0xfff
	v_fma_f32 v10, -v8, v9, 1.0
	v_fmac_f32_e32 v9, v10, v9
	v_div_scale_f32 v10, vcc_lo, v6, v7, v6
	s_delay_alu instid0(VALU_DEP_1) | instskip(NEXT) | instid1(VALU_DEP_1)
	v_mul_f32_e32 v11, v10, v9
	v_fma_f32 v12, -v8, v11, v10
	s_delay_alu instid0(VALU_DEP_1) | instskip(NEXT) | instid1(VALU_DEP_1)
	v_fmac_f32_e32 v11, v12, v9
	v_fma_f32 v8, -v8, v11, v10
	s_delay_alu instid0(VALU_DEP_1) | instskip(NEXT) | instid1(VALU_DEP_1)
	v_div_fmas_f32 v8, v8, v9, v11
	v_div_fixup_f32 v6, v8, v7, v6
	s_delay_alu instid0(VALU_DEP_1) | instskip(SKIP_1) | instid1(VALU_DEP_2)
	v_bfe_u32 v7, v6, 16, 1
	v_cmp_o_f32_e32 vcc_lo, v6, v6
	v_add3_u32 v7, v6, v7, 0x7fff
	s_delay_alu instid0(VALU_DEP_1) | instskip(NEXT) | instid1(VALU_DEP_1)
	v_lshrrev_b32_e32 v7, 16, v7
	v_cndmask_b32_e32 v8, 0x7fc0, v7, vcc_lo
.LBB464_8:
	s_or_b32 exec_lo, exec_lo, s2
	global_store_b16 v[0:1], v8, off
.LBB464_9:
	s_or_b32 exec_lo, exec_lo, s1
	v_cmp_ne_u32_e32 vcc_lo, 1, v4
	s_and_b32 exec_lo, exec_lo, vcc_lo
	s_cbranch_execz .LBB464_12
; %bb.10:
	s_and_b32 exec_lo, exec_lo, s0
	s_cbranch_execz .LBB464_12
; %bb.11:
	s_waitcnt lgkmcnt(0)
	v_add_f32_e32 v3, v3, v5
	s_mov_b32 s11, 0
	s_delay_alu instid0(SALU_CYCLE_1) | instskip(NEXT) | instid1(SALU_CYCLE_1)
	s_lshl_b64 s[2:3], s[10:11], 1
	v_add_co_u32 v0, s1, v0, s2
	s_delay_alu instid0(VALU_DEP_2) | instskip(SKIP_2) | instid1(VALU_DEP_3)
	v_div_scale_f32 v4, null, v3, v3, v2
	v_div_scale_f32 v7, vcc_lo, v2, v3, v2
	v_add_co_ci_u32_e64 v1, s1, s3, v1, s1
	v_rcp_f32_e32 v5, v4
	s_waitcnt_depctr 0xfff
	v_fma_f32 v6, -v4, v5, 1.0
	s_delay_alu instid0(VALU_DEP_1) | instskip(NEXT) | instid1(VALU_DEP_1)
	v_fmac_f32_e32 v5, v6, v5
	v_mul_f32_e32 v6, v7, v5
	s_delay_alu instid0(VALU_DEP_1) | instskip(NEXT) | instid1(VALU_DEP_1)
	v_fma_f32 v8, -v4, v6, v7
	v_fmac_f32_e32 v6, v8, v5
	s_delay_alu instid0(VALU_DEP_1) | instskip(NEXT) | instid1(VALU_DEP_1)
	v_fma_f32 v4, -v4, v6, v7
	v_div_fmas_f32 v4, v4, v5, v6
	v_cmp_eq_f32_e32 vcc_lo, 0, v3
	s_delay_alu instid0(VALU_DEP_2) | instskip(NEXT) | instid1(VALU_DEP_1)
	v_div_fixup_f32 v2, v4, v3, v2
	v_bfe_u32 v4, v2, 16, 1
	v_cmp_u_f32_e64 s0, v2, v2
	s_delay_alu instid0(VALU_DEP_2) | instskip(NEXT) | instid1(VALU_DEP_2)
	v_add3_u32 v4, v2, v4, 0x7fff
	s_or_b32 s0, vcc_lo, s0
	s_delay_alu instid0(VALU_DEP_1) | instskip(NEXT) | instid1(VALU_DEP_1)
	v_lshrrev_b32_e32 v2, 16, v4
	v_cndmask_b32_e64 v2, v2, 0x7fc0, s0
	global_store_b16 v[0:1], v2, off
.LBB464_12:
	s_nop 0
	s_sendmsg sendmsg(MSG_DEALLOC_VGPRS)
	s_endpgm
	.section	.rodata,"a",@progbits
	.p2align	6, 0x0
	.amdhsa_kernel _ZN12_GLOBAL__N_120softmax_warp_forwardIN3c108BFloat16ES2_fLi3ELb0ELb0ELi64EEEvPT0_PKT_iiiPKbib
		.amdhsa_group_segment_fixed_size 0
		.amdhsa_private_segment_fixed_size 0
		.amdhsa_kernarg_size 304
		.amdhsa_user_sgpr_count 15
		.amdhsa_user_sgpr_dispatch_ptr 0
		.amdhsa_user_sgpr_queue_ptr 0
		.amdhsa_user_sgpr_kernarg_segment_ptr 1
		.amdhsa_user_sgpr_dispatch_id 0
		.amdhsa_user_sgpr_private_segment_size 0
		.amdhsa_wavefront_size32 1
		.amdhsa_uses_dynamic_stack 0
		.amdhsa_enable_private_segment 0
		.amdhsa_system_sgpr_workgroup_id_x 1
		.amdhsa_system_sgpr_workgroup_id_y 0
		.amdhsa_system_sgpr_workgroup_id_z 0
		.amdhsa_system_sgpr_workgroup_info 0
		.amdhsa_system_vgpr_workitem_id 1
		.amdhsa_next_free_vgpr 14
		.amdhsa_next_free_sgpr 16
		.amdhsa_reserve_vcc 1
		.amdhsa_float_round_mode_32 0
		.amdhsa_float_round_mode_16_64 0
		.amdhsa_float_denorm_mode_32 3
		.amdhsa_float_denorm_mode_16_64 3
		.amdhsa_dx10_clamp 1
		.amdhsa_ieee_mode 1
		.amdhsa_fp16_overflow 0
		.amdhsa_workgroup_processor_mode 1
		.amdhsa_memory_ordered 1
		.amdhsa_forward_progress 0
		.amdhsa_shared_vgpr_count 0
		.amdhsa_exception_fp_ieee_invalid_op 0
		.amdhsa_exception_fp_denorm_src 0
		.amdhsa_exception_fp_ieee_div_zero 0
		.amdhsa_exception_fp_ieee_overflow 0
		.amdhsa_exception_fp_ieee_underflow 0
		.amdhsa_exception_fp_ieee_inexact 0
		.amdhsa_exception_int_div_zero 0
	.end_amdhsa_kernel
	.section	.text._ZN12_GLOBAL__N_120softmax_warp_forwardIN3c108BFloat16ES2_fLi3ELb0ELb0ELi64EEEvPT0_PKT_iiiPKbib,"axG",@progbits,_ZN12_GLOBAL__N_120softmax_warp_forwardIN3c108BFloat16ES2_fLi3ELb0ELb0ELi64EEEvPT0_PKT_iiiPKbib,comdat
.Lfunc_end464:
	.size	_ZN12_GLOBAL__N_120softmax_warp_forwardIN3c108BFloat16ES2_fLi3ELb0ELb0ELi64EEEvPT0_PKT_iiiPKbib, .Lfunc_end464-_ZN12_GLOBAL__N_120softmax_warp_forwardIN3c108BFloat16ES2_fLi3ELb0ELb0ELi64EEEvPT0_PKT_iiiPKbib
                                        ; -- End function
	.section	.AMDGPU.csdata,"",@progbits
; Kernel info:
; codeLenInByte = 1292
; NumSgprs: 18
; NumVgprs: 14
; ScratchSize: 0
; MemoryBound: 0
; FloatMode: 240
; IeeeMode: 1
; LDSByteSize: 0 bytes/workgroup (compile time only)
; SGPRBlocks: 2
; VGPRBlocks: 1
; NumSGPRsForWavesPerEU: 18
; NumVGPRsForWavesPerEU: 14
; Occupancy: 16
; WaveLimiterHint : 0
; COMPUTE_PGM_RSRC2:SCRATCH_EN: 0
; COMPUTE_PGM_RSRC2:USER_SGPR: 15
; COMPUTE_PGM_RSRC2:TRAP_HANDLER: 0
; COMPUTE_PGM_RSRC2:TGID_X_EN: 1
; COMPUTE_PGM_RSRC2:TGID_Y_EN: 0
; COMPUTE_PGM_RSRC2:TGID_Z_EN: 0
; COMPUTE_PGM_RSRC2:TIDIG_COMP_CNT: 1
	.section	.text._ZN12_GLOBAL__N_120softmax_warp_forwardIN3c108BFloat16ES2_fLi3ELb0ELb0ELi32EEEvPT0_PKT_iiiPKbib,"axG",@progbits,_ZN12_GLOBAL__N_120softmax_warp_forwardIN3c108BFloat16ES2_fLi3ELb0ELb0ELi32EEEvPT0_PKT_iiiPKbib,comdat
	.globl	_ZN12_GLOBAL__N_120softmax_warp_forwardIN3c108BFloat16ES2_fLi3ELb0ELb0ELi32EEEvPT0_PKT_iiiPKbib ; -- Begin function _ZN12_GLOBAL__N_120softmax_warp_forwardIN3c108BFloat16ES2_fLi3ELb0ELb0ELi32EEEvPT0_PKT_iiiPKbib
	.p2align	8
	.type	_ZN12_GLOBAL__N_120softmax_warp_forwardIN3c108BFloat16ES2_fLi3ELb0ELb0ELi32EEEvPT0_PKT_iiiPKbib,@function
_ZN12_GLOBAL__N_120softmax_warp_forwardIN3c108BFloat16ES2_fLi3ELb0ELb0ELi32EEEvPT0_PKT_iiiPKbib: ; @_ZN12_GLOBAL__N_120softmax_warp_forwardIN3c108BFloat16ES2_fLi3ELb0ELb0ELi32EEEvPT0_PKT_iiiPKbib
; %bb.0:
	s_clause 0x1
	s_load_b32 s2, s[0:1], 0x3c
	s_load_b256 s[4:11], s[0:1], 0x0
	v_bfe_u32 v1, v0, 10, 10
	v_and_b32_e32 v2, 0x3ff, v0
	v_dual_mov_b32 v5, 0xff800000 :: v_dual_mov_b32 v6, 0xff800000
	s_waitcnt lgkmcnt(0)
	s_lshr_b32 s0, s2, 16
	s_delay_alu instid0(SALU_CYCLE_1) | instskip(SKIP_2) | instid1(VALU_DEP_1)
	s_mul_i32 s15, s15, s0
	v_cmp_gt_i32_e64 s0, s10, v2
	v_add_lshl_u32 v3, s15, v1, 1
	v_mad_u64_u32 v[0:1], null, v3, s9, v[2:3]
	v_sub_nc_u32_e32 v4, s8, v3
	s_delay_alu instid0(VALU_DEP_1) | instskip(NEXT) | instid1(VALU_DEP_3)
	v_cmp_lt_i32_e32 vcc_lo, 0, v4
	v_ashrrev_i32_e32 v1, 31, v0
	s_and_b32 s2, s0, vcc_lo
	s_delay_alu instid0(VALU_DEP_1) | instskip(NEXT) | instid1(VALU_DEP_1)
	v_lshlrev_b64 v[0:1], 1, v[0:1]
	v_add_co_u32 v2, s1, s6, v0
	s_delay_alu instid0(VALU_DEP_1)
	v_add_co_ci_u32_e64 v3, s1, s7, v1, s1
	s_and_saveexec_b32 s1, s2
	s_cbranch_execz .LBB465_2
; %bb.1:
	global_load_u16 v6, v[2:3], off
	s_waitcnt vmcnt(0)
	v_lshlrev_b32_e32 v6, 16, v6
.LBB465_2:
	s_or_b32 exec_lo, exec_lo, s1
	v_cmp_lt_i32_e64 s1, 1, v4
	s_delay_alu instid0(VALU_DEP_1) | instskip(NEXT) | instid1(SALU_CYCLE_1)
	s_and_b32 s1, s0, s1
	s_and_saveexec_b32 s2, s1
	s_cbranch_execz .LBB465_4
; %bb.3:
	s_mov_b32 s11, 0
	s_delay_alu instid0(SALU_CYCLE_1) | instskip(NEXT) | instid1(SALU_CYCLE_1)
	s_lshl_b64 s[6:7], s[10:11], 1
	v_add_co_u32 v2, s1, v2, s6
	s_delay_alu instid0(VALU_DEP_1)
	v_add_co_ci_u32_e64 v3, s1, s7, v3, s1
	global_load_u16 v2, v[2:3], off
	s_waitcnt vmcnt(0)
	v_lshlrev_b32_e32 v5, 16, v2
.LBB465_4:
	s_or_b32 exec_lo, exec_lo, s2
	v_mbcnt_lo_u32_b32 v2, -1, 0
	s_delay_alu instid0(VALU_DEP_1) | instskip(SKIP_3) | instid1(VALU_DEP_4)
	v_and_b32_e32 v3, 24, v2
	v_xor_b32_e32 v7, 4, v2
	v_xor_b32_e32 v10, 2, v2
	;; [unrolled: 1-line block ×3, first 2 shown]
	v_add_nc_u32_e32 v3, 8, v3
	s_delay_alu instid0(VALU_DEP_1) | instskip(NEXT) | instid1(VALU_DEP_1)
	v_cmp_lt_i32_e64 s1, v7, v3
	v_cndmask_b32_e64 v7, v2, v7, s1
	v_cmp_lt_i32_e64 s1, v10, v3
	s_delay_alu instid0(VALU_DEP_2) | instskip(NEXT) | instid1(VALU_DEP_2)
	v_lshlrev_b32_e32 v7, 2, v7
	v_cndmask_b32_e64 v10, v2, v10, s1
	ds_bpermute_b32 v8, v7, v6
	ds_bpermute_b32 v9, v7, v5
	v_lshlrev_b32_e32 v10, 2, v10
	s_waitcnt lgkmcnt(1)
	v_cmp_lt_f32_e64 s1, v6, v8
	s_delay_alu instid0(VALU_DEP_1)
	v_cndmask_b32_e64 v8, v6, v8, s1
	s_waitcnt lgkmcnt(0)
	v_cmp_lt_f32_e64 s1, v5, v9
	ds_bpermute_b32 v11, v10, v8
	v_cndmask_b32_e64 v9, v5, v9, s1
	v_cmp_lt_i32_e64 s1, v13, v3
	ds_bpermute_b32 v12, v10, v9
	v_cndmask_b32_e64 v2, v2, v13, s1
	s_delay_alu instid0(VALU_DEP_1) | instskip(SKIP_2) | instid1(VALU_DEP_1)
	v_lshlrev_b32_e32 v13, 2, v2
	s_waitcnt lgkmcnt(1)
	v_cmp_lt_f32_e64 s1, v8, v11
	v_cndmask_b32_e64 v2, v8, v11, s1
	s_waitcnt lgkmcnt(0)
	v_cmp_lt_f32_e64 s1, v9, v12
	ds_bpermute_b32 v8, v13, v2
	v_cndmask_b32_e64 v3, v9, v12, s1
	ds_bpermute_b32 v9, v13, v3
	s_waitcnt lgkmcnt(1)
	v_cmp_lt_f32_e64 s1, v2, v8
	s_delay_alu instid0(VALU_DEP_1) | instskip(SKIP_2) | instid1(VALU_DEP_2)
	v_cndmask_b32_e64 v2, v2, v8, s1
	s_waitcnt lgkmcnt(0)
	v_cmp_lt_f32_e64 s1, v3, v9
	v_sub_f32_e32 v2, v6, v2
	s_delay_alu instid0(VALU_DEP_2) | instskip(NEXT) | instid1(VALU_DEP_2)
	v_cndmask_b32_e64 v3, v3, v9, s1
	v_cmp_ngt_f32_e64 s1, 0xc2ce8ed0, v2
	s_delay_alu instid0(VALU_DEP_2) | instskip(NEXT) | instid1(VALU_DEP_1)
	v_sub_f32_e32 v3, v5, v3
	v_mul_f32_e32 v6, 0x3fb8aa3b, v3
	s_delay_alu instid0(VALU_DEP_1) | instskip(SKIP_1) | instid1(VALU_DEP_1)
	v_fma_f32 v11, 0x3fb8aa3b, v3, -v6
	v_rndne_f32_e32 v12, v6
	v_dual_fmac_f32 v11, 0x32a5705f, v3 :: v_dual_sub_f32 v6, v6, v12
	s_delay_alu instid0(VALU_DEP_1) | instskip(NEXT) | instid1(VALU_DEP_1)
	v_dual_mul_f32 v5, 0x3fb8aa3b, v2 :: v_dual_add_f32 v6, v6, v11
	v_fma_f32 v8, 0x3fb8aa3b, v2, -v5
	v_rndne_f32_e32 v9, v5
	s_delay_alu instid0(VALU_DEP_3) | instskip(NEXT) | instid1(VALU_DEP_1)
	v_exp_f32_e32 v6, v6
	v_dual_fmac_f32 v8, 0x32a5705f, v2 :: v_dual_sub_f32 v5, v5, v9
	s_delay_alu instid0(VALU_DEP_1) | instskip(SKIP_2) | instid1(VALU_DEP_3)
	v_add_f32_e32 v5, v5, v8
	v_cvt_i32_f32_e32 v8, v9
	v_cvt_i32_f32_e32 v9, v12
	v_exp_f32_e32 v5, v5
	s_waitcnt_depctr 0xfff
	v_ldexp_f32 v6, v6, v9
	v_ldexp_f32 v5, v5, v8
	s_delay_alu instid0(VALU_DEP_1) | instskip(SKIP_1) | instid1(VALU_DEP_1)
	v_cndmask_b32_e64 v5, 0, v5, s1
	v_cmp_ngt_f32_e64 s1, 0xc2ce8ed0, v3
	v_cndmask_b32_e64 v8, 0, v6, s1
	v_cmp_nlt_f32_e64 s1, 0x42b17218, v2
	s_delay_alu instid0(VALU_DEP_1)
	v_cndmask_b32_e64 v6, 0x7f800000, v5, s1
	v_cmp_nlt_f32_e64 s1, 0x42b17218, v3
	ds_bpermute_b32 v3, v7, v6
	v_cndmask_b32_e64 v2, 0x7f800000, v8, s1
	ds_bpermute_b32 v5, v7, v2
	s_waitcnt lgkmcnt(1)
	v_add_f32_e32 v3, v6, v3
	ds_bpermute_b32 v7, v10, v3
	s_waitcnt lgkmcnt(1)
	v_add_f32_e32 v5, v2, v5
	;; [unrolled: 3-line block ×3, first 2 shown]
	s_waitcnt lgkmcnt(0)
	v_add_f32_e32 v3, v5, v8
	ds_bpermute_b32 v8, v13, v7
	ds_bpermute_b32 v5, v13, v3
	s_and_saveexec_b32 s1, vcc_lo
	s_cbranch_execz .LBB465_12
; %bb.5:
	v_add_co_u32 v0, vcc_lo, s4, v0
	v_add_co_ci_u32_e32 v1, vcc_lo, s5, v1, vcc_lo
	s_and_saveexec_b32 s1, s0
	s_cbranch_execz .LBB465_9
; %bb.6:
	s_waitcnt lgkmcnt(1)
	v_dual_add_f32 v7, v7, v8 :: v_dual_mov_b32 v8, 0x7fc0
	s_mov_b32 s2, exec_lo
	s_delay_alu instid0(VALU_DEP_1)
	v_cmpx_neq_f32_e32 0, v7
	s_cbranch_execz .LBB465_8
; %bb.7:
	v_div_scale_f32 v8, null, v7, v7, v6
	s_delay_alu instid0(VALU_DEP_1) | instskip(SKIP_2) | instid1(VALU_DEP_1)
	v_rcp_f32_e32 v9, v8
	s_waitcnt_depctr 0xfff
	v_fma_f32 v10, -v8, v9, 1.0
	v_fmac_f32_e32 v9, v10, v9
	v_div_scale_f32 v10, vcc_lo, v6, v7, v6
	s_delay_alu instid0(VALU_DEP_1) | instskip(NEXT) | instid1(VALU_DEP_1)
	v_mul_f32_e32 v11, v10, v9
	v_fma_f32 v12, -v8, v11, v10
	s_delay_alu instid0(VALU_DEP_1) | instskip(NEXT) | instid1(VALU_DEP_1)
	v_fmac_f32_e32 v11, v12, v9
	v_fma_f32 v8, -v8, v11, v10
	s_delay_alu instid0(VALU_DEP_1) | instskip(NEXT) | instid1(VALU_DEP_1)
	v_div_fmas_f32 v8, v8, v9, v11
	v_div_fixup_f32 v6, v8, v7, v6
	s_delay_alu instid0(VALU_DEP_1) | instskip(SKIP_1) | instid1(VALU_DEP_2)
	v_bfe_u32 v7, v6, 16, 1
	v_cmp_o_f32_e32 vcc_lo, v6, v6
	v_add3_u32 v7, v6, v7, 0x7fff
	s_delay_alu instid0(VALU_DEP_1) | instskip(NEXT) | instid1(VALU_DEP_1)
	v_lshrrev_b32_e32 v7, 16, v7
	v_cndmask_b32_e32 v8, 0x7fc0, v7, vcc_lo
.LBB465_8:
	s_or_b32 exec_lo, exec_lo, s2
	global_store_b16 v[0:1], v8, off
.LBB465_9:
	s_or_b32 exec_lo, exec_lo, s1
	v_cmp_ne_u32_e32 vcc_lo, 1, v4
	s_and_b32 exec_lo, exec_lo, vcc_lo
	s_cbranch_execz .LBB465_12
; %bb.10:
	s_and_b32 exec_lo, exec_lo, s0
	s_cbranch_execz .LBB465_12
; %bb.11:
	s_waitcnt lgkmcnt(0)
	v_add_f32_e32 v3, v3, v5
	s_mov_b32 s11, 0
	s_delay_alu instid0(SALU_CYCLE_1) | instskip(NEXT) | instid1(SALU_CYCLE_1)
	s_lshl_b64 s[2:3], s[10:11], 1
	v_add_co_u32 v0, s1, v0, s2
	s_delay_alu instid0(VALU_DEP_2) | instskip(SKIP_2) | instid1(VALU_DEP_3)
	v_div_scale_f32 v4, null, v3, v3, v2
	v_div_scale_f32 v7, vcc_lo, v2, v3, v2
	v_add_co_ci_u32_e64 v1, s1, s3, v1, s1
	v_rcp_f32_e32 v5, v4
	s_waitcnt_depctr 0xfff
	v_fma_f32 v6, -v4, v5, 1.0
	s_delay_alu instid0(VALU_DEP_1) | instskip(NEXT) | instid1(VALU_DEP_1)
	v_fmac_f32_e32 v5, v6, v5
	v_mul_f32_e32 v6, v7, v5
	s_delay_alu instid0(VALU_DEP_1) | instskip(NEXT) | instid1(VALU_DEP_1)
	v_fma_f32 v8, -v4, v6, v7
	v_fmac_f32_e32 v6, v8, v5
	s_delay_alu instid0(VALU_DEP_1) | instskip(NEXT) | instid1(VALU_DEP_1)
	v_fma_f32 v4, -v4, v6, v7
	v_div_fmas_f32 v4, v4, v5, v6
	v_cmp_eq_f32_e32 vcc_lo, 0, v3
	s_delay_alu instid0(VALU_DEP_2) | instskip(NEXT) | instid1(VALU_DEP_1)
	v_div_fixup_f32 v2, v4, v3, v2
	v_bfe_u32 v4, v2, 16, 1
	v_cmp_u_f32_e64 s0, v2, v2
	s_delay_alu instid0(VALU_DEP_2) | instskip(NEXT) | instid1(VALU_DEP_2)
	v_add3_u32 v4, v2, v4, 0x7fff
	s_or_b32 s0, vcc_lo, s0
	s_delay_alu instid0(VALU_DEP_1) | instskip(NEXT) | instid1(VALU_DEP_1)
	v_lshrrev_b32_e32 v2, 16, v4
	v_cndmask_b32_e64 v2, v2, 0x7fc0, s0
	global_store_b16 v[0:1], v2, off
.LBB465_12:
	s_nop 0
	s_sendmsg sendmsg(MSG_DEALLOC_VGPRS)
	s_endpgm
	.section	.rodata,"a",@progbits
	.p2align	6, 0x0
	.amdhsa_kernel _ZN12_GLOBAL__N_120softmax_warp_forwardIN3c108BFloat16ES2_fLi3ELb0ELb0ELi32EEEvPT0_PKT_iiiPKbib
		.amdhsa_group_segment_fixed_size 0
		.amdhsa_private_segment_fixed_size 0
		.amdhsa_kernarg_size 304
		.amdhsa_user_sgpr_count 15
		.amdhsa_user_sgpr_dispatch_ptr 0
		.amdhsa_user_sgpr_queue_ptr 0
		.amdhsa_user_sgpr_kernarg_segment_ptr 1
		.amdhsa_user_sgpr_dispatch_id 0
		.amdhsa_user_sgpr_private_segment_size 0
		.amdhsa_wavefront_size32 1
		.amdhsa_uses_dynamic_stack 0
		.amdhsa_enable_private_segment 0
		.amdhsa_system_sgpr_workgroup_id_x 1
		.amdhsa_system_sgpr_workgroup_id_y 0
		.amdhsa_system_sgpr_workgroup_id_z 0
		.amdhsa_system_sgpr_workgroup_info 0
		.amdhsa_system_vgpr_workitem_id 1
		.amdhsa_next_free_vgpr 14
		.amdhsa_next_free_sgpr 16
		.amdhsa_reserve_vcc 1
		.amdhsa_float_round_mode_32 0
		.amdhsa_float_round_mode_16_64 0
		.amdhsa_float_denorm_mode_32 3
		.amdhsa_float_denorm_mode_16_64 3
		.amdhsa_dx10_clamp 1
		.amdhsa_ieee_mode 1
		.amdhsa_fp16_overflow 0
		.amdhsa_workgroup_processor_mode 1
		.amdhsa_memory_ordered 1
		.amdhsa_forward_progress 0
		.amdhsa_shared_vgpr_count 0
		.amdhsa_exception_fp_ieee_invalid_op 0
		.amdhsa_exception_fp_denorm_src 0
		.amdhsa_exception_fp_ieee_div_zero 0
		.amdhsa_exception_fp_ieee_overflow 0
		.amdhsa_exception_fp_ieee_underflow 0
		.amdhsa_exception_fp_ieee_inexact 0
		.amdhsa_exception_int_div_zero 0
	.end_amdhsa_kernel
	.section	.text._ZN12_GLOBAL__N_120softmax_warp_forwardIN3c108BFloat16ES2_fLi3ELb0ELb0ELi32EEEvPT0_PKT_iiiPKbib,"axG",@progbits,_ZN12_GLOBAL__N_120softmax_warp_forwardIN3c108BFloat16ES2_fLi3ELb0ELb0ELi32EEEvPT0_PKT_iiiPKbib,comdat
.Lfunc_end465:
	.size	_ZN12_GLOBAL__N_120softmax_warp_forwardIN3c108BFloat16ES2_fLi3ELb0ELb0ELi32EEEvPT0_PKT_iiiPKbib, .Lfunc_end465-_ZN12_GLOBAL__N_120softmax_warp_forwardIN3c108BFloat16ES2_fLi3ELb0ELb0ELi32EEEvPT0_PKT_iiiPKbib
                                        ; -- End function
	.section	.AMDGPU.csdata,"",@progbits
; Kernel info:
; codeLenInByte = 1292
; NumSgprs: 18
; NumVgprs: 14
; ScratchSize: 0
; MemoryBound: 0
; FloatMode: 240
; IeeeMode: 1
; LDSByteSize: 0 bytes/workgroup (compile time only)
; SGPRBlocks: 2
; VGPRBlocks: 1
; NumSGPRsForWavesPerEU: 18
; NumVGPRsForWavesPerEU: 14
; Occupancy: 16
; WaveLimiterHint : 0
; COMPUTE_PGM_RSRC2:SCRATCH_EN: 0
; COMPUTE_PGM_RSRC2:USER_SGPR: 15
; COMPUTE_PGM_RSRC2:TRAP_HANDLER: 0
; COMPUTE_PGM_RSRC2:TGID_X_EN: 1
; COMPUTE_PGM_RSRC2:TGID_Y_EN: 0
; COMPUTE_PGM_RSRC2:TGID_Z_EN: 0
; COMPUTE_PGM_RSRC2:TIDIG_COMP_CNT: 1
	.section	.text._ZN12_GLOBAL__N_120softmax_warp_forwardIN3c108BFloat16ES2_fLi4ELb0ELb0ELi64EEEvPT0_PKT_iiiPKbib,"axG",@progbits,_ZN12_GLOBAL__N_120softmax_warp_forwardIN3c108BFloat16ES2_fLi4ELb0ELb0ELi64EEEvPT0_PKT_iiiPKbib,comdat
	.globl	_ZN12_GLOBAL__N_120softmax_warp_forwardIN3c108BFloat16ES2_fLi4ELb0ELb0ELi64EEEvPT0_PKT_iiiPKbib ; -- Begin function _ZN12_GLOBAL__N_120softmax_warp_forwardIN3c108BFloat16ES2_fLi4ELb0ELb0ELi64EEEvPT0_PKT_iiiPKbib
	.p2align	8
	.type	_ZN12_GLOBAL__N_120softmax_warp_forwardIN3c108BFloat16ES2_fLi4ELb0ELb0ELi64EEEvPT0_PKT_iiiPKbib,@function
_ZN12_GLOBAL__N_120softmax_warp_forwardIN3c108BFloat16ES2_fLi4ELb0ELb0ELi64EEEvPT0_PKT_iiiPKbib: ; @_ZN12_GLOBAL__N_120softmax_warp_forwardIN3c108BFloat16ES2_fLi4ELb0ELb0ELi64EEEvPT0_PKT_iiiPKbib
; %bb.0:
	s_clause 0x1
	s_load_b32 s2, s[0:1], 0x3c
	s_load_b256 s[4:11], s[0:1], 0x0
	v_bfe_u32 v1, v0, 10, 10
	v_and_b32_e32 v2, 0x3ff, v0
	v_dual_mov_b32 v5, 0xff800000 :: v_dual_mov_b32 v6, 0xff800000
	s_waitcnt lgkmcnt(0)
	s_lshr_b32 s0, s2, 16
	s_delay_alu instid0(SALU_CYCLE_1) | instskip(SKIP_2) | instid1(VALU_DEP_1)
	s_mul_i32 s15, s15, s0
	v_cmp_gt_i32_e64 s0, s10, v2
	v_add_lshl_u32 v3, s15, v1, 1
	v_mad_u64_u32 v[0:1], null, v3, s9, v[2:3]
	v_sub_nc_u32_e32 v4, s8, v3
	s_delay_alu instid0(VALU_DEP_1) | instskip(NEXT) | instid1(VALU_DEP_3)
	v_cmp_lt_i32_e32 vcc_lo, 0, v4
	v_ashrrev_i32_e32 v1, 31, v0
	s_and_b32 s2, s0, vcc_lo
	s_delay_alu instid0(VALU_DEP_1) | instskip(NEXT) | instid1(VALU_DEP_1)
	v_lshlrev_b64 v[0:1], 1, v[0:1]
	v_add_co_u32 v2, s1, s6, v0
	s_delay_alu instid0(VALU_DEP_1)
	v_add_co_ci_u32_e64 v3, s1, s7, v1, s1
	s_and_saveexec_b32 s1, s2
	s_cbranch_execz .LBB466_2
; %bb.1:
	global_load_u16 v6, v[2:3], off
	s_waitcnt vmcnt(0)
	v_lshlrev_b32_e32 v6, 16, v6
.LBB466_2:
	s_or_b32 exec_lo, exec_lo, s1
	v_cmp_lt_i32_e64 s1, 1, v4
	s_delay_alu instid0(VALU_DEP_1) | instskip(NEXT) | instid1(SALU_CYCLE_1)
	s_and_b32 s1, s0, s1
	s_and_saveexec_b32 s2, s1
	s_cbranch_execz .LBB466_4
; %bb.3:
	s_mov_b32 s11, 0
	s_delay_alu instid0(SALU_CYCLE_1) | instskip(NEXT) | instid1(SALU_CYCLE_1)
	s_lshl_b64 s[6:7], s[10:11], 1
	v_add_co_u32 v2, s1, v2, s6
	s_delay_alu instid0(VALU_DEP_1)
	v_add_co_ci_u32_e64 v3, s1, s7, v3, s1
	global_load_u16 v2, v[2:3], off
	s_waitcnt vmcnt(0)
	v_lshlrev_b32_e32 v5, 16, v2
.LBB466_4:
	s_or_b32 exec_lo, exec_lo, s2
	v_mbcnt_lo_u32_b32 v2, -1, 0
	s_delay_alu instid0(VALU_DEP_1)
	v_and_b32_e32 v3, 16, v2
	v_xor_b32_e32 v7, 8, v2
	v_xor_b32_e32 v10, 4, v2
	;; [unrolled: 1-line block ×4, first 2 shown]
	v_add_nc_u32_e32 v3, 16, v3
	s_delay_alu instid0(VALU_DEP_1) | instskip(NEXT) | instid1(VALU_DEP_1)
	v_cmp_lt_i32_e64 s1, v7, v3
	v_cndmask_b32_e64 v7, v2, v7, s1
	v_cmp_lt_i32_e64 s1, v10, v3
	s_delay_alu instid0(VALU_DEP_2) | instskip(NEXT) | instid1(VALU_DEP_2)
	v_lshlrev_b32_e32 v7, 2, v7
	v_cndmask_b32_e64 v10, v2, v10, s1
	ds_bpermute_b32 v8, v7, v6
	ds_bpermute_b32 v9, v7, v5
	v_lshlrev_b32_e32 v10, 2, v10
	s_waitcnt lgkmcnt(1)
	v_cmp_lt_f32_e64 s1, v6, v8
	s_delay_alu instid0(VALU_DEP_1)
	v_cndmask_b32_e64 v8, v6, v8, s1
	s_waitcnt lgkmcnt(0)
	v_cmp_lt_f32_e64 s1, v5, v9
	ds_bpermute_b32 v11, v10, v8
	v_cndmask_b32_e64 v9, v5, v9, s1
	v_cmp_lt_i32_e64 s1, v13, v3
	ds_bpermute_b32 v12, v10, v9
	v_cndmask_b32_e64 v13, v2, v13, s1
	s_delay_alu instid0(VALU_DEP_1) | instskip(SKIP_2) | instid1(VALU_DEP_1)
	v_lshlrev_b32_e32 v13, 2, v13
	s_waitcnt lgkmcnt(1)
	v_cmp_lt_f32_e64 s1, v8, v11
	v_cndmask_b32_e64 v8, v8, v11, s1
	s_waitcnt lgkmcnt(0)
	v_cmp_lt_f32_e64 s1, v9, v12
	ds_bpermute_b32 v11, v13, v8
	v_cndmask_b32_e64 v9, v9, v12, s1
	v_cmp_lt_i32_e64 s1, v14, v3
	ds_bpermute_b32 v12, v13, v9
	v_cndmask_b32_e64 v2, v2, v14, s1
	s_delay_alu instid0(VALU_DEP_1) | instskip(SKIP_2) | instid1(VALU_DEP_1)
	v_lshlrev_b32_e32 v14, 2, v2
	s_waitcnt lgkmcnt(1)
	v_cmp_lt_f32_e64 s1, v8, v11
	v_cndmask_b32_e64 v2, v8, v11, s1
	s_waitcnt lgkmcnt(0)
	v_cmp_lt_f32_e64 s1, v9, v12
	ds_bpermute_b32 v8, v14, v2
	v_cndmask_b32_e64 v3, v9, v12, s1
	ds_bpermute_b32 v9, v14, v3
	s_waitcnt lgkmcnt(1)
	v_cmp_lt_f32_e64 s1, v2, v8
	s_delay_alu instid0(VALU_DEP_1) | instskip(SKIP_2) | instid1(VALU_DEP_2)
	v_cndmask_b32_e64 v2, v2, v8, s1
	s_waitcnt lgkmcnt(0)
	v_cmp_lt_f32_e64 s1, v3, v9
	v_sub_f32_e32 v2, v6, v2
	s_delay_alu instid0(VALU_DEP_2) | instskip(NEXT) | instid1(VALU_DEP_2)
	v_cndmask_b32_e64 v3, v3, v9, s1
	v_cmp_ngt_f32_e64 s1, 0xc2ce8ed0, v2
	s_delay_alu instid0(VALU_DEP_2) | instskip(NEXT) | instid1(VALU_DEP_1)
	v_sub_f32_e32 v3, v5, v3
	v_mul_f32_e32 v6, 0x3fb8aa3b, v3
	s_delay_alu instid0(VALU_DEP_1) | instskip(SKIP_1) | instid1(VALU_DEP_1)
	v_fma_f32 v11, 0x3fb8aa3b, v3, -v6
	v_rndne_f32_e32 v12, v6
	v_dual_fmac_f32 v11, 0x32a5705f, v3 :: v_dual_sub_f32 v6, v6, v12
	s_delay_alu instid0(VALU_DEP_1) | instskip(NEXT) | instid1(VALU_DEP_1)
	v_dual_mul_f32 v5, 0x3fb8aa3b, v2 :: v_dual_add_f32 v6, v6, v11
	v_fma_f32 v8, 0x3fb8aa3b, v2, -v5
	v_rndne_f32_e32 v9, v5
	s_delay_alu instid0(VALU_DEP_3) | instskip(NEXT) | instid1(VALU_DEP_1)
	v_exp_f32_e32 v6, v6
	v_dual_fmac_f32 v8, 0x32a5705f, v2 :: v_dual_sub_f32 v5, v5, v9
	s_delay_alu instid0(VALU_DEP_1) | instskip(SKIP_2) | instid1(VALU_DEP_3)
	v_add_f32_e32 v5, v5, v8
	v_cvt_i32_f32_e32 v8, v9
	v_cvt_i32_f32_e32 v9, v12
	v_exp_f32_e32 v5, v5
	s_waitcnt_depctr 0xfff
	v_ldexp_f32 v6, v6, v9
	v_ldexp_f32 v5, v5, v8
	s_delay_alu instid0(VALU_DEP_1) | instskip(SKIP_1) | instid1(VALU_DEP_1)
	v_cndmask_b32_e64 v5, 0, v5, s1
	v_cmp_ngt_f32_e64 s1, 0xc2ce8ed0, v3
	v_cndmask_b32_e64 v8, 0, v6, s1
	v_cmp_nlt_f32_e64 s1, 0x42b17218, v2
	s_delay_alu instid0(VALU_DEP_1)
	v_cndmask_b32_e64 v6, 0x7f800000, v5, s1
	v_cmp_nlt_f32_e64 s1, 0x42b17218, v3
	ds_bpermute_b32 v3, v7, v6
	v_cndmask_b32_e64 v2, 0x7f800000, v8, s1
	ds_bpermute_b32 v5, v7, v2
	s_waitcnt lgkmcnt(1)
	v_add_f32_e32 v3, v6, v3
	ds_bpermute_b32 v7, v10, v3
	s_waitcnt lgkmcnt(1)
	v_add_f32_e32 v5, v2, v5
	;; [unrolled: 3-line block ×5, first 2 shown]
	s_waitcnt lgkmcnt(0)
	v_add_f32_e32 v3, v5, v8
	ds_bpermute_b32 v8, v14, v7
	ds_bpermute_b32 v5, v14, v3
	s_and_saveexec_b32 s1, vcc_lo
	s_cbranch_execz .LBB466_12
; %bb.5:
	v_add_co_u32 v0, vcc_lo, s4, v0
	v_add_co_ci_u32_e32 v1, vcc_lo, s5, v1, vcc_lo
	s_and_saveexec_b32 s1, s0
	s_cbranch_execz .LBB466_9
; %bb.6:
	s_waitcnt lgkmcnt(1)
	v_dual_add_f32 v7, v7, v8 :: v_dual_mov_b32 v8, 0x7fc0
	s_mov_b32 s2, exec_lo
	s_delay_alu instid0(VALU_DEP_1)
	v_cmpx_neq_f32_e32 0, v7
	s_cbranch_execz .LBB466_8
; %bb.7:
	v_div_scale_f32 v8, null, v7, v7, v6
	s_delay_alu instid0(VALU_DEP_1) | instskip(SKIP_2) | instid1(VALU_DEP_1)
	v_rcp_f32_e32 v9, v8
	s_waitcnt_depctr 0xfff
	v_fma_f32 v10, -v8, v9, 1.0
	v_fmac_f32_e32 v9, v10, v9
	v_div_scale_f32 v10, vcc_lo, v6, v7, v6
	s_delay_alu instid0(VALU_DEP_1) | instskip(NEXT) | instid1(VALU_DEP_1)
	v_mul_f32_e32 v11, v10, v9
	v_fma_f32 v12, -v8, v11, v10
	s_delay_alu instid0(VALU_DEP_1) | instskip(NEXT) | instid1(VALU_DEP_1)
	v_fmac_f32_e32 v11, v12, v9
	v_fma_f32 v8, -v8, v11, v10
	s_delay_alu instid0(VALU_DEP_1) | instskip(NEXT) | instid1(VALU_DEP_1)
	v_div_fmas_f32 v8, v8, v9, v11
	v_div_fixup_f32 v6, v8, v7, v6
	s_delay_alu instid0(VALU_DEP_1) | instskip(SKIP_1) | instid1(VALU_DEP_2)
	v_bfe_u32 v7, v6, 16, 1
	v_cmp_o_f32_e32 vcc_lo, v6, v6
	v_add3_u32 v7, v6, v7, 0x7fff
	s_delay_alu instid0(VALU_DEP_1) | instskip(NEXT) | instid1(VALU_DEP_1)
	v_lshrrev_b32_e32 v7, 16, v7
	v_cndmask_b32_e32 v8, 0x7fc0, v7, vcc_lo
.LBB466_8:
	s_or_b32 exec_lo, exec_lo, s2
	global_store_b16 v[0:1], v8, off
.LBB466_9:
	s_or_b32 exec_lo, exec_lo, s1
	v_cmp_ne_u32_e32 vcc_lo, 1, v4
	s_and_b32 exec_lo, exec_lo, vcc_lo
	s_cbranch_execz .LBB466_12
; %bb.10:
	s_and_b32 exec_lo, exec_lo, s0
	s_cbranch_execz .LBB466_12
; %bb.11:
	s_waitcnt lgkmcnt(0)
	v_add_f32_e32 v3, v3, v5
	s_mov_b32 s11, 0
	s_delay_alu instid0(SALU_CYCLE_1) | instskip(NEXT) | instid1(SALU_CYCLE_1)
	s_lshl_b64 s[2:3], s[10:11], 1
	v_add_co_u32 v0, s1, v0, s2
	s_delay_alu instid0(VALU_DEP_2) | instskip(SKIP_2) | instid1(VALU_DEP_3)
	v_div_scale_f32 v4, null, v3, v3, v2
	v_div_scale_f32 v7, vcc_lo, v2, v3, v2
	v_add_co_ci_u32_e64 v1, s1, s3, v1, s1
	v_rcp_f32_e32 v5, v4
	s_waitcnt_depctr 0xfff
	v_fma_f32 v6, -v4, v5, 1.0
	s_delay_alu instid0(VALU_DEP_1) | instskip(NEXT) | instid1(VALU_DEP_1)
	v_fmac_f32_e32 v5, v6, v5
	v_mul_f32_e32 v6, v7, v5
	s_delay_alu instid0(VALU_DEP_1) | instskip(NEXT) | instid1(VALU_DEP_1)
	v_fma_f32 v8, -v4, v6, v7
	v_fmac_f32_e32 v6, v8, v5
	s_delay_alu instid0(VALU_DEP_1) | instskip(NEXT) | instid1(VALU_DEP_1)
	v_fma_f32 v4, -v4, v6, v7
	v_div_fmas_f32 v4, v4, v5, v6
	v_cmp_eq_f32_e32 vcc_lo, 0, v3
	s_delay_alu instid0(VALU_DEP_2) | instskip(NEXT) | instid1(VALU_DEP_1)
	v_div_fixup_f32 v2, v4, v3, v2
	v_bfe_u32 v4, v2, 16, 1
	v_cmp_u_f32_e64 s0, v2, v2
	s_delay_alu instid0(VALU_DEP_2) | instskip(NEXT) | instid1(VALU_DEP_2)
	v_add3_u32 v4, v2, v4, 0x7fff
	s_or_b32 s0, vcc_lo, s0
	s_delay_alu instid0(VALU_DEP_1) | instskip(NEXT) | instid1(VALU_DEP_1)
	v_lshrrev_b32_e32 v2, 16, v4
	v_cndmask_b32_e64 v2, v2, 0x7fc0, s0
	global_store_b16 v[0:1], v2, off
.LBB466_12:
	s_nop 0
	s_sendmsg sendmsg(MSG_DEALLOC_VGPRS)
	s_endpgm
	.section	.rodata,"a",@progbits
	.p2align	6, 0x0
	.amdhsa_kernel _ZN12_GLOBAL__N_120softmax_warp_forwardIN3c108BFloat16ES2_fLi4ELb0ELb0ELi64EEEvPT0_PKT_iiiPKbib
		.amdhsa_group_segment_fixed_size 0
		.amdhsa_private_segment_fixed_size 0
		.amdhsa_kernarg_size 304
		.amdhsa_user_sgpr_count 15
		.amdhsa_user_sgpr_dispatch_ptr 0
		.amdhsa_user_sgpr_queue_ptr 0
		.amdhsa_user_sgpr_kernarg_segment_ptr 1
		.amdhsa_user_sgpr_dispatch_id 0
		.amdhsa_user_sgpr_private_segment_size 0
		.amdhsa_wavefront_size32 1
		.amdhsa_uses_dynamic_stack 0
		.amdhsa_enable_private_segment 0
		.amdhsa_system_sgpr_workgroup_id_x 1
		.amdhsa_system_sgpr_workgroup_id_y 0
		.amdhsa_system_sgpr_workgroup_id_z 0
		.amdhsa_system_sgpr_workgroup_info 0
		.amdhsa_system_vgpr_workitem_id 1
		.amdhsa_next_free_vgpr 15
		.amdhsa_next_free_sgpr 16
		.amdhsa_reserve_vcc 1
		.amdhsa_float_round_mode_32 0
		.amdhsa_float_round_mode_16_64 0
		.amdhsa_float_denorm_mode_32 3
		.amdhsa_float_denorm_mode_16_64 3
		.amdhsa_dx10_clamp 1
		.amdhsa_ieee_mode 1
		.amdhsa_fp16_overflow 0
		.amdhsa_workgroup_processor_mode 1
		.amdhsa_memory_ordered 1
		.amdhsa_forward_progress 0
		.amdhsa_shared_vgpr_count 0
		.amdhsa_exception_fp_ieee_invalid_op 0
		.amdhsa_exception_fp_denorm_src 0
		.amdhsa_exception_fp_ieee_div_zero 0
		.amdhsa_exception_fp_ieee_overflow 0
		.amdhsa_exception_fp_ieee_underflow 0
		.amdhsa_exception_fp_ieee_inexact 0
		.amdhsa_exception_int_div_zero 0
	.end_amdhsa_kernel
	.section	.text._ZN12_GLOBAL__N_120softmax_warp_forwardIN3c108BFloat16ES2_fLi4ELb0ELb0ELi64EEEvPT0_PKT_iiiPKbib,"axG",@progbits,_ZN12_GLOBAL__N_120softmax_warp_forwardIN3c108BFloat16ES2_fLi4ELb0ELb0ELi64EEEvPT0_PKT_iiiPKbib,comdat
.Lfunc_end466:
	.size	_ZN12_GLOBAL__N_120softmax_warp_forwardIN3c108BFloat16ES2_fLi4ELb0ELb0ELi64EEEvPT0_PKT_iiiPKbib, .Lfunc_end466-_ZN12_GLOBAL__N_120softmax_warp_forwardIN3c108BFloat16ES2_fLi4ELb0ELb0ELi64EEEvPT0_PKT_iiiPKbib
                                        ; -- End function
	.section	.AMDGPU.csdata,"",@progbits
; Kernel info:
; codeLenInByte = 1408
; NumSgprs: 18
; NumVgprs: 15
; ScratchSize: 0
; MemoryBound: 0
; FloatMode: 240
; IeeeMode: 1
; LDSByteSize: 0 bytes/workgroup (compile time only)
; SGPRBlocks: 2
; VGPRBlocks: 1
; NumSGPRsForWavesPerEU: 18
; NumVGPRsForWavesPerEU: 15
; Occupancy: 16
; WaveLimiterHint : 0
; COMPUTE_PGM_RSRC2:SCRATCH_EN: 0
; COMPUTE_PGM_RSRC2:USER_SGPR: 15
; COMPUTE_PGM_RSRC2:TRAP_HANDLER: 0
; COMPUTE_PGM_RSRC2:TGID_X_EN: 1
; COMPUTE_PGM_RSRC2:TGID_Y_EN: 0
; COMPUTE_PGM_RSRC2:TGID_Z_EN: 0
; COMPUTE_PGM_RSRC2:TIDIG_COMP_CNT: 1
	.section	.text._ZN12_GLOBAL__N_120softmax_warp_forwardIN3c108BFloat16ES2_fLi4ELb0ELb0ELi32EEEvPT0_PKT_iiiPKbib,"axG",@progbits,_ZN12_GLOBAL__N_120softmax_warp_forwardIN3c108BFloat16ES2_fLi4ELb0ELb0ELi32EEEvPT0_PKT_iiiPKbib,comdat
	.globl	_ZN12_GLOBAL__N_120softmax_warp_forwardIN3c108BFloat16ES2_fLi4ELb0ELb0ELi32EEEvPT0_PKT_iiiPKbib ; -- Begin function _ZN12_GLOBAL__N_120softmax_warp_forwardIN3c108BFloat16ES2_fLi4ELb0ELb0ELi32EEEvPT0_PKT_iiiPKbib
	.p2align	8
	.type	_ZN12_GLOBAL__N_120softmax_warp_forwardIN3c108BFloat16ES2_fLi4ELb0ELb0ELi32EEEvPT0_PKT_iiiPKbib,@function
_ZN12_GLOBAL__N_120softmax_warp_forwardIN3c108BFloat16ES2_fLi4ELb0ELb0ELi32EEEvPT0_PKT_iiiPKbib: ; @_ZN12_GLOBAL__N_120softmax_warp_forwardIN3c108BFloat16ES2_fLi4ELb0ELb0ELi32EEEvPT0_PKT_iiiPKbib
; %bb.0:
	s_clause 0x1
	s_load_b32 s2, s[0:1], 0x3c
	s_load_b256 s[4:11], s[0:1], 0x0
	v_bfe_u32 v1, v0, 10, 10
	v_and_b32_e32 v2, 0x3ff, v0
	v_dual_mov_b32 v5, 0xff800000 :: v_dual_mov_b32 v6, 0xff800000
	s_waitcnt lgkmcnt(0)
	s_lshr_b32 s0, s2, 16
	s_delay_alu instid0(SALU_CYCLE_1) | instskip(SKIP_2) | instid1(VALU_DEP_1)
	s_mul_i32 s15, s15, s0
	v_cmp_gt_i32_e64 s0, s10, v2
	v_add_lshl_u32 v3, s15, v1, 1
	v_mad_u64_u32 v[0:1], null, v3, s9, v[2:3]
	v_sub_nc_u32_e32 v4, s8, v3
	s_delay_alu instid0(VALU_DEP_1) | instskip(NEXT) | instid1(VALU_DEP_3)
	v_cmp_lt_i32_e32 vcc_lo, 0, v4
	v_ashrrev_i32_e32 v1, 31, v0
	s_and_b32 s2, s0, vcc_lo
	s_delay_alu instid0(VALU_DEP_1) | instskip(NEXT) | instid1(VALU_DEP_1)
	v_lshlrev_b64 v[0:1], 1, v[0:1]
	v_add_co_u32 v2, s1, s6, v0
	s_delay_alu instid0(VALU_DEP_1)
	v_add_co_ci_u32_e64 v3, s1, s7, v1, s1
	s_and_saveexec_b32 s1, s2
	s_cbranch_execz .LBB467_2
; %bb.1:
	global_load_u16 v6, v[2:3], off
	s_waitcnt vmcnt(0)
	v_lshlrev_b32_e32 v6, 16, v6
.LBB467_2:
	s_or_b32 exec_lo, exec_lo, s1
	v_cmp_lt_i32_e64 s1, 1, v4
	s_delay_alu instid0(VALU_DEP_1) | instskip(NEXT) | instid1(SALU_CYCLE_1)
	s_and_b32 s1, s0, s1
	s_and_saveexec_b32 s2, s1
	s_cbranch_execz .LBB467_4
; %bb.3:
	s_mov_b32 s11, 0
	s_delay_alu instid0(SALU_CYCLE_1) | instskip(NEXT) | instid1(SALU_CYCLE_1)
	s_lshl_b64 s[6:7], s[10:11], 1
	v_add_co_u32 v2, s1, v2, s6
	s_delay_alu instid0(VALU_DEP_1)
	v_add_co_ci_u32_e64 v3, s1, s7, v3, s1
	global_load_u16 v2, v[2:3], off
	s_waitcnt vmcnt(0)
	v_lshlrev_b32_e32 v5, 16, v2
.LBB467_4:
	s_or_b32 exec_lo, exec_lo, s2
	v_mbcnt_lo_u32_b32 v2, -1, 0
	s_delay_alu instid0(VALU_DEP_1)
	v_and_b32_e32 v3, 16, v2
	v_xor_b32_e32 v7, 8, v2
	v_xor_b32_e32 v10, 4, v2
	;; [unrolled: 1-line block ×4, first 2 shown]
	v_add_nc_u32_e32 v3, 16, v3
	s_delay_alu instid0(VALU_DEP_1) | instskip(NEXT) | instid1(VALU_DEP_1)
	v_cmp_lt_i32_e64 s1, v7, v3
	v_cndmask_b32_e64 v7, v2, v7, s1
	v_cmp_lt_i32_e64 s1, v10, v3
	s_delay_alu instid0(VALU_DEP_2) | instskip(NEXT) | instid1(VALU_DEP_2)
	v_lshlrev_b32_e32 v7, 2, v7
	v_cndmask_b32_e64 v10, v2, v10, s1
	ds_bpermute_b32 v8, v7, v6
	ds_bpermute_b32 v9, v7, v5
	v_lshlrev_b32_e32 v10, 2, v10
	s_waitcnt lgkmcnt(1)
	v_cmp_lt_f32_e64 s1, v6, v8
	s_delay_alu instid0(VALU_DEP_1)
	v_cndmask_b32_e64 v8, v6, v8, s1
	s_waitcnt lgkmcnt(0)
	v_cmp_lt_f32_e64 s1, v5, v9
	ds_bpermute_b32 v11, v10, v8
	v_cndmask_b32_e64 v9, v5, v9, s1
	v_cmp_lt_i32_e64 s1, v13, v3
	ds_bpermute_b32 v12, v10, v9
	v_cndmask_b32_e64 v13, v2, v13, s1
	s_delay_alu instid0(VALU_DEP_1) | instskip(SKIP_2) | instid1(VALU_DEP_1)
	v_lshlrev_b32_e32 v13, 2, v13
	s_waitcnt lgkmcnt(1)
	v_cmp_lt_f32_e64 s1, v8, v11
	v_cndmask_b32_e64 v8, v8, v11, s1
	s_waitcnt lgkmcnt(0)
	v_cmp_lt_f32_e64 s1, v9, v12
	ds_bpermute_b32 v11, v13, v8
	v_cndmask_b32_e64 v9, v9, v12, s1
	v_cmp_lt_i32_e64 s1, v14, v3
	ds_bpermute_b32 v12, v13, v9
	v_cndmask_b32_e64 v2, v2, v14, s1
	s_delay_alu instid0(VALU_DEP_1) | instskip(SKIP_2) | instid1(VALU_DEP_1)
	v_lshlrev_b32_e32 v14, 2, v2
	s_waitcnt lgkmcnt(1)
	v_cmp_lt_f32_e64 s1, v8, v11
	v_cndmask_b32_e64 v2, v8, v11, s1
	s_waitcnt lgkmcnt(0)
	v_cmp_lt_f32_e64 s1, v9, v12
	ds_bpermute_b32 v8, v14, v2
	v_cndmask_b32_e64 v3, v9, v12, s1
	ds_bpermute_b32 v9, v14, v3
	s_waitcnt lgkmcnt(1)
	v_cmp_lt_f32_e64 s1, v2, v8
	s_delay_alu instid0(VALU_DEP_1) | instskip(SKIP_2) | instid1(VALU_DEP_2)
	v_cndmask_b32_e64 v2, v2, v8, s1
	s_waitcnt lgkmcnt(0)
	v_cmp_lt_f32_e64 s1, v3, v9
	v_sub_f32_e32 v2, v6, v2
	s_delay_alu instid0(VALU_DEP_2) | instskip(NEXT) | instid1(VALU_DEP_2)
	v_cndmask_b32_e64 v3, v3, v9, s1
	v_cmp_ngt_f32_e64 s1, 0xc2ce8ed0, v2
	s_delay_alu instid0(VALU_DEP_2) | instskip(NEXT) | instid1(VALU_DEP_1)
	v_sub_f32_e32 v3, v5, v3
	v_mul_f32_e32 v6, 0x3fb8aa3b, v3
	s_delay_alu instid0(VALU_DEP_1) | instskip(SKIP_1) | instid1(VALU_DEP_1)
	v_fma_f32 v11, 0x3fb8aa3b, v3, -v6
	v_rndne_f32_e32 v12, v6
	v_dual_fmac_f32 v11, 0x32a5705f, v3 :: v_dual_sub_f32 v6, v6, v12
	s_delay_alu instid0(VALU_DEP_1) | instskip(NEXT) | instid1(VALU_DEP_1)
	v_dual_mul_f32 v5, 0x3fb8aa3b, v2 :: v_dual_add_f32 v6, v6, v11
	v_fma_f32 v8, 0x3fb8aa3b, v2, -v5
	v_rndne_f32_e32 v9, v5
	s_delay_alu instid0(VALU_DEP_3) | instskip(NEXT) | instid1(VALU_DEP_1)
	v_exp_f32_e32 v6, v6
	v_dual_fmac_f32 v8, 0x32a5705f, v2 :: v_dual_sub_f32 v5, v5, v9
	s_delay_alu instid0(VALU_DEP_1) | instskip(SKIP_2) | instid1(VALU_DEP_3)
	v_add_f32_e32 v5, v5, v8
	v_cvt_i32_f32_e32 v8, v9
	v_cvt_i32_f32_e32 v9, v12
	v_exp_f32_e32 v5, v5
	s_waitcnt_depctr 0xfff
	v_ldexp_f32 v6, v6, v9
	v_ldexp_f32 v5, v5, v8
	s_delay_alu instid0(VALU_DEP_1) | instskip(SKIP_1) | instid1(VALU_DEP_1)
	v_cndmask_b32_e64 v5, 0, v5, s1
	v_cmp_ngt_f32_e64 s1, 0xc2ce8ed0, v3
	v_cndmask_b32_e64 v8, 0, v6, s1
	v_cmp_nlt_f32_e64 s1, 0x42b17218, v2
	s_delay_alu instid0(VALU_DEP_1)
	v_cndmask_b32_e64 v6, 0x7f800000, v5, s1
	v_cmp_nlt_f32_e64 s1, 0x42b17218, v3
	ds_bpermute_b32 v3, v7, v6
	v_cndmask_b32_e64 v2, 0x7f800000, v8, s1
	ds_bpermute_b32 v5, v7, v2
	s_waitcnt lgkmcnt(1)
	v_add_f32_e32 v3, v6, v3
	ds_bpermute_b32 v7, v10, v3
	s_waitcnt lgkmcnt(1)
	v_add_f32_e32 v5, v2, v5
	ds_bpermute_b32 v8, v10, v5
	s_waitcnt lgkmcnt(1)
	v_add_f32_e32 v3, v3, v7
	ds_bpermute_b32 v7, v13, v3
	s_waitcnt lgkmcnt(1)
	v_add_f32_e32 v5, v5, v8
	ds_bpermute_b32 v8, v13, v5
	s_waitcnt lgkmcnt(1)
	v_add_f32_e32 v7, v3, v7
	s_waitcnt lgkmcnt(0)
	v_add_f32_e32 v3, v5, v8
	ds_bpermute_b32 v8, v14, v7
	ds_bpermute_b32 v5, v14, v3
	s_and_saveexec_b32 s1, vcc_lo
	s_cbranch_execz .LBB467_12
; %bb.5:
	v_add_co_u32 v0, vcc_lo, s4, v0
	v_add_co_ci_u32_e32 v1, vcc_lo, s5, v1, vcc_lo
	s_and_saveexec_b32 s1, s0
	s_cbranch_execz .LBB467_9
; %bb.6:
	s_waitcnt lgkmcnt(1)
	v_dual_add_f32 v7, v7, v8 :: v_dual_mov_b32 v8, 0x7fc0
	s_mov_b32 s2, exec_lo
	s_delay_alu instid0(VALU_DEP_1)
	v_cmpx_neq_f32_e32 0, v7
	s_cbranch_execz .LBB467_8
; %bb.7:
	v_div_scale_f32 v8, null, v7, v7, v6
	s_delay_alu instid0(VALU_DEP_1) | instskip(SKIP_2) | instid1(VALU_DEP_1)
	v_rcp_f32_e32 v9, v8
	s_waitcnt_depctr 0xfff
	v_fma_f32 v10, -v8, v9, 1.0
	v_fmac_f32_e32 v9, v10, v9
	v_div_scale_f32 v10, vcc_lo, v6, v7, v6
	s_delay_alu instid0(VALU_DEP_1) | instskip(NEXT) | instid1(VALU_DEP_1)
	v_mul_f32_e32 v11, v10, v9
	v_fma_f32 v12, -v8, v11, v10
	s_delay_alu instid0(VALU_DEP_1) | instskip(NEXT) | instid1(VALU_DEP_1)
	v_fmac_f32_e32 v11, v12, v9
	v_fma_f32 v8, -v8, v11, v10
	s_delay_alu instid0(VALU_DEP_1) | instskip(NEXT) | instid1(VALU_DEP_1)
	v_div_fmas_f32 v8, v8, v9, v11
	v_div_fixup_f32 v6, v8, v7, v6
	s_delay_alu instid0(VALU_DEP_1) | instskip(SKIP_1) | instid1(VALU_DEP_2)
	v_bfe_u32 v7, v6, 16, 1
	v_cmp_o_f32_e32 vcc_lo, v6, v6
	v_add3_u32 v7, v6, v7, 0x7fff
	s_delay_alu instid0(VALU_DEP_1) | instskip(NEXT) | instid1(VALU_DEP_1)
	v_lshrrev_b32_e32 v7, 16, v7
	v_cndmask_b32_e32 v8, 0x7fc0, v7, vcc_lo
.LBB467_8:
	s_or_b32 exec_lo, exec_lo, s2
	global_store_b16 v[0:1], v8, off
.LBB467_9:
	s_or_b32 exec_lo, exec_lo, s1
	v_cmp_ne_u32_e32 vcc_lo, 1, v4
	s_and_b32 exec_lo, exec_lo, vcc_lo
	s_cbranch_execz .LBB467_12
; %bb.10:
	s_and_b32 exec_lo, exec_lo, s0
	s_cbranch_execz .LBB467_12
; %bb.11:
	s_waitcnt lgkmcnt(0)
	v_add_f32_e32 v3, v3, v5
	s_mov_b32 s11, 0
	s_delay_alu instid0(SALU_CYCLE_1) | instskip(NEXT) | instid1(SALU_CYCLE_1)
	s_lshl_b64 s[2:3], s[10:11], 1
	v_add_co_u32 v0, s1, v0, s2
	s_delay_alu instid0(VALU_DEP_2) | instskip(SKIP_2) | instid1(VALU_DEP_3)
	v_div_scale_f32 v4, null, v3, v3, v2
	v_div_scale_f32 v7, vcc_lo, v2, v3, v2
	v_add_co_ci_u32_e64 v1, s1, s3, v1, s1
	v_rcp_f32_e32 v5, v4
	s_waitcnt_depctr 0xfff
	v_fma_f32 v6, -v4, v5, 1.0
	s_delay_alu instid0(VALU_DEP_1) | instskip(NEXT) | instid1(VALU_DEP_1)
	v_fmac_f32_e32 v5, v6, v5
	v_mul_f32_e32 v6, v7, v5
	s_delay_alu instid0(VALU_DEP_1) | instskip(NEXT) | instid1(VALU_DEP_1)
	v_fma_f32 v8, -v4, v6, v7
	v_fmac_f32_e32 v6, v8, v5
	s_delay_alu instid0(VALU_DEP_1) | instskip(NEXT) | instid1(VALU_DEP_1)
	v_fma_f32 v4, -v4, v6, v7
	v_div_fmas_f32 v4, v4, v5, v6
	v_cmp_eq_f32_e32 vcc_lo, 0, v3
	s_delay_alu instid0(VALU_DEP_2) | instskip(NEXT) | instid1(VALU_DEP_1)
	v_div_fixup_f32 v2, v4, v3, v2
	v_bfe_u32 v4, v2, 16, 1
	v_cmp_u_f32_e64 s0, v2, v2
	s_delay_alu instid0(VALU_DEP_2) | instskip(NEXT) | instid1(VALU_DEP_2)
	v_add3_u32 v4, v2, v4, 0x7fff
	s_or_b32 s0, vcc_lo, s0
	s_delay_alu instid0(VALU_DEP_1) | instskip(NEXT) | instid1(VALU_DEP_1)
	v_lshrrev_b32_e32 v2, 16, v4
	v_cndmask_b32_e64 v2, v2, 0x7fc0, s0
	global_store_b16 v[0:1], v2, off
.LBB467_12:
	s_nop 0
	s_sendmsg sendmsg(MSG_DEALLOC_VGPRS)
	s_endpgm
	.section	.rodata,"a",@progbits
	.p2align	6, 0x0
	.amdhsa_kernel _ZN12_GLOBAL__N_120softmax_warp_forwardIN3c108BFloat16ES2_fLi4ELb0ELb0ELi32EEEvPT0_PKT_iiiPKbib
		.amdhsa_group_segment_fixed_size 0
		.amdhsa_private_segment_fixed_size 0
		.amdhsa_kernarg_size 304
		.amdhsa_user_sgpr_count 15
		.amdhsa_user_sgpr_dispatch_ptr 0
		.amdhsa_user_sgpr_queue_ptr 0
		.amdhsa_user_sgpr_kernarg_segment_ptr 1
		.amdhsa_user_sgpr_dispatch_id 0
		.amdhsa_user_sgpr_private_segment_size 0
		.amdhsa_wavefront_size32 1
		.amdhsa_uses_dynamic_stack 0
		.amdhsa_enable_private_segment 0
		.amdhsa_system_sgpr_workgroup_id_x 1
		.amdhsa_system_sgpr_workgroup_id_y 0
		.amdhsa_system_sgpr_workgroup_id_z 0
		.amdhsa_system_sgpr_workgroup_info 0
		.amdhsa_system_vgpr_workitem_id 1
		.amdhsa_next_free_vgpr 15
		.amdhsa_next_free_sgpr 16
		.amdhsa_reserve_vcc 1
		.amdhsa_float_round_mode_32 0
		.amdhsa_float_round_mode_16_64 0
		.amdhsa_float_denorm_mode_32 3
		.amdhsa_float_denorm_mode_16_64 3
		.amdhsa_dx10_clamp 1
		.amdhsa_ieee_mode 1
		.amdhsa_fp16_overflow 0
		.amdhsa_workgroup_processor_mode 1
		.amdhsa_memory_ordered 1
		.amdhsa_forward_progress 0
		.amdhsa_shared_vgpr_count 0
		.amdhsa_exception_fp_ieee_invalid_op 0
		.amdhsa_exception_fp_denorm_src 0
		.amdhsa_exception_fp_ieee_div_zero 0
		.amdhsa_exception_fp_ieee_overflow 0
		.amdhsa_exception_fp_ieee_underflow 0
		.amdhsa_exception_fp_ieee_inexact 0
		.amdhsa_exception_int_div_zero 0
	.end_amdhsa_kernel
	.section	.text._ZN12_GLOBAL__N_120softmax_warp_forwardIN3c108BFloat16ES2_fLi4ELb0ELb0ELi32EEEvPT0_PKT_iiiPKbib,"axG",@progbits,_ZN12_GLOBAL__N_120softmax_warp_forwardIN3c108BFloat16ES2_fLi4ELb0ELb0ELi32EEEvPT0_PKT_iiiPKbib,comdat
.Lfunc_end467:
	.size	_ZN12_GLOBAL__N_120softmax_warp_forwardIN3c108BFloat16ES2_fLi4ELb0ELb0ELi32EEEvPT0_PKT_iiiPKbib, .Lfunc_end467-_ZN12_GLOBAL__N_120softmax_warp_forwardIN3c108BFloat16ES2_fLi4ELb0ELb0ELi32EEEvPT0_PKT_iiiPKbib
                                        ; -- End function
	.section	.AMDGPU.csdata,"",@progbits
; Kernel info:
; codeLenInByte = 1408
; NumSgprs: 18
; NumVgprs: 15
; ScratchSize: 0
; MemoryBound: 0
; FloatMode: 240
; IeeeMode: 1
; LDSByteSize: 0 bytes/workgroup (compile time only)
; SGPRBlocks: 2
; VGPRBlocks: 1
; NumSGPRsForWavesPerEU: 18
; NumVGPRsForWavesPerEU: 15
; Occupancy: 16
; WaveLimiterHint : 0
; COMPUTE_PGM_RSRC2:SCRATCH_EN: 0
; COMPUTE_PGM_RSRC2:USER_SGPR: 15
; COMPUTE_PGM_RSRC2:TRAP_HANDLER: 0
; COMPUTE_PGM_RSRC2:TGID_X_EN: 1
; COMPUTE_PGM_RSRC2:TGID_Y_EN: 0
; COMPUTE_PGM_RSRC2:TGID_Z_EN: 0
; COMPUTE_PGM_RSRC2:TIDIG_COMP_CNT: 1
	.section	.text._ZN12_GLOBAL__N_120softmax_warp_forwardIN3c108BFloat16ES2_fLi5ELb0ELb0ELi64EEEvPT0_PKT_iiiPKbib,"axG",@progbits,_ZN12_GLOBAL__N_120softmax_warp_forwardIN3c108BFloat16ES2_fLi5ELb0ELb0ELi64EEEvPT0_PKT_iiiPKbib,comdat
	.globl	_ZN12_GLOBAL__N_120softmax_warp_forwardIN3c108BFloat16ES2_fLi5ELb0ELb0ELi64EEEvPT0_PKT_iiiPKbib ; -- Begin function _ZN12_GLOBAL__N_120softmax_warp_forwardIN3c108BFloat16ES2_fLi5ELb0ELb0ELi64EEEvPT0_PKT_iiiPKbib
	.p2align	8
	.type	_ZN12_GLOBAL__N_120softmax_warp_forwardIN3c108BFloat16ES2_fLi5ELb0ELb0ELi64EEEvPT0_PKT_iiiPKbib,@function
_ZN12_GLOBAL__N_120softmax_warp_forwardIN3c108BFloat16ES2_fLi5ELb0ELb0ELi64EEEvPT0_PKT_iiiPKbib: ; @_ZN12_GLOBAL__N_120softmax_warp_forwardIN3c108BFloat16ES2_fLi5ELb0ELb0ELi64EEEvPT0_PKT_iiiPKbib
; %bb.0:
	s_clause 0x1
	s_load_b32 s2, s[0:1], 0x3c
	s_load_b256 s[4:11], s[0:1], 0x0
	v_bfe_u32 v1, v0, 10, 10
	v_and_b32_e32 v2, 0x3ff, v0
	v_dual_mov_b32 v5, 0xff800000 :: v_dual_mov_b32 v6, 0xff800000
	s_waitcnt lgkmcnt(0)
	s_lshr_b32 s0, s2, 16
	s_delay_alu instid0(SALU_CYCLE_1) | instskip(SKIP_2) | instid1(VALU_DEP_1)
	s_mul_i32 s15, s15, s0
	v_cmp_gt_i32_e64 s0, s10, v2
	v_add_lshl_u32 v3, s15, v1, 1
	v_mad_u64_u32 v[0:1], null, v3, s9, v[2:3]
	v_sub_nc_u32_e32 v4, s8, v3
	s_delay_alu instid0(VALU_DEP_1) | instskip(NEXT) | instid1(VALU_DEP_3)
	v_cmp_lt_i32_e32 vcc_lo, 0, v4
	v_ashrrev_i32_e32 v1, 31, v0
	s_and_b32 s2, s0, vcc_lo
	s_delay_alu instid0(VALU_DEP_1) | instskip(NEXT) | instid1(VALU_DEP_1)
	v_lshlrev_b64 v[0:1], 1, v[0:1]
	v_add_co_u32 v2, s1, s6, v0
	s_delay_alu instid0(VALU_DEP_1)
	v_add_co_ci_u32_e64 v3, s1, s7, v1, s1
	s_and_saveexec_b32 s1, s2
	s_cbranch_execz .LBB468_2
; %bb.1:
	global_load_u16 v6, v[2:3], off
	s_waitcnt vmcnt(0)
	v_lshlrev_b32_e32 v6, 16, v6
.LBB468_2:
	s_or_b32 exec_lo, exec_lo, s1
	v_cmp_lt_i32_e64 s1, 1, v4
	s_delay_alu instid0(VALU_DEP_1) | instskip(NEXT) | instid1(SALU_CYCLE_1)
	s_and_b32 s1, s0, s1
	s_and_saveexec_b32 s2, s1
	s_cbranch_execz .LBB468_4
; %bb.3:
	s_mov_b32 s11, 0
	s_delay_alu instid0(SALU_CYCLE_1) | instskip(NEXT) | instid1(SALU_CYCLE_1)
	s_lshl_b64 s[6:7], s[10:11], 1
	v_add_co_u32 v2, s1, v2, s6
	s_delay_alu instid0(VALU_DEP_1)
	v_add_co_ci_u32_e64 v3, s1, s7, v3, s1
	global_load_u16 v2, v[2:3], off
	s_waitcnt vmcnt(0)
	v_lshlrev_b32_e32 v5, 16, v2
.LBB468_4:
	s_or_b32 exec_lo, exec_lo, s2
	v_mbcnt_lo_u32_b32 v2, -1, 0
	s_delay_alu instid0(VALU_DEP_1)
	v_xor_b32_e32 v3, 16, v2
	v_xor_b32_e32 v9, 8, v2
	;; [unrolled: 1-line block ×5, first 2 shown]
	v_cmp_gt_i32_e64 s1, 32, v3
	s_delay_alu instid0(VALU_DEP_1) | instskip(SKIP_1) | instid1(VALU_DEP_2)
	v_cndmask_b32_e64 v3, v2, v3, s1
	v_cmp_gt_i32_e64 s1, 32, v9
	v_lshlrev_b32_e32 v3, 2, v3
	s_delay_alu instid0(VALU_DEP_2)
	v_cndmask_b32_e64 v9, v2, v9, s1
	ds_bpermute_b32 v7, v3, v6
	ds_bpermute_b32 v8, v3, v5
	v_lshlrev_b32_e32 v9, 2, v9
	s_waitcnt lgkmcnt(1)
	v_cmp_lt_f32_e64 s1, v6, v7
	s_delay_alu instid0(VALU_DEP_1)
	v_cndmask_b32_e64 v7, v6, v7, s1
	s_waitcnt lgkmcnt(0)
	v_cmp_lt_f32_e64 s1, v5, v8
	ds_bpermute_b32 v10, v9, v7
	v_cndmask_b32_e64 v8, v5, v8, s1
	v_cmp_gt_i32_e64 s1, 32, v12
	ds_bpermute_b32 v11, v9, v8
	v_cndmask_b32_e64 v12, v2, v12, s1
	s_delay_alu instid0(VALU_DEP_1) | instskip(SKIP_2) | instid1(VALU_DEP_1)
	v_lshlrev_b32_e32 v12, 2, v12
	s_waitcnt lgkmcnt(1)
	v_cmp_lt_f32_e64 s1, v7, v10
	v_cndmask_b32_e64 v7, v7, v10, s1
	s_waitcnt lgkmcnt(0)
	v_cmp_lt_f32_e64 s1, v8, v11
	ds_bpermute_b32 v10, v12, v7
	v_cndmask_b32_e64 v8, v8, v11, s1
	v_cmp_gt_i32_e64 s1, 32, v13
	ds_bpermute_b32 v11, v12, v8
	v_cndmask_b32_e64 v13, v2, v13, s1
	s_delay_alu instid0(VALU_DEP_1) | instskip(SKIP_2) | instid1(VALU_DEP_1)
	v_lshlrev_b32_e32 v13, 2, v13
	s_waitcnt lgkmcnt(1)
	v_cmp_lt_f32_e64 s1, v7, v10
	;; [unrolled: 12-line block ×3, first 2 shown]
	v_cndmask_b32_e64 v2, v7, v10, s1
	s_waitcnt lgkmcnt(0)
	v_cmp_lt_f32_e64 s1, v8, v11
	s_delay_alu instid0(VALU_DEP_1) | instskip(SKIP_4) | instid1(VALU_DEP_1)
	v_cndmask_b32_e64 v7, v8, v11, s1
	ds_bpermute_b32 v8, v14, v2
	ds_bpermute_b32 v10, v14, v7
	s_waitcnt lgkmcnt(1)
	v_cmp_lt_f32_e64 s1, v2, v8
	v_cndmask_b32_e64 v2, v2, v8, s1
	s_waitcnt lgkmcnt(0)
	v_cmp_lt_f32_e64 s1, v7, v10
	s_delay_alu instid0(VALU_DEP_2) | instskip(NEXT) | instid1(VALU_DEP_2)
	v_sub_f32_e32 v2, v6, v2
	v_cndmask_b32_e64 v7, v7, v10, s1
	s_delay_alu instid0(VALU_DEP_1) | instskip(SKIP_1) | instid1(VALU_DEP_2)
	v_dual_mul_f32 v6, 0x3fb8aa3b, v2 :: v_dual_sub_f32 v5, v5, v7
	v_cmp_ngt_f32_e64 s1, 0xc2ce8ed0, v2
	v_fma_f32 v8, 0x3fb8aa3b, v2, -v6
	s_delay_alu instid0(VALU_DEP_3) | instskip(SKIP_1) | instid1(VALU_DEP_3)
	v_mul_f32_e32 v7, 0x3fb8aa3b, v5
	v_rndne_f32_e32 v10, v6
	v_fmac_f32_e32 v8, 0x32a5705f, v2
	s_delay_alu instid0(VALU_DEP_3) | instskip(SKIP_1) | instid1(VALU_DEP_2)
	v_fma_f32 v11, 0x3fb8aa3b, v5, -v7
	v_rndne_f32_e32 v15, v7
	v_dual_sub_f32 v6, v6, v10 :: v_dual_fmac_f32 v11, 0x32a5705f, v5
	s_delay_alu instid0(VALU_DEP_1) | instskip(SKIP_2) | instid1(VALU_DEP_3)
	v_dual_sub_f32 v7, v7, v15 :: v_dual_add_f32 v6, v6, v8
	v_cvt_i32_f32_e32 v8, v10
	v_cvt_i32_f32_e32 v10, v15
	v_add_f32_e32 v7, v7, v11
	s_delay_alu instid0(VALU_DEP_4) | instskip(NEXT) | instid1(VALU_DEP_1)
	v_exp_f32_e32 v6, v6
	v_exp_f32_e32 v7, v7
	s_waitcnt_depctr 0xfff
	v_ldexp_f32 v6, v6, v8
	v_ldexp_f32 v7, v7, v10
	s_delay_alu instid0(VALU_DEP_2) | instskip(SKIP_1) | instid1(VALU_DEP_1)
	v_cndmask_b32_e64 v6, 0, v6, s1
	v_cmp_ngt_f32_e64 s1, 0xc2ce8ed0, v5
	v_cndmask_b32_e64 v7, 0, v7, s1
	v_cmp_nlt_f32_e64 s1, 0x42b17218, v2
	s_delay_alu instid0(VALU_DEP_1)
	v_cndmask_b32_e64 v6, 0x7f800000, v6, s1
	v_cmp_nlt_f32_e64 s1, 0x42b17218, v5
	ds_bpermute_b32 v5, v3, v6
	v_cndmask_b32_e64 v2, 0x7f800000, v7, s1
	ds_bpermute_b32 v3, v3, v2
	s_waitcnt lgkmcnt(1)
	v_add_f32_e32 v5, v6, v5
	ds_bpermute_b32 v7, v9, v5
	s_waitcnt lgkmcnt(1)
	v_add_f32_e32 v3, v2, v3
	;; [unrolled: 3-line block ×7, first 2 shown]
	s_waitcnt lgkmcnt(0)
	v_add_f32_e32 v3, v3, v8
	ds_bpermute_b32 v8, v14, v7
	ds_bpermute_b32 v5, v14, v3
	s_and_saveexec_b32 s1, vcc_lo
	s_cbranch_execz .LBB468_12
; %bb.5:
	v_add_co_u32 v0, vcc_lo, s4, v0
	v_add_co_ci_u32_e32 v1, vcc_lo, s5, v1, vcc_lo
	s_and_saveexec_b32 s1, s0
	s_cbranch_execz .LBB468_9
; %bb.6:
	s_waitcnt lgkmcnt(1)
	v_dual_add_f32 v7, v7, v8 :: v_dual_mov_b32 v8, 0x7fc0
	s_mov_b32 s2, exec_lo
	s_delay_alu instid0(VALU_DEP_1)
	v_cmpx_neq_f32_e32 0, v7
	s_cbranch_execz .LBB468_8
; %bb.7:
	v_div_scale_f32 v8, null, v7, v7, v6
	s_delay_alu instid0(VALU_DEP_1) | instskip(SKIP_2) | instid1(VALU_DEP_1)
	v_rcp_f32_e32 v9, v8
	s_waitcnt_depctr 0xfff
	v_fma_f32 v10, -v8, v9, 1.0
	v_fmac_f32_e32 v9, v10, v9
	v_div_scale_f32 v10, vcc_lo, v6, v7, v6
	s_delay_alu instid0(VALU_DEP_1) | instskip(NEXT) | instid1(VALU_DEP_1)
	v_mul_f32_e32 v11, v10, v9
	v_fma_f32 v12, -v8, v11, v10
	s_delay_alu instid0(VALU_DEP_1) | instskip(NEXT) | instid1(VALU_DEP_1)
	v_fmac_f32_e32 v11, v12, v9
	v_fma_f32 v8, -v8, v11, v10
	s_delay_alu instid0(VALU_DEP_1) | instskip(NEXT) | instid1(VALU_DEP_1)
	v_div_fmas_f32 v8, v8, v9, v11
	v_div_fixup_f32 v6, v8, v7, v6
	s_delay_alu instid0(VALU_DEP_1) | instskip(SKIP_1) | instid1(VALU_DEP_2)
	v_bfe_u32 v7, v6, 16, 1
	v_cmp_o_f32_e32 vcc_lo, v6, v6
	v_add3_u32 v7, v6, v7, 0x7fff
	s_delay_alu instid0(VALU_DEP_1) | instskip(NEXT) | instid1(VALU_DEP_1)
	v_lshrrev_b32_e32 v7, 16, v7
	v_cndmask_b32_e32 v8, 0x7fc0, v7, vcc_lo
.LBB468_8:
	s_or_b32 exec_lo, exec_lo, s2
	global_store_b16 v[0:1], v8, off
.LBB468_9:
	s_or_b32 exec_lo, exec_lo, s1
	v_cmp_ne_u32_e32 vcc_lo, 1, v4
	s_and_b32 exec_lo, exec_lo, vcc_lo
	s_cbranch_execz .LBB468_12
; %bb.10:
	s_and_b32 exec_lo, exec_lo, s0
	s_cbranch_execz .LBB468_12
; %bb.11:
	s_waitcnt lgkmcnt(0)
	v_add_f32_e32 v3, v3, v5
	s_mov_b32 s11, 0
	s_delay_alu instid0(SALU_CYCLE_1) | instskip(NEXT) | instid1(SALU_CYCLE_1)
	s_lshl_b64 s[2:3], s[10:11], 1
	v_add_co_u32 v0, s1, v0, s2
	s_delay_alu instid0(VALU_DEP_2) | instskip(SKIP_2) | instid1(VALU_DEP_3)
	v_div_scale_f32 v4, null, v3, v3, v2
	v_div_scale_f32 v7, vcc_lo, v2, v3, v2
	v_add_co_ci_u32_e64 v1, s1, s3, v1, s1
	v_rcp_f32_e32 v5, v4
	s_waitcnt_depctr 0xfff
	v_fma_f32 v6, -v4, v5, 1.0
	s_delay_alu instid0(VALU_DEP_1) | instskip(NEXT) | instid1(VALU_DEP_1)
	v_fmac_f32_e32 v5, v6, v5
	v_mul_f32_e32 v6, v7, v5
	s_delay_alu instid0(VALU_DEP_1) | instskip(NEXT) | instid1(VALU_DEP_1)
	v_fma_f32 v8, -v4, v6, v7
	v_fmac_f32_e32 v6, v8, v5
	s_delay_alu instid0(VALU_DEP_1) | instskip(NEXT) | instid1(VALU_DEP_1)
	v_fma_f32 v4, -v4, v6, v7
	v_div_fmas_f32 v4, v4, v5, v6
	v_cmp_eq_f32_e32 vcc_lo, 0, v3
	s_delay_alu instid0(VALU_DEP_2) | instskip(NEXT) | instid1(VALU_DEP_1)
	v_div_fixup_f32 v2, v4, v3, v2
	v_bfe_u32 v4, v2, 16, 1
	v_cmp_u_f32_e64 s0, v2, v2
	s_delay_alu instid0(VALU_DEP_2) | instskip(NEXT) | instid1(VALU_DEP_2)
	v_add3_u32 v4, v2, v4, 0x7fff
	s_or_b32 s0, vcc_lo, s0
	s_delay_alu instid0(VALU_DEP_1) | instskip(NEXT) | instid1(VALU_DEP_1)
	v_lshrrev_b32_e32 v2, 16, v4
	v_cndmask_b32_e64 v2, v2, 0x7fc0, s0
	global_store_b16 v[0:1], v2, off
.LBB468_12:
	s_nop 0
	s_sendmsg sendmsg(MSG_DEALLOC_VGPRS)
	s_endpgm
	.section	.rodata,"a",@progbits
	.p2align	6, 0x0
	.amdhsa_kernel _ZN12_GLOBAL__N_120softmax_warp_forwardIN3c108BFloat16ES2_fLi5ELb0ELb0ELi64EEEvPT0_PKT_iiiPKbib
		.amdhsa_group_segment_fixed_size 0
		.amdhsa_private_segment_fixed_size 0
		.amdhsa_kernarg_size 304
		.amdhsa_user_sgpr_count 15
		.amdhsa_user_sgpr_dispatch_ptr 0
		.amdhsa_user_sgpr_queue_ptr 0
		.amdhsa_user_sgpr_kernarg_segment_ptr 1
		.amdhsa_user_sgpr_dispatch_id 0
		.amdhsa_user_sgpr_private_segment_size 0
		.amdhsa_wavefront_size32 1
		.amdhsa_uses_dynamic_stack 0
		.amdhsa_enable_private_segment 0
		.amdhsa_system_sgpr_workgroup_id_x 1
		.amdhsa_system_sgpr_workgroup_id_y 0
		.amdhsa_system_sgpr_workgroup_id_z 0
		.amdhsa_system_sgpr_workgroup_info 0
		.amdhsa_system_vgpr_workitem_id 1
		.amdhsa_next_free_vgpr 16
		.amdhsa_next_free_sgpr 16
		.amdhsa_reserve_vcc 1
		.amdhsa_float_round_mode_32 0
		.amdhsa_float_round_mode_16_64 0
		.amdhsa_float_denorm_mode_32 3
		.amdhsa_float_denorm_mode_16_64 3
		.amdhsa_dx10_clamp 1
		.amdhsa_ieee_mode 1
		.amdhsa_fp16_overflow 0
		.amdhsa_workgroup_processor_mode 1
		.amdhsa_memory_ordered 1
		.amdhsa_forward_progress 0
		.amdhsa_shared_vgpr_count 0
		.amdhsa_exception_fp_ieee_invalid_op 0
		.amdhsa_exception_fp_denorm_src 0
		.amdhsa_exception_fp_ieee_div_zero 0
		.amdhsa_exception_fp_ieee_overflow 0
		.amdhsa_exception_fp_ieee_underflow 0
		.amdhsa_exception_fp_ieee_inexact 0
		.amdhsa_exception_int_div_zero 0
	.end_amdhsa_kernel
	.section	.text._ZN12_GLOBAL__N_120softmax_warp_forwardIN3c108BFloat16ES2_fLi5ELb0ELb0ELi64EEEvPT0_PKT_iiiPKbib,"axG",@progbits,_ZN12_GLOBAL__N_120softmax_warp_forwardIN3c108BFloat16ES2_fLi5ELb0ELb0ELi64EEEvPT0_PKT_iiiPKbib,comdat
.Lfunc_end468:
	.size	_ZN12_GLOBAL__N_120softmax_warp_forwardIN3c108BFloat16ES2_fLi5ELb0ELb0ELi64EEEvPT0_PKT_iiiPKbib, .Lfunc_end468-_ZN12_GLOBAL__N_120softmax_warp_forwardIN3c108BFloat16ES2_fLi5ELb0ELb0ELi64EEEvPT0_PKT_iiiPKbib
                                        ; -- End function
	.section	.AMDGPU.csdata,"",@progbits
; Kernel info:
; codeLenInByte = 1516
; NumSgprs: 18
; NumVgprs: 16
; ScratchSize: 0
; MemoryBound: 0
; FloatMode: 240
; IeeeMode: 1
; LDSByteSize: 0 bytes/workgroup (compile time only)
; SGPRBlocks: 2
; VGPRBlocks: 1
; NumSGPRsForWavesPerEU: 18
; NumVGPRsForWavesPerEU: 16
; Occupancy: 16
; WaveLimiterHint : 0
; COMPUTE_PGM_RSRC2:SCRATCH_EN: 0
; COMPUTE_PGM_RSRC2:USER_SGPR: 15
; COMPUTE_PGM_RSRC2:TRAP_HANDLER: 0
; COMPUTE_PGM_RSRC2:TGID_X_EN: 1
; COMPUTE_PGM_RSRC2:TGID_Y_EN: 0
; COMPUTE_PGM_RSRC2:TGID_Z_EN: 0
; COMPUTE_PGM_RSRC2:TIDIG_COMP_CNT: 1
	.section	.text._ZN12_GLOBAL__N_120softmax_warp_forwardIN3c108BFloat16ES2_fLi5ELb0ELb0ELi32EEEvPT0_PKT_iiiPKbib,"axG",@progbits,_ZN12_GLOBAL__N_120softmax_warp_forwardIN3c108BFloat16ES2_fLi5ELb0ELb0ELi32EEEvPT0_PKT_iiiPKbib,comdat
	.globl	_ZN12_GLOBAL__N_120softmax_warp_forwardIN3c108BFloat16ES2_fLi5ELb0ELb0ELi32EEEvPT0_PKT_iiiPKbib ; -- Begin function _ZN12_GLOBAL__N_120softmax_warp_forwardIN3c108BFloat16ES2_fLi5ELb0ELb0ELi32EEEvPT0_PKT_iiiPKbib
	.p2align	8
	.type	_ZN12_GLOBAL__N_120softmax_warp_forwardIN3c108BFloat16ES2_fLi5ELb0ELb0ELi32EEEvPT0_PKT_iiiPKbib,@function
_ZN12_GLOBAL__N_120softmax_warp_forwardIN3c108BFloat16ES2_fLi5ELb0ELb0ELi32EEEvPT0_PKT_iiiPKbib: ; @_ZN12_GLOBAL__N_120softmax_warp_forwardIN3c108BFloat16ES2_fLi5ELb0ELb0ELi32EEEvPT0_PKT_iiiPKbib
; %bb.0:
	s_clause 0x1
	s_load_b32 s2, s[0:1], 0x3c
	s_load_b256 s[4:11], s[0:1], 0x0
	v_bfe_u32 v1, v0, 10, 10
	v_and_b32_e32 v2, 0x3ff, v0
	v_dual_mov_b32 v5, 0xff800000 :: v_dual_mov_b32 v6, 0xff800000
	s_waitcnt lgkmcnt(0)
	s_lshr_b32 s0, s2, 16
	s_delay_alu instid0(SALU_CYCLE_1) | instskip(SKIP_2) | instid1(VALU_DEP_1)
	s_mul_i32 s15, s15, s0
	v_cmp_gt_i32_e64 s0, s10, v2
	v_add_lshl_u32 v3, s15, v1, 1
	v_mad_u64_u32 v[0:1], null, v3, s9, v[2:3]
	v_sub_nc_u32_e32 v4, s8, v3
	s_delay_alu instid0(VALU_DEP_1) | instskip(NEXT) | instid1(VALU_DEP_3)
	v_cmp_lt_i32_e32 vcc_lo, 0, v4
	v_ashrrev_i32_e32 v1, 31, v0
	s_and_b32 s2, s0, vcc_lo
	s_delay_alu instid0(VALU_DEP_1) | instskip(NEXT) | instid1(VALU_DEP_1)
	v_lshlrev_b64 v[0:1], 1, v[0:1]
	v_add_co_u32 v2, s1, s6, v0
	s_delay_alu instid0(VALU_DEP_1)
	v_add_co_ci_u32_e64 v3, s1, s7, v1, s1
	s_and_saveexec_b32 s1, s2
	s_cbranch_execz .LBB469_2
; %bb.1:
	global_load_u16 v6, v[2:3], off
	s_waitcnt vmcnt(0)
	v_lshlrev_b32_e32 v6, 16, v6
.LBB469_2:
	s_or_b32 exec_lo, exec_lo, s1
	v_cmp_lt_i32_e64 s1, 1, v4
	s_delay_alu instid0(VALU_DEP_1) | instskip(NEXT) | instid1(SALU_CYCLE_1)
	s_and_b32 s1, s0, s1
	s_and_saveexec_b32 s2, s1
	s_cbranch_execz .LBB469_4
; %bb.3:
	s_mov_b32 s11, 0
	s_delay_alu instid0(SALU_CYCLE_1) | instskip(NEXT) | instid1(SALU_CYCLE_1)
	s_lshl_b64 s[6:7], s[10:11], 1
	v_add_co_u32 v2, s1, v2, s6
	s_delay_alu instid0(VALU_DEP_1)
	v_add_co_ci_u32_e64 v3, s1, s7, v3, s1
	global_load_u16 v2, v[2:3], off
	s_waitcnt vmcnt(0)
	v_lshlrev_b32_e32 v5, 16, v2
.LBB469_4:
	s_or_b32 exec_lo, exec_lo, s2
	v_mbcnt_lo_u32_b32 v2, -1, 0
	s_delay_alu instid0(VALU_DEP_1)
	v_xor_b32_e32 v3, 16, v2
	v_xor_b32_e32 v9, 8, v2
	;; [unrolled: 1-line block ×5, first 2 shown]
	v_cmp_gt_i32_e64 s1, 32, v3
	s_delay_alu instid0(VALU_DEP_1) | instskip(SKIP_1) | instid1(VALU_DEP_2)
	v_cndmask_b32_e64 v3, v2, v3, s1
	v_cmp_gt_i32_e64 s1, 32, v9
	v_lshlrev_b32_e32 v3, 2, v3
	s_delay_alu instid0(VALU_DEP_2)
	v_cndmask_b32_e64 v9, v2, v9, s1
	ds_bpermute_b32 v7, v3, v6
	ds_bpermute_b32 v8, v3, v5
	v_lshlrev_b32_e32 v9, 2, v9
	s_waitcnt lgkmcnt(1)
	v_cmp_lt_f32_e64 s1, v6, v7
	s_delay_alu instid0(VALU_DEP_1)
	v_cndmask_b32_e64 v7, v6, v7, s1
	s_waitcnt lgkmcnt(0)
	v_cmp_lt_f32_e64 s1, v5, v8
	ds_bpermute_b32 v10, v9, v7
	v_cndmask_b32_e64 v8, v5, v8, s1
	v_cmp_gt_i32_e64 s1, 32, v12
	ds_bpermute_b32 v11, v9, v8
	v_cndmask_b32_e64 v12, v2, v12, s1
	s_delay_alu instid0(VALU_DEP_1) | instskip(SKIP_2) | instid1(VALU_DEP_1)
	v_lshlrev_b32_e32 v12, 2, v12
	s_waitcnt lgkmcnt(1)
	v_cmp_lt_f32_e64 s1, v7, v10
	v_cndmask_b32_e64 v7, v7, v10, s1
	s_waitcnt lgkmcnt(0)
	v_cmp_lt_f32_e64 s1, v8, v11
	ds_bpermute_b32 v10, v12, v7
	v_cndmask_b32_e64 v8, v8, v11, s1
	v_cmp_gt_i32_e64 s1, 32, v13
	ds_bpermute_b32 v11, v12, v8
	v_cndmask_b32_e64 v13, v2, v13, s1
	s_delay_alu instid0(VALU_DEP_1) | instskip(SKIP_2) | instid1(VALU_DEP_1)
	v_lshlrev_b32_e32 v13, 2, v13
	s_waitcnt lgkmcnt(1)
	v_cmp_lt_f32_e64 s1, v7, v10
	;; [unrolled: 12-line block ×3, first 2 shown]
	v_cndmask_b32_e64 v2, v7, v10, s1
	s_waitcnt lgkmcnt(0)
	v_cmp_lt_f32_e64 s1, v8, v11
	s_delay_alu instid0(VALU_DEP_1) | instskip(SKIP_4) | instid1(VALU_DEP_1)
	v_cndmask_b32_e64 v7, v8, v11, s1
	ds_bpermute_b32 v8, v14, v2
	ds_bpermute_b32 v10, v14, v7
	s_waitcnt lgkmcnt(1)
	v_cmp_lt_f32_e64 s1, v2, v8
	v_cndmask_b32_e64 v2, v2, v8, s1
	s_waitcnt lgkmcnt(0)
	v_cmp_lt_f32_e64 s1, v7, v10
	s_delay_alu instid0(VALU_DEP_2) | instskip(NEXT) | instid1(VALU_DEP_2)
	v_sub_f32_e32 v2, v6, v2
	v_cndmask_b32_e64 v7, v7, v10, s1
	s_delay_alu instid0(VALU_DEP_1) | instskip(SKIP_1) | instid1(VALU_DEP_2)
	v_dual_mul_f32 v6, 0x3fb8aa3b, v2 :: v_dual_sub_f32 v5, v5, v7
	v_cmp_ngt_f32_e64 s1, 0xc2ce8ed0, v2
	v_fma_f32 v8, 0x3fb8aa3b, v2, -v6
	s_delay_alu instid0(VALU_DEP_3) | instskip(SKIP_1) | instid1(VALU_DEP_3)
	v_mul_f32_e32 v7, 0x3fb8aa3b, v5
	v_rndne_f32_e32 v10, v6
	v_fmac_f32_e32 v8, 0x32a5705f, v2
	s_delay_alu instid0(VALU_DEP_3) | instskip(SKIP_1) | instid1(VALU_DEP_2)
	v_fma_f32 v11, 0x3fb8aa3b, v5, -v7
	v_rndne_f32_e32 v15, v7
	v_dual_sub_f32 v6, v6, v10 :: v_dual_fmac_f32 v11, 0x32a5705f, v5
	s_delay_alu instid0(VALU_DEP_1) | instskip(SKIP_2) | instid1(VALU_DEP_3)
	v_dual_sub_f32 v7, v7, v15 :: v_dual_add_f32 v6, v6, v8
	v_cvt_i32_f32_e32 v8, v10
	v_cvt_i32_f32_e32 v10, v15
	v_add_f32_e32 v7, v7, v11
	s_delay_alu instid0(VALU_DEP_4) | instskip(NEXT) | instid1(VALU_DEP_1)
	v_exp_f32_e32 v6, v6
	v_exp_f32_e32 v7, v7
	s_waitcnt_depctr 0xfff
	v_ldexp_f32 v6, v6, v8
	v_ldexp_f32 v7, v7, v10
	s_delay_alu instid0(VALU_DEP_2) | instskip(SKIP_1) | instid1(VALU_DEP_1)
	v_cndmask_b32_e64 v6, 0, v6, s1
	v_cmp_ngt_f32_e64 s1, 0xc2ce8ed0, v5
	v_cndmask_b32_e64 v7, 0, v7, s1
	v_cmp_nlt_f32_e64 s1, 0x42b17218, v2
	s_delay_alu instid0(VALU_DEP_1)
	v_cndmask_b32_e64 v6, 0x7f800000, v6, s1
	v_cmp_nlt_f32_e64 s1, 0x42b17218, v5
	ds_bpermute_b32 v5, v3, v6
	v_cndmask_b32_e64 v2, 0x7f800000, v7, s1
	ds_bpermute_b32 v3, v3, v2
	s_waitcnt lgkmcnt(1)
	v_add_f32_e32 v5, v6, v5
	ds_bpermute_b32 v7, v9, v5
	s_waitcnt lgkmcnt(1)
	v_add_f32_e32 v3, v2, v3
	;; [unrolled: 3-line block ×7, first 2 shown]
	s_waitcnt lgkmcnt(0)
	v_add_f32_e32 v3, v3, v8
	ds_bpermute_b32 v8, v14, v7
	ds_bpermute_b32 v5, v14, v3
	s_and_saveexec_b32 s1, vcc_lo
	s_cbranch_execz .LBB469_12
; %bb.5:
	v_add_co_u32 v0, vcc_lo, s4, v0
	v_add_co_ci_u32_e32 v1, vcc_lo, s5, v1, vcc_lo
	s_and_saveexec_b32 s1, s0
	s_cbranch_execz .LBB469_9
; %bb.6:
	s_waitcnt lgkmcnt(1)
	v_dual_add_f32 v7, v7, v8 :: v_dual_mov_b32 v8, 0x7fc0
	s_mov_b32 s2, exec_lo
	s_delay_alu instid0(VALU_DEP_1)
	v_cmpx_neq_f32_e32 0, v7
	s_cbranch_execz .LBB469_8
; %bb.7:
	v_div_scale_f32 v8, null, v7, v7, v6
	s_delay_alu instid0(VALU_DEP_1) | instskip(SKIP_2) | instid1(VALU_DEP_1)
	v_rcp_f32_e32 v9, v8
	s_waitcnt_depctr 0xfff
	v_fma_f32 v10, -v8, v9, 1.0
	v_fmac_f32_e32 v9, v10, v9
	v_div_scale_f32 v10, vcc_lo, v6, v7, v6
	s_delay_alu instid0(VALU_DEP_1) | instskip(NEXT) | instid1(VALU_DEP_1)
	v_mul_f32_e32 v11, v10, v9
	v_fma_f32 v12, -v8, v11, v10
	s_delay_alu instid0(VALU_DEP_1) | instskip(NEXT) | instid1(VALU_DEP_1)
	v_fmac_f32_e32 v11, v12, v9
	v_fma_f32 v8, -v8, v11, v10
	s_delay_alu instid0(VALU_DEP_1) | instskip(NEXT) | instid1(VALU_DEP_1)
	v_div_fmas_f32 v8, v8, v9, v11
	v_div_fixup_f32 v6, v8, v7, v6
	s_delay_alu instid0(VALU_DEP_1) | instskip(SKIP_1) | instid1(VALU_DEP_2)
	v_bfe_u32 v7, v6, 16, 1
	v_cmp_o_f32_e32 vcc_lo, v6, v6
	v_add3_u32 v7, v6, v7, 0x7fff
	s_delay_alu instid0(VALU_DEP_1) | instskip(NEXT) | instid1(VALU_DEP_1)
	v_lshrrev_b32_e32 v7, 16, v7
	v_cndmask_b32_e32 v8, 0x7fc0, v7, vcc_lo
.LBB469_8:
	s_or_b32 exec_lo, exec_lo, s2
	global_store_b16 v[0:1], v8, off
.LBB469_9:
	s_or_b32 exec_lo, exec_lo, s1
	v_cmp_ne_u32_e32 vcc_lo, 1, v4
	s_and_b32 exec_lo, exec_lo, vcc_lo
	s_cbranch_execz .LBB469_12
; %bb.10:
	s_and_b32 exec_lo, exec_lo, s0
	s_cbranch_execz .LBB469_12
; %bb.11:
	s_waitcnt lgkmcnt(0)
	v_add_f32_e32 v3, v3, v5
	s_mov_b32 s11, 0
	s_delay_alu instid0(SALU_CYCLE_1) | instskip(NEXT) | instid1(SALU_CYCLE_1)
	s_lshl_b64 s[2:3], s[10:11], 1
	v_add_co_u32 v0, s1, v0, s2
	s_delay_alu instid0(VALU_DEP_2) | instskip(SKIP_2) | instid1(VALU_DEP_3)
	v_div_scale_f32 v4, null, v3, v3, v2
	v_div_scale_f32 v7, vcc_lo, v2, v3, v2
	v_add_co_ci_u32_e64 v1, s1, s3, v1, s1
	v_rcp_f32_e32 v5, v4
	s_waitcnt_depctr 0xfff
	v_fma_f32 v6, -v4, v5, 1.0
	s_delay_alu instid0(VALU_DEP_1) | instskip(NEXT) | instid1(VALU_DEP_1)
	v_fmac_f32_e32 v5, v6, v5
	v_mul_f32_e32 v6, v7, v5
	s_delay_alu instid0(VALU_DEP_1) | instskip(NEXT) | instid1(VALU_DEP_1)
	v_fma_f32 v8, -v4, v6, v7
	v_fmac_f32_e32 v6, v8, v5
	s_delay_alu instid0(VALU_DEP_1) | instskip(NEXT) | instid1(VALU_DEP_1)
	v_fma_f32 v4, -v4, v6, v7
	v_div_fmas_f32 v4, v4, v5, v6
	v_cmp_eq_f32_e32 vcc_lo, 0, v3
	s_delay_alu instid0(VALU_DEP_2) | instskip(NEXT) | instid1(VALU_DEP_1)
	v_div_fixup_f32 v2, v4, v3, v2
	v_bfe_u32 v4, v2, 16, 1
	v_cmp_u_f32_e64 s0, v2, v2
	s_delay_alu instid0(VALU_DEP_2) | instskip(NEXT) | instid1(VALU_DEP_2)
	v_add3_u32 v4, v2, v4, 0x7fff
	s_or_b32 s0, vcc_lo, s0
	s_delay_alu instid0(VALU_DEP_1) | instskip(NEXT) | instid1(VALU_DEP_1)
	v_lshrrev_b32_e32 v2, 16, v4
	v_cndmask_b32_e64 v2, v2, 0x7fc0, s0
	global_store_b16 v[0:1], v2, off
.LBB469_12:
	s_nop 0
	s_sendmsg sendmsg(MSG_DEALLOC_VGPRS)
	s_endpgm
	.section	.rodata,"a",@progbits
	.p2align	6, 0x0
	.amdhsa_kernel _ZN12_GLOBAL__N_120softmax_warp_forwardIN3c108BFloat16ES2_fLi5ELb0ELb0ELi32EEEvPT0_PKT_iiiPKbib
		.amdhsa_group_segment_fixed_size 0
		.amdhsa_private_segment_fixed_size 0
		.amdhsa_kernarg_size 304
		.amdhsa_user_sgpr_count 15
		.amdhsa_user_sgpr_dispatch_ptr 0
		.amdhsa_user_sgpr_queue_ptr 0
		.amdhsa_user_sgpr_kernarg_segment_ptr 1
		.amdhsa_user_sgpr_dispatch_id 0
		.amdhsa_user_sgpr_private_segment_size 0
		.amdhsa_wavefront_size32 1
		.amdhsa_uses_dynamic_stack 0
		.amdhsa_enable_private_segment 0
		.amdhsa_system_sgpr_workgroup_id_x 1
		.amdhsa_system_sgpr_workgroup_id_y 0
		.amdhsa_system_sgpr_workgroup_id_z 0
		.amdhsa_system_sgpr_workgroup_info 0
		.amdhsa_system_vgpr_workitem_id 1
		.amdhsa_next_free_vgpr 16
		.amdhsa_next_free_sgpr 16
		.amdhsa_reserve_vcc 1
		.amdhsa_float_round_mode_32 0
		.amdhsa_float_round_mode_16_64 0
		.amdhsa_float_denorm_mode_32 3
		.amdhsa_float_denorm_mode_16_64 3
		.amdhsa_dx10_clamp 1
		.amdhsa_ieee_mode 1
		.amdhsa_fp16_overflow 0
		.amdhsa_workgroup_processor_mode 1
		.amdhsa_memory_ordered 1
		.amdhsa_forward_progress 0
		.amdhsa_shared_vgpr_count 0
		.amdhsa_exception_fp_ieee_invalid_op 0
		.amdhsa_exception_fp_denorm_src 0
		.amdhsa_exception_fp_ieee_div_zero 0
		.amdhsa_exception_fp_ieee_overflow 0
		.amdhsa_exception_fp_ieee_underflow 0
		.amdhsa_exception_fp_ieee_inexact 0
		.amdhsa_exception_int_div_zero 0
	.end_amdhsa_kernel
	.section	.text._ZN12_GLOBAL__N_120softmax_warp_forwardIN3c108BFloat16ES2_fLi5ELb0ELb0ELi32EEEvPT0_PKT_iiiPKbib,"axG",@progbits,_ZN12_GLOBAL__N_120softmax_warp_forwardIN3c108BFloat16ES2_fLi5ELb0ELb0ELi32EEEvPT0_PKT_iiiPKbib,comdat
.Lfunc_end469:
	.size	_ZN12_GLOBAL__N_120softmax_warp_forwardIN3c108BFloat16ES2_fLi5ELb0ELb0ELi32EEEvPT0_PKT_iiiPKbib, .Lfunc_end469-_ZN12_GLOBAL__N_120softmax_warp_forwardIN3c108BFloat16ES2_fLi5ELb0ELb0ELi32EEEvPT0_PKT_iiiPKbib
                                        ; -- End function
	.section	.AMDGPU.csdata,"",@progbits
; Kernel info:
; codeLenInByte = 1516
; NumSgprs: 18
; NumVgprs: 16
; ScratchSize: 0
; MemoryBound: 0
; FloatMode: 240
; IeeeMode: 1
; LDSByteSize: 0 bytes/workgroup (compile time only)
; SGPRBlocks: 2
; VGPRBlocks: 1
; NumSGPRsForWavesPerEU: 18
; NumVGPRsForWavesPerEU: 16
; Occupancy: 16
; WaveLimiterHint : 0
; COMPUTE_PGM_RSRC2:SCRATCH_EN: 0
; COMPUTE_PGM_RSRC2:USER_SGPR: 15
; COMPUTE_PGM_RSRC2:TRAP_HANDLER: 0
; COMPUTE_PGM_RSRC2:TGID_X_EN: 1
; COMPUTE_PGM_RSRC2:TGID_Y_EN: 0
; COMPUTE_PGM_RSRC2:TGID_Z_EN: 0
; COMPUTE_PGM_RSRC2:TIDIG_COMP_CNT: 1
	.section	.text._ZN12_GLOBAL__N_120softmax_warp_forwardIN3c108BFloat16ES2_fLi6ELb0ELb0ELi64EEEvPT0_PKT_iiiPKbib,"axG",@progbits,_ZN12_GLOBAL__N_120softmax_warp_forwardIN3c108BFloat16ES2_fLi6ELb0ELb0ELi64EEEvPT0_PKT_iiiPKbib,comdat
	.globl	_ZN12_GLOBAL__N_120softmax_warp_forwardIN3c108BFloat16ES2_fLi6ELb0ELb0ELi64EEEvPT0_PKT_iiiPKbib ; -- Begin function _ZN12_GLOBAL__N_120softmax_warp_forwardIN3c108BFloat16ES2_fLi6ELb0ELb0ELi64EEEvPT0_PKT_iiiPKbib
	.p2align	8
	.type	_ZN12_GLOBAL__N_120softmax_warp_forwardIN3c108BFloat16ES2_fLi6ELb0ELb0ELi64EEEvPT0_PKT_iiiPKbib,@function
_ZN12_GLOBAL__N_120softmax_warp_forwardIN3c108BFloat16ES2_fLi6ELb0ELb0ELi64EEEvPT0_PKT_iiiPKbib: ; @_ZN12_GLOBAL__N_120softmax_warp_forwardIN3c108BFloat16ES2_fLi6ELb0ELb0ELi64EEEvPT0_PKT_iiiPKbib
; %bb.0:
	s_clause 0x1
	s_load_b32 s2, s[0:1], 0x3c
	s_load_b256 s[4:11], s[0:1], 0x0
	v_bfe_u32 v1, v0, 10, 10
	v_and_b32_e32 v2, 0x3ff, v0
	v_dual_mov_b32 v5, 0xff800000 :: v_dual_mov_b32 v6, 0xff800000
	s_waitcnt lgkmcnt(0)
	s_lshr_b32 s0, s2, 16
	s_delay_alu instid0(SALU_CYCLE_1) | instskip(SKIP_2) | instid1(VALU_DEP_1)
	s_mul_i32 s15, s15, s0
	v_cmp_gt_i32_e64 s0, s10, v2
	v_add_lshl_u32 v3, s15, v1, 1
	v_mad_u64_u32 v[0:1], null, v3, s9, v[2:3]
	v_sub_nc_u32_e32 v4, s8, v3
	s_delay_alu instid0(VALU_DEP_1) | instskip(NEXT) | instid1(VALU_DEP_3)
	v_cmp_lt_i32_e32 vcc_lo, 0, v4
	v_ashrrev_i32_e32 v1, 31, v0
	s_and_b32 s2, s0, vcc_lo
	s_delay_alu instid0(VALU_DEP_1) | instskip(NEXT) | instid1(VALU_DEP_1)
	v_lshlrev_b64 v[0:1], 1, v[0:1]
	v_add_co_u32 v2, s1, s6, v0
	s_delay_alu instid0(VALU_DEP_1)
	v_add_co_ci_u32_e64 v3, s1, s7, v1, s1
	s_and_saveexec_b32 s1, s2
	s_cbranch_execz .LBB470_2
; %bb.1:
	global_load_u16 v6, v[2:3], off
	s_waitcnt vmcnt(0)
	v_lshlrev_b32_e32 v6, 16, v6
.LBB470_2:
	s_or_b32 exec_lo, exec_lo, s1
	v_cmp_lt_i32_e64 s1, 1, v4
	s_delay_alu instid0(VALU_DEP_1) | instskip(NEXT) | instid1(SALU_CYCLE_1)
	s_and_b32 s1, s0, s1
	s_and_saveexec_b32 s2, s1
	s_cbranch_execz .LBB470_4
; %bb.3:
	s_mov_b32 s11, 0
	s_delay_alu instid0(SALU_CYCLE_1) | instskip(NEXT) | instid1(SALU_CYCLE_1)
	s_lshl_b64 s[6:7], s[10:11], 1
	v_add_co_u32 v2, s1, v2, s6
	s_delay_alu instid0(VALU_DEP_1)
	v_add_co_ci_u32_e64 v3, s1, s7, v3, s1
	global_load_u16 v2, v[2:3], off
	s_waitcnt vmcnt(0)
	v_lshlrev_b32_e32 v5, 16, v2
.LBB470_4:
	s_or_b32 exec_lo, exec_lo, s2
	v_mbcnt_lo_u32_b32 v2, -1, 0
	s_delay_alu instid0(VALU_DEP_1)
	v_or_b32_e32 v3, 32, v2
	v_xor_b32_e32 v9, 16, v2
	v_xor_b32_e32 v12, 8, v2
	;; [unrolled: 1-line block ×4, first 2 shown]
	v_cmp_gt_i32_e64 s1, 64, v3
	v_xor_b32_e32 v15, 1, v2
	s_delay_alu instid0(VALU_DEP_2) | instskip(SKIP_1) | instid1(VALU_DEP_2)
	v_cndmask_b32_e64 v3, v2, v3, s1
	v_cmp_gt_i32_e64 s1, 64, v9
	v_lshlrev_b32_e32 v3, 2, v3
	s_delay_alu instid0(VALU_DEP_2)
	v_cndmask_b32_e64 v9, v2, v9, s1
	ds_bpermute_b32 v7, v3, v6
	ds_bpermute_b32 v8, v3, v5
	v_lshlrev_b32_e32 v9, 2, v9
	s_waitcnt lgkmcnt(1)
	v_cmp_lt_f32_e64 s1, v6, v7
	s_delay_alu instid0(VALU_DEP_1)
	v_cndmask_b32_e64 v7, v6, v7, s1
	s_waitcnt lgkmcnt(0)
	v_cmp_lt_f32_e64 s1, v5, v8
	ds_bpermute_b32 v10, v9, v7
	v_cndmask_b32_e64 v8, v5, v8, s1
	v_cmp_gt_i32_e64 s1, 64, v12
	ds_bpermute_b32 v11, v9, v8
	v_cndmask_b32_e64 v12, v2, v12, s1
	s_delay_alu instid0(VALU_DEP_1) | instskip(SKIP_2) | instid1(VALU_DEP_1)
	v_lshlrev_b32_e32 v12, 2, v12
	s_waitcnt lgkmcnt(1)
	v_cmp_lt_f32_e64 s1, v7, v10
	v_cndmask_b32_e64 v7, v7, v10, s1
	s_waitcnt lgkmcnt(0)
	v_cmp_lt_f32_e64 s1, v8, v11
	ds_bpermute_b32 v10, v12, v7
	v_cndmask_b32_e64 v8, v8, v11, s1
	v_cmp_gt_i32_e64 s1, 64, v13
	ds_bpermute_b32 v11, v12, v8
	v_cndmask_b32_e64 v13, v2, v13, s1
	s_delay_alu instid0(VALU_DEP_1) | instskip(SKIP_2) | instid1(VALU_DEP_1)
	v_lshlrev_b32_e32 v13, 2, v13
	s_waitcnt lgkmcnt(1)
	v_cmp_lt_f32_e64 s1, v7, v10
	;; [unrolled: 12-line block ×4, first 2 shown]
	v_cndmask_b32_e64 v2, v7, v10, s1
	s_waitcnt lgkmcnt(0)
	v_cmp_lt_f32_e64 s1, v8, v11
	s_delay_alu instid0(VALU_DEP_1) | instskip(SKIP_4) | instid1(VALU_DEP_1)
	v_cndmask_b32_e64 v7, v8, v11, s1
	ds_bpermute_b32 v8, v15, v2
	ds_bpermute_b32 v10, v15, v7
	s_waitcnt lgkmcnt(1)
	v_cmp_lt_f32_e64 s1, v2, v8
	v_cndmask_b32_e64 v2, v2, v8, s1
	s_waitcnt lgkmcnt(0)
	v_cmp_lt_f32_e64 s1, v7, v10
	s_delay_alu instid0(VALU_DEP_2) | instskip(NEXT) | instid1(VALU_DEP_2)
	v_sub_f32_e32 v2, v6, v2
	v_cndmask_b32_e64 v7, v7, v10, s1
	s_delay_alu instid0(VALU_DEP_1) | instskip(SKIP_1) | instid1(VALU_DEP_2)
	v_dual_mul_f32 v6, 0x3fb8aa3b, v2 :: v_dual_sub_f32 v5, v5, v7
	v_cmp_ngt_f32_e64 s1, 0xc2ce8ed0, v2
	v_fma_f32 v8, 0x3fb8aa3b, v2, -v6
	s_delay_alu instid0(VALU_DEP_3) | instskip(SKIP_1) | instid1(VALU_DEP_3)
	v_mul_f32_e32 v7, 0x3fb8aa3b, v5
	v_rndne_f32_e32 v10, v6
	v_fmac_f32_e32 v8, 0x32a5705f, v2
	s_delay_alu instid0(VALU_DEP_3) | instskip(SKIP_1) | instid1(VALU_DEP_2)
	v_fma_f32 v11, 0x3fb8aa3b, v5, -v7
	v_rndne_f32_e32 v16, v7
	v_dual_sub_f32 v6, v6, v10 :: v_dual_fmac_f32 v11, 0x32a5705f, v5
	s_delay_alu instid0(VALU_DEP_2) | instskip(NEXT) | instid1(VALU_DEP_2)
	v_sub_f32_e32 v7, v7, v16
	v_add_f32_e32 v6, v6, v8
	v_cvt_i32_f32_e32 v8, v10
	v_cvt_i32_f32_e32 v10, v16
	s_delay_alu instid0(VALU_DEP_4) | instskip(NEXT) | instid1(VALU_DEP_4)
	v_add_f32_e32 v7, v7, v11
	v_exp_f32_e32 v6, v6
	s_delay_alu instid0(VALU_DEP_1) | instskip(SKIP_3) | instid1(VALU_DEP_2)
	v_exp_f32_e32 v7, v7
	s_waitcnt_depctr 0xfff
	v_ldexp_f32 v6, v6, v8
	v_ldexp_f32 v7, v7, v10
	v_cndmask_b32_e64 v6, 0, v6, s1
	v_cmp_ngt_f32_e64 s1, 0xc2ce8ed0, v5
	s_delay_alu instid0(VALU_DEP_1) | instskip(SKIP_1) | instid1(VALU_DEP_1)
	v_cndmask_b32_e64 v7, 0, v7, s1
	v_cmp_nlt_f32_e64 s1, 0x42b17218, v2
	v_cndmask_b32_e64 v6, 0x7f800000, v6, s1
	v_cmp_nlt_f32_e64 s1, 0x42b17218, v5
	ds_bpermute_b32 v5, v3, v6
	v_cndmask_b32_e64 v2, 0x7f800000, v7, s1
	ds_bpermute_b32 v3, v3, v2
	s_waitcnt lgkmcnt(1)
	v_add_f32_e32 v5, v6, v5
	ds_bpermute_b32 v7, v9, v5
	s_waitcnt lgkmcnt(1)
	v_add_f32_e32 v3, v2, v3
	;; [unrolled: 3-line block ×9, first 2 shown]
	s_waitcnt lgkmcnt(0)
	v_add_f32_e32 v3, v3, v8
	ds_bpermute_b32 v8, v15, v7
	ds_bpermute_b32 v5, v15, v3
	s_and_saveexec_b32 s1, vcc_lo
	s_cbranch_execz .LBB470_12
; %bb.5:
	v_add_co_u32 v0, vcc_lo, s4, v0
	v_add_co_ci_u32_e32 v1, vcc_lo, s5, v1, vcc_lo
	s_and_saveexec_b32 s1, s0
	s_cbranch_execz .LBB470_9
; %bb.6:
	s_waitcnt lgkmcnt(1)
	v_dual_add_f32 v7, v7, v8 :: v_dual_mov_b32 v8, 0x7fc0
	s_mov_b32 s2, exec_lo
	s_delay_alu instid0(VALU_DEP_1)
	v_cmpx_neq_f32_e32 0, v7
	s_cbranch_execz .LBB470_8
; %bb.7:
	v_div_scale_f32 v8, null, v7, v7, v6
	s_delay_alu instid0(VALU_DEP_1) | instskip(SKIP_2) | instid1(VALU_DEP_1)
	v_rcp_f32_e32 v9, v8
	s_waitcnt_depctr 0xfff
	v_fma_f32 v10, -v8, v9, 1.0
	v_fmac_f32_e32 v9, v10, v9
	v_div_scale_f32 v10, vcc_lo, v6, v7, v6
	s_delay_alu instid0(VALU_DEP_1) | instskip(NEXT) | instid1(VALU_DEP_1)
	v_mul_f32_e32 v11, v10, v9
	v_fma_f32 v12, -v8, v11, v10
	s_delay_alu instid0(VALU_DEP_1) | instskip(NEXT) | instid1(VALU_DEP_1)
	v_fmac_f32_e32 v11, v12, v9
	v_fma_f32 v8, -v8, v11, v10
	s_delay_alu instid0(VALU_DEP_1) | instskip(NEXT) | instid1(VALU_DEP_1)
	v_div_fmas_f32 v8, v8, v9, v11
	v_div_fixup_f32 v6, v8, v7, v6
	s_delay_alu instid0(VALU_DEP_1) | instskip(SKIP_1) | instid1(VALU_DEP_2)
	v_bfe_u32 v7, v6, 16, 1
	v_cmp_o_f32_e32 vcc_lo, v6, v6
	v_add3_u32 v7, v6, v7, 0x7fff
	s_delay_alu instid0(VALU_DEP_1) | instskip(NEXT) | instid1(VALU_DEP_1)
	v_lshrrev_b32_e32 v7, 16, v7
	v_cndmask_b32_e32 v8, 0x7fc0, v7, vcc_lo
.LBB470_8:
	s_or_b32 exec_lo, exec_lo, s2
	global_store_b16 v[0:1], v8, off
.LBB470_9:
	s_or_b32 exec_lo, exec_lo, s1
	v_cmp_ne_u32_e32 vcc_lo, 1, v4
	s_and_b32 exec_lo, exec_lo, vcc_lo
	s_cbranch_execz .LBB470_12
; %bb.10:
	s_and_b32 exec_lo, exec_lo, s0
	s_cbranch_execz .LBB470_12
; %bb.11:
	s_waitcnt lgkmcnt(0)
	v_add_f32_e32 v3, v3, v5
	s_mov_b32 s11, 0
	s_delay_alu instid0(SALU_CYCLE_1) | instskip(NEXT) | instid1(SALU_CYCLE_1)
	s_lshl_b64 s[2:3], s[10:11], 1
	v_add_co_u32 v0, s1, v0, s2
	s_delay_alu instid0(VALU_DEP_2) | instskip(SKIP_2) | instid1(VALU_DEP_3)
	v_div_scale_f32 v4, null, v3, v3, v2
	v_div_scale_f32 v7, vcc_lo, v2, v3, v2
	v_add_co_ci_u32_e64 v1, s1, s3, v1, s1
	v_rcp_f32_e32 v5, v4
	s_waitcnt_depctr 0xfff
	v_fma_f32 v6, -v4, v5, 1.0
	s_delay_alu instid0(VALU_DEP_1) | instskip(NEXT) | instid1(VALU_DEP_1)
	v_fmac_f32_e32 v5, v6, v5
	v_mul_f32_e32 v6, v7, v5
	s_delay_alu instid0(VALU_DEP_1) | instskip(NEXT) | instid1(VALU_DEP_1)
	v_fma_f32 v8, -v4, v6, v7
	v_fmac_f32_e32 v6, v8, v5
	s_delay_alu instid0(VALU_DEP_1) | instskip(NEXT) | instid1(VALU_DEP_1)
	v_fma_f32 v4, -v4, v6, v7
	v_div_fmas_f32 v4, v4, v5, v6
	v_cmp_eq_f32_e32 vcc_lo, 0, v3
	s_delay_alu instid0(VALU_DEP_2) | instskip(NEXT) | instid1(VALU_DEP_1)
	v_div_fixup_f32 v2, v4, v3, v2
	v_bfe_u32 v4, v2, 16, 1
	v_cmp_u_f32_e64 s0, v2, v2
	s_delay_alu instid0(VALU_DEP_2) | instskip(NEXT) | instid1(VALU_DEP_2)
	v_add3_u32 v4, v2, v4, 0x7fff
	s_or_b32 s0, vcc_lo, s0
	s_delay_alu instid0(VALU_DEP_1) | instskip(NEXT) | instid1(VALU_DEP_1)
	v_lshrrev_b32_e32 v2, 16, v4
	v_cndmask_b32_e64 v2, v2, 0x7fc0, s0
	global_store_b16 v[0:1], v2, off
.LBB470_12:
	s_nop 0
	s_sendmsg sendmsg(MSG_DEALLOC_VGPRS)
	s_endpgm
	.section	.rodata,"a",@progbits
	.p2align	6, 0x0
	.amdhsa_kernel _ZN12_GLOBAL__N_120softmax_warp_forwardIN3c108BFloat16ES2_fLi6ELb0ELb0ELi64EEEvPT0_PKT_iiiPKbib
		.amdhsa_group_segment_fixed_size 0
		.amdhsa_private_segment_fixed_size 0
		.amdhsa_kernarg_size 304
		.amdhsa_user_sgpr_count 15
		.amdhsa_user_sgpr_dispatch_ptr 0
		.amdhsa_user_sgpr_queue_ptr 0
		.amdhsa_user_sgpr_kernarg_segment_ptr 1
		.amdhsa_user_sgpr_dispatch_id 0
		.amdhsa_user_sgpr_private_segment_size 0
		.amdhsa_wavefront_size32 1
		.amdhsa_uses_dynamic_stack 0
		.amdhsa_enable_private_segment 0
		.amdhsa_system_sgpr_workgroup_id_x 1
		.amdhsa_system_sgpr_workgroup_id_y 0
		.amdhsa_system_sgpr_workgroup_id_z 0
		.amdhsa_system_sgpr_workgroup_info 0
		.amdhsa_system_vgpr_workitem_id 1
		.amdhsa_next_free_vgpr 17
		.amdhsa_next_free_sgpr 16
		.amdhsa_reserve_vcc 1
		.amdhsa_float_round_mode_32 0
		.amdhsa_float_round_mode_16_64 0
		.amdhsa_float_denorm_mode_32 3
		.amdhsa_float_denorm_mode_16_64 3
		.amdhsa_dx10_clamp 1
		.amdhsa_ieee_mode 1
		.amdhsa_fp16_overflow 0
		.amdhsa_workgroup_processor_mode 1
		.amdhsa_memory_ordered 1
		.amdhsa_forward_progress 0
		.amdhsa_shared_vgpr_count 0
		.amdhsa_exception_fp_ieee_invalid_op 0
		.amdhsa_exception_fp_denorm_src 0
		.amdhsa_exception_fp_ieee_div_zero 0
		.amdhsa_exception_fp_ieee_overflow 0
		.amdhsa_exception_fp_ieee_underflow 0
		.amdhsa_exception_fp_ieee_inexact 0
		.amdhsa_exception_int_div_zero 0
	.end_amdhsa_kernel
	.section	.text._ZN12_GLOBAL__N_120softmax_warp_forwardIN3c108BFloat16ES2_fLi6ELb0ELb0ELi64EEEvPT0_PKT_iiiPKbib,"axG",@progbits,_ZN12_GLOBAL__N_120softmax_warp_forwardIN3c108BFloat16ES2_fLi6ELb0ELb0ELi64EEEvPT0_PKT_iiiPKbib,comdat
.Lfunc_end470:
	.size	_ZN12_GLOBAL__N_120softmax_warp_forwardIN3c108BFloat16ES2_fLi6ELb0ELb0ELi64EEEvPT0_PKT_iiiPKbib, .Lfunc_end470-_ZN12_GLOBAL__N_120softmax_warp_forwardIN3c108BFloat16ES2_fLi6ELb0ELb0ELi64EEEvPT0_PKT_iiiPKbib
                                        ; -- End function
	.section	.AMDGPU.csdata,"",@progbits
; Kernel info:
; codeLenInByte = 1632
; NumSgprs: 18
; NumVgprs: 17
; ScratchSize: 0
; MemoryBound: 0
; FloatMode: 240
; IeeeMode: 1
; LDSByteSize: 0 bytes/workgroup (compile time only)
; SGPRBlocks: 2
; VGPRBlocks: 2
; NumSGPRsForWavesPerEU: 18
; NumVGPRsForWavesPerEU: 17
; Occupancy: 16
; WaveLimiterHint : 0
; COMPUTE_PGM_RSRC2:SCRATCH_EN: 0
; COMPUTE_PGM_RSRC2:USER_SGPR: 15
; COMPUTE_PGM_RSRC2:TRAP_HANDLER: 0
; COMPUTE_PGM_RSRC2:TGID_X_EN: 1
; COMPUTE_PGM_RSRC2:TGID_Y_EN: 0
; COMPUTE_PGM_RSRC2:TGID_Z_EN: 0
; COMPUTE_PGM_RSRC2:TIDIG_COMP_CNT: 1
	.section	.text._ZN12_GLOBAL__N_120softmax_warp_forwardIN3c108BFloat16ES2_fLi6ELb0ELb0ELi32EEEvPT0_PKT_iiiPKbib,"axG",@progbits,_ZN12_GLOBAL__N_120softmax_warp_forwardIN3c108BFloat16ES2_fLi6ELb0ELb0ELi32EEEvPT0_PKT_iiiPKbib,comdat
	.globl	_ZN12_GLOBAL__N_120softmax_warp_forwardIN3c108BFloat16ES2_fLi6ELb0ELb0ELi32EEEvPT0_PKT_iiiPKbib ; -- Begin function _ZN12_GLOBAL__N_120softmax_warp_forwardIN3c108BFloat16ES2_fLi6ELb0ELb0ELi32EEEvPT0_PKT_iiiPKbib
	.p2align	8
	.type	_ZN12_GLOBAL__N_120softmax_warp_forwardIN3c108BFloat16ES2_fLi6ELb0ELb0ELi32EEEvPT0_PKT_iiiPKbib,@function
_ZN12_GLOBAL__N_120softmax_warp_forwardIN3c108BFloat16ES2_fLi6ELb0ELb0ELi32EEEvPT0_PKT_iiiPKbib: ; @_ZN12_GLOBAL__N_120softmax_warp_forwardIN3c108BFloat16ES2_fLi6ELb0ELb0ELi32EEEvPT0_PKT_iiiPKbib
; %bb.0:
	s_clause 0x1
	s_load_b32 s2, s[0:1], 0x3c
	s_load_b256 s[4:11], s[0:1], 0x0
	v_bfe_u32 v1, v0, 10, 10
	v_and_b32_e32 v4, 0x3ff, v0
	v_dual_mov_b32 v6, 0xff800000 :: v_dual_mov_b32 v7, 0xff800000
	s_waitcnt lgkmcnt(0)
	s_lshr_b32 s0, s2, 16
	s_delay_alu instid0(VALU_DEP_2) | instskip(SKIP_1) | instid1(SALU_CYCLE_1)
	v_cmp_gt_i32_e64 s1, s10, v4
	s_mul_i32 s15, s15, s0
	v_add_lshl_u32 v2, s15, v1, 1
	s_delay_alu instid0(VALU_DEP_1) | instskip(SKIP_1) | instid1(VALU_DEP_1)
	v_mad_u64_u32 v[0:1], null, v2, s9, v[4:5]
	v_sub_nc_u32_e32 v5, s8, v2
	v_cmp_lt_i32_e32 vcc_lo, 0, v5
	s_delay_alu instid0(VALU_DEP_3) | instskip(SKIP_1) | instid1(VALU_DEP_1)
	v_ashrrev_i32_e32 v1, 31, v0
	s_and_b32 s2, vcc_lo, s1
	v_lshlrev_b64 v[0:1], 1, v[0:1]
	s_delay_alu instid0(VALU_DEP_1) | instskip(NEXT) | instid1(VALU_DEP_1)
	v_add_co_u32 v2, s0, s6, v0
	v_add_co_ci_u32_e64 v3, s0, s7, v1, s0
	s_and_saveexec_b32 s0, s2
	s_cbranch_execz .LBB471_2
; %bb.1:
	global_load_u16 v7, v[2:3], off
	s_waitcnt vmcnt(0)
	v_lshlrev_b32_e32 v7, 16, v7
.LBB471_2:
	s_or_b32 exec_lo, exec_lo, s0
	v_add_nc_u32_e32 v4, 32, v4
	s_delay_alu instid0(VALU_DEP_1) | instskip(NEXT) | instid1(VALU_DEP_1)
	v_cmp_gt_i32_e64 s0, s10, v4
	s_and_b32 s3, vcc_lo, s0
	s_delay_alu instid0(SALU_CYCLE_1)
	s_and_saveexec_b32 s2, s3
	s_cbranch_execz .LBB471_4
; %bb.3:
	global_load_u16 v4, v[2:3], off offset:64
	s_waitcnt vmcnt(0)
	v_lshlrev_b32_e32 v6, 16, v4
.LBB471_4:
	s_or_b32 exec_lo, exec_lo, s2
	v_cmp_lt_i32_e64 s2, 1, v5
	v_mov_b32_e32 v4, 0xff800000
	v_mov_b32_e32 v8, 0xff800000
	s_delay_alu instid0(VALU_DEP_3) | instskip(NEXT) | instid1(SALU_CYCLE_1)
	s_and_b32 s3, s2, s1
	s_and_saveexec_b32 s6, s3
	s_cbranch_execz .LBB471_6
; %bb.5:
	s_mov_b32 s11, 0
	s_delay_alu instid0(SALU_CYCLE_1) | instskip(NEXT) | instid1(SALU_CYCLE_1)
	s_lshl_b64 s[8:9], s[10:11], 1
	v_add_co_u32 v8, s3, v2, s8
	s_delay_alu instid0(VALU_DEP_1)
	v_add_co_ci_u32_e64 v9, s3, s9, v3, s3
	global_load_u16 v8, v[8:9], off
	s_waitcnt vmcnt(0)
	v_lshlrev_b32_e32 v8, 16, v8
.LBB471_6:
	s_or_b32 exec_lo, exec_lo, s6
	s_and_b32 s2, s2, s0
	s_delay_alu instid0(SALU_CYCLE_1)
	s_and_saveexec_b32 s3, s2
	s_cbranch_execz .LBB471_8
; %bb.7:
	s_mov_b32 s11, 0
	s_delay_alu instid0(SALU_CYCLE_1) | instskip(NEXT) | instid1(SALU_CYCLE_1)
	s_lshl_b64 s[6:7], s[10:11], 1
	v_add_co_u32 v2, s2, v2, s6
	s_delay_alu instid0(VALU_DEP_1)
	v_add_co_ci_u32_e64 v3, s2, s7, v3, s2
	global_load_u16 v2, v[2:3], off offset:64
	s_waitcnt vmcnt(0)
	v_lshlrev_b32_e32 v4, 16, v2
.LBB471_8:
	s_or_b32 exec_lo, exec_lo, s3
	v_mbcnt_lo_u32_b32 v2, -1, 0
	s_delay_alu instid0(VALU_DEP_1)
	v_xor_b32_e32 v3, 16, v2
	v_xor_b32_e32 v13, 8, v2
	;; [unrolled: 1-line block ×5, first 2 shown]
	v_cmp_gt_i32_e64 s2, 32, v3
	s_delay_alu instid0(VALU_DEP_1) | instskip(SKIP_1) | instid1(VALU_DEP_2)
	v_cndmask_b32_e64 v3, v2, v3, s2
	v_cmp_gt_f32_e64 s2, v7, v6
	v_lshlrev_b32_e32 v10, 2, v3
	s_delay_alu instid0(VALU_DEP_2)
	v_cndmask_b32_e64 v9, v6, v7, s2
	v_cmp_gt_f32_e64 s2, v8, v4
	ds_bpermute_b32 v11, v10, v9
	v_cndmask_b32_e64 v3, v4, v8, s2
	v_cmp_gt_i32_e64 s2, 32, v13
	ds_bpermute_b32 v12, v10, v3
	v_cndmask_b32_e64 v13, v2, v13, s2
	s_delay_alu instid0(VALU_DEP_1) | instskip(SKIP_2) | instid1(VALU_DEP_1)
	v_lshlrev_b32_e32 v13, 2, v13
	s_waitcnt lgkmcnt(1)
	v_cmp_lt_f32_e64 s2, v9, v11
	v_cndmask_b32_e64 v9, v9, v11, s2
	s_waitcnt lgkmcnt(0)
	v_cmp_lt_f32_e64 s2, v3, v12
	ds_bpermute_b32 v11, v13, v9
	v_cndmask_b32_e64 v3, v3, v12, s2
	v_cmp_gt_i32_e64 s2, 32, v14
	ds_bpermute_b32 v12, v13, v3
	v_cndmask_b32_e64 v14, v2, v14, s2
	s_delay_alu instid0(VALU_DEP_1) | instskip(SKIP_2) | instid1(VALU_DEP_1)
	v_lshlrev_b32_e32 v14, 2, v14
	s_waitcnt lgkmcnt(1)
	v_cmp_lt_f32_e64 s2, v9, v11
	v_cndmask_b32_e64 v9, v9, v11, s2
	s_waitcnt lgkmcnt(0)
	v_cmp_lt_f32_e64 s2, v3, v12
	;; [unrolled: 12-line block ×4, first 2 shown]
	ds_bpermute_b32 v9, v16, v2
	v_cndmask_b32_e64 v3, v3, v12, s2
	ds_bpermute_b32 v11, v16, v3
	s_waitcnt lgkmcnt(1)
	v_cmp_lt_f32_e64 s2, v2, v9
	s_delay_alu instid0(VALU_DEP_1) | instskip(SKIP_2) | instid1(VALU_DEP_2)
	v_cndmask_b32_e64 v2, v2, v9, s2
	s_waitcnt lgkmcnt(0)
	v_cmp_lt_f32_e64 s2, v3, v11
	v_sub_f32_e32 v7, v7, v2
	s_delay_alu instid0(VALU_DEP_2) | instskip(SKIP_1) | instid1(VALU_DEP_3)
	v_cndmask_b32_e64 v3, v3, v11, s2
	v_sub_f32_e32 v2, v6, v2
	v_cmp_ngt_f32_e64 s2, 0xc2ce8ed0, v7
	s_delay_alu instid0(VALU_DEP_3) | instskip(SKIP_1) | instid1(VALU_DEP_4)
	v_sub_f32_e32 v6, v8, v3
	v_sub_f32_e32 v4, v4, v3
	v_dual_mul_f32 v3, 0x3fb8aa3b, v7 :: v_dual_mul_f32 v8, 0x3fb8aa3b, v2
	s_delay_alu instid0(VALU_DEP_1) | instskip(SKIP_1) | instid1(VALU_DEP_3)
	v_rndne_f32_e32 v17, v3
	v_fma_f32 v12, 0x3fb8aa3b, v7, -v3
	v_fma_f32 v18, 0x3fb8aa3b, v2, -v8
	v_rndne_f32_e32 v19, v8
	s_delay_alu instid0(VALU_DEP_4) | instskip(SKIP_2) | instid1(VALU_DEP_2)
	v_sub_f32_e32 v3, v3, v17
	v_mul_f32_e32 v9, 0x3fb8aa3b, v6
	v_mul_f32_e32 v11, 0x3fb8aa3b, v4
	v_rndne_f32_e32 v21, v9
	v_fmac_f32_e32 v12, 0x32a5705f, v7
	v_fma_f32 v20, 0x3fb8aa3b, v6, -v9
	s_delay_alu instid0(VALU_DEP_4) | instskip(NEXT) | instid1(VALU_DEP_4)
	v_rndne_f32_e32 v23, v11
	v_dual_fmac_f32 v18, 0x32a5705f, v2 :: v_dual_sub_f32 v9, v9, v21
	s_delay_alu instid0(VALU_DEP_4) | instskip(SKIP_1) | instid1(VALU_DEP_4)
	v_dual_sub_f32 v8, v8, v19 :: v_dual_add_f32 v3, v3, v12
	v_fma_f32 v22, 0x3fb8aa3b, v4, -v11
	v_dual_fmac_f32 v20, 0x32a5705f, v6 :: v_dual_sub_f32 v11, v11, v23
	s_delay_alu instid0(VALU_DEP_3) | instskip(NEXT) | instid1(VALU_DEP_4)
	v_add_f32_e32 v8, v8, v18
	v_exp_f32_e32 v3, v3
	s_delay_alu instid0(VALU_DEP_3) | instskip(NEXT) | instid1(VALU_DEP_3)
	v_fmac_f32_e32 v22, 0x32a5705f, v4
	v_add_f32_e32 v9, v9, v20
	v_cvt_i32_f32_e32 v12, v17
	v_exp_f32_e32 v8, v8
	v_cvt_i32_f32_e32 v17, v19
	v_add_f32_e32 v11, v11, v22
	v_exp_f32_e32 v9, v9
	v_cvt_i32_f32_e32 v18, v21
	v_cvt_i32_f32_e32 v19, v23
	v_ldexp_f32 v3, v3, v12
	v_exp_f32_e32 v11, v11
	s_delay_alu instid0(TRANS32_DEP_3) | instskip(NEXT) | instid1(VALU_DEP_2)
	v_ldexp_f32 v8, v8, v17
	v_cndmask_b32_e64 v3, 0, v3, s2
	v_cmp_ngt_f32_e64 s2, 0xc2ce8ed0, v2
	s_delay_alu instid0(TRANS32_DEP_2) | instskip(NEXT) | instid1(VALU_DEP_2)
	v_ldexp_f32 v9, v9, v18
	v_cndmask_b32_e64 v12, 0, v8, s2
	v_cmp_ngt_f32_e64 s2, 0xc2ce8ed0, v6
	s_delay_alu instid0(TRANS32_DEP_1) | instskip(NEXT) | instid1(VALU_DEP_2)
	v_ldexp_f32 v11, v11, v19
	v_cndmask_b32_e64 v9, 0, v9, s2
	v_cmp_ngt_f32_e64 s2, 0xc2ce8ed0, v4
	s_delay_alu instid0(VALU_DEP_1) | instskip(SKIP_1) | instid1(VALU_DEP_1)
	v_cndmask_b32_e64 v11, 0, v11, s2
	v_cmp_nlt_f32_e64 s2, 0x42b17218, v7
	v_cndmask_b32_e64 v8, 0x7f800000, v3, s2
	v_cmp_nlt_f32_e64 s2, 0x42b17218, v2
	s_delay_alu instid0(VALU_DEP_1) | instskip(SKIP_1) | instid1(VALU_DEP_1)
	v_cndmask_b32_e64 v7, 0x7f800000, v12, s2
	v_cmp_nlt_f32_e64 s2, 0x42b17218, v6
	v_cndmask_b32_e64 v3, 0x7f800000, v9, s2
	v_cmp_nlt_f32_e64 s2, 0x42b17218, v4
	s_delay_alu instid0(VALU_DEP_4) | instskip(NEXT) | instid1(VALU_DEP_2)
	v_add_f32_e32 v4, v8, v7
	v_cndmask_b32_e64 v2, 0x7f800000, v11, s2
	ds_bpermute_b32 v9, v10, v4
	v_add_f32_e32 v6, v3, v2
	ds_bpermute_b32 v10, v10, v6
	s_waitcnt lgkmcnt(1)
	v_add_f32_e32 v4, v4, v9
	ds_bpermute_b32 v9, v13, v4
	s_waitcnt lgkmcnt(1)
	;; [unrolled: 3-line block ×7, first 2 shown]
	v_dual_add_f32 v9, v4, v9 :: v_dual_add_f32 v4, v6, v10
	ds_bpermute_b32 v10, v16, v9
	ds_bpermute_b32 v6, v16, v4
	s_and_saveexec_b32 s2, vcc_lo
	s_cbranch_execz .LBB471_20
; %bb.9:
	v_add_co_u32 v0, vcc_lo, s4, v0
	v_add_co_ci_u32_e32 v1, vcc_lo, s5, v1, vcc_lo
	s_and_saveexec_b32 s3, s1
	s_cbranch_execz .LBB471_16
; %bb.10:
	s_waitcnt lgkmcnt(1)
	v_dual_add_f32 v9, v9, v10 :: v_dual_mov_b32 v10, 0x7fc0
	s_delay_alu instid0(VALU_DEP_1) | instskip(NEXT) | instid1(VALU_DEP_1)
	v_cmp_neq_f32_e64 s2, 0, v9
	s_and_saveexec_b32 s4, s2
	s_cbranch_execz .LBB471_12
; %bb.11:
	v_div_scale_f32 v10, null, v9, v9, v8
	s_delay_alu instid0(VALU_DEP_1) | instskip(SKIP_2) | instid1(VALU_DEP_1)
	v_rcp_f32_e32 v11, v10
	s_waitcnt_depctr 0xfff
	v_fma_f32 v12, -v10, v11, 1.0
	v_fmac_f32_e32 v11, v12, v11
	v_div_scale_f32 v12, vcc_lo, v8, v9, v8
	s_delay_alu instid0(VALU_DEP_1) | instskip(NEXT) | instid1(VALU_DEP_1)
	v_mul_f32_e32 v13, v12, v11
	v_fma_f32 v14, -v10, v13, v12
	s_delay_alu instid0(VALU_DEP_1) | instskip(NEXT) | instid1(VALU_DEP_1)
	v_fmac_f32_e32 v13, v14, v11
	v_fma_f32 v10, -v10, v13, v12
	s_delay_alu instid0(VALU_DEP_1) | instskip(NEXT) | instid1(VALU_DEP_1)
	v_div_fmas_f32 v10, v10, v11, v13
	v_div_fixup_f32 v8, v10, v9, v8
	s_delay_alu instid0(VALU_DEP_1) | instskip(SKIP_1) | instid1(VALU_DEP_2)
	v_bfe_u32 v10, v8, 16, 1
	v_cmp_o_f32_e32 vcc_lo, v8, v8
	v_add3_u32 v10, v8, v10, 0x7fff
	s_delay_alu instid0(VALU_DEP_1) | instskip(NEXT) | instid1(VALU_DEP_1)
	v_lshrrev_b32_e32 v10, 16, v10
	v_cndmask_b32_e32 v10, 0x7fc0, v10, vcc_lo
.LBB471_12:
	s_or_b32 exec_lo, exec_lo, s4
	global_store_b16 v[0:1], v10, off
	s_and_b32 exec_lo, exec_lo, s0
	s_cbranch_execz .LBB471_16
; %bb.13:
	v_mov_b32_e32 v8, 0x7fc0
	s_and_saveexec_b32 s4, s2
	s_cbranch_execz .LBB471_15
; %bb.14:
	v_div_scale_f32 v8, null, v9, v9, v7
	s_delay_alu instid0(VALU_DEP_1) | instskip(SKIP_2) | instid1(VALU_DEP_1)
	v_rcp_f32_e32 v10, v8
	s_waitcnt_depctr 0xfff
	v_fma_f32 v11, -v8, v10, 1.0
	v_fmac_f32_e32 v10, v11, v10
	v_div_scale_f32 v11, vcc_lo, v7, v9, v7
	s_delay_alu instid0(VALU_DEP_1) | instskip(NEXT) | instid1(VALU_DEP_1)
	v_mul_f32_e32 v12, v11, v10
	v_fma_f32 v13, -v8, v12, v11
	s_delay_alu instid0(VALU_DEP_1) | instskip(NEXT) | instid1(VALU_DEP_1)
	v_fmac_f32_e32 v12, v13, v10
	v_fma_f32 v8, -v8, v12, v11
	s_delay_alu instid0(VALU_DEP_1) | instskip(NEXT) | instid1(VALU_DEP_1)
	v_div_fmas_f32 v8, v8, v10, v12
	v_div_fixup_f32 v7, v8, v9, v7
	s_delay_alu instid0(VALU_DEP_1) | instskip(SKIP_1) | instid1(VALU_DEP_2)
	v_bfe_u32 v8, v7, 16, 1
	v_cmp_o_f32_e32 vcc_lo, v7, v7
	v_add3_u32 v8, v7, v8, 0x7fff
	s_delay_alu instid0(VALU_DEP_1) | instskip(NEXT) | instid1(VALU_DEP_1)
	v_lshrrev_b32_e32 v8, 16, v8
	v_cndmask_b32_e32 v8, 0x7fc0, v8, vcc_lo
.LBB471_15:
	s_or_b32 exec_lo, exec_lo, s4
	global_store_b16 v[0:1], v8, off offset:64
.LBB471_16:
	s_or_b32 exec_lo, exec_lo, s3
	v_cmp_ne_u32_e32 vcc_lo, 1, v5
	s_and_b32 exec_lo, exec_lo, vcc_lo
	s_cbranch_execz .LBB471_20
; %bb.17:
	s_and_b32 exec_lo, exec_lo, s1
	s_cbranch_execz .LBB471_20
; %bb.18:
	s_waitcnt lgkmcnt(0)
	v_add_f32_e32 v4, v4, v6
	s_mov_b32 s11, 0
	s_delay_alu instid0(SALU_CYCLE_1) | instskip(NEXT) | instid1(VALU_DEP_1)
	s_lshl_b64 s[2:3], s[10:11], 1
	v_div_scale_f32 v5, null, v4, v4, v3
	v_div_scale_f32 v8, vcc_lo, v3, v4, v3
	v_cmp_eq_f32_e64 s1, 0, v4
	s_delay_alu instid0(VALU_DEP_3) | instskip(SKIP_2) | instid1(VALU_DEP_1)
	v_rcp_f32_e32 v6, v5
	s_waitcnt_depctr 0xfff
	v_fma_f32 v7, -v5, v6, 1.0
	v_fmac_f32_e32 v6, v7, v6
	s_delay_alu instid0(VALU_DEP_1) | instskip(NEXT) | instid1(VALU_DEP_1)
	v_mul_f32_e32 v7, v8, v6
	v_fma_f32 v9, -v5, v7, v8
	s_delay_alu instid0(VALU_DEP_1) | instskip(NEXT) | instid1(VALU_DEP_1)
	v_fmac_f32_e32 v7, v9, v6
	v_fma_f32 v5, -v5, v7, v8
	s_delay_alu instid0(VALU_DEP_1) | instskip(NEXT) | instid1(VALU_DEP_1)
	v_div_fmas_f32 v5, v5, v6, v7
	v_div_fixup_f32 v3, v5, v4, v3
	s_delay_alu instid0(VALU_DEP_1) | instskip(SKIP_1) | instid1(VALU_DEP_2)
	v_bfe_u32 v5, v3, 16, 1
	v_cmp_u_f32_e32 vcc_lo, v3, v3
	v_add3_u32 v5, v3, v5, 0x7fff
	s_delay_alu instid0(VALU_DEP_1) | instskip(SKIP_1) | instid1(VALU_DEP_1)
	v_lshrrev_b32_e32 v3, 16, v5
	v_add_co_u32 v5, s2, v0, s2
	v_add_co_ci_u32_e64 v6, s2, s3, v1, s2
	s_or_b32 s2, s1, vcc_lo
	s_delay_alu instid0(VALU_DEP_3) | instid1(SALU_CYCLE_1)
	v_cndmask_b32_e64 v3, v3, 0x7fc0, s2
	global_store_b16 v[5:6], v3, off
	s_and_b32 exec_lo, exec_lo, s0
	s_cbranch_execz .LBB471_20
; %bb.19:
	v_div_scale_f32 v3, null, v4, v4, v2
	v_div_scale_f32 v7, vcc_lo, v2, v4, v2
	s_ashr_i32 s11, s10, 31
	s_delay_alu instid0(VALU_DEP_2) | instskip(SKIP_1) | instid1(SALU_CYCLE_1)
	v_rcp_f32_e32 v5, v3
	s_lshl_b64 s[2:3], s[10:11], 1
	v_add_co_u32 v0, s0, v0, s2
	s_delay_alu instid0(VALU_DEP_1) | instskip(SKIP_2) | instid1(VALU_DEP_1)
	v_add_co_ci_u32_e64 v1, s0, s3, v1, s0
	s_waitcnt_depctr 0xfff
	v_fma_f32 v6, -v3, v5, 1.0
	v_fmac_f32_e32 v5, v6, v5
	s_delay_alu instid0(VALU_DEP_1) | instskip(NEXT) | instid1(VALU_DEP_1)
	v_mul_f32_e32 v6, v7, v5
	v_fma_f32 v8, -v3, v6, v7
	s_delay_alu instid0(VALU_DEP_1) | instskip(NEXT) | instid1(VALU_DEP_1)
	v_fmac_f32_e32 v6, v8, v5
	v_fma_f32 v3, -v3, v6, v7
	s_delay_alu instid0(VALU_DEP_1) | instskip(NEXT) | instid1(VALU_DEP_1)
	v_div_fmas_f32 v3, v3, v5, v6
	v_div_fixup_f32 v2, v3, v4, v2
	s_delay_alu instid0(VALU_DEP_1) | instskip(SKIP_1) | instid1(VALU_DEP_2)
	v_bfe_u32 v3, v2, 16, 1
	v_cmp_u_f32_e32 vcc_lo, v2, v2
	v_add3_u32 v3, v2, v3, 0x7fff
	s_or_b32 s0, s1, vcc_lo
	s_delay_alu instid0(VALU_DEP_1) | instskip(NEXT) | instid1(VALU_DEP_1)
	v_lshrrev_b32_e32 v2, 16, v3
	v_cndmask_b32_e64 v2, v2, 0x7fc0, s0
	global_store_b16 v[0:1], v2, off offset:64
.LBB471_20:
	s_nop 0
	s_sendmsg sendmsg(MSG_DEALLOC_VGPRS)
	s_endpgm
	.section	.rodata,"a",@progbits
	.p2align	6, 0x0
	.amdhsa_kernel _ZN12_GLOBAL__N_120softmax_warp_forwardIN3c108BFloat16ES2_fLi6ELb0ELb0ELi32EEEvPT0_PKT_iiiPKbib
		.amdhsa_group_segment_fixed_size 0
		.amdhsa_private_segment_fixed_size 0
		.amdhsa_kernarg_size 304
		.amdhsa_user_sgpr_count 15
		.amdhsa_user_sgpr_dispatch_ptr 0
		.amdhsa_user_sgpr_queue_ptr 0
		.amdhsa_user_sgpr_kernarg_segment_ptr 1
		.amdhsa_user_sgpr_dispatch_id 0
		.amdhsa_user_sgpr_private_segment_size 0
		.amdhsa_wavefront_size32 1
		.amdhsa_uses_dynamic_stack 0
		.amdhsa_enable_private_segment 0
		.amdhsa_system_sgpr_workgroup_id_x 1
		.amdhsa_system_sgpr_workgroup_id_y 0
		.amdhsa_system_sgpr_workgroup_id_z 0
		.amdhsa_system_sgpr_workgroup_info 0
		.amdhsa_system_vgpr_workitem_id 1
		.amdhsa_next_free_vgpr 24
		.amdhsa_next_free_sgpr 16
		.amdhsa_reserve_vcc 1
		.amdhsa_float_round_mode_32 0
		.amdhsa_float_round_mode_16_64 0
		.amdhsa_float_denorm_mode_32 3
		.amdhsa_float_denorm_mode_16_64 3
		.amdhsa_dx10_clamp 1
		.amdhsa_ieee_mode 1
		.amdhsa_fp16_overflow 0
		.amdhsa_workgroup_processor_mode 1
		.amdhsa_memory_ordered 1
		.amdhsa_forward_progress 0
		.amdhsa_shared_vgpr_count 0
		.amdhsa_exception_fp_ieee_invalid_op 0
		.amdhsa_exception_fp_denorm_src 0
		.amdhsa_exception_fp_ieee_div_zero 0
		.amdhsa_exception_fp_ieee_overflow 0
		.amdhsa_exception_fp_ieee_underflow 0
		.amdhsa_exception_fp_ieee_inexact 0
		.amdhsa_exception_int_div_zero 0
	.end_amdhsa_kernel
	.section	.text._ZN12_GLOBAL__N_120softmax_warp_forwardIN3c108BFloat16ES2_fLi6ELb0ELb0ELi32EEEvPT0_PKT_iiiPKbib,"axG",@progbits,_ZN12_GLOBAL__N_120softmax_warp_forwardIN3c108BFloat16ES2_fLi6ELb0ELb0ELi32EEEvPT0_PKT_iiiPKbib,comdat
.Lfunc_end471:
	.size	_ZN12_GLOBAL__N_120softmax_warp_forwardIN3c108BFloat16ES2_fLi6ELb0ELb0ELi32EEEvPT0_PKT_iiiPKbib, .Lfunc_end471-_ZN12_GLOBAL__N_120softmax_warp_forwardIN3c108BFloat16ES2_fLi6ELb0ELb0ELi32EEEvPT0_PKT_iiiPKbib
                                        ; -- End function
	.section	.AMDGPU.csdata,"",@progbits
; Kernel info:
; codeLenInByte = 2276
; NumSgprs: 18
; NumVgprs: 24
; ScratchSize: 0
; MemoryBound: 0
; FloatMode: 240
; IeeeMode: 1
; LDSByteSize: 0 bytes/workgroup (compile time only)
; SGPRBlocks: 2
; VGPRBlocks: 2
; NumSGPRsForWavesPerEU: 18
; NumVGPRsForWavesPerEU: 24
; Occupancy: 16
; WaveLimiterHint : 0
; COMPUTE_PGM_RSRC2:SCRATCH_EN: 0
; COMPUTE_PGM_RSRC2:USER_SGPR: 15
; COMPUTE_PGM_RSRC2:TRAP_HANDLER: 0
; COMPUTE_PGM_RSRC2:TGID_X_EN: 1
; COMPUTE_PGM_RSRC2:TGID_Y_EN: 0
; COMPUTE_PGM_RSRC2:TGID_Z_EN: 0
; COMPUTE_PGM_RSRC2:TIDIG_COMP_CNT: 1
	.section	.text._ZN12_GLOBAL__N_120softmax_warp_forwardIN3c108BFloat16ES2_fLi7ELb0ELb0ELi64EEEvPT0_PKT_iiiPKbib,"axG",@progbits,_ZN12_GLOBAL__N_120softmax_warp_forwardIN3c108BFloat16ES2_fLi7ELb0ELb0ELi64EEEvPT0_PKT_iiiPKbib,comdat
	.globl	_ZN12_GLOBAL__N_120softmax_warp_forwardIN3c108BFloat16ES2_fLi7ELb0ELb0ELi64EEEvPT0_PKT_iiiPKbib ; -- Begin function _ZN12_GLOBAL__N_120softmax_warp_forwardIN3c108BFloat16ES2_fLi7ELb0ELb0ELi64EEEvPT0_PKT_iiiPKbib
	.p2align	8
	.type	_ZN12_GLOBAL__N_120softmax_warp_forwardIN3c108BFloat16ES2_fLi7ELb0ELb0ELi64EEEvPT0_PKT_iiiPKbib,@function
_ZN12_GLOBAL__N_120softmax_warp_forwardIN3c108BFloat16ES2_fLi7ELb0ELb0ELi64EEEvPT0_PKT_iiiPKbib: ; @_ZN12_GLOBAL__N_120softmax_warp_forwardIN3c108BFloat16ES2_fLi7ELb0ELb0ELi64EEEvPT0_PKT_iiiPKbib
; %bb.0:
	s_clause 0x1
	s_load_b32 s2, s[0:1], 0x3c
	s_load_b256 s[4:11], s[0:1], 0x0
	v_bfe_u32 v1, v0, 10, 10
	v_and_b32_e32 v4, 0x3ff, v0
	v_dual_mov_b32 v6, 0xff800000 :: v_dual_mov_b32 v7, 0xff800000
	s_waitcnt lgkmcnt(0)
	s_lshr_b32 s0, s2, 16
	s_delay_alu instid0(VALU_DEP_2) | instskip(SKIP_1) | instid1(SALU_CYCLE_1)
	v_cmp_gt_i32_e64 s1, s10, v4
	s_mul_i32 s15, s15, s0
	v_add_lshl_u32 v2, s15, v1, 1
	s_delay_alu instid0(VALU_DEP_1) | instskip(SKIP_1) | instid1(VALU_DEP_1)
	v_mad_u64_u32 v[0:1], null, v2, s9, v[4:5]
	v_sub_nc_u32_e32 v5, s8, v2
	v_cmp_lt_i32_e32 vcc_lo, 0, v5
	s_delay_alu instid0(VALU_DEP_3) | instskip(SKIP_1) | instid1(VALU_DEP_1)
	v_ashrrev_i32_e32 v1, 31, v0
	s_and_b32 s2, vcc_lo, s1
	v_lshlrev_b64 v[0:1], 1, v[0:1]
	s_delay_alu instid0(VALU_DEP_1) | instskip(NEXT) | instid1(VALU_DEP_1)
	v_add_co_u32 v2, s0, s6, v0
	v_add_co_ci_u32_e64 v3, s0, s7, v1, s0
	s_and_saveexec_b32 s0, s2
	s_cbranch_execz .LBB472_2
; %bb.1:
	global_load_u16 v7, v[2:3], off
	s_waitcnt vmcnt(0)
	v_lshlrev_b32_e32 v7, 16, v7
.LBB472_2:
	s_or_b32 exec_lo, exec_lo, s0
	v_add_nc_u32_e32 v4, 64, v4
	s_delay_alu instid0(VALU_DEP_1) | instskip(NEXT) | instid1(VALU_DEP_1)
	v_cmp_gt_i32_e64 s0, s10, v4
	s_and_b32 s3, vcc_lo, s0
	s_delay_alu instid0(SALU_CYCLE_1)
	s_and_saveexec_b32 s2, s3
	s_cbranch_execz .LBB472_4
; %bb.3:
	global_load_u16 v4, v[2:3], off offset:128
	s_waitcnt vmcnt(0)
	v_lshlrev_b32_e32 v6, 16, v4
.LBB472_4:
	s_or_b32 exec_lo, exec_lo, s2
	v_cmp_lt_i32_e64 s2, 1, v5
	v_mov_b32_e32 v4, 0xff800000
	v_mov_b32_e32 v8, 0xff800000
	s_delay_alu instid0(VALU_DEP_3) | instskip(NEXT) | instid1(SALU_CYCLE_1)
	s_and_b32 s3, s2, s1
	s_and_saveexec_b32 s6, s3
	s_cbranch_execz .LBB472_6
; %bb.5:
	s_mov_b32 s11, 0
	s_delay_alu instid0(SALU_CYCLE_1) | instskip(NEXT) | instid1(SALU_CYCLE_1)
	s_lshl_b64 s[8:9], s[10:11], 1
	v_add_co_u32 v8, s3, v2, s8
	s_delay_alu instid0(VALU_DEP_1)
	v_add_co_ci_u32_e64 v9, s3, s9, v3, s3
	global_load_u16 v8, v[8:9], off
	s_waitcnt vmcnt(0)
	v_lshlrev_b32_e32 v8, 16, v8
.LBB472_6:
	s_or_b32 exec_lo, exec_lo, s6
	s_and_b32 s2, s2, s0
	s_delay_alu instid0(SALU_CYCLE_1)
	s_and_saveexec_b32 s3, s2
	s_cbranch_execz .LBB472_8
; %bb.7:
	s_mov_b32 s11, 0
	s_delay_alu instid0(SALU_CYCLE_1) | instskip(NEXT) | instid1(SALU_CYCLE_1)
	s_lshl_b64 s[6:7], s[10:11], 1
	v_add_co_u32 v2, s2, v2, s6
	s_delay_alu instid0(VALU_DEP_1)
	v_add_co_ci_u32_e64 v3, s2, s7, v3, s2
	global_load_u16 v2, v[2:3], off offset:128
	s_waitcnt vmcnt(0)
	v_lshlrev_b32_e32 v4, 16, v2
.LBB472_8:
	s_or_b32 exec_lo, exec_lo, s3
	v_mbcnt_lo_u32_b32 v2, -1, 0
	s_delay_alu instid0(VALU_DEP_1)
	v_or_b32_e32 v3, 32, v2
	v_xor_b32_e32 v13, 16, v2
	v_xor_b32_e32 v14, 8, v2
	;; [unrolled: 1-line block ×4, first 2 shown]
	v_cmp_gt_i32_e64 s2, 64, v3
	v_xor_b32_e32 v17, 1, v2
	s_delay_alu instid0(VALU_DEP_2) | instskip(SKIP_1) | instid1(VALU_DEP_2)
	v_cndmask_b32_e64 v3, v2, v3, s2
	v_cmp_gt_f32_e64 s2, v7, v6
	v_lshlrev_b32_e32 v10, 2, v3
	s_delay_alu instid0(VALU_DEP_2)
	v_cndmask_b32_e64 v9, v6, v7, s2
	v_cmp_gt_f32_e64 s2, v8, v4
	ds_bpermute_b32 v11, v10, v9
	v_cndmask_b32_e64 v3, v4, v8, s2
	v_cmp_gt_i32_e64 s2, 64, v13
	ds_bpermute_b32 v12, v10, v3
	v_cndmask_b32_e64 v13, v2, v13, s2
	s_delay_alu instid0(VALU_DEP_1) | instskip(SKIP_2) | instid1(VALU_DEP_1)
	v_lshlrev_b32_e32 v13, 2, v13
	s_waitcnt lgkmcnt(1)
	v_cmp_lt_f32_e64 s2, v9, v11
	v_cndmask_b32_e64 v9, v9, v11, s2
	s_waitcnt lgkmcnt(0)
	v_cmp_lt_f32_e64 s2, v3, v12
	ds_bpermute_b32 v11, v13, v9
	v_cndmask_b32_e64 v3, v3, v12, s2
	v_cmp_gt_i32_e64 s2, 64, v14
	ds_bpermute_b32 v12, v13, v3
	v_cndmask_b32_e64 v14, v2, v14, s2
	s_delay_alu instid0(VALU_DEP_1) | instskip(SKIP_2) | instid1(VALU_DEP_1)
	v_lshlrev_b32_e32 v14, 2, v14
	s_waitcnt lgkmcnt(1)
	v_cmp_lt_f32_e64 s2, v9, v11
	v_cndmask_b32_e64 v9, v9, v11, s2
	s_waitcnt lgkmcnt(0)
	v_cmp_lt_f32_e64 s2, v3, v12
	;; [unrolled: 12-line block ×5, first 2 shown]
	ds_bpermute_b32 v9, v17, v2
	v_cndmask_b32_e64 v3, v3, v12, s2
	ds_bpermute_b32 v11, v17, v3
	s_waitcnt lgkmcnt(1)
	v_cmp_lt_f32_e64 s2, v2, v9
	s_delay_alu instid0(VALU_DEP_1) | instskip(SKIP_2) | instid1(VALU_DEP_2)
	v_cndmask_b32_e64 v2, v2, v9, s2
	s_waitcnt lgkmcnt(0)
	v_cmp_lt_f32_e64 s2, v3, v11
	v_sub_f32_e32 v7, v7, v2
	s_delay_alu instid0(VALU_DEP_2) | instskip(SKIP_1) | instid1(VALU_DEP_3)
	v_cndmask_b32_e64 v3, v3, v11, s2
	v_sub_f32_e32 v2, v6, v2
	v_cmp_ngt_f32_e64 s2, 0xc2ce8ed0, v7
	s_delay_alu instid0(VALU_DEP_3) | instskip(SKIP_1) | instid1(VALU_DEP_4)
	v_sub_f32_e32 v6, v8, v3
	v_sub_f32_e32 v9, v4, v3
	v_dual_mul_f32 v3, 0x3fb8aa3b, v7 :: v_dual_mul_f32 v4, 0x3fb8aa3b, v2
	s_delay_alu instid0(VALU_DEP_2) | instskip(NEXT) | instid1(VALU_DEP_2)
	v_dual_mul_f32 v8, 0x3fb8aa3b, v6 :: v_dual_mul_f32 v11, 0x3fb8aa3b, v9
	v_fma_f32 v12, 0x3fb8aa3b, v7, -v3
	v_rndne_f32_e32 v18, v3
	s_delay_alu instid0(VALU_DEP_4) | instskip(SKIP_2) | instid1(VALU_DEP_4)
	v_fma_f32 v19, 0x3fb8aa3b, v2, -v4
	v_rndne_f32_e32 v20, v4
	v_fma_f32 v21, 0x3fb8aa3b, v6, -v8
	v_dual_fmac_f32 v12, 0x32a5705f, v7 :: v_dual_sub_f32 v3, v3, v18
	v_rndne_f32_e32 v22, v8
	s_delay_alu instid0(VALU_DEP_4) | instskip(SKIP_1) | instid1(VALU_DEP_4)
	v_dual_fmac_f32 v19, 0x32a5705f, v2 :: v_dual_sub_f32 v4, v4, v20
	v_fma_f32 v23, 0x3fb8aa3b, v9, -v11
	v_add_f32_e32 v3, v3, v12
	v_rndne_f32_e32 v24, v11
	s_delay_alu instid0(VALU_DEP_4) | instskip(NEXT) | instid1(VALU_DEP_4)
	v_dual_fmac_f32 v21, 0x32a5705f, v6 :: v_dual_add_f32 v4, v4, v19
	v_dual_sub_f32 v8, v8, v22 :: v_dual_fmac_f32 v23, 0x32a5705f, v9
	s_delay_alu instid0(VALU_DEP_4) | instskip(NEXT) | instid1(VALU_DEP_3)
	v_exp_f32_e32 v3, v3
	v_sub_f32_e32 v11, v11, v24
	s_delay_alu instid0(VALU_DEP_3) | instskip(NEXT) | instid1(VALU_DEP_2)
	v_exp_f32_e32 v4, v4
	v_add_f32_e32 v8, v8, v21
	v_cvt_i32_f32_e32 v12, v18
	v_cvt_i32_f32_e32 v18, v20
	v_add_f32_e32 v11, v11, v23
	v_cvt_i32_f32_e32 v19, v22
	v_exp_f32_e32 v8, v8
	v_cvt_i32_f32_e32 v20, v24
	v_ldexp_f32 v3, v3, v12
	v_exp_f32_e32 v11, v11
	v_ldexp_f32 v4, v4, v18
	s_delay_alu instid0(VALU_DEP_2) | instskip(SKIP_1) | instid1(TRANS32_DEP_2)
	v_cndmask_b32_e64 v3, 0, v3, s2
	v_cmp_ngt_f32_e64 s2, 0xc2ce8ed0, v2
	v_ldexp_f32 v8, v8, v19
	s_delay_alu instid0(VALU_DEP_2) | instskip(SKIP_1) | instid1(TRANS32_DEP_1)
	v_cndmask_b32_e64 v4, 0, v4, s2
	v_cmp_ngt_f32_e64 s2, 0xc2ce8ed0, v6
	v_ldexp_f32 v11, v11, v20
	s_delay_alu instid0(VALU_DEP_2) | instskip(SKIP_1) | instid1(VALU_DEP_1)
	v_cndmask_b32_e64 v12, 0, v8, s2
	v_cmp_ngt_f32_e64 s2, 0xc2ce8ed0, v9
	v_cndmask_b32_e64 v11, 0, v11, s2
	v_cmp_nlt_f32_e64 s2, 0x42b17218, v7
	s_delay_alu instid0(VALU_DEP_1) | instskip(SKIP_1) | instid1(VALU_DEP_1)
	v_cndmask_b32_e64 v8, 0x7f800000, v3, s2
	v_cmp_nlt_f32_e64 s2, 0x42b17218, v2
	v_cndmask_b32_e64 v4, 0x7f800000, v4, s2
	v_cmp_nlt_f32_e64 s2, 0x42b17218, v6
	s_delay_alu instid0(VALU_DEP_2) | instskip(NEXT) | instid1(VALU_DEP_2)
	v_add_f32_e32 v6, v8, v4
	v_cndmask_b32_e64 v3, 0x7f800000, v12, s2
	v_cmp_nlt_f32_e64 s2, 0x42b17218, v9
	ds_bpermute_b32 v9, v10, v6
	v_cndmask_b32_e64 v2, 0x7f800000, v11, s2
	s_waitcnt lgkmcnt(0)
	v_add_f32_e32 v6, v6, v9
	ds_bpermute_b32 v9, v13, v6
	s_waitcnt lgkmcnt(0)
	v_dual_add_f32 v7, v3, v2 :: v_dual_add_f32 v6, v6, v9
	ds_bpermute_b32 v10, v10, v7
	ds_bpermute_b32 v9, v14, v6
	s_waitcnt lgkmcnt(0)
	v_dual_add_f32 v7, v7, v10 :: v_dual_add_f32 v6, v6, v9
	ds_bpermute_b32 v10, v13, v7
	;; [unrolled: 4-line block ×3, first 2 shown]
	ds_bpermute_b32 v9, v16, v6
	s_waitcnt lgkmcnt(1)
	v_add_f32_e32 v7, v7, v10
	ds_bpermute_b32 v10, v15, v7
	s_waitcnt lgkmcnt(0)
	v_add_f32_e32 v7, v7, v10
	ds_bpermute_b32 v10, v16, v7
	s_waitcnt lgkmcnt(0)
	v_dual_add_f32 v9, v6, v9 :: v_dual_add_f32 v6, v7, v10
	ds_bpermute_b32 v10, v17, v9
	ds_bpermute_b32 v7, v17, v6
	s_and_saveexec_b32 s2, vcc_lo
	s_cbranch_execz .LBB472_20
; %bb.9:
	v_add_co_u32 v0, vcc_lo, s4, v0
	v_add_co_ci_u32_e32 v1, vcc_lo, s5, v1, vcc_lo
	s_and_saveexec_b32 s3, s1
	s_cbranch_execz .LBB472_16
; %bb.10:
	s_waitcnt lgkmcnt(1)
	v_dual_add_f32 v9, v9, v10 :: v_dual_mov_b32 v10, 0x7fc0
	s_delay_alu instid0(VALU_DEP_1) | instskip(NEXT) | instid1(VALU_DEP_1)
	v_cmp_neq_f32_e64 s2, 0, v9
	s_and_saveexec_b32 s4, s2
	s_cbranch_execz .LBB472_12
; %bb.11:
	v_div_scale_f32 v10, null, v9, v9, v8
	s_delay_alu instid0(VALU_DEP_1) | instskip(SKIP_2) | instid1(VALU_DEP_1)
	v_rcp_f32_e32 v11, v10
	s_waitcnt_depctr 0xfff
	v_fma_f32 v12, -v10, v11, 1.0
	v_fmac_f32_e32 v11, v12, v11
	v_div_scale_f32 v12, vcc_lo, v8, v9, v8
	s_delay_alu instid0(VALU_DEP_1) | instskip(NEXT) | instid1(VALU_DEP_1)
	v_mul_f32_e32 v13, v12, v11
	v_fma_f32 v14, -v10, v13, v12
	s_delay_alu instid0(VALU_DEP_1) | instskip(NEXT) | instid1(VALU_DEP_1)
	v_fmac_f32_e32 v13, v14, v11
	v_fma_f32 v10, -v10, v13, v12
	s_delay_alu instid0(VALU_DEP_1) | instskip(NEXT) | instid1(VALU_DEP_1)
	v_div_fmas_f32 v10, v10, v11, v13
	v_div_fixup_f32 v8, v10, v9, v8
	s_delay_alu instid0(VALU_DEP_1) | instskip(SKIP_1) | instid1(VALU_DEP_2)
	v_bfe_u32 v10, v8, 16, 1
	v_cmp_o_f32_e32 vcc_lo, v8, v8
	v_add3_u32 v10, v8, v10, 0x7fff
	s_delay_alu instid0(VALU_DEP_1) | instskip(NEXT) | instid1(VALU_DEP_1)
	v_lshrrev_b32_e32 v10, 16, v10
	v_cndmask_b32_e32 v10, 0x7fc0, v10, vcc_lo
.LBB472_12:
	s_or_b32 exec_lo, exec_lo, s4
	global_store_b16 v[0:1], v10, off
	s_and_b32 exec_lo, exec_lo, s0
	s_cbranch_execz .LBB472_16
; %bb.13:
	v_mov_b32_e32 v8, 0x7fc0
	s_and_saveexec_b32 s4, s2
	s_cbranch_execz .LBB472_15
; %bb.14:
	v_div_scale_f32 v8, null, v9, v9, v4
	s_delay_alu instid0(VALU_DEP_1) | instskip(SKIP_2) | instid1(VALU_DEP_1)
	v_rcp_f32_e32 v10, v8
	s_waitcnt_depctr 0xfff
	v_fma_f32 v11, -v8, v10, 1.0
	v_fmac_f32_e32 v10, v11, v10
	v_div_scale_f32 v11, vcc_lo, v4, v9, v4
	s_delay_alu instid0(VALU_DEP_1) | instskip(NEXT) | instid1(VALU_DEP_1)
	v_mul_f32_e32 v12, v11, v10
	v_fma_f32 v13, -v8, v12, v11
	s_delay_alu instid0(VALU_DEP_1) | instskip(NEXT) | instid1(VALU_DEP_1)
	v_fmac_f32_e32 v12, v13, v10
	v_fma_f32 v8, -v8, v12, v11
	s_delay_alu instid0(VALU_DEP_1) | instskip(NEXT) | instid1(VALU_DEP_1)
	v_div_fmas_f32 v8, v8, v10, v12
	v_div_fixup_f32 v4, v8, v9, v4
	s_delay_alu instid0(VALU_DEP_1) | instskip(SKIP_1) | instid1(VALU_DEP_2)
	v_bfe_u32 v8, v4, 16, 1
	v_cmp_o_f32_e32 vcc_lo, v4, v4
	v_add3_u32 v8, v4, v8, 0x7fff
	s_delay_alu instid0(VALU_DEP_1) | instskip(NEXT) | instid1(VALU_DEP_1)
	v_lshrrev_b32_e32 v8, 16, v8
	v_cndmask_b32_e32 v8, 0x7fc0, v8, vcc_lo
.LBB472_15:
	s_or_b32 exec_lo, exec_lo, s4
	global_store_b16 v[0:1], v8, off offset:128
.LBB472_16:
	s_or_b32 exec_lo, exec_lo, s3
	v_cmp_ne_u32_e32 vcc_lo, 1, v5
	s_and_b32 exec_lo, exec_lo, vcc_lo
	s_cbranch_execz .LBB472_20
; %bb.17:
	s_and_b32 exec_lo, exec_lo, s1
	s_cbranch_execz .LBB472_20
; %bb.18:
	s_waitcnt lgkmcnt(0)
	v_add_f32_e32 v4, v6, v7
	s_mov_b32 s11, 0
	s_delay_alu instid0(SALU_CYCLE_1) | instskip(NEXT) | instid1(VALU_DEP_1)
	s_lshl_b64 s[2:3], s[10:11], 1
	v_div_scale_f32 v5, null, v4, v4, v3
	v_div_scale_f32 v8, vcc_lo, v3, v4, v3
	s_delay_alu instid0(VALU_DEP_2) | instskip(SKIP_2) | instid1(VALU_DEP_1)
	v_rcp_f32_e32 v6, v5
	s_waitcnt_depctr 0xfff
	v_fma_f32 v7, -v5, v6, 1.0
	v_fmac_f32_e32 v6, v7, v6
	s_delay_alu instid0(VALU_DEP_1) | instskip(SKIP_1) | instid1(VALU_DEP_2)
	v_mul_f32_e32 v7, v8, v6
	v_cmp_eq_f32_e64 s1, 0, v4
	v_fma_f32 v9, -v5, v7, v8
	s_delay_alu instid0(VALU_DEP_1) | instskip(NEXT) | instid1(VALU_DEP_1)
	v_fmac_f32_e32 v7, v9, v6
	v_fma_f32 v5, -v5, v7, v8
	s_delay_alu instid0(VALU_DEP_1) | instskip(NEXT) | instid1(VALU_DEP_1)
	v_div_fmas_f32 v5, v5, v6, v7
	v_div_fixup_f32 v3, v5, v4, v3
	s_delay_alu instid0(VALU_DEP_1) | instskip(SKIP_1) | instid1(VALU_DEP_2)
	v_bfe_u32 v5, v3, 16, 1
	v_cmp_u_f32_e32 vcc_lo, v3, v3
	v_add3_u32 v5, v3, v5, 0x7fff
	s_delay_alu instid0(VALU_DEP_1) | instskip(SKIP_1) | instid1(VALU_DEP_1)
	v_lshrrev_b32_e32 v3, 16, v5
	v_add_co_u32 v5, s2, v0, s2
	v_add_co_ci_u32_e64 v6, s2, s3, v1, s2
	s_or_b32 s2, s1, vcc_lo
	s_delay_alu instid0(VALU_DEP_3) | instid1(SALU_CYCLE_1)
	v_cndmask_b32_e64 v3, v3, 0x7fc0, s2
	global_store_b16 v[5:6], v3, off
	s_and_b32 exec_lo, exec_lo, s0
	s_cbranch_execz .LBB472_20
; %bb.19:
	v_div_scale_f32 v3, null, v4, v4, v2
	v_div_scale_f32 v7, vcc_lo, v2, v4, v2
	s_ashr_i32 s11, s10, 31
	s_delay_alu instid0(VALU_DEP_2) | instskip(SKIP_1) | instid1(SALU_CYCLE_1)
	v_rcp_f32_e32 v5, v3
	s_lshl_b64 s[2:3], s[10:11], 1
	v_add_co_u32 v0, s0, v0, s2
	s_delay_alu instid0(VALU_DEP_1) | instskip(SKIP_2) | instid1(VALU_DEP_1)
	v_add_co_ci_u32_e64 v1, s0, s3, v1, s0
	s_waitcnt_depctr 0xfff
	v_fma_f32 v6, -v3, v5, 1.0
	v_fmac_f32_e32 v5, v6, v5
	s_delay_alu instid0(VALU_DEP_1) | instskip(NEXT) | instid1(VALU_DEP_1)
	v_mul_f32_e32 v6, v7, v5
	v_fma_f32 v8, -v3, v6, v7
	s_delay_alu instid0(VALU_DEP_1) | instskip(NEXT) | instid1(VALU_DEP_1)
	v_fmac_f32_e32 v6, v8, v5
	v_fma_f32 v3, -v3, v6, v7
	s_delay_alu instid0(VALU_DEP_1) | instskip(NEXT) | instid1(VALU_DEP_1)
	v_div_fmas_f32 v3, v3, v5, v6
	v_div_fixup_f32 v2, v3, v4, v2
	s_delay_alu instid0(VALU_DEP_1) | instskip(SKIP_1) | instid1(VALU_DEP_2)
	v_bfe_u32 v3, v2, 16, 1
	v_cmp_u_f32_e32 vcc_lo, v2, v2
	v_add3_u32 v3, v2, v3, 0x7fff
	s_or_b32 s0, s1, vcc_lo
	s_delay_alu instid0(VALU_DEP_1) | instskip(NEXT) | instid1(VALU_DEP_1)
	v_lshrrev_b32_e32 v2, 16, v3
	v_cndmask_b32_e64 v2, v2, 0x7fc0, s0
	global_store_b16 v[0:1], v2, off offset:128
.LBB472_20:
	s_nop 0
	s_sendmsg sendmsg(MSG_DEALLOC_VGPRS)
	s_endpgm
	.section	.rodata,"a",@progbits
	.p2align	6, 0x0
	.amdhsa_kernel _ZN12_GLOBAL__N_120softmax_warp_forwardIN3c108BFloat16ES2_fLi7ELb0ELb0ELi64EEEvPT0_PKT_iiiPKbib
		.amdhsa_group_segment_fixed_size 0
		.amdhsa_private_segment_fixed_size 0
		.amdhsa_kernarg_size 304
		.amdhsa_user_sgpr_count 15
		.amdhsa_user_sgpr_dispatch_ptr 0
		.amdhsa_user_sgpr_queue_ptr 0
		.amdhsa_user_sgpr_kernarg_segment_ptr 1
		.amdhsa_user_sgpr_dispatch_id 0
		.amdhsa_user_sgpr_private_segment_size 0
		.amdhsa_wavefront_size32 1
		.amdhsa_uses_dynamic_stack 0
		.amdhsa_enable_private_segment 0
		.amdhsa_system_sgpr_workgroup_id_x 1
		.amdhsa_system_sgpr_workgroup_id_y 0
		.amdhsa_system_sgpr_workgroup_id_z 0
		.amdhsa_system_sgpr_workgroup_info 0
		.amdhsa_system_vgpr_workitem_id 1
		.amdhsa_next_free_vgpr 25
		.amdhsa_next_free_sgpr 16
		.amdhsa_reserve_vcc 1
		.amdhsa_float_round_mode_32 0
		.amdhsa_float_round_mode_16_64 0
		.amdhsa_float_denorm_mode_32 3
		.amdhsa_float_denorm_mode_16_64 3
		.amdhsa_dx10_clamp 1
		.amdhsa_ieee_mode 1
		.amdhsa_fp16_overflow 0
		.amdhsa_workgroup_processor_mode 1
		.amdhsa_memory_ordered 1
		.amdhsa_forward_progress 0
		.amdhsa_shared_vgpr_count 0
		.amdhsa_exception_fp_ieee_invalid_op 0
		.amdhsa_exception_fp_denorm_src 0
		.amdhsa_exception_fp_ieee_div_zero 0
		.amdhsa_exception_fp_ieee_overflow 0
		.amdhsa_exception_fp_ieee_underflow 0
		.amdhsa_exception_fp_ieee_inexact 0
		.amdhsa_exception_int_div_zero 0
	.end_amdhsa_kernel
	.section	.text._ZN12_GLOBAL__N_120softmax_warp_forwardIN3c108BFloat16ES2_fLi7ELb0ELb0ELi64EEEvPT0_PKT_iiiPKbib,"axG",@progbits,_ZN12_GLOBAL__N_120softmax_warp_forwardIN3c108BFloat16ES2_fLi7ELb0ELb0ELi64EEEvPT0_PKT_iiiPKbib,comdat
.Lfunc_end472:
	.size	_ZN12_GLOBAL__N_120softmax_warp_forwardIN3c108BFloat16ES2_fLi7ELb0ELb0ELi64EEEvPT0_PKT_iiiPKbib, .Lfunc_end472-_ZN12_GLOBAL__N_120softmax_warp_forwardIN3c108BFloat16ES2_fLi7ELb0ELb0ELi64EEEvPT0_PKT_iiiPKbib
                                        ; -- End function
	.section	.AMDGPU.csdata,"",@progbits
; Kernel info:
; codeLenInByte = 2376
; NumSgprs: 18
; NumVgprs: 25
; ScratchSize: 0
; MemoryBound: 0
; FloatMode: 240
; IeeeMode: 1
; LDSByteSize: 0 bytes/workgroup (compile time only)
; SGPRBlocks: 2
; VGPRBlocks: 3
; NumSGPRsForWavesPerEU: 18
; NumVGPRsForWavesPerEU: 25
; Occupancy: 16
; WaveLimiterHint : 0
; COMPUTE_PGM_RSRC2:SCRATCH_EN: 0
; COMPUTE_PGM_RSRC2:USER_SGPR: 15
; COMPUTE_PGM_RSRC2:TRAP_HANDLER: 0
; COMPUTE_PGM_RSRC2:TGID_X_EN: 1
; COMPUTE_PGM_RSRC2:TGID_Y_EN: 0
; COMPUTE_PGM_RSRC2:TGID_Z_EN: 0
; COMPUTE_PGM_RSRC2:TIDIG_COMP_CNT: 1
	.section	.text._ZN12_GLOBAL__N_120softmax_warp_forwardIN3c108BFloat16ES2_fLi7ELb0ELb0ELi32EEEvPT0_PKT_iiiPKbib,"axG",@progbits,_ZN12_GLOBAL__N_120softmax_warp_forwardIN3c108BFloat16ES2_fLi7ELb0ELb0ELi32EEEvPT0_PKT_iiiPKbib,comdat
	.globl	_ZN12_GLOBAL__N_120softmax_warp_forwardIN3c108BFloat16ES2_fLi7ELb0ELb0ELi32EEEvPT0_PKT_iiiPKbib ; -- Begin function _ZN12_GLOBAL__N_120softmax_warp_forwardIN3c108BFloat16ES2_fLi7ELb0ELb0ELi32EEEvPT0_PKT_iiiPKbib
	.p2align	8
	.type	_ZN12_GLOBAL__N_120softmax_warp_forwardIN3c108BFloat16ES2_fLi7ELb0ELb0ELi32EEEvPT0_PKT_iiiPKbib,@function
_ZN12_GLOBAL__N_120softmax_warp_forwardIN3c108BFloat16ES2_fLi7ELb0ELb0ELi32EEEvPT0_PKT_iiiPKbib: ; @_ZN12_GLOBAL__N_120softmax_warp_forwardIN3c108BFloat16ES2_fLi7ELb0ELb0ELi32EEEvPT0_PKT_iiiPKbib
; %bb.0:
	s_clause 0x1
	s_load_b32 s2, s[0:1], 0x3c
	s_load_b256 s[16:23], s[0:1], 0x0
	v_bfe_u32 v1, v0, 10, 10
	v_and_b32_e32 v4, 0x3ff, v0
	v_mov_b32_e32 v6, 0xff800000
	v_mov_b32_e32 v8, 0xff800000
	s_waitcnt lgkmcnt(0)
	s_lshr_b32 s0, s2, 16
	v_cmp_gt_i32_e64 s3, s22, v4
	s_mul_i32 s15, s15, s0
	s_delay_alu instid0(SALU_CYCLE_1) | instskip(NEXT) | instid1(VALU_DEP_1)
	v_add_lshl_u32 v2, s15, v1, 1
	v_mad_u64_u32 v[0:1], null, v2, s21, v[4:5]
	v_sub_nc_u32_e32 v5, s20, v2
	s_delay_alu instid0(VALU_DEP_1) | instskip(NEXT) | instid1(VALU_DEP_3)
	v_cmp_lt_i32_e32 vcc_lo, 0, v5
	v_ashrrev_i32_e32 v1, 31, v0
	s_and_b32 s1, vcc_lo, s3
	s_delay_alu instid0(VALU_DEP_1) | instskip(NEXT) | instid1(VALU_DEP_1)
	v_lshlrev_b64 v[0:1], 1, v[0:1]
	v_add_co_u32 v2, s0, s18, v0
	s_delay_alu instid0(VALU_DEP_1)
	v_add_co_ci_u32_e64 v3, s0, s19, v1, s0
	s_and_saveexec_b32 s0, s1
	s_cbranch_execz .LBB473_2
; %bb.1:
	global_load_u16 v7, v[2:3], off
	s_waitcnt vmcnt(0)
	v_lshlrev_b32_e32 v8, 16, v7
.LBB473_2:
	s_or_b32 exec_lo, exec_lo, s0
	v_add_nc_u32_e32 v7, 32, v4
	s_delay_alu instid0(VALU_DEP_1) | instskip(NEXT) | instid1(VALU_DEP_1)
	v_cmp_gt_i32_e64 s2, s22, v7
	s_and_b32 s1, vcc_lo, s2
	s_delay_alu instid0(SALU_CYCLE_1)
	s_and_saveexec_b32 s0, s1
	s_cbranch_execz .LBB473_4
; %bb.3:
	global_load_u16 v6, v[2:3], off offset:64
	s_waitcnt vmcnt(0)
	v_lshlrev_b32_e32 v6, 16, v6
.LBB473_4:
	s_or_b32 exec_lo, exec_lo, s0
	v_add_nc_u32_e32 v7, 64, v4
	v_mov_b32_e32 v9, 0xff800000
	s_delay_alu instid0(VALU_DEP_2) | instskip(SKIP_1) | instid1(VALU_DEP_2)
	v_cmp_gt_i32_e64 s1, s22, v7
	v_mov_b32_e32 v7, 0xff800000
	s_and_b32 s4, vcc_lo, s1
	s_delay_alu instid0(SALU_CYCLE_1)
	s_and_saveexec_b32 s0, s4
	s_cbranch_execz .LBB473_6
; %bb.5:
	global_load_u16 v9, v[2:3], off offset:128
	s_waitcnt vmcnt(0)
	v_lshlrev_b32_e32 v9, 16, v9
.LBB473_6:
	s_or_b32 exec_lo, exec_lo, s0
	v_add_nc_u32_e32 v4, 0x60, v4
	s_delay_alu instid0(VALU_DEP_1) | instskip(NEXT) | instid1(VALU_DEP_1)
	v_cmp_gt_i32_e64 s0, s22, v4
	s_and_b32 s5, vcc_lo, s0
	s_delay_alu instid0(SALU_CYCLE_1)
	s_and_saveexec_b32 s4, s5
	s_cbranch_execz .LBB473_8
; %bb.7:
	global_load_u16 v4, v[2:3], off offset:192
	s_waitcnt vmcnt(0)
	v_lshlrev_b32_e32 v7, 16, v4
.LBB473_8:
	s_or_b32 exec_lo, exec_lo, s4
	v_cmp_lt_i32_e64 s4, 1, v5
	v_dual_mov_b32 v4, 0xff800000 :: v_dual_mov_b32 v11, 0xff800000
	s_delay_alu instid0(VALU_DEP_2) | instskip(NEXT) | instid1(SALU_CYCLE_1)
	s_and_b32 s5, s4, s3
	s_and_saveexec_b32 s6, s5
	s_cbranch_execz .LBB473_10
; %bb.9:
	s_mov_b32 s23, 0
	s_delay_alu instid0(SALU_CYCLE_1) | instskip(NEXT) | instid1(SALU_CYCLE_1)
	s_lshl_b64 s[8:9], s[22:23], 1
	v_add_co_u32 v10, s5, v2, s8
	s_delay_alu instid0(VALU_DEP_1)
	v_add_co_ci_u32_e64 v11, s5, s9, v3, s5
	global_load_u16 v10, v[10:11], off
	s_waitcnt vmcnt(0)
	v_lshlrev_b32_e32 v11, 16, v10
.LBB473_10:
	s_or_b32 exec_lo, exec_lo, s6
	s_and_b32 s5, s4, s2
	s_delay_alu instid0(SALU_CYCLE_1)
	s_and_saveexec_b32 s6, s5
	s_cbranch_execz .LBB473_12
; %bb.11:
	s_mov_b32 s23, 0
	s_delay_alu instid0(SALU_CYCLE_1) | instskip(NEXT) | instid1(SALU_CYCLE_1)
	s_lshl_b64 s[8:9], s[22:23], 1
	v_add_co_u32 v12, s5, v2, s8
	s_delay_alu instid0(VALU_DEP_1)
	v_add_co_ci_u32_e64 v13, s5, s9, v3, s5
	global_load_u16 v4, v[12:13], off offset:64
	s_waitcnt vmcnt(0)
	v_lshlrev_b32_e32 v4, 16, v4
.LBB473_12:
	s_or_b32 exec_lo, exec_lo, s6
	v_mov_b32_e32 v10, 0xff800000
	v_mov_b32_e32 v12, 0xff800000
	s_and_b32 s5, s4, s1
	s_delay_alu instid0(SALU_CYCLE_1)
	s_and_saveexec_b32 s6, s5
	s_cbranch_execz .LBB473_14
; %bb.13:
	s_mov_b32 s23, 0
	s_delay_alu instid0(SALU_CYCLE_1) | instskip(NEXT) | instid1(SALU_CYCLE_1)
	s_lshl_b64 s[8:9], s[22:23], 1
	v_add_co_u32 v12, s5, v2, s8
	s_delay_alu instid0(VALU_DEP_1)
	v_add_co_ci_u32_e64 v13, s5, s9, v3, s5
	global_load_u16 v12, v[12:13], off offset:128
	s_waitcnt vmcnt(0)
	v_lshlrev_b32_e32 v12, 16, v12
.LBB473_14:
	s_or_b32 exec_lo, exec_lo, s6
	s_and_b32 s4, s4, s0
	s_delay_alu instid0(SALU_CYCLE_1)
	s_and_saveexec_b32 s5, s4
	s_cbranch_execz .LBB473_16
; %bb.15:
	s_mov_b32 s23, 0
	s_delay_alu instid0(SALU_CYCLE_1) | instskip(NEXT) | instid1(SALU_CYCLE_1)
	s_lshl_b64 s[6:7], s[22:23], 1
	v_add_co_u32 v2, s4, v2, s6
	s_delay_alu instid0(VALU_DEP_1)
	v_add_co_ci_u32_e64 v3, s4, s7, v3, s4
	global_load_u16 v2, v[2:3], off offset:192
	s_waitcnt vmcnt(0)
	v_lshlrev_b32_e32 v10, 16, v2
.LBB473_16:
	s_or_b32 exec_lo, exec_lo, s5
	v_cmp_gt_f32_e64 s4, v8, v6
	v_mbcnt_lo_u32_b32 v2, -1, 0
	s_delay_alu instid0(VALU_DEP_2) | instskip(SKIP_1) | instid1(VALU_DEP_3)
	v_cndmask_b32_e64 v3, v6, v8, s4
	v_cmp_gt_f32_e64 s4, v11, v4
	v_xor_b32_e32 v13, 16, v2
	v_xor_b32_e32 v17, 8, v2
	;; [unrolled: 1-line block ×4, first 2 shown]
	v_cndmask_b32_e64 v14, v4, v11, s4
	v_cmp_gt_f32_e64 s4, v3, v9
	v_xor_b32_e32 v20, 1, v2
	s_delay_alu instid0(VALU_DEP_2) | instskip(SKIP_1) | instid1(VALU_DEP_1)
	v_cndmask_b32_e64 v3, v9, v3, s4
	v_cmp_gt_i32_e64 s4, 32, v13
	v_cndmask_b32_e64 v13, v2, v13, s4
	v_cmp_gt_f32_e64 s4, v14, v12
	s_delay_alu instid0(VALU_DEP_2) | instskip(NEXT) | instid1(VALU_DEP_2)
	v_lshlrev_b32_e32 v15, 2, v13
	v_cndmask_b32_e64 v14, v12, v14, s4
	v_cmp_gt_f32_e64 s4, v3, v7
	s_delay_alu instid0(VALU_DEP_1) | instskip(NEXT) | instid1(VALU_DEP_3)
	v_cndmask_b32_e64 v3, v7, v3, s4
	v_cmp_gt_f32_e64 s4, v14, v10
	s_delay_alu instid0(VALU_DEP_1) | instskip(SKIP_4) | instid1(VALU_DEP_1)
	v_cndmask_b32_e64 v13, v10, v14, s4
	ds_bpermute_b32 v14, v15, v3
	v_cmp_gt_i32_e64 s4, 32, v17
	ds_bpermute_b32 v16, v15, v13
	v_cndmask_b32_e64 v17, v2, v17, s4
	v_lshlrev_b32_e32 v17, 2, v17
	s_waitcnt lgkmcnt(1)
	v_cmp_lt_f32_e64 s4, v3, v14
	s_delay_alu instid0(VALU_DEP_1)
	v_cndmask_b32_e64 v3, v3, v14, s4
	s_waitcnt lgkmcnt(0)
	v_cmp_lt_f32_e64 s4, v13, v16
	ds_bpermute_b32 v14, v17, v3
	v_cndmask_b32_e64 v13, v13, v16, s4
	v_cmp_gt_i32_e64 s4, 32, v18
	ds_bpermute_b32 v16, v17, v13
	v_cndmask_b32_e64 v18, v2, v18, s4
	s_delay_alu instid0(VALU_DEP_1) | instskip(SKIP_2) | instid1(VALU_DEP_1)
	v_lshlrev_b32_e32 v18, 2, v18
	s_waitcnt lgkmcnt(1)
	v_cmp_lt_f32_e64 s4, v3, v14
	v_cndmask_b32_e64 v3, v3, v14, s4
	s_waitcnt lgkmcnt(0)
	v_cmp_lt_f32_e64 s4, v13, v16
	ds_bpermute_b32 v14, v18, v3
	v_cndmask_b32_e64 v13, v13, v16, s4
	v_cmp_gt_i32_e64 s4, 32, v19
	ds_bpermute_b32 v16, v18, v13
	v_cndmask_b32_e64 v19, v2, v19, s4
	s_delay_alu instid0(VALU_DEP_1) | instskip(SKIP_2) | instid1(VALU_DEP_1)
	v_lshlrev_b32_e32 v19, 2, v19
	s_waitcnt lgkmcnt(1)
	v_cmp_lt_f32_e64 s4, v3, v14
	;; [unrolled: 12-line block ×3, first 2 shown]
	v_cndmask_b32_e64 v2, v3, v14, s4
	s_waitcnt lgkmcnt(0)
	v_cmp_lt_f32_e64 s4, v13, v16
	s_delay_alu instid0(VALU_DEP_1) | instskip(SKIP_4) | instid1(VALU_DEP_1)
	v_cndmask_b32_e64 v3, v13, v16, s4
	ds_bpermute_b32 v13, v20, v2
	ds_bpermute_b32 v14, v20, v3
	s_waitcnt lgkmcnt(1)
	v_cmp_lt_f32_e64 s4, v2, v13
	v_cndmask_b32_e64 v2, v2, v13, s4
	s_waitcnt lgkmcnt(0)
	v_cmp_lt_f32_e64 s4, v3, v14
	s_delay_alu instid0(VALU_DEP_2) | instskip(NEXT) | instid1(VALU_DEP_2)
	v_sub_f32_e32 v8, v8, v2
	v_cndmask_b32_e64 v3, v3, v14, s4
	v_sub_f32_e32 v6, v6, v2
	v_sub_f32_e32 v9, v9, v2
	;; [unrolled: 1-line block ×3, first 2 shown]
	v_cmp_ngt_f32_e64 s4, 0xc2ce8ed0, v8
	v_sub_f32_e32 v4, v4, v3
	v_sub_f32_e32 v7, v11, v3
	;; [unrolled: 1-line block ×3, first 2 shown]
	v_dual_sub_f32 v14, v10, v3 :: v_dual_mul_f32 v3, 0x3fb8aa3b, v8
	s_delay_alu instid0(VALU_DEP_4) | instskip(SKIP_1) | instid1(VALU_DEP_3)
	v_dual_mul_f32 v10, 0x3fb8aa3b, v6 :: v_dual_mul_f32 v21, 0x3fb8aa3b, v4
	v_dual_mul_f32 v12, 0x3fb8aa3b, v9 :: v_dual_mul_f32 v13, 0x3fb8aa3b, v2
	v_fma_f32 v24, 0x3fb8aa3b, v8, -v3
	v_rndne_f32_e32 v25, v3
	v_mul_f32_e32 v22, 0x3fb8aa3b, v11
	v_fma_f32 v26, 0x3fb8aa3b, v6, -v10
	v_rndne_f32_e32 v27, v10
	v_rndne_f32_e32 v31, v13
	v_dual_sub_f32 v3, v3, v25 :: v_dual_fmac_f32 v24, 0x32a5705f, v8
	v_dual_mul_f32 v16, 0x3fb8aa3b, v7 :: v_dual_mul_f32 v23, 0x3fb8aa3b, v14
	v_fma_f32 v28, 0x3fb8aa3b, v9, -v12
	v_rndne_f32_e32 v29, v12
	v_fma_f32 v30, 0x3fb8aa3b, v2, -v13
	v_rndne_f32_e32 v35, v21
	v_dual_fmac_f32 v26, 0x32a5705f, v6 :: v_dual_sub_f32 v13, v13, v31
	v_dual_sub_f32 v10, v10, v27 :: v_dual_add_f32 v3, v3, v24
	v_fma_f32 v34, 0x3fb8aa3b, v4, -v21
	v_fma_f32 v36, 0x3fb8aa3b, v11, -v22
	v_rndne_f32_e32 v37, v22
	v_rndne_f32_e32 v39, v23
	v_fmac_f32_e32 v28, 0x32a5705f, v9
	v_fmac_f32_e32 v30, 0x32a5705f, v2
	v_dual_sub_f32 v12, v12, v29 :: v_dual_sub_f32 v21, v21, v35
	v_add_f32_e32 v10, v10, v26
	v_exp_f32_e32 v3, v3
	v_fma_f32 v32, 0x3fb8aa3b, v7, -v16
	v_rndne_f32_e32 v33, v16
	v_fma_f32 v38, 0x3fb8aa3b, v14, -v23
	v_cvt_i32_f32_e32 v25, v25
	v_fmac_f32_e32 v36, 0x32a5705f, v11
	v_dual_sub_f32 v22, v22, v37 :: v_dual_sub_f32 v23, v23, v39
	v_dual_add_f32 v13, v13, v30 :: v_dual_add_f32 v12, v12, v28
	v_exp_f32_e32 v10, v10
	v_cvt_i32_f32_e32 v27, v27
	v_fmac_f32_e32 v34, 0x32a5705f, v4
	v_fmac_f32_e32 v32, 0x32a5705f, v7
	;; [unrolled: 1-line block ×3, first 2 shown]
	v_sub_f32_e32 v16, v16, v33
	v_add_f32_e32 v22, v22, v36
	v_exp_f32_e32 v12, v12
	v_ldexp_f32 v3, v3, v25
	v_cvt_i32_f32_e32 v29, v29
	v_add_f32_e32 v21, v21, v34
	v_dual_add_f32 v23, v23, v38 :: v_dual_add_f32 v16, v16, v32
	v_exp_f32_e32 v13, v13
	v_exp_f32_e32 v22, v22
	v_ldexp_f32 v10, v10, v27
	v_cndmask_b32_e64 v3, 0, v3, s4
	v_cmp_ngt_f32_e64 s4, 0xc2ce8ed0, v6
	v_cvt_i32_f32_e32 v31, v31
	v_exp_f32_e32 v16, v16
	v_cvt_i32_f32_e32 v24, v37
	v_ldexp_f32 v12, v12, v29
	v_cndmask_b32_e64 v10, 0, v10, s4
	v_cmp_ngt_f32_e64 s4, 0xc2ce8ed0, v9
	v_cvt_i32_f32_e32 v33, v33
	v_exp_f32_e32 v21, v21
	v_ldexp_f32 v13, v13, v31
	v_ldexp_f32 v22, v22, v24
	v_cndmask_b32_e64 v24, 0, v12, s4
	v_cmp_ngt_f32_e64 s4, 0xc2ce8ed0, v2
	v_cvt_i32_f32_e32 v35, v35
	v_ldexp_f32 v16, v16, v33
	v_exp_f32_e32 v23, v23
	v_cvt_i32_f32_e32 v26, v39
	v_cndmask_b32_e64 v25, 0, v13, s4
	v_cmp_ngt_f32_e64 s4, 0xc2ce8ed0, v7
	v_ldexp_f32 v21, v21, v35
	s_delay_alu instid0(VALU_DEP_2) | instskip(SKIP_1) | instid1(TRANS32_DEP_1)
	v_cndmask_b32_e64 v16, 0, v16, s4
	v_cmp_ngt_f32_e64 s4, 0xc2ce8ed0, v4
	v_ldexp_f32 v23, v23, v26
	s_delay_alu instid0(VALU_DEP_2) | instskip(SKIP_1) | instid1(VALU_DEP_1)
	v_cndmask_b32_e64 v21, 0, v21, s4
	v_cmp_ngt_f32_e64 s4, 0xc2ce8ed0, v11
	v_cndmask_b32_e64 v22, 0, v22, s4
	v_cmp_ngt_f32_e64 s4, 0xc2ce8ed0, v14
	s_delay_alu instid0(VALU_DEP_1) | instskip(SKIP_1) | instid1(VALU_DEP_1)
	v_cndmask_b32_e64 v23, 0, v23, s4
	v_cmp_nlt_f32_e64 s4, 0x42b17218, v8
	v_cndmask_b32_e64 v13, 0x7f800000, v3, s4
	v_cmp_nlt_f32_e64 s4, 0x42b17218, v6
	s_delay_alu instid0(VALU_DEP_1) | instskip(SKIP_1) | instid1(VALU_DEP_2)
	v_cndmask_b32_e64 v12, 0x7f800000, v10, s4
	v_cmp_nlt_f32_e64 s4, 0x42b17218, v7
	v_add_f32_e32 v7, v13, v12
	s_delay_alu instid0(VALU_DEP_2) | instskip(SKIP_1) | instid1(VALU_DEP_1)
	v_cndmask_b32_e64 v6, 0x7f800000, v16, s4
	v_cmp_nlt_f32_e64 s4, 0x42b17218, v4
	v_cndmask_b32_e64 v4, 0x7f800000, v21, s4
	v_cmp_nlt_f32_e64 s4, 0x42b17218, v9
	s_delay_alu instid0(VALU_DEP_2) | instskip(NEXT) | instid1(VALU_DEP_2)
	v_add_f32_e32 v8, v6, v4
	v_cndmask_b32_e64 v10, 0x7f800000, v24, s4
	v_cmp_nlt_f32_e64 s4, 0x42b17218, v11
	s_delay_alu instid0(VALU_DEP_2) | instskip(NEXT) | instid1(VALU_DEP_2)
	v_add_f32_e32 v7, v7, v10
	;; [unrolled: 4-line block ×4, first 2 shown]
	v_cndmask_b32_e64 v2, 0x7f800000, v23, s4
	ds_bpermute_b32 v11, v15, v7
	v_add_f32_e32 v8, v8, v2
	ds_bpermute_b32 v14, v15, v8
	s_waitcnt lgkmcnt(1)
	v_add_f32_e32 v7, v7, v11
	ds_bpermute_b32 v11, v17, v7
	s_waitcnt lgkmcnt(1)
	;; [unrolled: 3-line block ×7, first 2 shown]
	v_add_f32_e32 v11, v7, v11
	s_waitcnt lgkmcnt(0)
	v_add_f32_e32 v7, v8, v14
	ds_bpermute_b32 v14, v20, v11
	ds_bpermute_b32 v8, v20, v7
	s_and_saveexec_b32 s4, vcc_lo
	s_cbranch_execz .LBB473_36
; %bb.17:
	v_add_co_u32 v0, vcc_lo, s16, v0
	v_add_co_ci_u32_e32 v1, vcc_lo, s17, v1, vcc_lo
	s_and_saveexec_b32 s5, s3
	s_cbranch_execz .LBB473_30
; %bb.18:
	s_waitcnt lgkmcnt(1)
	v_dual_add_f32 v11, v11, v14 :: v_dual_mov_b32 v14, 0x7fc0
	s_delay_alu instid0(VALU_DEP_1) | instskip(NEXT) | instid1(VALU_DEP_1)
	v_cmp_neq_f32_e64 s4, 0, v11
	s_and_saveexec_b32 s6, s4
	s_cbranch_execz .LBB473_20
; %bb.19:
	v_div_scale_f32 v14, null, v11, v11, v13
	s_delay_alu instid0(VALU_DEP_1) | instskip(SKIP_2) | instid1(VALU_DEP_1)
	v_rcp_f32_e32 v15, v14
	s_waitcnt_depctr 0xfff
	v_fma_f32 v16, -v14, v15, 1.0
	v_fmac_f32_e32 v15, v16, v15
	v_div_scale_f32 v16, vcc_lo, v13, v11, v13
	s_delay_alu instid0(VALU_DEP_1) | instskip(NEXT) | instid1(VALU_DEP_1)
	v_mul_f32_e32 v17, v16, v15
	v_fma_f32 v18, -v14, v17, v16
	s_delay_alu instid0(VALU_DEP_1) | instskip(NEXT) | instid1(VALU_DEP_1)
	v_fmac_f32_e32 v17, v18, v15
	v_fma_f32 v14, -v14, v17, v16
	s_delay_alu instid0(VALU_DEP_1) | instskip(NEXT) | instid1(VALU_DEP_1)
	v_div_fmas_f32 v14, v14, v15, v17
	v_div_fixup_f32 v13, v14, v11, v13
	s_delay_alu instid0(VALU_DEP_1) | instskip(SKIP_1) | instid1(VALU_DEP_2)
	v_bfe_u32 v14, v13, 16, 1
	v_cmp_o_f32_e32 vcc_lo, v13, v13
	v_add3_u32 v14, v13, v14, 0x7fff
	s_delay_alu instid0(VALU_DEP_1) | instskip(NEXT) | instid1(VALU_DEP_1)
	v_lshrrev_b32_e32 v14, 16, v14
	v_cndmask_b32_e32 v14, 0x7fc0, v14, vcc_lo
.LBB473_20:
	s_or_b32 exec_lo, exec_lo, s6
	global_store_b16 v[0:1], v14, off
	s_and_b32 exec_lo, exec_lo, s2
	s_cbranch_execz .LBB473_30
; %bb.21:
	v_mov_b32_e32 v13, 0x7fc0
	s_and_saveexec_b32 s6, s4
	s_cbranch_execz .LBB473_23
; %bb.22:
	v_div_scale_f32 v13, null, v11, v11, v12
	s_delay_alu instid0(VALU_DEP_1) | instskip(SKIP_2) | instid1(VALU_DEP_1)
	v_rcp_f32_e32 v14, v13
	s_waitcnt_depctr 0xfff
	v_fma_f32 v15, -v13, v14, 1.0
	v_fmac_f32_e32 v14, v15, v14
	v_div_scale_f32 v15, vcc_lo, v12, v11, v12
	s_delay_alu instid0(VALU_DEP_1) | instskip(NEXT) | instid1(VALU_DEP_1)
	v_mul_f32_e32 v16, v15, v14
	v_fma_f32 v17, -v13, v16, v15
	s_delay_alu instid0(VALU_DEP_1) | instskip(NEXT) | instid1(VALU_DEP_1)
	v_fmac_f32_e32 v16, v17, v14
	v_fma_f32 v13, -v13, v16, v15
	s_delay_alu instid0(VALU_DEP_1) | instskip(NEXT) | instid1(VALU_DEP_1)
	v_div_fmas_f32 v13, v13, v14, v16
	v_div_fixup_f32 v12, v13, v11, v12
	s_delay_alu instid0(VALU_DEP_1) | instskip(SKIP_1) | instid1(VALU_DEP_2)
	v_bfe_u32 v13, v12, 16, 1
	v_cmp_o_f32_e32 vcc_lo, v12, v12
	v_add3_u32 v13, v12, v13, 0x7fff
	s_delay_alu instid0(VALU_DEP_1) | instskip(NEXT) | instid1(VALU_DEP_1)
	v_lshrrev_b32_e32 v13, 16, v13
	v_cndmask_b32_e32 v13, 0x7fc0, v13, vcc_lo
.LBB473_23:
	s_or_b32 exec_lo, exec_lo, s6
	global_store_b16 v[0:1], v13, off offset:64
	s_and_b32 exec_lo, exec_lo, s1
	s_cbranch_execz .LBB473_30
; %bb.24:
	v_mov_b32_e32 v12, 0x7fc0
	s_and_saveexec_b32 s6, s4
	s_cbranch_execz .LBB473_26
; %bb.25:
	v_div_scale_f32 v12, null, v11, v11, v10
	s_delay_alu instid0(VALU_DEP_1) | instskip(SKIP_2) | instid1(VALU_DEP_1)
	v_rcp_f32_e32 v13, v12
	s_waitcnt_depctr 0xfff
	v_fma_f32 v14, -v12, v13, 1.0
	v_fmac_f32_e32 v13, v14, v13
	v_div_scale_f32 v14, vcc_lo, v10, v11, v10
	s_delay_alu instid0(VALU_DEP_1) | instskip(NEXT) | instid1(VALU_DEP_1)
	v_mul_f32_e32 v15, v14, v13
	v_fma_f32 v16, -v12, v15, v14
	s_delay_alu instid0(VALU_DEP_1) | instskip(NEXT) | instid1(VALU_DEP_1)
	v_fmac_f32_e32 v15, v16, v13
	v_fma_f32 v12, -v12, v15, v14
	s_delay_alu instid0(VALU_DEP_1) | instskip(NEXT) | instid1(VALU_DEP_1)
	v_div_fmas_f32 v12, v12, v13, v15
	v_div_fixup_f32 v10, v12, v11, v10
	s_delay_alu instid0(VALU_DEP_1) | instskip(SKIP_1) | instid1(VALU_DEP_2)
	v_bfe_u32 v12, v10, 16, 1
	v_cmp_o_f32_e32 vcc_lo, v10, v10
	v_add3_u32 v12, v10, v12, 0x7fff
	s_delay_alu instid0(VALU_DEP_1) | instskip(NEXT) | instid1(VALU_DEP_1)
	v_lshrrev_b32_e32 v12, 16, v12
	v_cndmask_b32_e32 v12, 0x7fc0, v12, vcc_lo
.LBB473_26:
	s_or_b32 exec_lo, exec_lo, s6
	global_store_b16 v[0:1], v12, off offset:128
	;; [unrolled: 33-line block ×3, first 2 shown]
.LBB473_30:
	s_or_b32 exec_lo, exec_lo, s5
	v_cmp_ne_u32_e32 vcc_lo, 1, v5
	s_and_b32 exec_lo, exec_lo, vcc_lo
	s_cbranch_execz .LBB473_36
; %bb.31:
	s_and_b32 exec_lo, exec_lo, s3
	s_cbranch_execz .LBB473_36
; %bb.32:
	s_waitcnt lgkmcnt(0)
	v_add_f32_e32 v5, v7, v8
	s_ashr_i32 s23, s22, 31
	s_delay_alu instid0(SALU_CYCLE_1) | instskip(NEXT) | instid1(SALU_CYCLE_1)
	s_lshl_b64 s[4:5], s[22:23], 1
	v_add_co_u32 v0, s4, v0, s4
	s_delay_alu instid0(VALU_DEP_2) | instskip(SKIP_2) | instid1(VALU_DEP_3)
	v_div_scale_f32 v7, null, v5, v5, v6
	v_div_scale_f32 v10, vcc_lo, v6, v5, v6
	v_cmp_eq_f32_e64 s3, 0, v5
	v_rcp_f32_e32 v8, v7
	v_add_co_ci_u32_e64 v1, s4, s5, v1, s4
	s_waitcnt_depctr 0xfff
	v_fma_f32 v9, -v7, v8, 1.0
	s_delay_alu instid0(VALU_DEP_1) | instskip(NEXT) | instid1(VALU_DEP_1)
	v_fmac_f32_e32 v8, v9, v8
	v_mul_f32_e32 v9, v10, v8
	s_delay_alu instid0(VALU_DEP_1) | instskip(NEXT) | instid1(VALU_DEP_1)
	v_fma_f32 v11, -v7, v9, v10
	v_fmac_f32_e32 v9, v11, v8
	s_delay_alu instid0(VALU_DEP_1) | instskip(NEXT) | instid1(VALU_DEP_1)
	v_fma_f32 v7, -v7, v9, v10
	v_div_fmas_f32 v7, v7, v8, v9
	s_delay_alu instid0(VALU_DEP_1) | instskip(NEXT) | instid1(VALU_DEP_1)
	v_div_fixup_f32 v6, v7, v5, v6
	v_bfe_u32 v7, v6, 16, 1
	v_cmp_u_f32_e32 vcc_lo, v6, v6
	s_delay_alu instid0(VALU_DEP_2) | instskip(SKIP_1) | instid1(VALU_DEP_1)
	v_add3_u32 v7, v6, v7, 0x7fff
	s_or_b32 s4, s3, vcc_lo
	v_lshrrev_b32_e32 v6, 16, v7
	s_delay_alu instid0(VALU_DEP_1)
	v_cndmask_b32_e64 v6, v6, 0x7fc0, s4
	global_store_b16 v[0:1], v6, off
	s_and_b32 exec_lo, exec_lo, s2
	s_cbranch_execz .LBB473_36
; %bb.33:
	v_div_scale_f32 v6, null, v5, v5, v4
	s_delay_alu instid0(VALU_DEP_1) | instskip(SKIP_2) | instid1(VALU_DEP_1)
	v_rcp_f32_e32 v7, v6
	s_waitcnt_depctr 0xfff
	v_fma_f32 v8, -v6, v7, 1.0
	v_fmac_f32_e32 v7, v8, v7
	v_div_scale_f32 v8, vcc_lo, v4, v5, v4
	s_delay_alu instid0(VALU_DEP_1) | instskip(NEXT) | instid1(VALU_DEP_1)
	v_mul_f32_e32 v9, v8, v7
	v_fma_f32 v10, -v6, v9, v8
	s_delay_alu instid0(VALU_DEP_1) | instskip(NEXT) | instid1(VALU_DEP_1)
	v_fmac_f32_e32 v9, v10, v7
	v_fma_f32 v6, -v6, v9, v8
	s_delay_alu instid0(VALU_DEP_1) | instskip(NEXT) | instid1(VALU_DEP_1)
	v_div_fmas_f32 v6, v6, v7, v9
	v_div_fixup_f32 v4, v6, v5, v4
	s_delay_alu instid0(VALU_DEP_1) | instskip(SKIP_1) | instid1(VALU_DEP_2)
	v_bfe_u32 v6, v4, 16, 1
	v_cmp_u_f32_e32 vcc_lo, v4, v4
	v_add3_u32 v6, v4, v6, 0x7fff
	s_or_b32 s2, s3, vcc_lo
	s_delay_alu instid0(VALU_DEP_1) | instskip(NEXT) | instid1(VALU_DEP_1)
	v_lshrrev_b32_e32 v4, 16, v6
	v_cndmask_b32_e64 v4, v4, 0x7fc0, s2
	global_store_b16 v[0:1], v4, off offset:64
	s_and_b32 exec_lo, exec_lo, s1
	s_cbranch_execz .LBB473_36
; %bb.34:
	v_div_scale_f32 v4, null, v5, v5, v3
	s_delay_alu instid0(VALU_DEP_1) | instskip(SKIP_2) | instid1(VALU_DEP_1)
	v_rcp_f32_e32 v6, v4
	s_waitcnt_depctr 0xfff
	v_fma_f32 v7, -v4, v6, 1.0
	v_fmac_f32_e32 v6, v7, v6
	v_div_scale_f32 v7, vcc_lo, v3, v5, v3
	s_delay_alu instid0(VALU_DEP_1) | instskip(NEXT) | instid1(VALU_DEP_1)
	v_mul_f32_e32 v8, v7, v6
	v_fma_f32 v9, -v4, v8, v7
	s_delay_alu instid0(VALU_DEP_1) | instskip(NEXT) | instid1(VALU_DEP_1)
	v_fmac_f32_e32 v8, v9, v6
	v_fma_f32 v4, -v4, v8, v7
	s_delay_alu instid0(VALU_DEP_1) | instskip(NEXT) | instid1(VALU_DEP_1)
	v_div_fmas_f32 v4, v4, v6, v8
	v_div_fixup_f32 v3, v4, v5, v3
	s_delay_alu instid0(VALU_DEP_1) | instskip(SKIP_1) | instid1(VALU_DEP_2)
	v_bfe_u32 v4, v3, 16, 1
	v_cmp_u_f32_e32 vcc_lo, v3, v3
	v_add3_u32 v4, v3, v4, 0x7fff
	s_or_b32 s1, s3, vcc_lo
	s_delay_alu instid0(VALU_DEP_1) | instskip(NEXT) | instid1(VALU_DEP_1)
	v_lshrrev_b32_e32 v3, 16, v4
	v_cndmask_b32_e64 v3, v3, 0x7fc0, s1
	global_store_b16 v[0:1], v3, off offset:128
	;; [unrolled: 28-line block ×3, first 2 shown]
.LBB473_36:
	s_nop 0
	s_sendmsg sendmsg(MSG_DEALLOC_VGPRS)
	s_endpgm
	.section	.rodata,"a",@progbits
	.p2align	6, 0x0
	.amdhsa_kernel _ZN12_GLOBAL__N_120softmax_warp_forwardIN3c108BFloat16ES2_fLi7ELb0ELb0ELi32EEEvPT0_PKT_iiiPKbib
		.amdhsa_group_segment_fixed_size 0
		.amdhsa_private_segment_fixed_size 0
		.amdhsa_kernarg_size 304
		.amdhsa_user_sgpr_count 15
		.amdhsa_user_sgpr_dispatch_ptr 0
		.amdhsa_user_sgpr_queue_ptr 0
		.amdhsa_user_sgpr_kernarg_segment_ptr 1
		.amdhsa_user_sgpr_dispatch_id 0
		.amdhsa_user_sgpr_private_segment_size 0
		.amdhsa_wavefront_size32 1
		.amdhsa_uses_dynamic_stack 0
		.amdhsa_enable_private_segment 0
		.amdhsa_system_sgpr_workgroup_id_x 1
		.amdhsa_system_sgpr_workgroup_id_y 0
		.amdhsa_system_sgpr_workgroup_id_z 0
		.amdhsa_system_sgpr_workgroup_info 0
		.amdhsa_system_vgpr_workitem_id 1
		.amdhsa_next_free_vgpr 40
		.amdhsa_next_free_sgpr 24
		.amdhsa_reserve_vcc 1
		.amdhsa_float_round_mode_32 0
		.amdhsa_float_round_mode_16_64 0
		.amdhsa_float_denorm_mode_32 3
		.amdhsa_float_denorm_mode_16_64 3
		.amdhsa_dx10_clamp 1
		.amdhsa_ieee_mode 1
		.amdhsa_fp16_overflow 0
		.amdhsa_workgroup_processor_mode 1
		.amdhsa_memory_ordered 1
		.amdhsa_forward_progress 0
		.amdhsa_shared_vgpr_count 0
		.amdhsa_exception_fp_ieee_invalid_op 0
		.amdhsa_exception_fp_denorm_src 0
		.amdhsa_exception_fp_ieee_div_zero 0
		.amdhsa_exception_fp_ieee_overflow 0
		.amdhsa_exception_fp_ieee_underflow 0
		.amdhsa_exception_fp_ieee_inexact 0
		.amdhsa_exception_int_div_zero 0
	.end_amdhsa_kernel
	.section	.text._ZN12_GLOBAL__N_120softmax_warp_forwardIN3c108BFloat16ES2_fLi7ELb0ELb0ELi32EEEvPT0_PKT_iiiPKbib,"axG",@progbits,_ZN12_GLOBAL__N_120softmax_warp_forwardIN3c108BFloat16ES2_fLi7ELb0ELb0ELi32EEEvPT0_PKT_iiiPKbib,comdat
.Lfunc_end473:
	.size	_ZN12_GLOBAL__N_120softmax_warp_forwardIN3c108BFloat16ES2_fLi7ELb0ELb0ELi32EEEvPT0_PKT_iiiPKbib, .Lfunc_end473-_ZN12_GLOBAL__N_120softmax_warp_forwardIN3c108BFloat16ES2_fLi7ELb0ELb0ELi32EEEvPT0_PKT_iiiPKbib
                                        ; -- End function
	.section	.AMDGPU.csdata,"",@progbits
; Kernel info:
; codeLenInByte = 3676
; NumSgprs: 26
; NumVgprs: 40
; ScratchSize: 0
; MemoryBound: 0
; FloatMode: 240
; IeeeMode: 1
; LDSByteSize: 0 bytes/workgroup (compile time only)
; SGPRBlocks: 3
; VGPRBlocks: 4
; NumSGPRsForWavesPerEU: 26
; NumVGPRsForWavesPerEU: 40
; Occupancy: 16
; WaveLimiterHint : 0
; COMPUTE_PGM_RSRC2:SCRATCH_EN: 0
; COMPUTE_PGM_RSRC2:USER_SGPR: 15
; COMPUTE_PGM_RSRC2:TRAP_HANDLER: 0
; COMPUTE_PGM_RSRC2:TGID_X_EN: 1
; COMPUTE_PGM_RSRC2:TGID_Y_EN: 0
; COMPUTE_PGM_RSRC2:TGID_Z_EN: 0
; COMPUTE_PGM_RSRC2:TIDIG_COMP_CNT: 1
	.section	.text._ZN12_GLOBAL__N_120softmax_warp_forwardIN3c108BFloat16ES2_fLi8ELb0ELb0ELi64EEEvPT0_PKT_iiiPKbib,"axG",@progbits,_ZN12_GLOBAL__N_120softmax_warp_forwardIN3c108BFloat16ES2_fLi8ELb0ELb0ELi64EEEvPT0_PKT_iiiPKbib,comdat
	.globl	_ZN12_GLOBAL__N_120softmax_warp_forwardIN3c108BFloat16ES2_fLi8ELb0ELb0ELi64EEEvPT0_PKT_iiiPKbib ; -- Begin function _ZN12_GLOBAL__N_120softmax_warp_forwardIN3c108BFloat16ES2_fLi8ELb0ELb0ELi64EEEvPT0_PKT_iiiPKbib
	.p2align	8
	.type	_ZN12_GLOBAL__N_120softmax_warp_forwardIN3c108BFloat16ES2_fLi8ELb0ELb0ELi64EEEvPT0_PKT_iiiPKbib,@function
_ZN12_GLOBAL__N_120softmax_warp_forwardIN3c108BFloat16ES2_fLi8ELb0ELb0ELi64EEEvPT0_PKT_iiiPKbib: ; @_ZN12_GLOBAL__N_120softmax_warp_forwardIN3c108BFloat16ES2_fLi8ELb0ELb0ELi64EEEvPT0_PKT_iiiPKbib
; %bb.0:
	s_clause 0x1
	s_load_b32 s2, s[0:1], 0x3c
	s_load_b256 s[4:11], s[0:1], 0x0
	v_bfe_u32 v1, v0, 10, 10
	v_mov_b32_e32 v6, 0xff800000
	v_mov_b32_e32 v8, 0xff800000
	s_waitcnt lgkmcnt(0)
	s_lshr_b32 s0, s2, 16
	s_delay_alu instid0(SALU_CYCLE_1) | instskip(SKIP_1) | instid1(VALU_DEP_1)
	v_mad_u64_u32 v[3:4], null, s15, s0, v[1:2]
	v_and_b32_e32 v2, 0x3ff, v0
	v_cmp_gt_i32_e32 vcc_lo, s10, v2
	s_delay_alu instid0(VALU_DEP_3) | instskip(SKIP_1) | instid1(VALU_DEP_1)
	v_mad_u64_u32 v[0:1], null, v3, s9, v[2:3]
	v_sub_nc_u32_e32 v5, s8, v3
	v_cmp_lt_i32_e64 s3, 0, v5
	s_delay_alu instid0(VALU_DEP_3) | instskip(NEXT) | instid1(VALU_DEP_2)
	v_ashrrev_i32_e32 v1, 31, v0
	s_and_b32 s1, s3, vcc_lo
	s_delay_alu instid0(VALU_DEP_1) | instskip(NEXT) | instid1(VALU_DEP_1)
	v_lshlrev_b64 v[0:1], 1, v[0:1]
	v_add_co_u32 v3, s0, s6, v0
	s_delay_alu instid0(VALU_DEP_1)
	v_add_co_ci_u32_e64 v4, s0, s7, v1, s0
	s_and_saveexec_b32 s0, s1
	s_cbranch_execz .LBB474_2
; %bb.1:
	global_load_u16 v7, v[3:4], off
	s_waitcnt vmcnt(0)
	v_lshlrev_b32_e32 v8, 16, v7
.LBB474_2:
	s_or_b32 exec_lo, exec_lo, s0
	v_add_nc_u32_e32 v7, 64, v2
	s_delay_alu instid0(VALU_DEP_1) | instskip(NEXT) | instid1(VALU_DEP_1)
	v_cmp_gt_i32_e64 s2, s10, v7
	s_and_b32 s1, s3, s2
	s_delay_alu instid0(SALU_CYCLE_1)
	s_and_saveexec_b32 s0, s1
	s_cbranch_execz .LBB474_4
; %bb.3:
	global_load_u16 v6, v[3:4], off offset:128
	s_waitcnt vmcnt(0)
	v_lshlrev_b32_e32 v6, 16, v6
.LBB474_4:
	s_or_b32 exec_lo, exec_lo, s0
	v_add_nc_u32_e32 v7, 0x80, v2
	v_mov_b32_e32 v9, 0xff800000
	s_delay_alu instid0(VALU_DEP_2) | instskip(SKIP_1) | instid1(VALU_DEP_2)
	v_cmp_gt_i32_e64 s1, s10, v7
	v_mov_b32_e32 v7, 0xff800000
	s_and_b32 s6, s3, s1
	s_delay_alu instid0(SALU_CYCLE_1)
	s_and_saveexec_b32 s0, s6
	s_cbranch_execz .LBB474_6
; %bb.5:
	global_load_u16 v9, v[3:4], off offset:256
	s_waitcnt vmcnt(0)
	v_lshlrev_b32_e32 v9, 16, v9
.LBB474_6:
	s_or_b32 exec_lo, exec_lo, s0
	v_add_nc_u32_e32 v2, 0xc0, v2
	s_delay_alu instid0(VALU_DEP_1) | instskip(NEXT) | instid1(VALU_DEP_1)
	v_cmp_gt_i32_e64 s0, s10, v2
	s_and_b32 s6, s3, s0
	s_delay_alu instid0(SALU_CYCLE_1)
	s_and_saveexec_b32 s3, s6
	s_cbranch_execz .LBB474_8
; %bb.7:
	global_load_u16 v2, v[3:4], off offset:384
	s_waitcnt vmcnt(0)
	v_lshlrev_b32_e32 v7, 16, v2
.LBB474_8:
	s_or_b32 exec_lo, exec_lo, s3
	v_cmp_gt_f32_e64 s3, v8, v6
	v_mbcnt_lo_u32_b32 v2, -1, 0
	s_mov_b32 s6, exec_lo
	s_delay_alu instid0(VALU_DEP_2) | instskip(NEXT) | instid1(VALU_DEP_2)
	v_cndmask_b32_e64 v3, v6, v8, s3
	v_or_b32_e32 v4, 32, v2
	v_xor_b32_e32 v11, 16, v2
	v_xor_b32_e32 v12, 8, v2
	;; [unrolled: 1-line block ×3, first 2 shown]
	v_cmp_gt_f32_e64 s3, v3, v9
	v_xor_b32_e32 v14, 2, v2
	v_xor_b32_e32 v15, 1, v2
	s_delay_alu instid0(VALU_DEP_3) | instskip(SKIP_1) | instid1(VALU_DEP_1)
	v_cndmask_b32_e64 v3, v9, v3, s3
	v_cmp_gt_i32_e64 s3, 64, v4
	v_cndmask_b32_e64 v4, v2, v4, s3
	s_delay_alu instid0(VALU_DEP_3) | instskip(NEXT) | instid1(VALU_DEP_2)
	v_cmp_gt_f32_e64 s3, v3, v7
	v_lshlrev_b32_e32 v10, 2, v4
	s_delay_alu instid0(VALU_DEP_2) | instskip(SKIP_3) | instid1(VALU_DEP_1)
	v_cndmask_b32_e64 v3, v7, v3, s3
	v_cmp_gt_i32_e64 s3, 64, v11
	ds_bpermute_b32 v4, v10, v3
	v_cndmask_b32_e64 v11, v2, v11, s3
	v_lshlrev_b32_e32 v11, 2, v11
	s_waitcnt lgkmcnt(0)
	v_cmp_lt_f32_e64 s3, v3, v4
	s_delay_alu instid0(VALU_DEP_1) | instskip(SKIP_3) | instid1(VALU_DEP_1)
	v_cndmask_b32_e64 v3, v3, v4, s3
	v_cmp_gt_i32_e64 s3, 64, v12
	ds_bpermute_b32 v4, v11, v3
	v_cndmask_b32_e64 v12, v2, v12, s3
	v_lshlrev_b32_e32 v12, 2, v12
	s_waitcnt lgkmcnt(0)
	v_cmp_lt_f32_e64 s3, v3, v4
	s_delay_alu instid0(VALU_DEP_1) | instskip(SKIP_3) | instid1(VALU_DEP_1)
	;; [unrolled: 8-line block ×5, first 2 shown]
	v_cndmask_b32_e64 v2, v3, v4, s3
	ds_bpermute_b32 v3, v15, v2
	s_waitcnt lgkmcnt(0)
	v_cmp_lt_f32_e64 s3, v2, v3
	v_cndmask_b32_e64 v2, v2, v3, s3
	s_delay_alu instid0(VALU_DEP_1) | instskip(SKIP_3) | instid1(VALU_DEP_3)
	v_sub_f32_e32 v3, v8, v2
	v_sub_f32_e32 v4, v6, v2
	;; [unrolled: 1-line block ×4, first 2 shown]
	v_dual_mul_f32 v6, 0x3fb8aa3b, v3 :: v_dual_mul_f32 v7, 0x3fb8aa3b, v4
	s_delay_alu instid0(VALU_DEP_3) | instskip(SKIP_1) | instid1(VALU_DEP_3)
	v_mul_f32_e32 v9, 0x3fb8aa3b, v8
	v_cmp_ngt_f32_e64 s3, 0xc2ce8ed0, v3
	v_fma_f32 v17, 0x3fb8aa3b, v3, -v6
	v_rndne_f32_e32 v18, v6
	v_fma_f32 v19, 0x3fb8aa3b, v4, -v7
	v_rndne_f32_e32 v20, v7
	v_fma_f32 v21, 0x3fb8aa3b, v8, -v9
	s_delay_alu instid0(VALU_DEP_4) | instskip(NEXT) | instid1(VALU_DEP_4)
	v_dual_fmac_f32 v17, 0x32a5705f, v3 :: v_dual_sub_f32 v6, v6, v18
	v_fmac_f32_e32 v19, 0x32a5705f, v4
	s_delay_alu instid0(VALU_DEP_4) | instskip(SKIP_1) | instid1(VALU_DEP_4)
	v_dual_mul_f32 v16, 0x3fb8aa3b, v2 :: v_dual_sub_f32 v7, v7, v20
	v_rndne_f32_e32 v22, v9
	v_dual_fmac_f32 v21, 0x32a5705f, v8 :: v_dual_add_f32 v6, v6, v17
	s_delay_alu instid0(VALU_DEP_3) | instskip(SKIP_1) | instid1(VALU_DEP_4)
	v_fma_f32 v23, 0x3fb8aa3b, v2, -v16
	v_rndne_f32_e32 v17, v16
	v_sub_f32_e32 v9, v9, v22
	v_add_f32_e32 v7, v7, v19
	v_exp_f32_e32 v6, v6
	s_delay_alu instid0(VALU_DEP_3) | instskip(NEXT) | instid1(VALU_DEP_3)
	v_dual_fmac_f32 v23, 0x32a5705f, v2 :: v_dual_sub_f32 v16, v16, v17
	v_add_f32_e32 v9, v9, v21
	s_delay_alu instid0(VALU_DEP_3)
	v_exp_f32_e32 v7, v7
	v_cvt_i32_f32_e32 v18, v18
	v_cvt_i32_f32_e32 v19, v20
	v_add_f32_e32 v16, v16, v23
	v_exp_f32_e32 v9, v9
	v_cvt_i32_f32_e32 v20, v22
	s_delay_alu instid0(TRANS32_DEP_3) | instskip(SKIP_2) | instid1(TRANS32_DEP_3)
	v_ldexp_f32 v6, v6, v18
	v_cvt_i32_f32_e32 v17, v17
	v_exp_f32_e32 v16, v16
	v_ldexp_f32 v7, v7, v19
	s_delay_alu instid0(VALU_DEP_3) | instskip(SKIP_1) | instid1(TRANS32_DEP_2)
	v_cndmask_b32_e64 v6, 0, v6, s3
	v_cmp_ngt_f32_e64 s3, 0xc2ce8ed0, v4
	v_ldexp_f32 v9, v9, v20
	s_delay_alu instid0(VALU_DEP_2) | instskip(SKIP_1) | instid1(VALU_DEP_1)
	v_cndmask_b32_e64 v18, 0, v7, s3
	v_cmp_ngt_f32_e64 s3, 0xc2ce8ed0, v8
	v_cndmask_b32_e64 v9, 0, v9, s3
	v_cmp_nlt_f32_e64 s3, 0x42b17218, v3
	s_delay_alu instid0(TRANS32_DEP_1) | instskip(NEXT) | instid1(VALU_DEP_2)
	v_ldexp_f32 v3, v16, v17
	v_cndmask_b32_e64 v7, 0x7f800000, v6, s3
	v_cmp_nlt_f32_e64 s3, 0x42b17218, v4
	s_delay_alu instid0(VALU_DEP_1) | instskip(SKIP_1) | instid1(VALU_DEP_2)
	v_cndmask_b32_e64 v6, 0x7f800000, v18, s3
	v_cmp_nlt_f32_e64 s3, 0x42b17218, v8
	v_add_f32_e32 v8, v7, v6
	s_delay_alu instid0(VALU_DEP_2) | instskip(SKIP_1) | instid1(VALU_DEP_2)
	v_cndmask_b32_e64 v4, 0x7f800000, v9, s3
	v_cmp_ngt_f32_e64 s3, 0xc2ce8ed0, v2
	v_add_f32_e32 v8, v8, v4
	s_delay_alu instid0(VALU_DEP_2) | instskip(SKIP_1) | instid1(VALU_DEP_1)
	v_cndmask_b32_e64 v3, 0, v3, s3
	v_cmp_nlt_f32_e64 s3, 0x42b17218, v2
	v_cndmask_b32_e64 v2, 0x7f800000, v3, s3
	s_delay_alu instid0(VALU_DEP_1)
	v_add_f32_e32 v3, v8, v2
	ds_bpermute_b32 v8, v10, v3
	s_waitcnt lgkmcnt(0)
	v_add_f32_e32 v3, v3, v8
	ds_bpermute_b32 v8, v11, v3
	s_waitcnt lgkmcnt(0)
	;; [unrolled: 3-line block ×5, first 2 shown]
	v_add_f32_e32 v3, v3, v8
	ds_bpermute_b32 v8, v15, v3
	v_cmpx_lt_i32_e32 0, v5
	s_cbranch_execz .LBB474_22
; %bb.9:
	s_and_b32 exec_lo, exec_lo, vcc_lo
	s_cbranch_execz .LBB474_22
; %bb.10:
	s_waitcnt lgkmcnt(0)
	v_add_f32_e32 v3, v3, v8
	v_mov_b32_e32 v5, 0x7fc0
	s_delay_alu instid0(VALU_DEP_2) | instskip(NEXT) | instid1(VALU_DEP_1)
	v_cmp_neq_f32_e64 s3, 0, v3
	s_and_saveexec_b32 s6, s3
	s_cbranch_execz .LBB474_12
; %bb.11:
	v_div_scale_f32 v5, null, v3, v3, v7
	s_delay_alu instid0(VALU_DEP_1) | instskip(SKIP_2) | instid1(VALU_DEP_1)
	v_rcp_f32_e32 v8, v5
	s_waitcnt_depctr 0xfff
	v_fma_f32 v9, -v5, v8, 1.0
	v_fmac_f32_e32 v8, v9, v8
	v_div_scale_f32 v9, vcc_lo, v7, v3, v7
	s_delay_alu instid0(VALU_DEP_1) | instskip(NEXT) | instid1(VALU_DEP_1)
	v_mul_f32_e32 v10, v9, v8
	v_fma_f32 v11, -v5, v10, v9
	s_delay_alu instid0(VALU_DEP_1) | instskip(NEXT) | instid1(VALU_DEP_1)
	v_fmac_f32_e32 v10, v11, v8
	v_fma_f32 v5, -v5, v10, v9
	s_delay_alu instid0(VALU_DEP_1) | instskip(NEXT) | instid1(VALU_DEP_1)
	v_div_fmas_f32 v5, v5, v8, v10
	v_div_fixup_f32 v5, v5, v3, v7
	s_delay_alu instid0(VALU_DEP_1) | instskip(SKIP_1) | instid1(VALU_DEP_2)
	v_bfe_u32 v7, v5, 16, 1
	v_cmp_o_f32_e32 vcc_lo, v5, v5
	v_add3_u32 v7, v5, v7, 0x7fff
	s_delay_alu instid0(VALU_DEP_1) | instskip(NEXT) | instid1(VALU_DEP_1)
	v_lshrrev_b32_e32 v7, 16, v7
	v_cndmask_b32_e32 v5, 0x7fc0, v7, vcc_lo
.LBB474_12:
	s_or_b32 exec_lo, exec_lo, s6
	v_add_co_u32 v0, vcc_lo, s4, v0
	v_add_co_ci_u32_e32 v1, vcc_lo, s5, v1, vcc_lo
	global_store_b16 v[0:1], v5, off
	s_and_b32 exec_lo, exec_lo, s2
	s_cbranch_execz .LBB474_22
; %bb.13:
	v_mov_b32_e32 v5, 0x7fc0
	s_and_saveexec_b32 s2, s3
	s_cbranch_execz .LBB474_15
; %bb.14:
	v_div_scale_f32 v5, null, v3, v3, v6
	s_delay_alu instid0(VALU_DEP_1) | instskip(SKIP_2) | instid1(VALU_DEP_1)
	v_rcp_f32_e32 v7, v5
	s_waitcnt_depctr 0xfff
	v_fma_f32 v8, -v5, v7, 1.0
	v_fmac_f32_e32 v7, v8, v7
	v_div_scale_f32 v8, vcc_lo, v6, v3, v6
	s_delay_alu instid0(VALU_DEP_1) | instskip(NEXT) | instid1(VALU_DEP_1)
	v_mul_f32_e32 v9, v8, v7
	v_fma_f32 v10, -v5, v9, v8
	s_delay_alu instid0(VALU_DEP_1) | instskip(NEXT) | instid1(VALU_DEP_1)
	v_fmac_f32_e32 v9, v10, v7
	v_fma_f32 v5, -v5, v9, v8
	s_delay_alu instid0(VALU_DEP_1) | instskip(NEXT) | instid1(VALU_DEP_1)
	v_div_fmas_f32 v5, v5, v7, v9
	v_div_fixup_f32 v5, v5, v3, v6
	s_delay_alu instid0(VALU_DEP_1) | instskip(SKIP_1) | instid1(VALU_DEP_2)
	v_bfe_u32 v6, v5, 16, 1
	v_cmp_o_f32_e32 vcc_lo, v5, v5
	v_add3_u32 v6, v5, v6, 0x7fff
	s_delay_alu instid0(VALU_DEP_1) | instskip(NEXT) | instid1(VALU_DEP_1)
	v_lshrrev_b32_e32 v6, 16, v6
	v_cndmask_b32_e32 v5, 0x7fc0, v6, vcc_lo
.LBB474_15:
	s_or_b32 exec_lo, exec_lo, s2
	global_store_b16 v[0:1], v5, off offset:128
	s_and_b32 exec_lo, exec_lo, s1
	s_cbranch_execz .LBB474_22
; %bb.16:
	v_mov_b32_e32 v5, 0x7fc0
	s_and_saveexec_b32 s1, s3
	s_cbranch_execz .LBB474_18
; %bb.17:
	v_div_scale_f32 v5, null, v3, v3, v4
	s_delay_alu instid0(VALU_DEP_1) | instskip(SKIP_2) | instid1(VALU_DEP_1)
	v_rcp_f32_e32 v6, v5
	s_waitcnt_depctr 0xfff
	v_fma_f32 v7, -v5, v6, 1.0
	v_fmac_f32_e32 v6, v7, v6
	v_div_scale_f32 v7, vcc_lo, v4, v3, v4
	s_delay_alu instid0(VALU_DEP_1) | instskip(NEXT) | instid1(VALU_DEP_1)
	v_mul_f32_e32 v8, v7, v6
	v_fma_f32 v9, -v5, v8, v7
	s_delay_alu instid0(VALU_DEP_1) | instskip(NEXT) | instid1(VALU_DEP_1)
	v_fmac_f32_e32 v8, v9, v6
	v_fma_f32 v5, -v5, v8, v7
	s_delay_alu instid0(VALU_DEP_1) | instskip(NEXT) | instid1(VALU_DEP_1)
	v_div_fmas_f32 v5, v5, v6, v8
	v_div_fixup_f32 v4, v5, v3, v4
	s_delay_alu instid0(VALU_DEP_1) | instskip(SKIP_1) | instid1(VALU_DEP_2)
	v_bfe_u32 v5, v4, 16, 1
	v_cmp_o_f32_e32 vcc_lo, v4, v4
	v_add3_u32 v5, v4, v5, 0x7fff
	s_delay_alu instid0(VALU_DEP_1) | instskip(NEXT) | instid1(VALU_DEP_1)
	v_lshrrev_b32_e32 v5, 16, v5
	v_cndmask_b32_e32 v5, 0x7fc0, v5, vcc_lo
.LBB474_18:
	s_or_b32 exec_lo, exec_lo, s1
	global_store_b16 v[0:1], v5, off offset:256
	;; [unrolled: 33-line block ×3, first 2 shown]
.LBB474_22:
	s_nop 0
	s_sendmsg sendmsg(MSG_DEALLOC_VGPRS)
	s_endpgm
	.section	.rodata,"a",@progbits
	.p2align	6, 0x0
	.amdhsa_kernel _ZN12_GLOBAL__N_120softmax_warp_forwardIN3c108BFloat16ES2_fLi8ELb0ELb0ELi64EEEvPT0_PKT_iiiPKbib
		.amdhsa_group_segment_fixed_size 0
		.amdhsa_private_segment_fixed_size 0
		.amdhsa_kernarg_size 304
		.amdhsa_user_sgpr_count 15
		.amdhsa_user_sgpr_dispatch_ptr 0
		.amdhsa_user_sgpr_queue_ptr 0
		.amdhsa_user_sgpr_kernarg_segment_ptr 1
		.amdhsa_user_sgpr_dispatch_id 0
		.amdhsa_user_sgpr_private_segment_size 0
		.amdhsa_wavefront_size32 1
		.amdhsa_uses_dynamic_stack 0
		.amdhsa_enable_private_segment 0
		.amdhsa_system_sgpr_workgroup_id_x 1
		.amdhsa_system_sgpr_workgroup_id_y 0
		.amdhsa_system_sgpr_workgroup_id_z 0
		.amdhsa_system_sgpr_workgroup_info 0
		.amdhsa_system_vgpr_workitem_id 1
		.amdhsa_next_free_vgpr 24
		.amdhsa_next_free_sgpr 16
		.amdhsa_reserve_vcc 1
		.amdhsa_float_round_mode_32 0
		.amdhsa_float_round_mode_16_64 0
		.amdhsa_float_denorm_mode_32 3
		.amdhsa_float_denorm_mode_16_64 3
		.amdhsa_dx10_clamp 1
		.amdhsa_ieee_mode 1
		.amdhsa_fp16_overflow 0
		.amdhsa_workgroup_processor_mode 1
		.amdhsa_memory_ordered 1
		.amdhsa_forward_progress 0
		.amdhsa_shared_vgpr_count 0
		.amdhsa_exception_fp_ieee_invalid_op 0
		.amdhsa_exception_fp_denorm_src 0
		.amdhsa_exception_fp_ieee_div_zero 0
		.amdhsa_exception_fp_ieee_overflow 0
		.amdhsa_exception_fp_ieee_underflow 0
		.amdhsa_exception_fp_ieee_inexact 0
		.amdhsa_exception_int_div_zero 0
	.end_amdhsa_kernel
	.section	.text._ZN12_GLOBAL__N_120softmax_warp_forwardIN3c108BFloat16ES2_fLi8ELb0ELb0ELi64EEEvPT0_PKT_iiiPKbib,"axG",@progbits,_ZN12_GLOBAL__N_120softmax_warp_forwardIN3c108BFloat16ES2_fLi8ELb0ELb0ELi64EEEvPT0_PKT_iiiPKbib,comdat
.Lfunc_end474:
	.size	_ZN12_GLOBAL__N_120softmax_warp_forwardIN3c108BFloat16ES2_fLi8ELb0ELb0ELi64EEEvPT0_PKT_iiiPKbib, .Lfunc_end474-_ZN12_GLOBAL__N_120softmax_warp_forwardIN3c108BFloat16ES2_fLi8ELb0ELb0ELi64EEEvPT0_PKT_iiiPKbib
                                        ; -- End function
	.section	.AMDGPU.csdata,"",@progbits
; Kernel info:
; codeLenInByte = 2072
; NumSgprs: 18
; NumVgprs: 24
; ScratchSize: 0
; MemoryBound: 0
; FloatMode: 240
; IeeeMode: 1
; LDSByteSize: 0 bytes/workgroup (compile time only)
; SGPRBlocks: 2
; VGPRBlocks: 2
; NumSGPRsForWavesPerEU: 18
; NumVGPRsForWavesPerEU: 24
; Occupancy: 16
; WaveLimiterHint : 0
; COMPUTE_PGM_RSRC2:SCRATCH_EN: 0
; COMPUTE_PGM_RSRC2:USER_SGPR: 15
; COMPUTE_PGM_RSRC2:TRAP_HANDLER: 0
; COMPUTE_PGM_RSRC2:TGID_X_EN: 1
; COMPUTE_PGM_RSRC2:TGID_Y_EN: 0
; COMPUTE_PGM_RSRC2:TGID_Z_EN: 0
; COMPUTE_PGM_RSRC2:TIDIG_COMP_CNT: 1
	.section	.text._ZN12_GLOBAL__N_120softmax_warp_forwardIN3c108BFloat16ES2_fLi8ELb0ELb0ELi32EEEvPT0_PKT_iiiPKbib,"axG",@progbits,_ZN12_GLOBAL__N_120softmax_warp_forwardIN3c108BFloat16ES2_fLi8ELb0ELb0ELi32EEEvPT0_PKT_iiiPKbib,comdat
	.globl	_ZN12_GLOBAL__N_120softmax_warp_forwardIN3c108BFloat16ES2_fLi8ELb0ELb0ELi32EEEvPT0_PKT_iiiPKbib ; -- Begin function _ZN12_GLOBAL__N_120softmax_warp_forwardIN3c108BFloat16ES2_fLi8ELb0ELb0ELi32EEEvPT0_PKT_iiiPKbib
	.p2align	8
	.type	_ZN12_GLOBAL__N_120softmax_warp_forwardIN3c108BFloat16ES2_fLi8ELb0ELb0ELi32EEEvPT0_PKT_iiiPKbib,@function
_ZN12_GLOBAL__N_120softmax_warp_forwardIN3c108BFloat16ES2_fLi8ELb0ELb0ELi32EEEvPT0_PKT_iiiPKbib: ; @_ZN12_GLOBAL__N_120softmax_warp_forwardIN3c108BFloat16ES2_fLi8ELb0ELb0ELi32EEEvPT0_PKT_iiiPKbib
; %bb.0:
	s_clause 0x1
	s_load_b32 s2, s[0:1], 0x3c
	s_load_b256 s[16:23], s[0:1], 0x0
	v_bfe_u32 v1, v0, 10, 10
	v_mov_b32_e32 v6, 0xff800000
	v_mov_b32_e32 v10, 0xff800000
	s_waitcnt lgkmcnt(0)
	s_lshr_b32 s0, s2, 16
	s_delay_alu instid0(SALU_CYCLE_1) | instskip(SKIP_1) | instid1(VALU_DEP_1)
	v_mad_u64_u32 v[3:4], null, s15, s0, v[1:2]
	v_and_b32_e32 v2, 0x3ff, v0
	v_cmp_gt_i32_e32 vcc_lo, s22, v2
	s_delay_alu instid0(VALU_DEP_3) | instskip(SKIP_1) | instid1(VALU_DEP_1)
	v_mad_u64_u32 v[0:1], null, v3, s21, v[2:3]
	v_sub_nc_u32_e32 v5, s20, v3
	v_cmp_lt_i32_e64 s7, 0, v5
	s_delay_alu instid0(VALU_DEP_3) | instskip(NEXT) | instid1(VALU_DEP_2)
	v_ashrrev_i32_e32 v1, 31, v0
	s_and_b32 s1, s7, vcc_lo
	s_delay_alu instid0(VALU_DEP_1) | instskip(NEXT) | instid1(VALU_DEP_1)
	v_lshlrev_b64 v[0:1], 1, v[0:1]
	v_add_co_u32 v3, s0, s18, v0
	s_delay_alu instid0(VALU_DEP_1)
	v_add_co_ci_u32_e64 v4, s0, s19, v1, s0
	s_and_saveexec_b32 s0, s1
	s_cbranch_execz .LBB475_2
; %bb.1:
	global_load_u16 v7, v[3:4], off
	s_waitcnt vmcnt(0)
	v_lshlrev_b32_e32 v10, 16, v7
.LBB475_2:
	s_or_b32 exec_lo, exec_lo, s0
	v_add_nc_u32_e32 v7, 32, v2
	s_delay_alu instid0(VALU_DEP_1) | instskip(NEXT) | instid1(VALU_DEP_1)
	v_cmp_gt_i32_e64 s6, s22, v7
	s_and_b32 s1, s7, s6
	s_delay_alu instid0(SALU_CYCLE_1)
	s_and_saveexec_b32 s0, s1
	s_cbranch_execz .LBB475_4
; %bb.3:
	global_load_u16 v6, v[3:4], off offset:64
	s_waitcnt vmcnt(0)
	v_lshlrev_b32_e32 v6, 16, v6
.LBB475_4:
	s_or_b32 exec_lo, exec_lo, s0
	v_add_nc_u32_e32 v7, 64, v2
	v_mov_b32_e32 v11, 0xff800000
	s_delay_alu instid0(VALU_DEP_2) | instskip(SKIP_1) | instid1(VALU_DEP_2)
	v_cmp_gt_i32_e64 s5, s22, v7
	v_mov_b32_e32 v7, 0xff800000
	s_and_b32 s1, s7, s5
	s_delay_alu instid0(SALU_CYCLE_1)
	s_and_saveexec_b32 s0, s1
	s_cbranch_execz .LBB475_6
; %bb.5:
	global_load_u16 v8, v[3:4], off offset:128
	s_waitcnt vmcnt(0)
	v_lshlrev_b32_e32 v11, 16, v8
.LBB475_6:
	s_or_b32 exec_lo, exec_lo, s0
	v_add_nc_u32_e32 v8, 0x60, v2
	s_delay_alu instid0(VALU_DEP_1) | instskip(NEXT) | instid1(VALU_DEP_1)
	v_cmp_gt_i32_e64 s4, s22, v8
	s_and_b32 s1, s7, s4
	s_delay_alu instid0(SALU_CYCLE_1)
	s_and_saveexec_b32 s0, s1
	s_cbranch_execz .LBB475_8
; %bb.7:
	global_load_u16 v7, v[3:4], off offset:192
	s_waitcnt vmcnt(0)
	v_lshlrev_b32_e32 v7, 16, v7
.LBB475_8:
	s_or_b32 exec_lo, exec_lo, s0
	v_add_nc_u32_e32 v8, 0x80, v2
	v_mov_b32_e32 v12, 0xff800000
	s_delay_alu instid0(VALU_DEP_2) | instskip(SKIP_1) | instid1(VALU_DEP_2)
	v_cmp_gt_i32_e64 s3, s22, v8
	v_mov_b32_e32 v8, 0xff800000
	s_and_b32 s1, s7, s3
	s_delay_alu instid0(SALU_CYCLE_1)
	s_and_saveexec_b32 s0, s1
	s_cbranch_execz .LBB475_10
; %bb.9:
	global_load_u16 v9, v[3:4], off offset:256
	s_waitcnt vmcnt(0)
	v_lshlrev_b32_e32 v12, 16, v9
.LBB475_10:
	s_or_b32 exec_lo, exec_lo, s0
	v_add_nc_u32_e32 v9, 0xa0, v2
	s_delay_alu instid0(VALU_DEP_1) | instskip(NEXT) | instid1(VALU_DEP_1)
	v_cmp_gt_i32_e64 s2, s22, v9
	s_and_b32 s1, s7, s2
	s_delay_alu instid0(SALU_CYCLE_1)
	s_and_saveexec_b32 s0, s1
	s_cbranch_execz .LBB475_12
; %bb.11:
	global_load_u16 v8, v[3:4], off offset:320
	s_waitcnt vmcnt(0)
	v_lshlrev_b32_e32 v8, 16, v8
.LBB475_12:
	s_or_b32 exec_lo, exec_lo, s0
	v_add_nc_u32_e32 v9, 0xc0, v2
	v_mov_b32_e32 v13, 0xff800000
	s_delay_alu instid0(VALU_DEP_2) | instskip(SKIP_1) | instid1(VALU_DEP_2)
	v_cmp_gt_i32_e64 s1, s22, v9
	v_mov_b32_e32 v9, 0xff800000
	s_and_b32 s8, s7, s1
	s_delay_alu instid0(SALU_CYCLE_1)
	s_and_saveexec_b32 s0, s8
	s_cbranch_execz .LBB475_14
; %bb.13:
	global_load_u16 v13, v[3:4], off offset:384
	s_waitcnt vmcnt(0)
	v_lshlrev_b32_e32 v13, 16, v13
.LBB475_14:
	s_or_b32 exec_lo, exec_lo, s0
	v_add_nc_u32_e32 v2, 0xe0, v2
	s_delay_alu instid0(VALU_DEP_1) | instskip(NEXT) | instid1(VALU_DEP_1)
	v_cmp_gt_i32_e64 s0, s22, v2
	s_and_b32 s8, s7, s0
	s_delay_alu instid0(SALU_CYCLE_1)
	s_and_saveexec_b32 s7, s8
	s_cbranch_execz .LBB475_16
; %bb.15:
	global_load_u16 v2, v[3:4], off offset:448
	s_waitcnt vmcnt(0)
	v_lshlrev_b32_e32 v9, 16, v2
.LBB475_16:
	s_or_b32 exec_lo, exec_lo, s7
	v_cmp_gt_f32_e64 s7, v10, v6
	v_mbcnt_lo_u32_b32 v3, -1, 0
	s_mov_b32 s8, exec_lo
	s_delay_alu instid0(VALU_DEP_2) | instskip(NEXT) | instid1(VALU_DEP_2)
	v_cndmask_b32_e64 v2, v6, v10, s7
	v_xor_b32_e32 v4, 16, v3
	v_xor_b32_e32 v15, 8, v3
	;; [unrolled: 1-line block ×4, first 2 shown]
	v_cmp_gt_f32_e64 s7, v2, v11
	v_xor_b32_e32 v18, 1, v3
	s_delay_alu instid0(VALU_DEP_2) | instskip(NEXT) | instid1(VALU_DEP_1)
	v_cndmask_b32_e64 v2, v11, v2, s7
	v_cmp_gt_f32_e64 s7, v2, v7
	s_delay_alu instid0(VALU_DEP_1) | instskip(NEXT) | instid1(VALU_DEP_1)
	v_cndmask_b32_e64 v2, v7, v2, s7
	v_cmp_gt_f32_e64 s7, v2, v12
	s_delay_alu instid0(VALU_DEP_1) | instskip(NEXT) | instid1(VALU_DEP_1)
	v_cndmask_b32_e64 v2, v12, v2, s7
	v_cmp_gt_f32_e64 s7, v2, v8
	s_delay_alu instid0(VALU_DEP_1) | instskip(SKIP_1) | instid1(VALU_DEP_1)
	v_cndmask_b32_e64 v2, v8, v2, s7
	v_cmp_gt_i32_e64 s7, 32, v4
	v_cndmask_b32_e64 v4, v3, v4, s7
	s_delay_alu instid0(VALU_DEP_3) | instskip(NEXT) | instid1(VALU_DEP_2)
	v_cmp_gt_f32_e64 s7, v2, v13
	v_lshlrev_b32_e32 v14, 2, v4
	s_delay_alu instid0(VALU_DEP_2) | instskip(NEXT) | instid1(VALU_DEP_1)
	v_cndmask_b32_e64 v2, v13, v2, s7
	v_cmp_gt_f32_e64 s7, v2, v9
	s_delay_alu instid0(VALU_DEP_1) | instskip(SKIP_3) | instid1(VALU_DEP_1)
	v_cndmask_b32_e64 v2, v9, v2, s7
	v_cmp_gt_i32_e64 s7, 32, v15
	ds_bpermute_b32 v4, v14, v2
	v_cndmask_b32_e64 v15, v3, v15, s7
	v_lshlrev_b32_e32 v15, 2, v15
	s_waitcnt lgkmcnt(0)
	v_cmp_lt_f32_e64 s7, v2, v4
	s_delay_alu instid0(VALU_DEP_1) | instskip(SKIP_3) | instid1(VALU_DEP_1)
	v_cndmask_b32_e64 v2, v2, v4, s7
	v_cmp_gt_i32_e64 s7, 32, v16
	ds_bpermute_b32 v4, v15, v2
	v_cndmask_b32_e64 v16, v3, v16, s7
	v_lshlrev_b32_e32 v16, 2, v16
	s_waitcnt lgkmcnt(0)
	v_cmp_lt_f32_e64 s7, v2, v4
	s_delay_alu instid0(VALU_DEP_1) | instskip(SKIP_3) | instid1(VALU_DEP_1)
	v_cndmask_b32_e64 v2, v2, v4, s7
	v_cmp_gt_i32_e64 s7, 32, v17
	ds_bpermute_b32 v4, v16, v2
	v_cndmask_b32_e64 v17, v3, v17, s7
	v_lshlrev_b32_e32 v17, 2, v17
	s_waitcnt lgkmcnt(0)
	v_cmp_lt_f32_e64 s7, v2, v4
	s_delay_alu instid0(VALU_DEP_1) | instskip(SKIP_3) | instid1(VALU_DEP_1)
	v_cndmask_b32_e64 v2, v2, v4, s7
	v_cmp_gt_i32_e64 s7, 32, v18
	ds_bpermute_b32 v4, v17, v2
	v_cndmask_b32_e64 v3, v3, v18, s7
	v_lshlrev_b32_e32 v18, 2, v3
	s_waitcnt lgkmcnt(0)
	v_cmp_lt_f32_e64 s7, v2, v4
	s_delay_alu instid0(VALU_DEP_1) | instskip(SKIP_3) | instid1(VALU_DEP_1)
	v_cndmask_b32_e64 v2, v2, v4, s7
	ds_bpermute_b32 v3, v18, v2
	s_waitcnt lgkmcnt(0)
	v_cmp_lt_f32_e64 s7, v2, v3
	v_cndmask_b32_e64 v2, v2, v3, s7
	s_delay_alu instid0(VALU_DEP_1)
	v_sub_f32_e32 v19, v8, v2
	v_sub_f32_e32 v3, v10, v2
	;; [unrolled: 1-line block ×6, first 2 shown]
	v_dual_sub_f32 v13, v13, v2 :: v_dual_mul_f32 v8, 0x3fb8aa3b, v3
	s_delay_alu instid0(VALU_DEP_3) | instskip(SKIP_2) | instid1(VALU_DEP_4)
	v_dual_sub_f32 v2, v9, v2 :: v_dual_mul_f32 v11, 0x3fb8aa3b, v7
	v_dual_mul_f32 v9, 0x3fb8aa3b, v4 :: v_dual_mul_f32 v10, 0x3fb8aa3b, v6
	v_mul_f32_e32 v21, 0x3fb8aa3b, v19
	v_fma_f32 v24, 0x3fb8aa3b, v3, -v8
	v_rndne_f32_e32 v25, v8
	s_delay_alu instid0(VALU_DEP_4)
	v_fma_f32 v26, 0x3fb8aa3b, v4, -v9
	v_rndne_f32_e32 v27, v9
	v_rndne_f32_e32 v35, v21
	v_mul_f32_e32 v22, 0x3fb8aa3b, v13
	v_rndne_f32_e32 v31, v11
	v_fma_f32 v34, 0x3fb8aa3b, v19, -v21
	v_dual_sub_f32 v9, v9, v27 :: v_dual_sub_f32 v8, v8, v25
	v_dual_fmac_f32 v26, 0x32a5705f, v4 :: v_dual_sub_f32 v21, v21, v35
	v_fmac_f32_e32 v24, 0x32a5705f, v3
	v_dual_mul_f32 v20, 0x3fb8aa3b, v12 :: v_dual_mul_f32 v23, 0x3fb8aa3b, v2
	v_fma_f32 v28, 0x3fb8aa3b, v6, -v10
	v_rndne_f32_e32 v29, v10
	v_fma_f32 v30, 0x3fb8aa3b, v7, -v11
	v_sub_f32_e32 v11, v11, v31
	v_dual_fmac_f32 v34, 0x32a5705f, v19 :: v_dual_add_f32 v9, v9, v26
	v_add_f32_e32 v8, v8, v24
	v_fma_f32 v36, 0x3fb8aa3b, v13, -v22
	v_rndne_f32_e32 v37, v22
	v_rndne_f32_e32 v39, v23
	v_fmac_f32_e32 v28, 0x32a5705f, v6
	v_dual_fmac_f32 v30, 0x32a5705f, v7 :: v_dual_add_f32 v21, v21, v34
	v_sub_f32_e32 v10, v10, v29
	v_exp_f32_e32 v8, v8
	v_fma_f32 v38, 0x3fb8aa3b, v2, -v23
	s_delay_alu instid0(VALU_DEP_3)
	v_add_f32_e32 v11, v11, v30
	v_cvt_i32_f32_e32 v25, v25
	v_fmac_f32_e32 v36, 0x32a5705f, v13
	v_dual_sub_f32 v22, v22, v37 :: v_dual_sub_f32 v23, v23, v39
	v_add_f32_e32 v10, v10, v28
	v_exp_f32_e32 v9, v9
	v_cvt_i32_f32_e32 v27, v27
	s_delay_alu instid0(VALU_DEP_3)
	v_add_f32_e32 v22, v22, v36
	v_ldexp_f32 v8, v8, v25
	v_exp_f32_e32 v10, v10
	v_cmp_ngt_f32_e64 s7, 0xc2ce8ed0, v3
	v_cvt_i32_f32_e32 v29, v29
	v_exp_f32_e32 v22, v22
	v_fma_f32 v32, 0x3fb8aa3b, v12, -v20
	v_rndne_f32_e32 v33, v20
	v_ldexp_f32 v9, v9, v27
	v_cndmask_b32_e64 v8, 0, v8, s7
	v_cmp_ngt_f32_e64 s7, 0xc2ce8ed0, v4
	v_exp_f32_e32 v11, v11
	v_cvt_i32_f32_e32 v24, v37
	v_ldexp_f32 v10, v10, v29
	v_cvt_i32_f32_e32 v31, v31
	v_cndmask_b32_e64 v9, 0, v9, s7
	v_cmp_ngt_f32_e64 s7, 0xc2ce8ed0, v6
	v_sub_f32_e32 v20, v20, v33
	v_fmac_f32_e32 v38, 0x32a5705f, v2
	v_fmac_f32_e32 v32, 0x32a5705f, v12
	v_ldexp_f32 v22, v22, v24
	v_cndmask_b32_e64 v24, 0, v10, s7
	v_cmp_nlt_f32_e64 s7, 0x42b17218, v3
	s_delay_alu instid0(VALU_DEP_4) | instskip(SKIP_2) | instid1(VALU_DEP_4)
	v_dual_add_f32 v23, v23, v38 :: v_dual_add_f32 v20, v20, v32
	v_ldexp_f32 v25, v11, v31
	v_cvt_i32_f32_e32 v33, v33
	v_cndmask_b32_e64 v11, 0x7f800000, v8, s7
	v_cmp_nlt_f32_e64 s7, 0x42b17218, v4
	v_exp_f32_e32 v20, v20
	v_exp_f32_e32 v21, v21
	v_cvt_i32_f32_e32 v35, v35
	v_exp_f32_e32 v23, v23
	v_cndmask_b32_e64 v10, 0x7f800000, v9, s7
	v_cmp_ngt_f32_e64 s7, 0xc2ce8ed0, v7
	v_cvt_i32_f32_e32 v26, v39
	s_delay_alu instid0(VALU_DEP_3) | instskip(NEXT) | instid1(VALU_DEP_3)
	v_add_f32_e32 v4, v11, v10
	v_cndmask_b32_e64 v3, 0, v25, s7
	v_cmp_nlt_f32_e64 s7, 0x42b17218, v6
	v_ldexp_f32 v20, v20, v33
	v_ldexp_f32 v21, v21, v35
	s_delay_alu instid0(VALU_DEP_3) | instskip(SKIP_1) | instid1(VALU_DEP_1)
	v_cndmask_b32_e64 v9, 0x7f800000, v24, s7
	v_cmp_ngt_f32_e64 s7, 0xc2ce8ed0, v12
	v_cndmask_b32_e64 v6, 0, v20, s7
	v_cmp_nlt_f32_e64 s7, 0x42b17218, v7
	s_delay_alu instid0(VALU_DEP_1) | instskip(SKIP_2) | instid1(VALU_DEP_2)
	v_cndmask_b32_e64 v8, 0x7f800000, v3, s7
	v_cmp_ngt_f32_e64 s7, 0xc2ce8ed0, v19
	v_add_f32_e32 v3, v4, v9
	v_cndmask_b32_e64 v4, 0, v21, s7
	v_cmp_nlt_f32_e64 s7, 0x42b17218, v12
	s_delay_alu instid0(VALU_DEP_3) | instskip(NEXT) | instid1(VALU_DEP_2)
	v_add_f32_e32 v3, v3, v8
	v_cndmask_b32_e64 v7, 0x7f800000, v6, s7
	v_cmp_ngt_f32_e64 s7, 0xc2ce8ed0, v13
	s_delay_alu instid0(VALU_DEP_2) | instskip(NEXT) | instid1(VALU_DEP_2)
	v_add_f32_e32 v3, v3, v7
	v_cndmask_b32_e64 v12, 0, v22, s7
	v_cmp_nlt_f32_e64 s7, 0x42b17218, v19
	v_ldexp_f32 v19, v23, v26
	s_delay_alu instid0(VALU_DEP_2) | instskip(SKIP_1) | instid1(VALU_DEP_2)
	v_cndmask_b32_e64 v6, 0x7f800000, v4, s7
	v_cmp_nlt_f32_e64 s7, 0x42b17218, v13
	v_add_f32_e32 v3, v3, v6
	s_delay_alu instid0(VALU_DEP_2) | instskip(SKIP_1) | instid1(VALU_DEP_2)
	v_cndmask_b32_e64 v4, 0x7f800000, v12, s7
	v_cmp_ngt_f32_e64 s7, 0xc2ce8ed0, v2
	v_add_f32_e32 v3, v3, v4
	s_delay_alu instid0(VALU_DEP_2) | instskip(SKIP_1) | instid1(VALU_DEP_1)
	v_cndmask_b32_e64 v12, 0, v19, s7
	v_cmp_nlt_f32_e64 s7, 0x42b17218, v2
	v_cndmask_b32_e64 v2, 0x7f800000, v12, s7
	s_delay_alu instid0(VALU_DEP_1)
	v_add_f32_e32 v3, v3, v2
	ds_bpermute_b32 v12, v14, v3
	s_waitcnt lgkmcnt(0)
	v_add_f32_e32 v3, v3, v12
	ds_bpermute_b32 v12, v15, v3
	s_waitcnt lgkmcnt(0)
	;; [unrolled: 3-line block ×4, first 2 shown]
	v_add_f32_e32 v3, v3, v12
	ds_bpermute_b32 v12, v18, v3
	v_cmpx_lt_i32_e32 0, v5
	s_cbranch_execz .LBB475_42
; %bb.17:
	s_and_b32 exec_lo, exec_lo, vcc_lo
	s_cbranch_execz .LBB475_42
; %bb.18:
	s_waitcnt lgkmcnt(0)
	v_add_f32_e32 v3, v3, v12
	v_mov_b32_e32 v5, 0x7fc0
	s_delay_alu instid0(VALU_DEP_2) | instskip(NEXT) | instid1(VALU_DEP_1)
	v_cmp_neq_f32_e64 s7, 0, v3
	s_and_saveexec_b32 s8, s7
	s_cbranch_execz .LBB475_20
; %bb.19:
	v_div_scale_f32 v5, null, v3, v3, v11
	s_delay_alu instid0(VALU_DEP_1) | instskip(SKIP_2) | instid1(VALU_DEP_1)
	v_rcp_f32_e32 v12, v5
	s_waitcnt_depctr 0xfff
	v_fma_f32 v13, -v5, v12, 1.0
	v_fmac_f32_e32 v12, v13, v12
	v_div_scale_f32 v13, vcc_lo, v11, v3, v11
	s_delay_alu instid0(VALU_DEP_1) | instskip(NEXT) | instid1(VALU_DEP_1)
	v_mul_f32_e32 v14, v13, v12
	v_fma_f32 v15, -v5, v14, v13
	s_delay_alu instid0(VALU_DEP_1) | instskip(NEXT) | instid1(VALU_DEP_1)
	v_fmac_f32_e32 v14, v15, v12
	v_fma_f32 v5, -v5, v14, v13
	s_delay_alu instid0(VALU_DEP_1) | instskip(NEXT) | instid1(VALU_DEP_1)
	v_div_fmas_f32 v5, v5, v12, v14
	v_div_fixup_f32 v5, v5, v3, v11
	s_delay_alu instid0(VALU_DEP_1) | instskip(SKIP_1) | instid1(VALU_DEP_2)
	v_bfe_u32 v11, v5, 16, 1
	v_cmp_o_f32_e32 vcc_lo, v5, v5
	v_add3_u32 v11, v5, v11, 0x7fff
	s_delay_alu instid0(VALU_DEP_1) | instskip(NEXT) | instid1(VALU_DEP_1)
	v_lshrrev_b32_e32 v11, 16, v11
	v_cndmask_b32_e32 v5, 0x7fc0, v11, vcc_lo
.LBB475_20:
	s_or_b32 exec_lo, exec_lo, s8
	v_add_co_u32 v0, vcc_lo, s16, v0
	v_add_co_ci_u32_e32 v1, vcc_lo, s17, v1, vcc_lo
	global_store_b16 v[0:1], v5, off
	s_and_b32 exec_lo, exec_lo, s6
	s_cbranch_execz .LBB475_42
; %bb.21:
	v_mov_b32_e32 v5, 0x7fc0
	s_and_saveexec_b32 s6, s7
	s_cbranch_execz .LBB475_23
; %bb.22:
	v_div_scale_f32 v5, null, v3, v3, v10
	s_delay_alu instid0(VALU_DEP_1) | instskip(SKIP_2) | instid1(VALU_DEP_1)
	v_rcp_f32_e32 v11, v5
	s_waitcnt_depctr 0xfff
	v_fma_f32 v12, -v5, v11, 1.0
	v_fmac_f32_e32 v11, v12, v11
	v_div_scale_f32 v12, vcc_lo, v10, v3, v10
	s_delay_alu instid0(VALU_DEP_1) | instskip(NEXT) | instid1(VALU_DEP_1)
	v_mul_f32_e32 v13, v12, v11
	v_fma_f32 v14, -v5, v13, v12
	s_delay_alu instid0(VALU_DEP_1) | instskip(NEXT) | instid1(VALU_DEP_1)
	v_fmac_f32_e32 v13, v14, v11
	v_fma_f32 v5, -v5, v13, v12
	s_delay_alu instid0(VALU_DEP_1) | instskip(NEXT) | instid1(VALU_DEP_1)
	v_div_fmas_f32 v5, v5, v11, v13
	v_div_fixup_f32 v5, v5, v3, v10
	s_delay_alu instid0(VALU_DEP_1) | instskip(SKIP_1) | instid1(VALU_DEP_2)
	v_bfe_u32 v10, v5, 16, 1
	v_cmp_o_f32_e32 vcc_lo, v5, v5
	v_add3_u32 v10, v5, v10, 0x7fff
	s_delay_alu instid0(VALU_DEP_1) | instskip(NEXT) | instid1(VALU_DEP_1)
	v_lshrrev_b32_e32 v10, 16, v10
	v_cndmask_b32_e32 v5, 0x7fc0, v10, vcc_lo
.LBB475_23:
	s_or_b32 exec_lo, exec_lo, s6
	global_store_b16 v[0:1], v5, off offset:64
	s_and_b32 exec_lo, exec_lo, s5
	s_cbranch_execz .LBB475_42
; %bb.24:
	v_mov_b32_e32 v5, 0x7fc0
	s_and_saveexec_b32 s5, s7
	s_cbranch_execz .LBB475_26
; %bb.25:
	v_div_scale_f32 v5, null, v3, v3, v9
	s_delay_alu instid0(VALU_DEP_1) | instskip(SKIP_2) | instid1(VALU_DEP_1)
	v_rcp_f32_e32 v10, v5
	s_waitcnt_depctr 0xfff
	v_fma_f32 v11, -v5, v10, 1.0
	v_fmac_f32_e32 v10, v11, v10
	v_div_scale_f32 v11, vcc_lo, v9, v3, v9
	s_delay_alu instid0(VALU_DEP_1) | instskip(NEXT) | instid1(VALU_DEP_1)
	v_mul_f32_e32 v12, v11, v10
	v_fma_f32 v13, -v5, v12, v11
	s_delay_alu instid0(VALU_DEP_1) | instskip(NEXT) | instid1(VALU_DEP_1)
	v_fmac_f32_e32 v12, v13, v10
	v_fma_f32 v5, -v5, v12, v11
	s_delay_alu instid0(VALU_DEP_1) | instskip(NEXT) | instid1(VALU_DEP_1)
	v_div_fmas_f32 v5, v5, v10, v12
	v_div_fixup_f32 v5, v5, v3, v9
	s_delay_alu instid0(VALU_DEP_1) | instskip(SKIP_1) | instid1(VALU_DEP_2)
	v_bfe_u32 v9, v5, 16, 1
	v_cmp_o_f32_e32 vcc_lo, v5, v5
	v_add3_u32 v9, v5, v9, 0x7fff
	s_delay_alu instid0(VALU_DEP_1) | instskip(NEXT) | instid1(VALU_DEP_1)
	v_lshrrev_b32_e32 v9, 16, v9
	v_cndmask_b32_e32 v5, 0x7fc0, v9, vcc_lo
.LBB475_26:
	s_or_b32 exec_lo, exec_lo, s5
	global_store_b16 v[0:1], v5, off offset:128
	;; [unrolled: 33-line block ×7, first 2 shown]
.LBB475_42:
	s_nop 0
	s_sendmsg sendmsg(MSG_DEALLOC_VGPRS)
	s_endpgm
	.section	.rodata,"a",@progbits
	.p2align	6, 0x0
	.amdhsa_kernel _ZN12_GLOBAL__N_120softmax_warp_forwardIN3c108BFloat16ES2_fLi8ELb0ELb0ELi32EEEvPT0_PKT_iiiPKbib
		.amdhsa_group_segment_fixed_size 0
		.amdhsa_private_segment_fixed_size 0
		.amdhsa_kernarg_size 304
		.amdhsa_user_sgpr_count 15
		.amdhsa_user_sgpr_dispatch_ptr 0
		.amdhsa_user_sgpr_queue_ptr 0
		.amdhsa_user_sgpr_kernarg_segment_ptr 1
		.amdhsa_user_sgpr_dispatch_id 0
		.amdhsa_user_sgpr_private_segment_size 0
		.amdhsa_wavefront_size32 1
		.amdhsa_uses_dynamic_stack 0
		.amdhsa_enable_private_segment 0
		.amdhsa_system_sgpr_workgroup_id_x 1
		.amdhsa_system_sgpr_workgroup_id_y 0
		.amdhsa_system_sgpr_workgroup_id_z 0
		.amdhsa_system_sgpr_workgroup_info 0
		.amdhsa_system_vgpr_workitem_id 1
		.amdhsa_next_free_vgpr 40
		.amdhsa_next_free_sgpr 24
		.amdhsa_reserve_vcc 1
		.amdhsa_float_round_mode_32 0
		.amdhsa_float_round_mode_16_64 0
		.amdhsa_float_denorm_mode_32 3
		.amdhsa_float_denorm_mode_16_64 3
		.amdhsa_dx10_clamp 1
		.amdhsa_ieee_mode 1
		.amdhsa_fp16_overflow 0
		.amdhsa_workgroup_processor_mode 1
		.amdhsa_memory_ordered 1
		.amdhsa_forward_progress 0
		.amdhsa_shared_vgpr_count 0
		.amdhsa_exception_fp_ieee_invalid_op 0
		.amdhsa_exception_fp_denorm_src 0
		.amdhsa_exception_fp_ieee_div_zero 0
		.amdhsa_exception_fp_ieee_overflow 0
		.amdhsa_exception_fp_ieee_underflow 0
		.amdhsa_exception_fp_ieee_inexact 0
		.amdhsa_exception_int_div_zero 0
	.end_amdhsa_kernel
	.section	.text._ZN12_GLOBAL__N_120softmax_warp_forwardIN3c108BFloat16ES2_fLi8ELb0ELb0ELi32EEEvPT0_PKT_iiiPKbib,"axG",@progbits,_ZN12_GLOBAL__N_120softmax_warp_forwardIN3c108BFloat16ES2_fLi8ELb0ELb0ELi32EEEvPT0_PKT_iiiPKbib,comdat
.Lfunc_end475:
	.size	_ZN12_GLOBAL__N_120softmax_warp_forwardIN3c108BFloat16ES2_fLi8ELb0ELb0ELi32EEEvPT0_PKT_iiiPKbib, .Lfunc_end475-_ZN12_GLOBAL__N_120softmax_warp_forwardIN3c108BFloat16ES2_fLi8ELb0ELb0ELi32EEEvPT0_PKT_iiiPKbib
                                        ; -- End function
	.section	.AMDGPU.csdata,"",@progbits
; Kernel info:
; codeLenInByte = 3448
; NumSgprs: 26
; NumVgprs: 40
; ScratchSize: 0
; MemoryBound: 0
; FloatMode: 240
; IeeeMode: 1
; LDSByteSize: 0 bytes/workgroup (compile time only)
; SGPRBlocks: 3
; VGPRBlocks: 4
; NumSGPRsForWavesPerEU: 26
; NumVGPRsForWavesPerEU: 40
; Occupancy: 16
; WaveLimiterHint : 0
; COMPUTE_PGM_RSRC2:SCRATCH_EN: 0
; COMPUTE_PGM_RSRC2:USER_SGPR: 15
; COMPUTE_PGM_RSRC2:TRAP_HANDLER: 0
; COMPUTE_PGM_RSRC2:TGID_X_EN: 1
; COMPUTE_PGM_RSRC2:TGID_Y_EN: 0
; COMPUTE_PGM_RSRC2:TGID_Z_EN: 0
; COMPUTE_PGM_RSRC2:TIDIG_COMP_CNT: 1
	.section	.text._ZN12_GLOBAL__N_120softmax_warp_forwardIN3c108BFloat16ES2_fLi9ELb0ELb0ELi64EEEvPT0_PKT_iiiPKbib,"axG",@progbits,_ZN12_GLOBAL__N_120softmax_warp_forwardIN3c108BFloat16ES2_fLi9ELb0ELb0ELi64EEEvPT0_PKT_iiiPKbib,comdat
	.globl	_ZN12_GLOBAL__N_120softmax_warp_forwardIN3c108BFloat16ES2_fLi9ELb0ELb0ELi64EEEvPT0_PKT_iiiPKbib ; -- Begin function _ZN12_GLOBAL__N_120softmax_warp_forwardIN3c108BFloat16ES2_fLi9ELb0ELb0ELi64EEEvPT0_PKT_iiiPKbib
	.p2align	8
	.type	_ZN12_GLOBAL__N_120softmax_warp_forwardIN3c108BFloat16ES2_fLi9ELb0ELb0ELi64EEEvPT0_PKT_iiiPKbib,@function
_ZN12_GLOBAL__N_120softmax_warp_forwardIN3c108BFloat16ES2_fLi9ELb0ELb0ELi64EEEvPT0_PKT_iiiPKbib: ; @_ZN12_GLOBAL__N_120softmax_warp_forwardIN3c108BFloat16ES2_fLi9ELb0ELb0ELi64EEEvPT0_PKT_iiiPKbib
; %bb.0:
	s_clause 0x1
	s_load_b32 s2, s[0:1], 0x3c
	s_load_b256 s[16:23], s[0:1], 0x0
	v_bfe_u32 v1, v0, 10, 10
	v_mov_b32_e32 v6, 0xff800000
	v_mov_b32_e32 v10, 0xff800000
	s_waitcnt lgkmcnt(0)
	s_lshr_b32 s0, s2, 16
	s_delay_alu instid0(SALU_CYCLE_1) | instskip(SKIP_1) | instid1(VALU_DEP_1)
	v_mad_u64_u32 v[3:4], null, s15, s0, v[1:2]
	v_and_b32_e32 v2, 0x3ff, v0
	v_cmp_gt_i32_e32 vcc_lo, s22, v2
	s_delay_alu instid0(VALU_DEP_3) | instskip(SKIP_1) | instid1(VALU_DEP_1)
	v_mad_u64_u32 v[0:1], null, v3, s21, v[2:3]
	v_sub_nc_u32_e32 v5, s20, v3
	v_cmp_lt_i32_e64 s7, 0, v5
	s_delay_alu instid0(VALU_DEP_3) | instskip(NEXT) | instid1(VALU_DEP_2)
	v_ashrrev_i32_e32 v1, 31, v0
	s_and_b32 s1, s7, vcc_lo
	s_delay_alu instid0(VALU_DEP_1) | instskip(NEXT) | instid1(VALU_DEP_1)
	v_lshlrev_b64 v[0:1], 1, v[0:1]
	v_add_co_u32 v3, s0, s18, v0
	s_delay_alu instid0(VALU_DEP_1)
	v_add_co_ci_u32_e64 v4, s0, s19, v1, s0
	s_and_saveexec_b32 s0, s1
	s_cbranch_execz .LBB476_2
; %bb.1:
	global_load_u16 v7, v[3:4], off
	s_waitcnt vmcnt(0)
	v_lshlrev_b32_e32 v10, 16, v7
.LBB476_2:
	s_or_b32 exec_lo, exec_lo, s0
	v_add_nc_u32_e32 v7, 64, v2
	s_delay_alu instid0(VALU_DEP_1) | instskip(NEXT) | instid1(VALU_DEP_1)
	v_cmp_gt_i32_e64 s6, s22, v7
	s_and_b32 s1, s7, s6
	s_delay_alu instid0(SALU_CYCLE_1)
	s_and_saveexec_b32 s0, s1
	s_cbranch_execz .LBB476_4
; %bb.3:
	global_load_u16 v6, v[3:4], off offset:128
	s_waitcnt vmcnt(0)
	v_lshlrev_b32_e32 v6, 16, v6
.LBB476_4:
	s_or_b32 exec_lo, exec_lo, s0
	v_add_nc_u32_e32 v7, 0x80, v2
	v_mov_b32_e32 v11, 0xff800000
	s_delay_alu instid0(VALU_DEP_2) | instskip(SKIP_1) | instid1(VALU_DEP_2)
	v_cmp_gt_i32_e64 s5, s22, v7
	v_mov_b32_e32 v7, 0xff800000
	s_and_b32 s1, s7, s5
	s_delay_alu instid0(SALU_CYCLE_1)
	s_and_saveexec_b32 s0, s1
	s_cbranch_execz .LBB476_6
; %bb.5:
	global_load_u16 v8, v[3:4], off offset:256
	s_waitcnt vmcnt(0)
	v_lshlrev_b32_e32 v11, 16, v8
.LBB476_6:
	s_or_b32 exec_lo, exec_lo, s0
	v_add_nc_u32_e32 v8, 0xc0, v2
	s_delay_alu instid0(VALU_DEP_1) | instskip(NEXT) | instid1(VALU_DEP_1)
	v_cmp_gt_i32_e64 s4, s22, v8
	s_and_b32 s1, s7, s4
	s_delay_alu instid0(SALU_CYCLE_1)
	s_and_saveexec_b32 s0, s1
	s_cbranch_execz .LBB476_8
; %bb.7:
	global_load_u16 v7, v[3:4], off offset:384
	s_waitcnt vmcnt(0)
	v_lshlrev_b32_e32 v7, 16, v7
.LBB476_8:
	s_or_b32 exec_lo, exec_lo, s0
	v_add_nc_u32_e32 v8, 0x100, v2
	v_mov_b32_e32 v12, 0xff800000
	s_delay_alu instid0(VALU_DEP_2) | instskip(SKIP_1) | instid1(VALU_DEP_2)
	v_cmp_gt_i32_e64 s3, s22, v8
	v_mov_b32_e32 v8, 0xff800000
	s_and_b32 s1, s7, s3
	s_delay_alu instid0(SALU_CYCLE_1)
	s_and_saveexec_b32 s0, s1
	s_cbranch_execz .LBB476_10
; %bb.9:
	global_load_u16 v9, v[3:4], off offset:512
	s_waitcnt vmcnt(0)
	v_lshlrev_b32_e32 v12, 16, v9
.LBB476_10:
	;; [unrolled: 28-line block ×3, first 2 shown]
	s_or_b32 exec_lo, exec_lo, s0
	v_add_nc_u32_e32 v2, 0x1c0, v2
	s_delay_alu instid0(VALU_DEP_1) | instskip(NEXT) | instid1(VALU_DEP_1)
	v_cmp_gt_i32_e64 s0, s22, v2
	s_and_b32 s8, s7, s0
	s_delay_alu instid0(SALU_CYCLE_1)
	s_and_saveexec_b32 s7, s8
	s_cbranch_execz .LBB476_16
; %bb.15:
	global_load_u16 v2, v[3:4], off offset:896
	s_waitcnt vmcnt(0)
	v_lshlrev_b32_e32 v9, 16, v2
.LBB476_16:
	s_or_b32 exec_lo, exec_lo, s7
	v_cmp_gt_f32_e64 s7, v10, v6
	v_mbcnt_lo_u32_b32 v3, -1, 0
	s_mov_b32 s8, exec_lo
	s_delay_alu instid0(VALU_DEP_2) | instskip(NEXT) | instid1(VALU_DEP_2)
	v_cndmask_b32_e64 v2, v6, v10, s7
	v_or_b32_e32 v4, 32, v3
	v_xor_b32_e32 v15, 16, v3
	v_xor_b32_e32 v16, 8, v3
	;; [unrolled: 1-line block ×3, first 2 shown]
	v_cmp_gt_f32_e64 s7, v2, v11
	v_xor_b32_e32 v18, 2, v3
	v_xor_b32_e32 v19, 1, v3
	s_delay_alu instid0(VALU_DEP_3) | instskip(NEXT) | instid1(VALU_DEP_1)
	v_cndmask_b32_e64 v2, v11, v2, s7
	v_cmp_gt_f32_e64 s7, v2, v7
	s_delay_alu instid0(VALU_DEP_1) | instskip(NEXT) | instid1(VALU_DEP_1)
	v_cndmask_b32_e64 v2, v7, v2, s7
	v_cmp_gt_f32_e64 s7, v2, v12
	s_delay_alu instid0(VALU_DEP_1) | instskip(NEXT) | instid1(VALU_DEP_1)
	v_cndmask_b32_e64 v2, v12, v2, s7
	v_cmp_gt_f32_e64 s7, v2, v8
	s_delay_alu instid0(VALU_DEP_1) | instskip(SKIP_1) | instid1(VALU_DEP_1)
	v_cndmask_b32_e64 v2, v8, v2, s7
	v_cmp_gt_i32_e64 s7, 64, v4
	v_cndmask_b32_e64 v4, v3, v4, s7
	s_delay_alu instid0(VALU_DEP_3) | instskip(NEXT) | instid1(VALU_DEP_2)
	v_cmp_gt_f32_e64 s7, v2, v13
	v_lshlrev_b32_e32 v14, 2, v4
	s_delay_alu instid0(VALU_DEP_2) | instskip(NEXT) | instid1(VALU_DEP_1)
	v_cndmask_b32_e64 v2, v13, v2, s7
	v_cmp_gt_f32_e64 s7, v2, v9
	s_delay_alu instid0(VALU_DEP_1) | instskip(SKIP_3) | instid1(VALU_DEP_1)
	v_cndmask_b32_e64 v2, v9, v2, s7
	v_cmp_gt_i32_e64 s7, 64, v15
	ds_bpermute_b32 v4, v14, v2
	v_cndmask_b32_e64 v15, v3, v15, s7
	v_lshlrev_b32_e32 v15, 2, v15
	s_waitcnt lgkmcnt(0)
	v_cmp_lt_f32_e64 s7, v2, v4
	s_delay_alu instid0(VALU_DEP_1) | instskip(SKIP_3) | instid1(VALU_DEP_1)
	v_cndmask_b32_e64 v2, v2, v4, s7
	v_cmp_gt_i32_e64 s7, 64, v16
	ds_bpermute_b32 v4, v15, v2
	v_cndmask_b32_e64 v16, v3, v16, s7
	v_lshlrev_b32_e32 v16, 2, v16
	s_waitcnt lgkmcnt(0)
	v_cmp_lt_f32_e64 s7, v2, v4
	;; [unrolled: 8-line block ×5, first 2 shown]
	s_delay_alu instid0(VALU_DEP_1) | instskip(SKIP_3) | instid1(VALU_DEP_1)
	v_cndmask_b32_e64 v2, v2, v4, s7
	ds_bpermute_b32 v3, v19, v2
	s_waitcnt lgkmcnt(0)
	v_cmp_lt_f32_e64 s7, v2, v3
	v_cndmask_b32_e64 v2, v2, v3, s7
	s_delay_alu instid0(VALU_DEP_1) | instskip(SKIP_4) | instid1(VALU_DEP_4)
	v_sub_f32_e32 v12, v12, v2
	v_sub_f32_e32 v3, v10, v2
	;; [unrolled: 1-line block ×5, first 2 shown]
	v_dual_sub_f32 v13, v13, v2 :: v_dual_mul_f32 v8, 0x3fb8aa3b, v3
	v_sub_f32_e32 v6, v11, v2
	v_dual_sub_f32 v2, v9, v2 :: v_dual_mul_f32 v21, 0x3fb8aa3b, v12
	v_mul_f32_e32 v9, 0x3fb8aa3b, v4
	v_mul_f32_e32 v11, 0x3fb8aa3b, v7
	v_fma_f32 v25, 0x3fb8aa3b, v3, -v8
	v_rndne_f32_e32 v26, v8
	v_dual_mul_f32 v10, 0x3fb8aa3b, v6 :: v_dual_mul_f32 v23, 0x3fb8aa3b, v13
	v_fma_f32 v27, 0x3fb8aa3b, v4, -v9
	v_rndne_f32_e32 v28, v9
	v_mul_f32_e32 v24, 0x3fb8aa3b, v2
	v_rndne_f32_e32 v32, v11
	v_dual_fmac_f32 v25, 0x32a5705f, v3 :: v_dual_sub_f32 v8, v8, v26
	v_fma_f32 v29, 0x3fb8aa3b, v6, -v10
	v_rndne_f32_e32 v30, v10
	v_fma_f32 v31, 0x3fb8aa3b, v7, -v11
	v_rndne_f32_e32 v34, v21
	v_mul_f32_e32 v22, 0x3fb8aa3b, v20
	s_delay_alu instid0(VALU_DEP_4)
	v_dual_fmac_f32 v27, 0x32a5705f, v4 :: v_dual_sub_f32 v10, v10, v30
	v_sub_f32_e32 v9, v9, v28
	v_fma_f32 v39, 0x3fb8aa3b, v2, -v24
	v_rndne_f32_e32 v40, v24
	v_dual_sub_f32 v11, v11, v32 :: v_dual_add_f32 v8, v8, v25
	v_fma_f32 v33, 0x3fb8aa3b, v12, -v21
	v_fma_f32 v37, 0x3fb8aa3b, v13, -v23
	v_rndne_f32_e32 v38, v23
	v_dual_fmac_f32 v31, 0x32a5705f, v7 :: v_dual_sub_f32 v24, v24, v40
	v_sub_f32_e32 v21, v21, v34
	v_fma_f32 v35, 0x3fb8aa3b, v20, -v22
	v_rndne_f32_e32 v36, v22
	v_fmac_f32_e32 v29, 0x32a5705f, v6
	v_fmac_f32_e32 v39, 0x32a5705f, v2
	v_add_f32_e32 v9, v9, v27
	v_exp_f32_e32 v8, v8
	v_cvt_i32_f32_e32 v26, v26
	s_delay_alu instid0(VALU_DEP_3) | instskip(SKIP_3) | instid1(VALU_DEP_3)
	v_dual_fmac_f32 v35, 0x32a5705f, v20 :: v_dual_add_f32 v24, v24, v39
	v_sub_f32_e32 v22, v22, v36
	v_dual_fmac_f32 v33, 0x32a5705f, v12 :: v_dual_add_f32 v10, v10, v29
	v_fmac_f32_e32 v37, 0x32a5705f, v13
	v_dual_sub_f32 v23, v23, v38 :: v_dual_add_f32 v22, v22, v35
	v_exp_f32_e32 v9, v9
	v_cvt_i32_f32_e32 v28, v28
	v_exp_f32_e32 v10, v10
	s_delay_alu instid0(VALU_DEP_2)
	v_add_f32_e32 v23, v23, v37
	v_ldexp_f32 v8, v8, v26
	v_cmp_ngt_f32_e64 s7, 0xc2ce8ed0, v3
	v_cvt_i32_f32_e32 v30, v30
	v_add_f32_e32 v11, v11, v31
	v_exp_f32_e32 v23, v23
	v_cvt_i32_f32_e32 v25, v38
	v_ldexp_f32 v9, v9, v28
	v_cndmask_b32_e64 v8, 0, v8, s7
	v_cmp_ngt_f32_e64 s7, 0xc2ce8ed0, v4
	v_exp_f32_e32 v11, v11
	v_ldexp_f32 v10, v10, v30
	v_cvt_i32_f32_e32 v32, v32
	v_add_f32_e32 v21, v21, v33
	v_cndmask_b32_e64 v9, 0, v9, s7
	v_cmp_ngt_f32_e64 s7, 0xc2ce8ed0, v6
	v_ldexp_f32 v23, v23, v25
	v_cvt_i32_f32_e32 v34, v34
	v_exp_f32_e32 v21, v21
	v_exp_f32_e32 v22, v22
	v_cndmask_b32_e64 v25, 0, v10, s7
	v_cmp_nlt_f32_e64 s7, 0x42b17218, v3
	v_ldexp_f32 v26, v11, v32
	v_cvt_i32_f32_e32 v36, v36
	v_exp_f32_e32 v24, v24
	v_cvt_i32_f32_e32 v27, v40
	v_cndmask_b32_e64 v11, 0x7f800000, v8, s7
	v_cmp_nlt_f32_e64 s7, 0x42b17218, v4
	v_ldexp_f32 v21, v21, v34
	v_ldexp_f32 v22, v22, v36
	s_delay_alu instid0(VALU_DEP_3) | instskip(SKIP_1) | instid1(VALU_DEP_2)
	v_cndmask_b32_e64 v10, 0x7f800000, v9, s7
	v_cmp_ngt_f32_e64 s7, 0xc2ce8ed0, v7
	v_add_f32_e32 v4, v11, v10
	s_delay_alu instid0(VALU_DEP_2) | instskip(SKIP_1) | instid1(VALU_DEP_1)
	v_cndmask_b32_e64 v3, 0, v26, s7
	v_cmp_nlt_f32_e64 s7, 0x42b17218, v6
	v_cndmask_b32_e64 v9, 0x7f800000, v25, s7
	v_cmp_ngt_f32_e64 s7, 0xc2ce8ed0, v12
	s_delay_alu instid0(VALU_DEP_1) | instskip(SKIP_1) | instid1(VALU_DEP_1)
	v_cndmask_b32_e64 v6, 0, v21, s7
	v_cmp_nlt_f32_e64 s7, 0x42b17218, v7
	v_cndmask_b32_e64 v8, 0x7f800000, v3, s7
	v_cmp_ngt_f32_e64 s7, 0xc2ce8ed0, v20
	v_add_f32_e32 v3, v4, v9
	s_delay_alu instid0(VALU_DEP_2) | instskip(SKIP_1) | instid1(VALU_DEP_3)
	v_cndmask_b32_e64 v4, 0, v22, s7
	v_cmp_nlt_f32_e64 s7, 0x42b17218, v12
	v_add_f32_e32 v3, v3, v8
	s_delay_alu instid0(VALU_DEP_2) | instskip(SKIP_1) | instid1(VALU_DEP_2)
	v_cndmask_b32_e64 v7, 0x7f800000, v6, s7
	v_cmp_ngt_f32_e64 s7, 0xc2ce8ed0, v13
	v_add_f32_e32 v3, v3, v7
	s_delay_alu instid0(VALU_DEP_2) | instskip(SKIP_2) | instid1(VALU_DEP_2)
	v_cndmask_b32_e64 v12, 0, v23, s7
	v_cmp_nlt_f32_e64 s7, 0x42b17218, v20
	v_ldexp_f32 v20, v24, v27
	v_cndmask_b32_e64 v6, 0x7f800000, v4, s7
	v_cmp_nlt_f32_e64 s7, 0x42b17218, v13
	s_delay_alu instid0(VALU_DEP_2) | instskip(NEXT) | instid1(VALU_DEP_2)
	v_add_f32_e32 v3, v3, v6
	v_cndmask_b32_e64 v4, 0x7f800000, v12, s7
	v_cmp_ngt_f32_e64 s7, 0xc2ce8ed0, v2
	s_delay_alu instid0(VALU_DEP_2) | instskip(NEXT) | instid1(VALU_DEP_2)
	v_add_f32_e32 v3, v3, v4
	v_cndmask_b32_e64 v12, 0, v20, s7
	v_cmp_nlt_f32_e64 s7, 0x42b17218, v2
	s_delay_alu instid0(VALU_DEP_1) | instskip(NEXT) | instid1(VALU_DEP_1)
	v_cndmask_b32_e64 v2, 0x7f800000, v12, s7
	v_add_f32_e32 v3, v3, v2
	ds_bpermute_b32 v12, v14, v3
	s_waitcnt lgkmcnt(0)
	v_add_f32_e32 v3, v3, v12
	ds_bpermute_b32 v12, v15, v3
	s_waitcnt lgkmcnt(0)
	;; [unrolled: 3-line block ×5, first 2 shown]
	v_add_f32_e32 v3, v3, v12
	ds_bpermute_b32 v12, v19, v3
	v_cmpx_lt_i32_e32 0, v5
	s_cbranch_execz .LBB476_42
; %bb.17:
	s_and_b32 exec_lo, exec_lo, vcc_lo
	s_cbranch_execz .LBB476_42
; %bb.18:
	s_waitcnt lgkmcnt(0)
	v_add_f32_e32 v3, v3, v12
	v_mov_b32_e32 v5, 0x7fc0
	s_delay_alu instid0(VALU_DEP_2) | instskip(NEXT) | instid1(VALU_DEP_1)
	v_cmp_neq_f32_e64 s7, 0, v3
	s_and_saveexec_b32 s8, s7
	s_cbranch_execz .LBB476_20
; %bb.19:
	v_div_scale_f32 v5, null, v3, v3, v11
	s_delay_alu instid0(VALU_DEP_1) | instskip(SKIP_2) | instid1(VALU_DEP_1)
	v_rcp_f32_e32 v12, v5
	s_waitcnt_depctr 0xfff
	v_fma_f32 v13, -v5, v12, 1.0
	v_fmac_f32_e32 v12, v13, v12
	v_div_scale_f32 v13, vcc_lo, v11, v3, v11
	s_delay_alu instid0(VALU_DEP_1) | instskip(NEXT) | instid1(VALU_DEP_1)
	v_mul_f32_e32 v14, v13, v12
	v_fma_f32 v15, -v5, v14, v13
	s_delay_alu instid0(VALU_DEP_1) | instskip(NEXT) | instid1(VALU_DEP_1)
	v_fmac_f32_e32 v14, v15, v12
	v_fma_f32 v5, -v5, v14, v13
	s_delay_alu instid0(VALU_DEP_1) | instskip(NEXT) | instid1(VALU_DEP_1)
	v_div_fmas_f32 v5, v5, v12, v14
	v_div_fixup_f32 v5, v5, v3, v11
	s_delay_alu instid0(VALU_DEP_1) | instskip(SKIP_1) | instid1(VALU_DEP_2)
	v_bfe_u32 v11, v5, 16, 1
	v_cmp_o_f32_e32 vcc_lo, v5, v5
	v_add3_u32 v11, v5, v11, 0x7fff
	s_delay_alu instid0(VALU_DEP_1) | instskip(NEXT) | instid1(VALU_DEP_1)
	v_lshrrev_b32_e32 v11, 16, v11
	v_cndmask_b32_e32 v5, 0x7fc0, v11, vcc_lo
.LBB476_20:
	s_or_b32 exec_lo, exec_lo, s8
	v_add_co_u32 v0, vcc_lo, s16, v0
	v_add_co_ci_u32_e32 v1, vcc_lo, s17, v1, vcc_lo
	global_store_b16 v[0:1], v5, off
	s_and_b32 exec_lo, exec_lo, s6
	s_cbranch_execz .LBB476_42
; %bb.21:
	v_mov_b32_e32 v5, 0x7fc0
	s_and_saveexec_b32 s6, s7
	s_cbranch_execz .LBB476_23
; %bb.22:
	v_div_scale_f32 v5, null, v3, v3, v10
	s_delay_alu instid0(VALU_DEP_1) | instskip(SKIP_2) | instid1(VALU_DEP_1)
	v_rcp_f32_e32 v11, v5
	s_waitcnt_depctr 0xfff
	v_fma_f32 v12, -v5, v11, 1.0
	v_fmac_f32_e32 v11, v12, v11
	v_div_scale_f32 v12, vcc_lo, v10, v3, v10
	s_delay_alu instid0(VALU_DEP_1) | instskip(NEXT) | instid1(VALU_DEP_1)
	v_mul_f32_e32 v13, v12, v11
	v_fma_f32 v14, -v5, v13, v12
	s_delay_alu instid0(VALU_DEP_1) | instskip(NEXT) | instid1(VALU_DEP_1)
	v_fmac_f32_e32 v13, v14, v11
	v_fma_f32 v5, -v5, v13, v12
	s_delay_alu instid0(VALU_DEP_1) | instskip(NEXT) | instid1(VALU_DEP_1)
	v_div_fmas_f32 v5, v5, v11, v13
	v_div_fixup_f32 v5, v5, v3, v10
	s_delay_alu instid0(VALU_DEP_1) | instskip(SKIP_1) | instid1(VALU_DEP_2)
	v_bfe_u32 v10, v5, 16, 1
	v_cmp_o_f32_e32 vcc_lo, v5, v5
	v_add3_u32 v10, v5, v10, 0x7fff
	s_delay_alu instid0(VALU_DEP_1) | instskip(NEXT) | instid1(VALU_DEP_1)
	v_lshrrev_b32_e32 v10, 16, v10
	v_cndmask_b32_e32 v5, 0x7fc0, v10, vcc_lo
.LBB476_23:
	s_or_b32 exec_lo, exec_lo, s6
	global_store_b16 v[0:1], v5, off offset:128
	s_and_b32 exec_lo, exec_lo, s5
	s_cbranch_execz .LBB476_42
; %bb.24:
	v_mov_b32_e32 v5, 0x7fc0
	s_and_saveexec_b32 s5, s7
	s_cbranch_execz .LBB476_26
; %bb.25:
	v_div_scale_f32 v5, null, v3, v3, v9
	s_delay_alu instid0(VALU_DEP_1) | instskip(SKIP_2) | instid1(VALU_DEP_1)
	v_rcp_f32_e32 v10, v5
	s_waitcnt_depctr 0xfff
	v_fma_f32 v11, -v5, v10, 1.0
	v_fmac_f32_e32 v10, v11, v10
	v_div_scale_f32 v11, vcc_lo, v9, v3, v9
	s_delay_alu instid0(VALU_DEP_1) | instskip(NEXT) | instid1(VALU_DEP_1)
	v_mul_f32_e32 v12, v11, v10
	v_fma_f32 v13, -v5, v12, v11
	s_delay_alu instid0(VALU_DEP_1) | instskip(NEXT) | instid1(VALU_DEP_1)
	v_fmac_f32_e32 v12, v13, v10
	v_fma_f32 v5, -v5, v12, v11
	s_delay_alu instid0(VALU_DEP_1) | instskip(NEXT) | instid1(VALU_DEP_1)
	v_div_fmas_f32 v5, v5, v10, v12
	v_div_fixup_f32 v5, v5, v3, v9
	s_delay_alu instid0(VALU_DEP_1) | instskip(SKIP_1) | instid1(VALU_DEP_2)
	v_bfe_u32 v9, v5, 16, 1
	v_cmp_o_f32_e32 vcc_lo, v5, v5
	v_add3_u32 v9, v5, v9, 0x7fff
	s_delay_alu instid0(VALU_DEP_1) | instskip(NEXT) | instid1(VALU_DEP_1)
	v_lshrrev_b32_e32 v9, 16, v9
	v_cndmask_b32_e32 v5, 0x7fc0, v9, vcc_lo
.LBB476_26:
	s_or_b32 exec_lo, exec_lo, s5
	global_store_b16 v[0:1], v5, off offset:256
	;; [unrolled: 33-line block ×7, first 2 shown]
.LBB476_42:
	s_nop 0
	s_sendmsg sendmsg(MSG_DEALLOC_VGPRS)
	s_endpgm
	.section	.rodata,"a",@progbits
	.p2align	6, 0x0
	.amdhsa_kernel _ZN12_GLOBAL__N_120softmax_warp_forwardIN3c108BFloat16ES2_fLi9ELb0ELb0ELi64EEEvPT0_PKT_iiiPKbib
		.amdhsa_group_segment_fixed_size 0
		.amdhsa_private_segment_fixed_size 0
		.amdhsa_kernarg_size 304
		.amdhsa_user_sgpr_count 15
		.amdhsa_user_sgpr_dispatch_ptr 0
		.amdhsa_user_sgpr_queue_ptr 0
		.amdhsa_user_sgpr_kernarg_segment_ptr 1
		.amdhsa_user_sgpr_dispatch_id 0
		.amdhsa_user_sgpr_private_segment_size 0
		.amdhsa_wavefront_size32 1
		.amdhsa_uses_dynamic_stack 0
		.amdhsa_enable_private_segment 0
		.amdhsa_system_sgpr_workgroup_id_x 1
		.amdhsa_system_sgpr_workgroup_id_y 0
		.amdhsa_system_sgpr_workgroup_id_z 0
		.amdhsa_system_sgpr_workgroup_info 0
		.amdhsa_system_vgpr_workitem_id 1
		.amdhsa_next_free_vgpr 41
		.amdhsa_next_free_sgpr 24
		.amdhsa_reserve_vcc 1
		.amdhsa_float_round_mode_32 0
		.amdhsa_float_round_mode_16_64 0
		.amdhsa_float_denorm_mode_32 3
		.amdhsa_float_denorm_mode_16_64 3
		.amdhsa_dx10_clamp 1
		.amdhsa_ieee_mode 1
		.amdhsa_fp16_overflow 0
		.amdhsa_workgroup_processor_mode 1
		.amdhsa_memory_ordered 1
		.amdhsa_forward_progress 0
		.amdhsa_shared_vgpr_count 0
		.amdhsa_exception_fp_ieee_invalid_op 0
		.amdhsa_exception_fp_denorm_src 0
		.amdhsa_exception_fp_ieee_div_zero 0
		.amdhsa_exception_fp_ieee_overflow 0
		.amdhsa_exception_fp_ieee_underflow 0
		.amdhsa_exception_fp_ieee_inexact 0
		.amdhsa_exception_int_div_zero 0
	.end_amdhsa_kernel
	.section	.text._ZN12_GLOBAL__N_120softmax_warp_forwardIN3c108BFloat16ES2_fLi9ELb0ELb0ELi64EEEvPT0_PKT_iiiPKbib,"axG",@progbits,_ZN12_GLOBAL__N_120softmax_warp_forwardIN3c108BFloat16ES2_fLi9ELb0ELb0ELi64EEEvPT0_PKT_iiiPKbib,comdat
.Lfunc_end476:
	.size	_ZN12_GLOBAL__N_120softmax_warp_forwardIN3c108BFloat16ES2_fLi9ELb0ELb0ELi64EEEvPT0_PKT_iiiPKbib, .Lfunc_end476-_ZN12_GLOBAL__N_120softmax_warp_forwardIN3c108BFloat16ES2_fLi9ELb0ELb0ELi64EEEvPT0_PKT_iiiPKbib
                                        ; -- End function
	.section	.AMDGPU.csdata,"",@progbits
; Kernel info:
; codeLenInByte = 3520
; NumSgprs: 26
; NumVgprs: 41
; ScratchSize: 0
; MemoryBound: 0
; FloatMode: 240
; IeeeMode: 1
; LDSByteSize: 0 bytes/workgroup (compile time only)
; SGPRBlocks: 3
; VGPRBlocks: 5
; NumSGPRsForWavesPerEU: 26
; NumVGPRsForWavesPerEU: 41
; Occupancy: 16
; WaveLimiterHint : 0
; COMPUTE_PGM_RSRC2:SCRATCH_EN: 0
; COMPUTE_PGM_RSRC2:USER_SGPR: 15
; COMPUTE_PGM_RSRC2:TRAP_HANDLER: 0
; COMPUTE_PGM_RSRC2:TGID_X_EN: 1
; COMPUTE_PGM_RSRC2:TGID_Y_EN: 0
; COMPUTE_PGM_RSRC2:TGID_Z_EN: 0
; COMPUTE_PGM_RSRC2:TIDIG_COMP_CNT: 1
	.section	.text._ZN12_GLOBAL__N_120softmax_warp_forwardIN3c108BFloat16ES2_fLi9ELb0ELb0ELi32EEEvPT0_PKT_iiiPKbib,"axG",@progbits,_ZN12_GLOBAL__N_120softmax_warp_forwardIN3c108BFloat16ES2_fLi9ELb0ELb0ELi32EEEvPT0_PKT_iiiPKbib,comdat
	.globl	_ZN12_GLOBAL__N_120softmax_warp_forwardIN3c108BFloat16ES2_fLi9ELb0ELb0ELi32EEEvPT0_PKT_iiiPKbib ; -- Begin function _ZN12_GLOBAL__N_120softmax_warp_forwardIN3c108BFloat16ES2_fLi9ELb0ELb0ELi32EEEvPT0_PKT_iiiPKbib
	.p2align	8
	.type	_ZN12_GLOBAL__N_120softmax_warp_forwardIN3c108BFloat16ES2_fLi9ELb0ELb0ELi32EEEvPT0_PKT_iiiPKbib,@function
_ZN12_GLOBAL__N_120softmax_warp_forwardIN3c108BFloat16ES2_fLi9ELb0ELb0ELi32EEEvPT0_PKT_iiiPKbib: ; @_ZN12_GLOBAL__N_120softmax_warp_forwardIN3c108BFloat16ES2_fLi9ELb0ELb0ELi32EEEvPT0_PKT_iiiPKbib
; %bb.0:
	s_clause 0x1
	s_load_b32 s2, s[0:1], 0x3c
	s_load_b256 s[16:23], s[0:1], 0x0
	v_bfe_u32 v1, v0, 10, 10
	v_mov_b32_e32 v6, 0xff800000
	v_mov_b32_e32 v18, 0xff800000
	s_waitcnt lgkmcnt(0)
	s_lshr_b32 s0, s2, 16
	s_delay_alu instid0(SALU_CYCLE_1) | instskip(SKIP_1) | instid1(VALU_DEP_1)
	v_mad_u64_u32 v[3:4], null, s15, s0, v[1:2]
	v_and_b32_e32 v2, 0x3ff, v0
	v_cmp_gt_i32_e32 vcc_lo, s22, v2
	s_delay_alu instid0(VALU_DEP_3) | instskip(SKIP_1) | instid1(VALU_DEP_1)
	v_mad_u64_u32 v[0:1], null, v3, s21, v[2:3]
	v_sub_nc_u32_e32 v5, s20, v3
	v_cmp_lt_i32_e64 s15, 0, v5
	s_delay_alu instid0(VALU_DEP_3) | instskip(NEXT) | instid1(VALU_DEP_2)
	v_ashrrev_i32_e32 v1, 31, v0
	s_and_b32 s1, s15, vcc_lo
	s_delay_alu instid0(VALU_DEP_1) | instskip(NEXT) | instid1(VALU_DEP_1)
	v_lshlrev_b64 v[0:1], 1, v[0:1]
	v_add_co_u32 v3, s0, s18, v0
	s_delay_alu instid0(VALU_DEP_1)
	v_add_co_ci_u32_e64 v4, s0, s19, v1, s0
	s_and_saveexec_b32 s0, s1
	s_cbranch_execz .LBB477_2
; %bb.1:
	global_load_u16 v7, v[3:4], off
	s_waitcnt vmcnt(0)
	v_lshlrev_b32_e32 v18, 16, v7
.LBB477_2:
	s_or_b32 exec_lo, exec_lo, s0
	v_add_nc_u32_e32 v7, 32, v2
	s_delay_alu instid0(VALU_DEP_1) | instskip(NEXT) | instid1(VALU_DEP_1)
	v_cmp_gt_i32_e64 s14, s22, v7
	s_and_b32 s1, s15, s14
	s_delay_alu instid0(SALU_CYCLE_1)
	s_and_saveexec_b32 s0, s1
	s_cbranch_execz .LBB477_4
; %bb.3:
	global_load_u16 v6, v[3:4], off offset:64
	s_waitcnt vmcnt(0)
	v_lshlrev_b32_e32 v6, 16, v6
.LBB477_4:
	s_or_b32 exec_lo, exec_lo, s0
	v_add_nc_u32_e32 v7, 64, v2
	v_mov_b32_e32 v19, 0xff800000
	s_delay_alu instid0(VALU_DEP_2) | instskip(SKIP_1) | instid1(VALU_DEP_2)
	v_cmp_gt_i32_e64 s13, s22, v7
	v_mov_b32_e32 v7, 0xff800000
	s_and_b32 s1, s15, s13
	s_delay_alu instid0(SALU_CYCLE_1)
	s_and_saveexec_b32 s0, s1
	s_cbranch_execz .LBB477_6
; %bb.5:
	global_load_u16 v8, v[3:4], off offset:128
	s_waitcnt vmcnt(0)
	v_lshlrev_b32_e32 v19, 16, v8
.LBB477_6:
	s_or_b32 exec_lo, exec_lo, s0
	v_add_nc_u32_e32 v8, 0x60, v2
	s_delay_alu instid0(VALU_DEP_1) | instskip(NEXT) | instid1(VALU_DEP_1)
	v_cmp_gt_i32_e64 s12, s22, v8
	s_and_b32 s1, s15, s12
	s_delay_alu instid0(SALU_CYCLE_1)
	s_and_saveexec_b32 s0, s1
	s_cbranch_execz .LBB477_8
; %bb.7:
	global_load_u16 v7, v[3:4], off offset:192
	s_waitcnt vmcnt(0)
	v_lshlrev_b32_e32 v7, 16, v7
.LBB477_8:
	s_or_b32 exec_lo, exec_lo, s0
	v_add_nc_u32_e32 v8, 0x80, v2
	v_dual_mov_b32 v9, 0xff800000 :: v_dual_mov_b32 v20, 0xff800000
	s_delay_alu instid0(VALU_DEP_2) | instskip(NEXT) | instid1(VALU_DEP_1)
	v_cmp_gt_i32_e64 s11, s22, v8
	s_and_b32 s1, s15, s11
	s_delay_alu instid0(SALU_CYCLE_1)
	s_and_saveexec_b32 s0, s1
	s_cbranch_execz .LBB477_10
; %bb.9:
	global_load_u16 v8, v[3:4], off offset:256
	s_waitcnt vmcnt(0)
	v_lshlrev_b32_e32 v20, 16, v8
.LBB477_10:
	s_or_b32 exec_lo, exec_lo, s0
	v_add_nc_u32_e32 v8, 0xa0, v2
	s_delay_alu instid0(VALU_DEP_1) | instskip(NEXT) | instid1(VALU_DEP_1)
	v_cmp_gt_i32_e64 s10, s22, v8
	s_and_b32 s1, s15, s10
	s_delay_alu instid0(SALU_CYCLE_1)
	s_and_saveexec_b32 s0, s1
	s_cbranch_execz .LBB477_12
; %bb.11:
	global_load_u16 v8, v[3:4], off offset:320
	s_waitcnt vmcnt(0)
	v_lshlrev_b32_e32 v9, 16, v8
.LBB477_12:
	s_or_b32 exec_lo, exec_lo, s0
	v_add_nc_u32_e32 v8, 0xc0, v2
	v_mov_b32_e32 v13, 0xff800000
	v_mov_b32_e32 v21, 0xff800000
	s_delay_alu instid0(VALU_DEP_3) | instskip(NEXT) | instid1(VALU_DEP_1)
	v_cmp_gt_i32_e64 s9, s22, v8
	s_and_b32 s1, s15, s9
	s_delay_alu instid0(SALU_CYCLE_1)
	s_and_saveexec_b32 s0, s1
	s_cbranch_execz .LBB477_14
; %bb.13:
	global_load_u16 v8, v[3:4], off offset:384
	s_waitcnt vmcnt(0)
	v_lshlrev_b32_e32 v21, 16, v8
.LBB477_14:
	s_or_b32 exec_lo, exec_lo, s0
	v_add_nc_u32_e32 v8, 0xe0, v2
	s_delay_alu instid0(VALU_DEP_1) | instskip(NEXT) | instid1(VALU_DEP_1)
	v_cmp_gt_i32_e64 s8, s22, v8
	s_and_b32 s1, s15, s8
	s_delay_alu instid0(SALU_CYCLE_1)
	s_and_saveexec_b32 s0, s1
	s_cbranch_execz .LBB477_16
; %bb.15:
	global_load_u16 v8, v[3:4], off offset:448
	s_waitcnt vmcnt(0)
	v_lshlrev_b32_e32 v13, 16, v8
.LBB477_16:
	s_or_b32 exec_lo, exec_lo, s0
	v_add_nc_u32_e32 v8, 0x100, v2
	v_mov_b32_e32 v14, 0xff800000
	v_mov_b32_e32 v22, 0xff800000
	s_delay_alu instid0(VALU_DEP_3) | instskip(NEXT) | instid1(VALU_DEP_1)
	;; [unrolled: 28-line block ×5, first 2 shown]
	v_cmp_gt_i32_e64 s1, s22, v8
	s_and_b32 s18, s15, s1
	s_delay_alu instid0(SALU_CYCLE_1)
	s_and_saveexec_b32 s0, s18
	s_cbranch_execz .LBB477_30
; %bb.29:
	global_load_u16 v8, v[3:4], off offset:896
	s_waitcnt vmcnt(0)
	v_lshlrev_b32_e32 v25, 16, v8
.LBB477_30:
	s_or_b32 exec_lo, exec_lo, s0
	v_add_nc_u32_e32 v2, 0x1e0, v2
	s_delay_alu instid0(VALU_DEP_1) | instskip(NEXT) | instid1(VALU_DEP_1)
	v_cmp_gt_i32_e64 s0, s22, v2
	s_and_b32 s18, s15, s0
	s_delay_alu instid0(SALU_CYCLE_1)
	s_and_saveexec_b32 s15, s18
	s_cbranch_execz .LBB477_32
; %bb.31:
	global_load_u16 v2, v[3:4], off offset:960
	s_waitcnt vmcnt(0)
	v_lshlrev_b32_e32 v17, 16, v2
.LBB477_32:
	s_or_b32 exec_lo, exec_lo, s15
	v_cmp_gt_f32_e64 s15, v18, v6
	v_mbcnt_lo_u32_b32 v4, -1, 0
	s_mov_b32 s18, exec_lo
	s_delay_alu instid0(VALU_DEP_2) | instskip(NEXT) | instid1(VALU_DEP_2)
	v_cndmask_b32_e64 v2, v6, v18, s15
	v_xor_b32_e32 v3, 16, v4
	v_xor_b32_e32 v8, 8, v4
	s_delay_alu instid0(VALU_DEP_3) | instskip(NEXT) | instid1(VALU_DEP_1)
	v_cmp_gt_f32_e64 s15, v2, v19
	v_cndmask_b32_e64 v2, v19, v2, s15
	s_delay_alu instid0(VALU_DEP_1) | instskip(NEXT) | instid1(VALU_DEP_1)
	v_cmp_gt_f32_e64 s15, v2, v7
	v_cndmask_b32_e64 v2, v7, v2, s15
	s_delay_alu instid0(VALU_DEP_1) | instskip(NEXT) | instid1(VALU_DEP_1)
	v_cmp_gt_f32_e64 s15, v2, v20
	v_cndmask_b32_e64 v2, v20, v2, s15
	s_delay_alu instid0(VALU_DEP_1) | instskip(NEXT) | instid1(VALU_DEP_1)
	v_cmp_gt_f32_e64 s15, v2, v9
	v_cndmask_b32_e64 v2, v9, v2, s15
	s_delay_alu instid0(VALU_DEP_1) | instskip(NEXT) | instid1(VALU_DEP_1)
	v_cmp_gt_f32_e64 s15, v2, v21
	v_cndmask_b32_e64 v2, v21, v2, s15
	s_delay_alu instid0(VALU_DEP_1) | instskip(NEXT) | instid1(VALU_DEP_1)
	v_cmp_gt_f32_e64 s15, v2, v13
	v_cndmask_b32_e64 v2, v13, v2, s15
	s_delay_alu instid0(VALU_DEP_1) | instskip(NEXT) | instid1(VALU_DEP_1)
	v_cmp_gt_f32_e64 s15, v2, v22
	v_cndmask_b32_e64 v2, v22, v2, s15
	s_delay_alu instid0(VALU_DEP_1) | instskip(NEXT) | instid1(VALU_DEP_1)
	v_cmp_gt_f32_e64 s15, v2, v14
	v_cndmask_b32_e64 v2, v14, v2, s15
	s_delay_alu instid0(VALU_DEP_1) | instskip(NEXT) | instid1(VALU_DEP_1)
	v_cmp_gt_f32_e64 s15, v2, v23
	v_cndmask_b32_e64 v2, v23, v2, s15
	s_delay_alu instid0(VALU_DEP_1) | instskip(NEXT) | instid1(VALU_DEP_1)
	v_cmp_gt_f32_e64 s15, v2, v15
	v_cndmask_b32_e64 v2, v15, v2, s15
	s_delay_alu instid0(VALU_DEP_1) | instskip(NEXT) | instid1(VALU_DEP_1)
	v_cmp_gt_f32_e64 s15, v2, v24
	v_cndmask_b32_e64 v2, v24, v2, s15
	s_delay_alu instid0(VALU_DEP_1) | instskip(NEXT) | instid1(VALU_DEP_1)
	v_cmp_gt_f32_e64 s15, v2, v16
	v_cndmask_b32_e64 v2, v16, v2, s15
	v_cmp_gt_i32_e64 s15, 32, v3
	s_delay_alu instid0(VALU_DEP_1) | instskip(NEXT) | instid1(VALU_DEP_3)
	v_cndmask_b32_e64 v3, v4, v3, s15
	v_cmp_gt_f32_e64 s15, v2, v25
	s_delay_alu instid0(VALU_DEP_2) | instskip(NEXT) | instid1(VALU_DEP_2)
	v_lshlrev_b32_e32 v3, 2, v3
	v_cndmask_b32_e64 v2, v25, v2, s15
	s_delay_alu instid0(VALU_DEP_1) | instskip(NEXT) | instid1(VALU_DEP_1)
	v_cmp_gt_f32_e64 s15, v2, v17
	v_cndmask_b32_e64 v2, v17, v2, s15
	v_cmp_gt_i32_e64 s15, 32, v8
	ds_bpermute_b32 v10, v3, v2
	v_cndmask_b32_e64 v8, v4, v8, s15
	s_delay_alu instid0(VALU_DEP_1) | instskip(SKIP_2) | instid1(VALU_DEP_1)
	v_lshlrev_b32_e32 v8, 2, v8
	s_waitcnt lgkmcnt(0)
	v_cmp_lt_f32_e64 s15, v2, v10
	v_cndmask_b32_e64 v2, v2, v10, s15
	v_xor_b32_e32 v10, 4, v4
	ds_bpermute_b32 v11, v8, v2
	v_cmp_gt_i32_e64 s15, 32, v10
	s_delay_alu instid0(VALU_DEP_1) | instskip(NEXT) | instid1(VALU_DEP_1)
	v_cndmask_b32_e64 v10, v4, v10, s15
	v_lshlrev_b32_e32 v10, 2, v10
	s_waitcnt lgkmcnt(0)
	v_cmp_lt_f32_e64 s15, v2, v11
	s_delay_alu instid0(VALU_DEP_1) | instskip(SKIP_3) | instid1(VALU_DEP_1)
	v_cndmask_b32_e64 v2, v2, v11, s15
	v_xor_b32_e32 v11, 2, v4
	ds_bpermute_b32 v12, v10, v2
	v_cmp_gt_i32_e64 s15, 32, v11
	v_cndmask_b32_e64 v11, v4, v11, s15
	s_delay_alu instid0(VALU_DEP_1) | instskip(SKIP_2) | instid1(VALU_DEP_1)
	v_lshlrev_b32_e32 v11, 2, v11
	s_waitcnt lgkmcnt(0)
	v_cmp_lt_f32_e64 s15, v2, v12
	v_cndmask_b32_e64 v2, v2, v12, s15
	v_xor_b32_e32 v12, 1, v4
	ds_bpermute_b32 v26, v11, v2
	v_cmp_gt_i32_e64 s15, 32, v12
	s_delay_alu instid0(VALU_DEP_1) | instskip(NEXT) | instid1(VALU_DEP_1)
	v_cndmask_b32_e64 v4, v4, v12, s15
	v_lshlrev_b32_e32 v12, 2, v4
	s_waitcnt lgkmcnt(0)
	v_cmp_lt_f32_e64 s15, v2, v26
	s_delay_alu instid0(VALU_DEP_1) | instskip(SKIP_3) | instid1(VALU_DEP_1)
	v_cndmask_b32_e64 v2, v2, v26, s15
	ds_bpermute_b32 v4, v12, v2
	s_waitcnt lgkmcnt(0)
	v_cmp_lt_f32_e64 s15, v2, v4
	v_cndmask_b32_e64 v4, v2, v4, s15
	s_delay_alu instid0(VALU_DEP_1)
	v_sub_f32_e32 v2, v18, v4
	v_sub_f32_e32 v9, v9, v4
	;; [unrolled: 1-line block ×12, first 2 shown]
	v_dual_sub_f32 v14, v14, v4 :: v_dual_mul_f32 v35, 0x3fb8aa3b, v29
	v_sub_f32_e32 v28, v23, v4
	v_dual_sub_f32 v30, v16, v4 :: v_dual_mul_f32 v39, 0x3fb8aa3b, v31
	v_sub_f32_e32 v24, v24, v4
	v_mul_f32_e32 v4, 0x3fb8aa3b, v2
	v_mul_f32_e32 v15, 0x3fb8aa3b, v6
	s_delay_alu instid0(VALU_DEP_4) | instskip(SKIP_1) | instid1(VALU_DEP_4)
	v_mul_f32_e32 v37, 0x3fb8aa3b, v30
	v_dual_mul_f32 v21, 0x3fb8aa3b, v9 :: v_dual_mul_f32 v16, 0x3fb8aa3b, v18
	v_fma_f32 v40, 0x3fb8aa3b, v2, -v4
	v_rndne_f32_e32 v41, v4
	v_mul_f32_e32 v17, 0x3fb8aa3b, v7
	v_dual_mul_f32 v20, 0x3fb8aa3b, v19 :: v_dual_mul_f32 v23, 0x3fb8aa3b, v13
	v_fma_f32 v42, 0x3fb8aa3b, v6, -v15
	v_rndne_f32_e32 v43, v15
	v_rndne_f32_e32 v51, v21
	v_fmac_f32_e32 v40, 0x32a5705f, v2
	v_dual_sub_f32 v4, v4, v41 :: v_dual_mul_f32 v33, 0x3fb8aa3b, v14
	s_delay_alu instid0(VALU_DEP_4)
	v_dual_mul_f32 v34, 0x3fb8aa3b, v28 :: v_dual_sub_f32 v15, v15, v43
	v_fma_f32 v44, 0x3fb8aa3b, v18, -v16
	v_rndne_f32_e32 v45, v16
	v_fma_f32 v46, 0x3fb8aa3b, v7, -v17
	v_fma_f32 v50, 0x3fb8aa3b, v9, -v21
	v_rndne_f32_e32 v55, v23
	v_dual_fmac_f32 v42, 0x32a5705f, v6 :: v_dual_sub_f32 v21, v21, v51
	v_add_f32_e32 v4, v4, v40
	v_fma_f32 v54, 0x3fb8aa3b, v13, -v23
	s_delay_alu instid0(VALU_DEP_4)
	v_sub_f32_e32 v23, v23, v55
	v_rndne_f32_e32 v59, v33
	v_rndne_f32_e32 v63, v35
	v_fmac_f32_e32 v44, 0x32a5705f, v18
	v_sub_f32_e32 v16, v16, v45
	v_dual_fmac_f32 v46, 0x32a5705f, v7 :: v_dual_add_f32 v15, v15, v42
	v_exp_f32_e32 v4, v4
	v_mul_f32_e32 v22, 0x3fb8aa3b, v26
	v_mul_f32_e32 v32, 0x3fb8aa3b, v27
	v_fma_f32 v58, 0x3fb8aa3b, v14, -v33
	v_fma_f32 v62, 0x3fb8aa3b, v29, -v35
	v_cvt_i32_f32_e32 v41, v41
	v_sub_f32_e32 v33, v33, v59
	v_dual_sub_f32 v35, v35, v63 :: v_dual_add_f32 v16, v16, v44
	v_exp_f32_e32 v15, v15
	v_rndne_f32_e32 v47, v17
	v_fma_f32 v52, 0x3fb8aa3b, v26, -v22
	v_rndne_f32_e32 v53, v22
	v_fma_f32 v56, 0x3fb8aa3b, v27, -v32
	v_rndne_f32_e32 v71, v39
	v_cvt_i32_f32_e32 v43, v43
	v_fmac_f32_e32 v58, 0x32a5705f, v14
	v_fmac_f32_e32 v54, 0x32a5705f, v13
	v_exp_f32_e32 v16, v16
	v_ldexp_f32 v4, v4, v41
	v_cmp_ngt_f32_e64 s15, 0xc2ce8ed0, v2
	v_dual_add_f32 v33, v33, v58 :: v_dual_mul_f32 v36, 0x3fb8aa3b, v24
	v_dual_sub_f32 v17, v17, v47 :: v_dual_mul_f32 v38, 0x3fb8aa3b, v25
	v_fma_f32 v48, 0x3fb8aa3b, v19, -v20
	v_fma_f32 v70, 0x3fb8aa3b, v31, -v39
	v_cvt_i32_f32_e32 v45, v45
	v_dual_fmac_f32 v50, 0x32a5705f, v9 :: v_dual_sub_f32 v39, v39, v71
	v_fmac_f32_e32 v52, 0x32a5705f, v26
	v_sub_f32_e32 v22, v22, v53
	v_dual_fmac_f32 v56, 0x32a5705f, v27 :: v_dual_add_f32 v23, v23, v54
	v_ldexp_f32 v15, v15, v43
	v_cndmask_b32_e64 v4, 0, v4, s15
	v_cmp_ngt_f32_e64 s15, 0xc2ce8ed0, v6
	v_rndne_f32_e32 v49, v20
	v_dual_fmac_f32 v48, 0x32a5705f, v19 :: v_dual_add_f32 v17, v17, v46
	v_dual_add_f32 v21, v21, v50 :: v_dual_add_f32 v22, v22, v52
	v_exp_f32_e32 v23, v23
	v_ldexp_f32 v16, v16, v45
	v_cndmask_b32_e64 v15, 0, v15, s15
	v_cmp_ngt_f32_e64 s15, 0xc2ce8ed0, v18
	v_rndne_f32_e32 v67, v37
	v_sub_f32_e32 v20, v20, v49
	v_cvt_i32_f32_e32 v55, v55
	v_exp_f32_e32 v17, v17
	v_exp_f32_e32 v22, v22
	v_cndmask_b32_e64 v16, 0, v16, s15
	v_cmp_nlt_f32_e64 s15, 0x42b17218, v2
	v_fma_f32 v66, 0x3fb8aa3b, v30, -v37
	v_sub_f32_e32 v37, v37, v67
	v_cvt_i32_f32_e32 v47, v47
	v_cvt_i32_f32_e32 v53, v53
	v_add_f32_e32 v20, v20, v48
	v_ldexp_f32 v42, v23, v55
	v_cndmask_b32_e64 v23, 0x7f800000, v4, s15
	v_cmp_nlt_f32_e64 s15, 0x42b17218, v6
	v_exp_f32_e32 v21, v21
	v_exp_f32_e32 v20, v20
	v_ldexp_f32 v17, v17, v47
	v_ldexp_f32 v41, v22, v53
	v_cndmask_b32_e64 v22, 0x7f800000, v15, s15
	v_cmp_ngt_f32_e64 s15, 0xc2ce8ed0, v7
	v_cvt_i32_f32_e32 v49, v49
	v_cvt_i32_f32_e32 v51, v51
	v_rndne_f32_e32 v57, v32
	v_add_f32_e32 v4, v23, v22
	v_cndmask_b32_e64 v2, 0, v17, s15
	v_cmp_nlt_f32_e64 s15, 0x42b17218, v18
	v_ldexp_f32 v20, v20, v49
	v_ldexp_f32 v40, v21, v51
	v_fmac_f32_e32 v62, 0x32a5705f, v29
	v_sub_f32_e32 v32, v32, v57
	v_cndmask_b32_e64 v21, 0x7f800000, v16, s15
	v_cmp_ngt_f32_e64 s15, 0xc2ce8ed0, v19
	v_fma_f32 v60, 0x3fb8aa3b, v28, -v34
	s_delay_alu instid0(VALU_DEP_4) | instskip(SKIP_1) | instid1(VALU_DEP_4)
	v_dual_add_f32 v35, v35, v62 :: v_dual_add_f32 v32, v32, v56
	v_rndne_f32_e32 v61, v34
	v_cndmask_b32_e64 v6, 0, v20, s15
	v_cmp_nlt_f32_e64 s15, 0x42b17218, v7
	v_cvt_i32_f32_e32 v57, v57
	v_exp_f32_e32 v32, v32
	v_fmac_f32_e32 v66, 0x32a5705f, v30
	v_fmac_f32_e32 v60, 0x32a5705f, v28
	v_cndmask_b32_e64 v20, 0x7f800000, v2, s15
	v_cmp_ngt_f32_e64 s15, 0xc2ce8ed0, v9
	s_delay_alu instid0(VALU_DEP_4) | instskip(SKIP_2) | instid1(VALU_DEP_4)
	v_dual_add_f32 v2, v4, v21 :: v_dual_add_f32 v37, v37, v66
	v_fmac_f32_e32 v70, 0x32a5705f, v31
	v_sub_f32_e32 v34, v34, v61
	v_cndmask_b32_e64 v4, 0, v40, s15
	v_cmp_nlt_f32_e64 s15, 0x42b17218, v19
	v_exp_f32_e32 v33, v33
	v_add_f32_e32 v39, v39, v70
	v_ldexp_f32 v32, v32, v57
	v_cvt_i32_f32_e32 v59, v59
	v_cndmask_b32_e64 v19, 0x7f800000, v6, s15
	v_cmp_ngt_f32_e64 s15, 0xc2ce8ed0, v26
	v_add_f32_e32 v34, v34, v60
	v_fma_f32 v64, 0x3fb8aa3b, v24, -v36
	v_rndne_f32_e32 v65, v36
	v_cvt_i32_f32_e32 v61, v61
	v_cndmask_b32_e64 v6, 0, v41, s15
	v_cmp_nlt_f32_e64 s15, 0x42b17218, v9
	v_exp_f32_e32 v34, v34
	v_ldexp_f32 v33, v33, v59
	v_fmac_f32_e32 v64, 0x32a5705f, v24
	v_sub_f32_e32 v36, v36, v65
	v_cndmask_b32_e64 v18, 0x7f800000, v4, s15
	v_cmp_ngt_f32_e64 s15, 0xc2ce8ed0, v13
	v_exp_f32_e32 v35, v35
	v_cvt_i32_f32_e32 v63, v63
	v_add_f32_e32 v36, v36, v64
	v_add_f32_e32 v2, v2, v20
	v_cndmask_b32_e64 v4, 0, v42, s15
	v_cmp_nlt_f32_e64 s15, 0x42b17218, v26
	v_ldexp_f32 v34, v34, v61
	v_exp_f32_e32 v36, v36
	v_fma_f32 v68, 0x3fb8aa3b, v25, -v38
	v_rndne_f32_e32 v69, v38
	v_cndmask_b32_e64 v17, 0x7f800000, v6, s15
	v_cmp_ngt_f32_e64 s15, 0xc2ce8ed0, v27
	v_ldexp_f32 v35, v35, v63
	v_cvt_i32_f32_e32 v65, v65
	v_add_f32_e32 v2, v2, v19
	v_fmac_f32_e32 v68, 0x32a5705f, v25
	v_cndmask_b32_e64 v6, 0, v32, s15
	v_cmp_nlt_f32_e64 s15, 0x42b17218, v13
	v_sub_f32_e32 v38, v38, v69
	v_exp_f32_e32 v37, v37
	v_ldexp_f32 v36, v36, v65
	v_add_f32_e32 v2, v2, v18
	v_cndmask_b32_e64 v16, 0x7f800000, v4, s15
	v_cmp_ngt_f32_e64 s15, 0xc2ce8ed0, v14
	v_cvt_i32_f32_e32 v67, v67
	v_add_f32_e32 v38, v38, v68
	v_add_f32_e32 v2, v2, v17
	v_cvt_i32_f32_e32 v69, v69
	v_cndmask_b32_e64 v4, 0, v33, s15
	v_cmp_nlt_f32_e64 s15, 0x42b17218, v27
	v_exp_f32_e32 v38, v38
	v_ldexp_f32 v37, v37, v67
	v_add_f32_e32 v2, v2, v16
	v_exp_f32_e32 v39, v39
	v_cndmask_b32_e64 v15, 0x7f800000, v6, s15
	v_cmp_ngt_f32_e64 s15, 0xc2ce8ed0, v28
	v_cvt_i32_f32_e32 v71, v71
	s_delay_alu instid0(VALU_DEP_3) | instskip(NEXT) | instid1(VALU_DEP_3)
	v_add_f32_e32 v2, v2, v15
	v_cndmask_b32_e64 v6, 0, v34, s15
	v_cmp_nlt_f32_e64 s15, 0x42b17218, v14
	v_ldexp_f32 v38, v38, v69
	s_delay_alu instid0(TRANS32_DEP_1) | instskip(NEXT) | instid1(VALU_DEP_3)
	v_ldexp_f32 v26, v39, v71
	v_cndmask_b32_e64 v14, 0x7f800000, v4, s15
	v_cmp_ngt_f32_e64 s15, 0xc2ce8ed0, v29
	s_delay_alu instid0(VALU_DEP_2) | instskip(NEXT) | instid1(VALU_DEP_2)
	v_add_f32_e32 v2, v2, v14
	v_cndmask_b32_e64 v4, 0, v35, s15
	v_cmp_nlt_f32_e64 s15, 0x42b17218, v28
	s_delay_alu instid0(VALU_DEP_1) | instskip(SKIP_1) | instid1(VALU_DEP_2)
	v_cndmask_b32_e64 v13, 0x7f800000, v6, s15
	v_cmp_ngt_f32_e64 s15, 0xc2ce8ed0, v24
	v_add_f32_e32 v2, v2, v13
	s_delay_alu instid0(VALU_DEP_2) | instskip(SKIP_1) | instid1(VALU_DEP_1)
	v_cndmask_b32_e64 v6, 0, v36, s15
	v_cmp_nlt_f32_e64 s15, 0x42b17218, v29
	v_cndmask_b32_e64 v9, 0x7f800000, v4, s15
	v_cmp_ngt_f32_e64 s15, 0xc2ce8ed0, v30
	s_delay_alu instid0(VALU_DEP_2) | instskip(NEXT) | instid1(VALU_DEP_2)
	v_add_f32_e32 v2, v2, v9
	v_cndmask_b32_e64 v4, 0, v37, s15
	v_cmp_nlt_f32_e64 s15, 0x42b17218, v24
	s_delay_alu instid0(VALU_DEP_1) | instskip(SKIP_1) | instid1(VALU_DEP_2)
	v_cndmask_b32_e64 v7, 0x7f800000, v6, s15
	v_cmp_ngt_f32_e64 s15, 0xc2ce8ed0, v25
	v_add_f32_e32 v2, v2, v7
	s_delay_alu instid0(VALU_DEP_2) | instskip(SKIP_1) | instid1(VALU_DEP_1)
	v_cndmask_b32_e64 v24, 0, v38, s15
	v_cmp_nlt_f32_e64 s15, 0x42b17218, v30
	v_cndmask_b32_e64 v6, 0x7f800000, v4, s15
	v_cmp_nlt_f32_e64 s15, 0x42b17218, v25
	s_delay_alu instid0(VALU_DEP_2) | instskip(NEXT) | instid1(VALU_DEP_2)
	v_add_f32_e32 v2, v2, v6
	v_cndmask_b32_e64 v4, 0x7f800000, v24, s15
	v_cmp_ngt_f32_e64 s15, 0xc2ce8ed0, v31
	s_delay_alu instid0(VALU_DEP_2) | instskip(NEXT) | instid1(VALU_DEP_2)
	v_add_f32_e32 v25, v2, v4
	v_cndmask_b32_e64 v24, 0, v26, s15
	v_cmp_nlt_f32_e64 s15, 0x42b17218, v31
	s_delay_alu instid0(VALU_DEP_1) | instskip(NEXT) | instid1(VALU_DEP_1)
	v_cndmask_b32_e64 v2, 0x7f800000, v24, s15
	v_add_f32_e32 v24, v25, v2
	ds_bpermute_b32 v3, v3, v24
	s_waitcnt lgkmcnt(0)
	v_add_f32_e32 v3, v24, v3
	ds_bpermute_b32 v8, v8, v3
	s_waitcnt lgkmcnt(0)
	;; [unrolled: 3-line block ×4, first 2 shown]
	v_add_f32_e32 v3, v3, v8
	ds_bpermute_b32 v8, v12, v3
	v_cmpx_lt_i32_e32 0, v5
	s_cbranch_execz .LBB477_82
; %bb.33:
	s_and_b32 exec_lo, exec_lo, vcc_lo
	s_cbranch_execz .LBB477_82
; %bb.34:
	s_waitcnt lgkmcnt(0)
	v_add_f32_e32 v3, v3, v8
	v_mov_b32_e32 v5, 0x7fc0
	s_delay_alu instid0(VALU_DEP_2) | instskip(NEXT) | instid1(VALU_DEP_1)
	v_cmp_neq_f32_e64 s15, 0, v3
	s_and_saveexec_b32 s18, s15
	s_cbranch_execz .LBB477_36
; %bb.35:
	v_div_scale_f32 v5, null, v3, v3, v23
	s_delay_alu instid0(VALU_DEP_1) | instskip(SKIP_2) | instid1(VALU_DEP_1)
	v_rcp_f32_e32 v8, v5
	s_waitcnt_depctr 0xfff
	v_fma_f32 v10, -v5, v8, 1.0
	v_fmac_f32_e32 v8, v10, v8
	v_div_scale_f32 v10, vcc_lo, v23, v3, v23
	s_delay_alu instid0(VALU_DEP_1) | instskip(NEXT) | instid1(VALU_DEP_1)
	v_mul_f32_e32 v11, v10, v8
	v_fma_f32 v12, -v5, v11, v10
	s_delay_alu instid0(VALU_DEP_1) | instskip(NEXT) | instid1(VALU_DEP_1)
	v_fmac_f32_e32 v11, v12, v8
	v_fma_f32 v5, -v5, v11, v10
	s_delay_alu instid0(VALU_DEP_1) | instskip(NEXT) | instid1(VALU_DEP_1)
	v_div_fmas_f32 v5, v5, v8, v11
	v_div_fixup_f32 v5, v5, v3, v23
	s_delay_alu instid0(VALU_DEP_1) | instskip(SKIP_1) | instid1(VALU_DEP_2)
	v_bfe_u32 v8, v5, 16, 1
	v_cmp_o_f32_e32 vcc_lo, v5, v5
	v_add3_u32 v8, v5, v8, 0x7fff
	s_delay_alu instid0(VALU_DEP_1) | instskip(NEXT) | instid1(VALU_DEP_1)
	v_lshrrev_b32_e32 v8, 16, v8
	v_cndmask_b32_e32 v5, 0x7fc0, v8, vcc_lo
.LBB477_36:
	s_or_b32 exec_lo, exec_lo, s18
	v_add_co_u32 v0, vcc_lo, s16, v0
	v_add_co_ci_u32_e32 v1, vcc_lo, s17, v1, vcc_lo
	global_store_b16 v[0:1], v5, off
	s_and_b32 exec_lo, exec_lo, s14
	s_cbranch_execz .LBB477_82
; %bb.37:
	v_mov_b32_e32 v5, 0x7fc0
	s_and_saveexec_b32 s14, s15
	s_cbranch_execz .LBB477_39
; %bb.38:
	v_div_scale_f32 v5, null, v3, v3, v22
	s_delay_alu instid0(VALU_DEP_1) | instskip(SKIP_2) | instid1(VALU_DEP_1)
	v_rcp_f32_e32 v8, v5
	s_waitcnt_depctr 0xfff
	v_fma_f32 v10, -v5, v8, 1.0
	v_fmac_f32_e32 v8, v10, v8
	v_div_scale_f32 v10, vcc_lo, v22, v3, v22
	s_delay_alu instid0(VALU_DEP_1) | instskip(NEXT) | instid1(VALU_DEP_1)
	v_mul_f32_e32 v11, v10, v8
	v_fma_f32 v12, -v5, v11, v10
	s_delay_alu instid0(VALU_DEP_1) | instskip(NEXT) | instid1(VALU_DEP_1)
	v_fmac_f32_e32 v11, v12, v8
	v_fma_f32 v5, -v5, v11, v10
	s_delay_alu instid0(VALU_DEP_1) | instskip(NEXT) | instid1(VALU_DEP_1)
	v_div_fmas_f32 v5, v5, v8, v11
	v_div_fixup_f32 v5, v5, v3, v22
	s_delay_alu instid0(VALU_DEP_1) | instskip(SKIP_1) | instid1(VALU_DEP_2)
	v_bfe_u32 v8, v5, 16, 1
	v_cmp_o_f32_e32 vcc_lo, v5, v5
	v_add3_u32 v8, v5, v8, 0x7fff
	s_delay_alu instid0(VALU_DEP_1) | instskip(NEXT) | instid1(VALU_DEP_1)
	v_lshrrev_b32_e32 v8, 16, v8
	v_cndmask_b32_e32 v5, 0x7fc0, v8, vcc_lo
.LBB477_39:
	s_or_b32 exec_lo, exec_lo, s14
	global_store_b16 v[0:1], v5, off offset:64
	s_and_b32 exec_lo, exec_lo, s13
	s_cbranch_execz .LBB477_82
; %bb.40:
	v_mov_b32_e32 v5, 0x7fc0
	s_and_saveexec_b32 s13, s15
	s_cbranch_execz .LBB477_42
; %bb.41:
	v_div_scale_f32 v5, null, v3, v3, v21
	s_delay_alu instid0(VALU_DEP_1) | instskip(SKIP_2) | instid1(VALU_DEP_1)
	v_rcp_f32_e32 v8, v5
	s_waitcnt_depctr 0xfff
	v_fma_f32 v10, -v5, v8, 1.0
	v_fmac_f32_e32 v8, v10, v8
	v_div_scale_f32 v10, vcc_lo, v21, v3, v21
	s_delay_alu instid0(VALU_DEP_1) | instskip(NEXT) | instid1(VALU_DEP_1)
	v_mul_f32_e32 v11, v10, v8
	v_fma_f32 v12, -v5, v11, v10
	s_delay_alu instid0(VALU_DEP_1) | instskip(NEXT) | instid1(VALU_DEP_1)
	v_fmac_f32_e32 v11, v12, v8
	v_fma_f32 v5, -v5, v11, v10
	s_delay_alu instid0(VALU_DEP_1) | instskip(NEXT) | instid1(VALU_DEP_1)
	v_div_fmas_f32 v5, v5, v8, v11
	v_div_fixup_f32 v5, v5, v3, v21
	s_delay_alu instid0(VALU_DEP_1) | instskip(SKIP_1) | instid1(VALU_DEP_2)
	v_bfe_u32 v8, v5, 16, 1
	v_cmp_o_f32_e32 vcc_lo, v5, v5
	v_add3_u32 v8, v5, v8, 0x7fff
	s_delay_alu instid0(VALU_DEP_1) | instskip(NEXT) | instid1(VALU_DEP_1)
	v_lshrrev_b32_e32 v8, 16, v8
	v_cndmask_b32_e32 v5, 0x7fc0, v8, vcc_lo
.LBB477_42:
	s_or_b32 exec_lo, exec_lo, s13
	global_store_b16 v[0:1], v5, off offset:128
	;; [unrolled: 33-line block ×15, first 2 shown]
.LBB477_82:
	s_nop 0
	s_sendmsg sendmsg(MSG_DEALLOC_VGPRS)
	s_endpgm
	.section	.rodata,"a",@progbits
	.p2align	6, 0x0
	.amdhsa_kernel _ZN12_GLOBAL__N_120softmax_warp_forwardIN3c108BFloat16ES2_fLi9ELb0ELb0ELi32EEEvPT0_PKT_iiiPKbib
		.amdhsa_group_segment_fixed_size 0
		.amdhsa_private_segment_fixed_size 0
		.amdhsa_kernarg_size 304
		.amdhsa_user_sgpr_count 15
		.amdhsa_user_sgpr_dispatch_ptr 0
		.amdhsa_user_sgpr_queue_ptr 0
		.amdhsa_user_sgpr_kernarg_segment_ptr 1
		.amdhsa_user_sgpr_dispatch_id 0
		.amdhsa_user_sgpr_private_segment_size 0
		.amdhsa_wavefront_size32 1
		.amdhsa_uses_dynamic_stack 0
		.amdhsa_enable_private_segment 0
		.amdhsa_system_sgpr_workgroup_id_x 1
		.amdhsa_system_sgpr_workgroup_id_y 0
		.amdhsa_system_sgpr_workgroup_id_z 0
		.amdhsa_system_sgpr_workgroup_info 0
		.amdhsa_system_vgpr_workitem_id 1
		.amdhsa_next_free_vgpr 72
		.amdhsa_next_free_sgpr 24
		.amdhsa_reserve_vcc 1
		.amdhsa_float_round_mode_32 0
		.amdhsa_float_round_mode_16_64 0
		.amdhsa_float_denorm_mode_32 3
		.amdhsa_float_denorm_mode_16_64 3
		.amdhsa_dx10_clamp 1
		.amdhsa_ieee_mode 1
		.amdhsa_fp16_overflow 0
		.amdhsa_workgroup_processor_mode 1
		.amdhsa_memory_ordered 1
		.amdhsa_forward_progress 0
		.amdhsa_shared_vgpr_count 0
		.amdhsa_exception_fp_ieee_invalid_op 0
		.amdhsa_exception_fp_denorm_src 0
		.amdhsa_exception_fp_ieee_div_zero 0
		.amdhsa_exception_fp_ieee_overflow 0
		.amdhsa_exception_fp_ieee_underflow 0
		.amdhsa_exception_fp_ieee_inexact 0
		.amdhsa_exception_int_div_zero 0
	.end_amdhsa_kernel
	.section	.text._ZN12_GLOBAL__N_120softmax_warp_forwardIN3c108BFloat16ES2_fLi9ELb0ELb0ELi32EEEvPT0_PKT_iiiPKbib,"axG",@progbits,_ZN12_GLOBAL__N_120softmax_warp_forwardIN3c108BFloat16ES2_fLi9ELb0ELb0ELi32EEEvPT0_PKT_iiiPKbib,comdat
.Lfunc_end477:
	.size	_ZN12_GLOBAL__N_120softmax_warp_forwardIN3c108BFloat16ES2_fLi9ELb0ELb0ELi32EEEvPT0_PKT_iiiPKbib, .Lfunc_end477-_ZN12_GLOBAL__N_120softmax_warp_forwardIN3c108BFloat16ES2_fLi9ELb0ELb0ELi32EEEvPT0_PKT_iiiPKbib
                                        ; -- End function
	.section	.AMDGPU.csdata,"",@progbits
; Kernel info:
; codeLenInByte = 6372
; NumSgprs: 26
; NumVgprs: 72
; ScratchSize: 0
; MemoryBound: 0
; FloatMode: 240
; IeeeMode: 1
; LDSByteSize: 0 bytes/workgroup (compile time only)
; SGPRBlocks: 3
; VGPRBlocks: 8
; NumSGPRsForWavesPerEU: 26
; NumVGPRsForWavesPerEU: 72
; Occupancy: 16
; WaveLimiterHint : 0
; COMPUTE_PGM_RSRC2:SCRATCH_EN: 0
; COMPUTE_PGM_RSRC2:USER_SGPR: 15
; COMPUTE_PGM_RSRC2:TRAP_HANDLER: 0
; COMPUTE_PGM_RSRC2:TGID_X_EN: 1
; COMPUTE_PGM_RSRC2:TGID_Y_EN: 0
; COMPUTE_PGM_RSRC2:TGID_Z_EN: 0
; COMPUTE_PGM_RSRC2:TIDIG_COMP_CNT: 1
	.section	.text._ZN12_GLOBAL__N_120softmax_warp_forwardIN3c108BFloat16ES2_fLi10ELb0ELb0ELi64EEEvPT0_PKT_iiiPKbib,"axG",@progbits,_ZN12_GLOBAL__N_120softmax_warp_forwardIN3c108BFloat16ES2_fLi10ELb0ELb0ELi64EEEvPT0_PKT_iiiPKbib,comdat
	.globl	_ZN12_GLOBAL__N_120softmax_warp_forwardIN3c108BFloat16ES2_fLi10ELb0ELb0ELi64EEEvPT0_PKT_iiiPKbib ; -- Begin function _ZN12_GLOBAL__N_120softmax_warp_forwardIN3c108BFloat16ES2_fLi10ELb0ELb0ELi64EEEvPT0_PKT_iiiPKbib
	.p2align	8
	.type	_ZN12_GLOBAL__N_120softmax_warp_forwardIN3c108BFloat16ES2_fLi10ELb0ELb0ELi64EEEvPT0_PKT_iiiPKbib,@function
_ZN12_GLOBAL__N_120softmax_warp_forwardIN3c108BFloat16ES2_fLi10ELb0ELb0ELi64EEEvPT0_PKT_iiiPKbib: ; @_ZN12_GLOBAL__N_120softmax_warp_forwardIN3c108BFloat16ES2_fLi10ELb0ELb0ELi64EEEvPT0_PKT_iiiPKbib
; %bb.0:
	s_clause 0x1
	s_load_b32 s2, s[0:1], 0x3c
	s_load_b256 s[16:23], s[0:1], 0x0
	v_bfe_u32 v1, v0, 10, 10
	v_dual_mov_b32 v6, 0xff800000 :: v_dual_mov_b32 v19, 0xff800000
	s_waitcnt lgkmcnt(0)
	s_lshr_b32 s0, s2, 16
	s_delay_alu instid0(VALU_DEP_2) | instid1(SALU_CYCLE_1)
	v_mad_u64_u32 v[3:4], null, s15, s0, v[1:2]
	v_and_b32_e32 v2, 0x3ff, v0
	s_delay_alu instid0(VALU_DEP_1) | instskip(NEXT) | instid1(VALU_DEP_3)
	v_cmp_gt_i32_e32 vcc_lo, s22, v2
	v_mad_u64_u32 v[0:1], null, v3, s21, v[2:3]
	v_sub_nc_u32_e32 v5, s20, v3
	s_delay_alu instid0(VALU_DEP_1) | instskip(NEXT) | instid1(VALU_DEP_3)
	v_cmp_lt_i32_e64 s15, 0, v5
	v_ashrrev_i32_e32 v1, 31, v0
	s_delay_alu instid0(VALU_DEP_2) | instskip(NEXT) | instid1(VALU_DEP_1)
	s_and_b32 s1, s15, vcc_lo
	v_lshlrev_b64 v[0:1], 1, v[0:1]
	s_delay_alu instid0(VALU_DEP_1) | instskip(NEXT) | instid1(VALU_DEP_1)
	v_add_co_u32 v3, s0, s18, v0
	v_add_co_ci_u32_e64 v4, s0, s19, v1, s0
	s_and_saveexec_b32 s0, s1
	s_cbranch_execz .LBB478_2
; %bb.1:
	global_load_u16 v7, v[3:4], off
	s_waitcnt vmcnt(0)
	v_lshlrev_b32_e32 v19, 16, v7
.LBB478_2:
	s_or_b32 exec_lo, exec_lo, s0
	v_add_nc_u32_e32 v7, 64, v2
	s_delay_alu instid0(VALU_DEP_1) | instskip(NEXT) | instid1(VALU_DEP_1)
	v_cmp_gt_i32_e64 s14, s22, v7
	s_and_b32 s1, s15, s14
	s_delay_alu instid0(SALU_CYCLE_1)
	s_and_saveexec_b32 s0, s1
	s_cbranch_execz .LBB478_4
; %bb.3:
	global_load_u16 v6, v[3:4], off offset:128
	s_waitcnt vmcnt(0)
	v_lshlrev_b32_e32 v6, 16, v6
.LBB478_4:
	s_or_b32 exec_lo, exec_lo, s0
	v_add_nc_u32_e32 v7, 0x80, v2
	v_mov_b32_e32 v20, 0xff800000
	s_delay_alu instid0(VALU_DEP_2) | instskip(SKIP_1) | instid1(VALU_DEP_2)
	v_cmp_gt_i32_e64 s13, s22, v7
	v_mov_b32_e32 v7, 0xff800000
	s_and_b32 s1, s15, s13
	s_delay_alu instid0(SALU_CYCLE_1)
	s_and_saveexec_b32 s0, s1
	s_cbranch_execz .LBB478_6
; %bb.5:
	global_load_u16 v8, v[3:4], off offset:256
	s_waitcnt vmcnt(0)
	v_lshlrev_b32_e32 v20, 16, v8
.LBB478_6:
	s_or_b32 exec_lo, exec_lo, s0
	v_add_nc_u32_e32 v8, 0xc0, v2
	s_delay_alu instid0(VALU_DEP_1) | instskip(NEXT) | instid1(VALU_DEP_1)
	v_cmp_gt_i32_e64 s12, s22, v8
	s_and_b32 s1, s15, s12
	s_delay_alu instid0(SALU_CYCLE_1)
	s_and_saveexec_b32 s0, s1
	s_cbranch_execz .LBB478_8
; %bb.7:
	global_load_u16 v7, v[3:4], off offset:384
	s_waitcnt vmcnt(0)
	v_lshlrev_b32_e32 v7, 16, v7
.LBB478_8:
	s_or_b32 exec_lo, exec_lo, s0
	v_add_nc_u32_e32 v8, 0x100, v2
	v_dual_mov_b32 v10, 0xff800000 :: v_dual_mov_b32 v21, 0xff800000
	s_delay_alu instid0(VALU_DEP_2) | instskip(NEXT) | instid1(VALU_DEP_1)
	v_cmp_gt_i32_e64 s11, s22, v8
	s_and_b32 s1, s15, s11
	s_delay_alu instid0(SALU_CYCLE_1)
	s_and_saveexec_b32 s0, s1
	s_cbranch_execz .LBB478_10
; %bb.9:
	global_load_u16 v8, v[3:4], off offset:512
	s_waitcnt vmcnt(0)
	v_lshlrev_b32_e32 v21, 16, v8
.LBB478_10:
	s_or_b32 exec_lo, exec_lo, s0
	v_add_nc_u32_e32 v8, 0x140, v2
	s_delay_alu instid0(VALU_DEP_1) | instskip(NEXT) | instid1(VALU_DEP_1)
	v_cmp_gt_i32_e64 s10, s22, v8
	s_and_b32 s1, s15, s10
	s_delay_alu instid0(SALU_CYCLE_1)
	s_and_saveexec_b32 s0, s1
	s_cbranch_execz .LBB478_12
; %bb.11:
	global_load_u16 v8, v[3:4], off offset:640
	s_waitcnt vmcnt(0)
	v_lshlrev_b32_e32 v10, 16, v8
.LBB478_12:
	s_or_b32 exec_lo, exec_lo, s0
	v_add_nc_u32_e32 v8, 0x180, v2
	v_mov_b32_e32 v14, 0xff800000
	v_mov_b32_e32 v22, 0xff800000
	s_delay_alu instid0(VALU_DEP_3) | instskip(NEXT) | instid1(VALU_DEP_1)
	v_cmp_gt_i32_e64 s9, s22, v8
	s_and_b32 s1, s15, s9
	s_delay_alu instid0(SALU_CYCLE_1)
	s_and_saveexec_b32 s0, s1
	s_cbranch_execz .LBB478_14
; %bb.13:
	global_load_u16 v8, v[3:4], off offset:768
	s_waitcnt vmcnt(0)
	v_lshlrev_b32_e32 v22, 16, v8
.LBB478_14:
	s_or_b32 exec_lo, exec_lo, s0
	v_add_nc_u32_e32 v8, 0x1c0, v2
	s_delay_alu instid0(VALU_DEP_1) | instskip(NEXT) | instid1(VALU_DEP_1)
	v_cmp_gt_i32_e64 s8, s22, v8
	s_and_b32 s1, s15, s8
	s_delay_alu instid0(SALU_CYCLE_1)
	s_and_saveexec_b32 s0, s1
	s_cbranch_execz .LBB478_16
; %bb.15:
	global_load_u16 v8, v[3:4], off offset:896
	s_waitcnt vmcnt(0)
	v_lshlrev_b32_e32 v14, 16, v8
.LBB478_16:
	s_or_b32 exec_lo, exec_lo, s0
	v_add_nc_u32_e32 v8, 0x200, v2
	v_mov_b32_e32 v15, 0xff800000
	v_mov_b32_e32 v23, 0xff800000
	s_delay_alu instid0(VALU_DEP_3) | instskip(NEXT) | instid1(VALU_DEP_1)
	;; [unrolled: 28-line block ×5, first 2 shown]
	v_cmp_gt_i32_e64 s1, s22, v8
	s_and_b32 s18, s15, s1
	s_delay_alu instid0(SALU_CYCLE_1)
	s_and_saveexec_b32 s0, s18
	s_cbranch_execz .LBB478_30
; %bb.29:
	global_load_u16 v8, v[3:4], off offset:1792
	s_waitcnt vmcnt(0)
	v_lshlrev_b32_e32 v26, 16, v8
.LBB478_30:
	s_or_b32 exec_lo, exec_lo, s0
	v_add_nc_u32_e32 v2, 0x3c0, v2
	s_delay_alu instid0(VALU_DEP_1) | instskip(NEXT) | instid1(VALU_DEP_1)
	v_cmp_gt_i32_e64 s0, s22, v2
	s_and_b32 s18, s15, s0
	s_delay_alu instid0(SALU_CYCLE_1)
	s_and_saveexec_b32 s15, s18
	s_cbranch_execz .LBB478_32
; %bb.31:
	global_load_u16 v2, v[3:4], off offset:1920
	s_waitcnt vmcnt(0)
	v_lshlrev_b32_e32 v18, 16, v2
.LBB478_32:
	s_or_b32 exec_lo, exec_lo, s15
	v_cmp_gt_f32_e64 s15, v19, v6
	v_mbcnt_lo_u32_b32 v4, -1, 0
	s_mov_b32 s18, exec_lo
	s_delay_alu instid0(VALU_DEP_2) | instskip(NEXT) | instid1(VALU_DEP_2)
	v_cndmask_b32_e64 v2, v6, v19, s15
	v_or_b32_e32 v3, 32, v4
	v_xor_b32_e32 v8, 16, v4
	s_delay_alu instid0(VALU_DEP_3) | instskip(NEXT) | instid1(VALU_DEP_1)
	v_cmp_gt_f32_e64 s15, v2, v20
	v_cndmask_b32_e64 v2, v20, v2, s15
	s_delay_alu instid0(VALU_DEP_1) | instskip(NEXT) | instid1(VALU_DEP_1)
	v_cmp_gt_f32_e64 s15, v2, v7
	v_cndmask_b32_e64 v2, v7, v2, s15
	s_delay_alu instid0(VALU_DEP_1) | instskip(NEXT) | instid1(VALU_DEP_1)
	;; [unrolled: 3-line block ×11, first 2 shown]
	v_cmp_gt_f32_e64 s15, v2, v17
	v_cndmask_b32_e64 v2, v17, v2, s15
	v_cmp_gt_i32_e64 s15, 64, v3
	s_delay_alu instid0(VALU_DEP_1) | instskip(NEXT) | instid1(VALU_DEP_3)
	v_cndmask_b32_e64 v3, v4, v3, s15
	v_cmp_gt_f32_e64 s15, v2, v26
	s_delay_alu instid0(VALU_DEP_2) | instskip(NEXT) | instid1(VALU_DEP_2)
	v_lshlrev_b32_e32 v3, 2, v3
	v_cndmask_b32_e64 v2, v26, v2, s15
	s_delay_alu instid0(VALU_DEP_1) | instskip(NEXT) | instid1(VALU_DEP_1)
	v_cmp_gt_f32_e64 s15, v2, v18
	v_cndmask_b32_e64 v2, v18, v2, s15
	v_cmp_gt_i32_e64 s15, 64, v8
	ds_bpermute_b32 v9, v3, v2
	v_cndmask_b32_e64 v8, v4, v8, s15
	s_delay_alu instid0(VALU_DEP_1) | instskip(SKIP_2) | instid1(VALU_DEP_1)
	v_lshlrev_b32_e32 v8, 2, v8
	s_waitcnt lgkmcnt(0)
	v_cmp_lt_f32_e64 s15, v2, v9
	v_cndmask_b32_e64 v2, v2, v9, s15
	v_xor_b32_e32 v9, 8, v4
	ds_bpermute_b32 v11, v8, v2
	v_cmp_gt_i32_e64 s15, 64, v9
	s_delay_alu instid0(VALU_DEP_1) | instskip(NEXT) | instid1(VALU_DEP_1)
	v_cndmask_b32_e64 v9, v4, v9, s15
	v_lshlrev_b32_e32 v9, 2, v9
	s_waitcnt lgkmcnt(0)
	v_cmp_lt_f32_e64 s15, v2, v11
	s_delay_alu instid0(VALU_DEP_1) | instskip(SKIP_3) | instid1(VALU_DEP_1)
	v_cndmask_b32_e64 v2, v2, v11, s15
	v_xor_b32_e32 v11, 4, v4
	ds_bpermute_b32 v12, v9, v2
	v_cmp_gt_i32_e64 s15, 64, v11
	v_cndmask_b32_e64 v11, v4, v11, s15
	s_delay_alu instid0(VALU_DEP_1) | instskip(SKIP_2) | instid1(VALU_DEP_1)
	v_lshlrev_b32_e32 v11, 2, v11
	s_waitcnt lgkmcnt(0)
	v_cmp_lt_f32_e64 s15, v2, v12
	v_cndmask_b32_e64 v2, v2, v12, s15
	v_xor_b32_e32 v12, 2, v4
	ds_bpermute_b32 v13, v11, v2
	v_cmp_gt_i32_e64 s15, 64, v12
	s_delay_alu instid0(VALU_DEP_1) | instskip(NEXT) | instid1(VALU_DEP_1)
	v_cndmask_b32_e64 v12, v4, v12, s15
	v_lshlrev_b32_e32 v12, 2, v12
	s_waitcnt lgkmcnt(0)
	v_cmp_lt_f32_e64 s15, v2, v13
	s_delay_alu instid0(VALU_DEP_1) | instskip(SKIP_3) | instid1(VALU_DEP_1)
	v_cndmask_b32_e64 v2, v2, v13, s15
	v_xor_b32_e32 v13, 1, v4
	ds_bpermute_b32 v27, v12, v2
	v_cmp_gt_i32_e64 s15, 64, v13
	v_cndmask_b32_e64 v4, v4, v13, s15
	s_delay_alu instid0(VALU_DEP_1) | instskip(SKIP_2) | instid1(VALU_DEP_1)
	v_lshlrev_b32_e32 v13, 2, v4
	s_waitcnt lgkmcnt(0)
	v_cmp_lt_f32_e64 s15, v2, v27
	v_cndmask_b32_e64 v2, v2, v27, s15
	ds_bpermute_b32 v4, v13, v2
	s_waitcnt lgkmcnt(0)
	v_cmp_lt_f32_e64 s15, v2, v4
	s_delay_alu instid0(VALU_DEP_1) | instskip(NEXT) | instid1(VALU_DEP_1)
	v_cndmask_b32_e64 v4, v2, v4, s15
	v_sub_f32_e32 v6, v6, v4
	v_sub_f32_e32 v2, v19, v4
	;; [unrolled: 1-line block ×4, first 2 shown]
	s_delay_alu instid0(VALU_DEP_4) | instskip(SKIP_3) | instid1(VALU_DEP_4)
	v_dual_sub_f32 v25, v25, v4 :: v_dual_mul_f32 v16, 0x3fb8aa3b, v6
	v_sub_f32_e32 v14, v14, v4
	v_sub_f32_e32 v31, v17, v4
	v_mul_f32_e32 v17, 0x3fb8aa3b, v19
	v_mul_f32_e32 v37, 0x3fb8aa3b, v25
	v_sub_f32_e32 v15, v15, v4
	v_sub_f32_e32 v29, v24, v4
	v_fma_f32 v43, 0x3fb8aa3b, v6, -v16
	v_sub_f32_e32 v20, v21, v4
	v_sub_f32_e32 v26, v26, v4
	v_mul_f32_e32 v24, 0x3fb8aa3b, v14
	v_mul_f32_e32 v34, 0x3fb8aa3b, v15
	v_dual_fmac_f32 v43, 0x32a5705f, v6 :: v_dual_sub_f32 v10, v10, v4
	v_mul_f32_e32 v35, 0x3fb8aa3b, v29
	v_sub_f32_e32 v7, v7, v4
	v_sub_f32_e32 v27, v22, v4
	v_dual_sub_f32 v28, v23, v4 :: v_dual_mul_f32 v39, 0x3fb8aa3b, v26
	v_fma_f32 v45, 0x3fb8aa3b, v19, -v17
	v_sub_f32_e32 v32, v18, v4
	v_mul_f32_e32 v4, 0x3fb8aa3b, v2
	v_mul_f32_e32 v22, 0x3fb8aa3b, v10
	;; [unrolled: 1-line block ×3, first 2 shown]
	v_fmac_f32_e32 v45, 0x32a5705f, v19
	v_rndne_f32_e32 v44, v16
	v_fma_f32 v41, 0x3fb8aa3b, v2, -v4
	v_rndne_f32_e32 v42, v4
	v_rndne_f32_e32 v46, v17
	v_fma_f32 v47, 0x3fb8aa3b, v7, -v18
	s_delay_alu instid0(VALU_DEP_4) | instskip(NEXT) | instid1(VALU_DEP_4)
	v_dual_sub_f32 v16, v16, v44 :: v_dual_fmac_f32 v41, 0x32a5705f, v2
	v_dual_sub_f32 v4, v4, v42 :: v_dual_mul_f32 v21, 0x3fb8aa3b, v20
	v_dual_mul_f32 v38, 0x3fb8aa3b, v31 :: v_dual_mul_f32 v33, 0x3fb8aa3b, v28
	s_delay_alu instid0(VALU_DEP_2) | instskip(NEXT) | instid1(VALU_DEP_3)
	v_dual_mul_f32 v23, 0x3fb8aa3b, v27 :: v_dual_add_f32 v4, v4, v41
	v_fma_f32 v49, 0x3fb8aa3b, v20, -v21
	v_dual_mul_f32 v40, 0x3fb8aa3b, v32 :: v_dual_sub_f32 v17, v17, v46
	v_fmac_f32_e32 v47, 0x32a5705f, v7
	s_delay_alu instid0(VALU_DEP_3)
	v_dual_add_f32 v16, v16, v43 :: v_dual_fmac_f32 v49, 0x32a5705f, v20
	v_exp_f32_e32 v4, v4
	v_mul_f32_e32 v36, 0x3fb8aa3b, v30
	v_fma_f32 v53, 0x3fb8aa3b, v27, -v23
	v_fma_f32 v55, 0x3fb8aa3b, v14, -v24
	v_rndne_f32_e32 v56, v24
	v_cvt_i32_f32_e32 v42, v42
	v_add_f32_e32 v17, v17, v45
	v_exp_f32_e32 v16, v16
	v_rndne_f32_e32 v48, v18
	v_rndne_f32_e32 v54, v23
	;; [unrolled: 1-line block ×4, first 2 shown]
	v_cvt_i32_f32_e32 v44, v44
	v_dual_fmac_f32 v53, 0x32a5705f, v27 :: v_dual_sub_f32 v24, v24, v56
	v_fmac_f32_e32 v55, 0x32a5705f, v14
	v_exp_f32_e32 v17, v17
	v_ldexp_f32 v4, v4, v42
	v_cmp_ngt_f32_e64 s15, 0xc2ce8ed0, v2
	v_rndne_f32_e32 v50, v21
	v_fma_f32 v57, 0x3fb8aa3b, v28, -v33
	v_rndne_f32_e32 v60, v34
	v_fma_f32 v61, 0x3fb8aa3b, v29, -v35
	v_fma_f32 v63, 0x3fb8aa3b, v30, -v36
	v_sub_f32_e32 v36, v36, v64
	v_cvt_i32_f32_e32 v46, v46
	v_dual_sub_f32 v18, v18, v48 :: v_dual_sub_f32 v21, v21, v50
	v_sub_f32_e32 v23, v23, v54
	v_dual_sub_f32 v35, v35, v62 :: v_dual_add_f32 v24, v24, v55
	v_ldexp_f32 v16, v16, v44
	v_cndmask_b32_e64 v4, 0, v4, s15
	v_cmp_ngt_f32_e64 s15, 0xc2ce8ed0, v6
	v_fma_f32 v51, 0x3fb8aa3b, v10, -v22
	v_rndne_f32_e32 v52, v22
	v_fma_f32 v59, 0x3fb8aa3b, v15, -v34
	v_dual_fmac_f32 v57, 0x32a5705f, v28 :: v_dual_add_f32 v18, v18, v47
	v_dual_sub_f32 v34, v34, v60 :: v_dual_add_f32 v23, v23, v53
	v_exp_f32_e32 v24, v24
	v_ldexp_f32 v17, v17, v46
	v_cndmask_b32_e64 v16, 0, v16, s15
	v_cmp_ngt_f32_e64 s15, 0xc2ce8ed0, v19
	v_dual_fmac_f32 v51, 0x32a5705f, v10 :: v_dual_sub_f32 v22, v22, v52
	v_cvt_i32_f32_e32 v56, v56
	v_exp_f32_e32 v18, v18
	v_exp_f32_e32 v23, v23
	v_cndmask_b32_e64 v17, 0, v17, s15
	v_cmp_nlt_f32_e64 s15, 0x42b17218, v2
	v_cvt_i32_f32_e32 v48, v48
	v_cvt_i32_f32_e32 v54, v54
	v_dual_fmac_f32 v61, 0x32a5705f, v29 :: v_dual_add_f32 v22, v22, v51
	v_add_f32_e32 v21, v21, v49
	v_ldexp_f32 v43, v24, v56
	v_cndmask_b32_e64 v24, 0x7f800000, v4, s15
	v_cmp_nlt_f32_e64 s15, 0x42b17218, v6
	v_exp_f32_e32 v22, v22
	v_exp_f32_e32 v21, v21
	v_ldexp_f32 v18, v18, v48
	v_ldexp_f32 v42, v23, v54
	v_cndmask_b32_e64 v23, 0x7f800000, v16, s15
	v_cmp_ngt_f32_e64 s15, 0xc2ce8ed0, v7
	v_cvt_i32_f32_e32 v50, v50
	v_cvt_i32_f32_e32 v52, v52
	v_rndne_f32_e32 v70, v39
	v_fma_f32 v67, 0x3fb8aa3b, v31, -v38
	v_cndmask_b32_e64 v2, 0, v18, s15
	v_cmp_nlt_f32_e64 s15, 0x42b17218, v19
	v_ldexp_f32 v21, v21, v50
	v_ldexp_f32 v41, v22, v52
	v_fma_f32 v69, 0x3fb8aa3b, v26, -v39
	v_dual_sub_f32 v39, v39, v70 :: v_dual_add_f32 v4, v24, v23
	v_cndmask_b32_e64 v22, 0x7f800000, v17, s15
	v_cmp_ngt_f32_e64 s15, 0xc2ce8ed0, v20
	v_rndne_f32_e32 v58, v33
	v_fmac_f32_e32 v67, 0x32a5705f, v31
	v_rndne_f32_e32 v68, v38
	v_rndne_f32_e32 v72, v40
	v_cndmask_b32_e64 v6, 0, v21, s15
	v_cmp_nlt_f32_e64 s15, 0x42b17218, v7
	s_delay_alu instid0(VALU_DEP_4)
	v_dual_sub_f32 v33, v33, v58 :: v_dual_sub_f32 v38, v38, v68
	v_fmac_f32_e32 v59, 0x32a5705f, v15
	v_fma_f32 v71, 0x3fb8aa3b, v32, -v40
	v_sub_f32_e32 v40, v40, v72
	v_cndmask_b32_e64 v21, 0x7f800000, v2, s15
	v_cmp_ngt_f32_e64 s15, 0xc2ce8ed0, v10
	v_dual_add_f32 v2, v4, v22 :: v_dual_add_f32 v33, v33, v57
	v_cvt_i32_f32_e32 v58, v58
	v_dual_fmac_f32 v63, 0x32a5705f, v30 :: v_dual_add_f32 v34, v34, v59
	s_delay_alu instid0(VALU_DEP_4) | instskip(SKIP_4) | instid1(VALU_DEP_2)
	v_cndmask_b32_e64 v4, 0, v41, s15
	v_cmp_nlt_f32_e64 s15, 0x42b17218, v20
	v_exp_f32_e32 v33, v33
	v_dual_fmac_f32 v71, 0x32a5705f, v32 :: v_dual_add_f32 v2, v2, v21
	v_exp_f32_e32 v34, v34
	v_cndmask_b32_e64 v20, 0x7f800000, v6, s15
	v_cmp_ngt_f32_e64 s15, 0xc2ce8ed0, v27
	v_cvt_i32_f32_e32 v60, v60
	v_fma_f32 v65, 0x3fb8aa3b, v25, -v37
	v_cvt_i32_f32_e32 v62, v62
	v_add_f32_e32 v2, v2, v20
	v_cndmask_b32_e64 v6, 0, v42, s15
	v_cmp_nlt_f32_e64 s15, 0x42b17218, v10
	v_ldexp_f32 v33, v33, v58
	v_ldexp_f32 v34, v34, v60
	v_dual_fmac_f32 v65, 0x32a5705f, v25 :: v_dual_add_f32 v36, v36, v63
	s_delay_alu instid0(VALU_DEP_4)
	v_cndmask_b32_e64 v19, 0x7f800000, v4, s15
	v_cmp_ngt_f32_e64 s15, 0xc2ce8ed0, v14
	v_cvt_i32_f32_e32 v64, v64
	v_rndne_f32_e32 v66, v37
	v_exp_f32_e32 v36, v36
	v_add_f32_e32 v2, v2, v19
	v_cndmask_b32_e64 v4, 0, v43, s15
	v_cmp_nlt_f32_e64 s15, 0x42b17218, v27
	v_dual_sub_f32 v37, v37, v66 :: v_dual_add_f32 v38, v38, v67
	v_cvt_i32_f32_e32 v66, v66
	v_dual_fmac_f32 v69, 0x32a5705f, v26 :: v_dual_add_f32 v40, v40, v71
	s_delay_alu instid0(VALU_DEP_4) | instskip(SKIP_1) | instid1(TRANS32_DEP_1)
	v_cndmask_b32_e64 v18, 0x7f800000, v6, s15
	v_cmp_ngt_f32_e64 s15, 0xc2ce8ed0, v28
	v_ldexp_f32 v36, v36, v64
	v_exp_f32_e32 v38, v38
	v_cvt_i32_f32_e32 v68, v68
	v_add_f32_e32 v2, v2, v18
	v_cndmask_b32_e64 v6, 0, v33, s15
	v_cmp_nlt_f32_e64 s15, 0x42b17218, v14
	v_cvt_i32_f32_e32 v70, v70
	v_exp_f32_e32 v40, v40
	v_cvt_i32_f32_e32 v72, v72
	s_delay_alu instid0(VALU_DEP_3) | instskip(SKIP_2) | instid1(VALU_DEP_3)
	v_cndmask_b32_e64 v17, 0x7f800000, v4, s15
	v_cmp_ngt_f32_e64 s15, 0xc2ce8ed0, v15
	v_ldexp_f32 v38, v38, v68
	v_add_f32_e32 v2, v2, v17
	s_delay_alu instid0(VALU_DEP_3) | instskip(SKIP_1) | instid1(TRANS32_DEP_1)
	v_cndmask_b32_e64 v4, 0, v34, s15
	v_cmp_nlt_f32_e64 s15, 0x42b17218, v28
	v_ldexp_f32 v27, v40, v72
	s_delay_alu instid0(VALU_DEP_2) | instskip(SKIP_1) | instid1(VALU_DEP_2)
	v_cndmask_b32_e64 v16, 0x7f800000, v6, s15
	v_cmp_ngt_f32_e64 s15, 0xc2ce8ed0, v29
	v_dual_add_f32 v2, v2, v16 :: v_dual_add_f32 v35, v35, v61
	s_delay_alu instid0(VALU_DEP_1) | instskip(SKIP_2) | instid1(VALU_DEP_1)
	v_exp_f32_e32 v35, v35
	s_waitcnt_depctr 0xfff
	v_ldexp_f32 v35, v35, v62
	v_cndmask_b32_e64 v6, 0, v35, s15
	v_cmp_nlt_f32_e64 s15, 0x42b17218, v15
	s_delay_alu instid0(VALU_DEP_1) | instskip(SKIP_1) | instid1(VALU_DEP_2)
	v_cndmask_b32_e64 v15, 0x7f800000, v4, s15
	v_cmp_ngt_f32_e64 s15, 0xc2ce8ed0, v30
	v_add_f32_e32 v2, v2, v15
	s_delay_alu instid0(VALU_DEP_2) | instskip(SKIP_1) | instid1(VALU_DEP_1)
	v_cndmask_b32_e64 v4, 0, v36, s15
	v_cmp_nlt_f32_e64 s15, 0x42b17218, v29
	v_cndmask_b32_e64 v14, 0x7f800000, v6, s15
	v_add_f32_e32 v37, v37, v65
	v_cmp_ngt_f32_e64 s15, 0xc2ce8ed0, v25
	s_delay_alu instid0(VALU_DEP_3) | instskip(NEXT) | instid1(VALU_DEP_3)
	v_add_f32_e32 v2, v2, v14
	v_exp_f32_e32 v37, v37
	s_waitcnt_depctr 0xfff
	v_ldexp_f32 v37, v37, v66
	s_delay_alu instid0(VALU_DEP_1) | instskip(SKIP_1) | instid1(VALU_DEP_1)
	v_cndmask_b32_e64 v6, 0, v37, s15
	v_cmp_nlt_f32_e64 s15, 0x42b17218, v30
	v_cndmask_b32_e64 v10, 0x7f800000, v4, s15
	v_add_f32_e32 v39, v39, v69
	v_cmp_ngt_f32_e64 s15, 0xc2ce8ed0, v31
	s_delay_alu instid0(VALU_DEP_3) | instskip(NEXT) | instid1(VALU_DEP_3)
	v_add_f32_e32 v2, v2, v10
	v_exp_f32_e32 v39, v39
	s_delay_alu instid0(VALU_DEP_2) | instskip(SKIP_1) | instid1(VALU_DEP_1)
	v_cndmask_b32_e64 v4, 0, v38, s15
	v_cmp_nlt_f32_e64 s15, 0x42b17218, v25
	v_cndmask_b32_e64 v7, 0x7f800000, v6, s15
	v_cmp_ngt_f32_e64 s15, 0xc2ce8ed0, v26
	s_waitcnt_depctr 0xfff
	v_ldexp_f32 v39, v39, v70
	v_add_f32_e32 v2, v2, v7
	s_delay_alu instid0(VALU_DEP_2) | instskip(SKIP_1) | instid1(VALU_DEP_1)
	v_cndmask_b32_e64 v25, 0, v39, s15
	v_cmp_nlt_f32_e64 s15, 0x42b17218, v31
	v_cndmask_b32_e64 v6, 0x7f800000, v4, s15
	v_cmp_nlt_f32_e64 s15, 0x42b17218, v26
	s_delay_alu instid0(VALU_DEP_2) | instskip(NEXT) | instid1(VALU_DEP_2)
	v_add_f32_e32 v2, v2, v6
	v_cndmask_b32_e64 v4, 0x7f800000, v25, s15
	v_cmp_ngt_f32_e64 s15, 0xc2ce8ed0, v32
	s_delay_alu instid0(VALU_DEP_2) | instskip(NEXT) | instid1(VALU_DEP_2)
	v_add_f32_e32 v26, v2, v4
	v_cndmask_b32_e64 v25, 0, v27, s15
	v_cmp_nlt_f32_e64 s15, 0x42b17218, v32
	s_delay_alu instid0(VALU_DEP_1) | instskip(NEXT) | instid1(VALU_DEP_1)
	v_cndmask_b32_e64 v2, 0x7f800000, v25, s15
	v_add_f32_e32 v25, v26, v2
	ds_bpermute_b32 v3, v3, v25
	s_waitcnt lgkmcnt(0)
	v_add_f32_e32 v3, v25, v3
	ds_bpermute_b32 v8, v8, v3
	s_waitcnt lgkmcnt(0)
	;; [unrolled: 3-line block ×5, first 2 shown]
	v_add_f32_e32 v3, v3, v8
	ds_bpermute_b32 v8, v13, v3
	v_cmpx_lt_i32_e32 0, v5
	s_cbranch_execz .LBB478_82
; %bb.33:
	s_and_b32 exec_lo, exec_lo, vcc_lo
	s_cbranch_execz .LBB478_82
; %bb.34:
	s_waitcnt lgkmcnt(0)
	v_add_f32_e32 v3, v3, v8
	v_mov_b32_e32 v5, 0x7fc0
	s_delay_alu instid0(VALU_DEP_2) | instskip(NEXT) | instid1(VALU_DEP_1)
	v_cmp_neq_f32_e64 s15, 0, v3
	s_and_saveexec_b32 s18, s15
	s_cbranch_execz .LBB478_36
; %bb.35:
	v_div_scale_f32 v5, null, v3, v3, v24
	s_delay_alu instid0(VALU_DEP_1) | instskip(SKIP_2) | instid1(VALU_DEP_1)
	v_rcp_f32_e32 v8, v5
	s_waitcnt_depctr 0xfff
	v_fma_f32 v9, -v5, v8, 1.0
	v_fmac_f32_e32 v8, v9, v8
	v_div_scale_f32 v9, vcc_lo, v24, v3, v24
	s_delay_alu instid0(VALU_DEP_1) | instskip(NEXT) | instid1(VALU_DEP_1)
	v_mul_f32_e32 v11, v9, v8
	v_fma_f32 v12, -v5, v11, v9
	s_delay_alu instid0(VALU_DEP_1) | instskip(NEXT) | instid1(VALU_DEP_1)
	v_fmac_f32_e32 v11, v12, v8
	v_fma_f32 v5, -v5, v11, v9
	s_delay_alu instid0(VALU_DEP_1) | instskip(NEXT) | instid1(VALU_DEP_1)
	v_div_fmas_f32 v5, v5, v8, v11
	v_div_fixup_f32 v5, v5, v3, v24
	s_delay_alu instid0(VALU_DEP_1) | instskip(SKIP_1) | instid1(VALU_DEP_2)
	v_bfe_u32 v8, v5, 16, 1
	v_cmp_o_f32_e32 vcc_lo, v5, v5
	v_add3_u32 v8, v5, v8, 0x7fff
	s_delay_alu instid0(VALU_DEP_1) | instskip(NEXT) | instid1(VALU_DEP_1)
	v_lshrrev_b32_e32 v8, 16, v8
	v_cndmask_b32_e32 v5, 0x7fc0, v8, vcc_lo
.LBB478_36:
	s_or_b32 exec_lo, exec_lo, s18
	v_add_co_u32 v0, vcc_lo, s16, v0
	v_add_co_ci_u32_e32 v1, vcc_lo, s17, v1, vcc_lo
	global_store_b16 v[0:1], v5, off
	s_and_b32 exec_lo, exec_lo, s14
	s_cbranch_execz .LBB478_82
; %bb.37:
	v_mov_b32_e32 v5, 0x7fc0
	s_and_saveexec_b32 s14, s15
	s_cbranch_execz .LBB478_39
; %bb.38:
	v_div_scale_f32 v5, null, v3, v3, v23
	s_delay_alu instid0(VALU_DEP_1) | instskip(SKIP_2) | instid1(VALU_DEP_1)
	v_rcp_f32_e32 v8, v5
	s_waitcnt_depctr 0xfff
	v_fma_f32 v9, -v5, v8, 1.0
	v_fmac_f32_e32 v8, v9, v8
	v_div_scale_f32 v9, vcc_lo, v23, v3, v23
	s_delay_alu instid0(VALU_DEP_1) | instskip(NEXT) | instid1(VALU_DEP_1)
	v_mul_f32_e32 v11, v9, v8
	v_fma_f32 v12, -v5, v11, v9
	s_delay_alu instid0(VALU_DEP_1) | instskip(NEXT) | instid1(VALU_DEP_1)
	v_fmac_f32_e32 v11, v12, v8
	v_fma_f32 v5, -v5, v11, v9
	s_delay_alu instid0(VALU_DEP_1) | instskip(NEXT) | instid1(VALU_DEP_1)
	v_div_fmas_f32 v5, v5, v8, v11
	v_div_fixup_f32 v5, v5, v3, v23
	s_delay_alu instid0(VALU_DEP_1) | instskip(SKIP_1) | instid1(VALU_DEP_2)
	v_bfe_u32 v8, v5, 16, 1
	v_cmp_o_f32_e32 vcc_lo, v5, v5
	v_add3_u32 v8, v5, v8, 0x7fff
	s_delay_alu instid0(VALU_DEP_1) | instskip(NEXT) | instid1(VALU_DEP_1)
	v_lshrrev_b32_e32 v8, 16, v8
	v_cndmask_b32_e32 v5, 0x7fc0, v8, vcc_lo
.LBB478_39:
	s_or_b32 exec_lo, exec_lo, s14
	global_store_b16 v[0:1], v5, off offset:128
	s_and_b32 exec_lo, exec_lo, s13
	s_cbranch_execz .LBB478_82
; %bb.40:
	v_mov_b32_e32 v5, 0x7fc0
	s_and_saveexec_b32 s13, s15
	s_cbranch_execz .LBB478_42
; %bb.41:
	v_div_scale_f32 v5, null, v3, v3, v22
	s_delay_alu instid0(VALU_DEP_1) | instskip(SKIP_2) | instid1(VALU_DEP_1)
	v_rcp_f32_e32 v8, v5
	s_waitcnt_depctr 0xfff
	v_fma_f32 v9, -v5, v8, 1.0
	v_fmac_f32_e32 v8, v9, v8
	v_div_scale_f32 v9, vcc_lo, v22, v3, v22
	s_delay_alu instid0(VALU_DEP_1) | instskip(NEXT) | instid1(VALU_DEP_1)
	v_mul_f32_e32 v11, v9, v8
	v_fma_f32 v12, -v5, v11, v9
	s_delay_alu instid0(VALU_DEP_1) | instskip(NEXT) | instid1(VALU_DEP_1)
	v_fmac_f32_e32 v11, v12, v8
	v_fma_f32 v5, -v5, v11, v9
	s_delay_alu instid0(VALU_DEP_1) | instskip(NEXT) | instid1(VALU_DEP_1)
	v_div_fmas_f32 v5, v5, v8, v11
	v_div_fixup_f32 v5, v5, v3, v22
	s_delay_alu instid0(VALU_DEP_1) | instskip(SKIP_1) | instid1(VALU_DEP_2)
	v_bfe_u32 v8, v5, 16, 1
	v_cmp_o_f32_e32 vcc_lo, v5, v5
	v_add3_u32 v8, v5, v8, 0x7fff
	s_delay_alu instid0(VALU_DEP_1) | instskip(NEXT) | instid1(VALU_DEP_1)
	v_lshrrev_b32_e32 v8, 16, v8
	v_cndmask_b32_e32 v5, 0x7fc0, v8, vcc_lo
.LBB478_42:
	s_or_b32 exec_lo, exec_lo, s13
	global_store_b16 v[0:1], v5, off offset:256
	;; [unrolled: 33-line block ×15, first 2 shown]
.LBB478_82:
	s_nop 0
	s_sendmsg sendmsg(MSG_DEALLOC_VGPRS)
	s_endpgm
	.section	.rodata,"a",@progbits
	.p2align	6, 0x0
	.amdhsa_kernel _ZN12_GLOBAL__N_120softmax_warp_forwardIN3c108BFloat16ES2_fLi10ELb0ELb0ELi64EEEvPT0_PKT_iiiPKbib
		.amdhsa_group_segment_fixed_size 0
		.amdhsa_private_segment_fixed_size 0
		.amdhsa_kernarg_size 304
		.amdhsa_user_sgpr_count 15
		.amdhsa_user_sgpr_dispatch_ptr 0
		.amdhsa_user_sgpr_queue_ptr 0
		.amdhsa_user_sgpr_kernarg_segment_ptr 1
		.amdhsa_user_sgpr_dispatch_id 0
		.amdhsa_user_sgpr_private_segment_size 0
		.amdhsa_wavefront_size32 1
		.amdhsa_uses_dynamic_stack 0
		.amdhsa_enable_private_segment 0
		.amdhsa_system_sgpr_workgroup_id_x 1
		.amdhsa_system_sgpr_workgroup_id_y 0
		.amdhsa_system_sgpr_workgroup_id_z 0
		.amdhsa_system_sgpr_workgroup_info 0
		.amdhsa_system_vgpr_workitem_id 1
		.amdhsa_next_free_vgpr 73
		.amdhsa_next_free_sgpr 24
		.amdhsa_reserve_vcc 1
		.amdhsa_float_round_mode_32 0
		.amdhsa_float_round_mode_16_64 0
		.amdhsa_float_denorm_mode_32 3
		.amdhsa_float_denorm_mode_16_64 3
		.amdhsa_dx10_clamp 1
		.amdhsa_ieee_mode 1
		.amdhsa_fp16_overflow 0
		.amdhsa_workgroup_processor_mode 1
		.amdhsa_memory_ordered 1
		.amdhsa_forward_progress 0
		.amdhsa_shared_vgpr_count 0
		.amdhsa_exception_fp_ieee_invalid_op 0
		.amdhsa_exception_fp_denorm_src 0
		.amdhsa_exception_fp_ieee_div_zero 0
		.amdhsa_exception_fp_ieee_overflow 0
		.amdhsa_exception_fp_ieee_underflow 0
		.amdhsa_exception_fp_ieee_inexact 0
		.amdhsa_exception_int_div_zero 0
	.end_amdhsa_kernel
	.section	.text._ZN12_GLOBAL__N_120softmax_warp_forwardIN3c108BFloat16ES2_fLi10ELb0ELb0ELi64EEEvPT0_PKT_iiiPKbib,"axG",@progbits,_ZN12_GLOBAL__N_120softmax_warp_forwardIN3c108BFloat16ES2_fLi10ELb0ELb0ELi64EEEvPT0_PKT_iiiPKbib,comdat
.Lfunc_end478:
	.size	_ZN12_GLOBAL__N_120softmax_warp_forwardIN3c108BFloat16ES2_fLi10ELb0ELb0ELi64EEEvPT0_PKT_iiiPKbib, .Lfunc_end478-_ZN12_GLOBAL__N_120softmax_warp_forwardIN3c108BFloat16ES2_fLi10ELb0ELb0ELi64EEEvPT0_PKT_iiiPKbib
                                        ; -- End function
	.section	.AMDGPU.csdata,"",@progbits
; Kernel info:
; codeLenInByte = 6484
; NumSgprs: 26
; NumVgprs: 73
; ScratchSize: 0
; MemoryBound: 0
; FloatMode: 240
; IeeeMode: 1
; LDSByteSize: 0 bytes/workgroup (compile time only)
; SGPRBlocks: 3
; VGPRBlocks: 9
; NumSGPRsForWavesPerEU: 26
; NumVGPRsForWavesPerEU: 73
; Occupancy: 16
; WaveLimiterHint : 0
; COMPUTE_PGM_RSRC2:SCRATCH_EN: 0
; COMPUTE_PGM_RSRC2:USER_SGPR: 15
; COMPUTE_PGM_RSRC2:TRAP_HANDLER: 0
; COMPUTE_PGM_RSRC2:TGID_X_EN: 1
; COMPUTE_PGM_RSRC2:TGID_Y_EN: 0
; COMPUTE_PGM_RSRC2:TGID_Z_EN: 0
; COMPUTE_PGM_RSRC2:TIDIG_COMP_CNT: 1
	.section	.text._ZN12_GLOBAL__N_120softmax_warp_forwardIN3c108BFloat16ES2_fLi10ELb0ELb0ELi32EEEvPT0_PKT_iiiPKbib,"axG",@progbits,_ZN12_GLOBAL__N_120softmax_warp_forwardIN3c108BFloat16ES2_fLi10ELb0ELb0ELi32EEEvPT0_PKT_iiiPKbib,comdat
	.globl	_ZN12_GLOBAL__N_120softmax_warp_forwardIN3c108BFloat16ES2_fLi10ELb0ELb0ELi32EEEvPT0_PKT_iiiPKbib ; -- Begin function _ZN12_GLOBAL__N_120softmax_warp_forwardIN3c108BFloat16ES2_fLi10ELb0ELb0ELi32EEEvPT0_PKT_iiiPKbib
	.p2align	8
	.type	_ZN12_GLOBAL__N_120softmax_warp_forwardIN3c108BFloat16ES2_fLi10ELb0ELb0ELi32EEEvPT0_PKT_iiiPKbib,@function
_ZN12_GLOBAL__N_120softmax_warp_forwardIN3c108BFloat16ES2_fLi10ELb0ELb0ELi32EEEvPT0_PKT_iiiPKbib: ; @_ZN12_GLOBAL__N_120softmax_warp_forwardIN3c108BFloat16ES2_fLi10ELb0ELb0ELi32EEEvPT0_PKT_iiiPKbib
; %bb.0:
	s_clause 0x1
	s_load_b32 s2, s[0:1], 0x3c
	s_load_b256 s[36:43], s[0:1], 0x0
	v_bfe_u32 v1, v0, 10, 10
	v_dual_mov_b32 v14, 0xff800000 :: v_dual_mov_b32 v27, 0xff800000
	s_waitcnt lgkmcnt(0)
	s_lshr_b32 s0, s2, 16
	s_delay_alu instid0(VALU_DEP_2) | instid1(SALU_CYCLE_1)
	v_mad_u64_u32 v[3:4], null, s15, s0, v[1:2]
	v_and_b32_e32 v2, 0x3ff, v0
	s_delay_alu instid0(VALU_DEP_1) | instskip(NEXT) | instid1(VALU_DEP_3)
	v_cmp_gt_i32_e32 vcc_lo, s42, v2
	v_mad_u64_u32 v[0:1], null, v3, s41, v[2:3]
	v_sub_nc_u32_e32 v5, s40, v3
	s_delay_alu instid0(VALU_DEP_1) | instskip(NEXT) | instid1(VALU_DEP_3)
	v_cmp_lt_i32_e64 s31, 0, v5
	v_ashrrev_i32_e32 v1, 31, v0
	s_delay_alu instid0(VALU_DEP_2) | instskip(NEXT) | instid1(VALU_DEP_1)
	s_and_b32 s1, s31, vcc_lo
	v_lshlrev_b64 v[0:1], 1, v[0:1]
	s_delay_alu instid0(VALU_DEP_1) | instskip(NEXT) | instid1(VALU_DEP_1)
	v_add_co_u32 v3, s0, s38, v0
	v_add_co_ci_u32_e64 v4, s0, s39, v1, s0
	s_and_saveexec_b32 s0, s1
	s_cbranch_execz .LBB479_2
; %bb.1:
	global_load_u16 v6, v[3:4], off
	s_waitcnt vmcnt(0)
	v_lshlrev_b32_e32 v27, 16, v6
.LBB479_2:
	s_or_b32 exec_lo, exec_lo, s0
	v_add_nc_u32_e32 v6, 32, v2
	s_delay_alu instid0(VALU_DEP_1) | instskip(NEXT) | instid1(VALU_DEP_1)
	v_cmp_gt_i32_e64 s30, s42, v6
	s_and_b32 s1, s31, s30
	s_delay_alu instid0(SALU_CYCLE_1)
	s_and_saveexec_b32 s0, s1
	s_cbranch_execz .LBB479_4
; %bb.3:
	global_load_u16 v6, v[3:4], off offset:64
	s_waitcnt vmcnt(0)
	v_lshlrev_b32_e32 v14, 16, v6
.LBB479_4:
	s_or_b32 exec_lo, exec_lo, s0
	v_dual_mov_b32 v15, 0xff800000 :: v_dual_add_nc_u32 v6, 64, v2
	v_mov_b32_e32 v30, 0xff800000
	s_delay_alu instid0(VALU_DEP_2) | instskip(NEXT) | instid1(VALU_DEP_1)
	v_cmp_gt_i32_e64 s29, s42, v6
	s_and_b32 s1, s31, s29
	s_delay_alu instid0(SALU_CYCLE_1)
	s_and_saveexec_b32 s0, s1
	s_cbranch_execz .LBB479_6
; %bb.5:
	global_load_u16 v6, v[3:4], off offset:128
	s_waitcnt vmcnt(0)
	v_lshlrev_b32_e32 v30, 16, v6
.LBB479_6:
	s_or_b32 exec_lo, exec_lo, s0
	v_add_nc_u32_e32 v6, 0x60, v2
	s_delay_alu instid0(VALU_DEP_1) | instskip(NEXT) | instid1(VALU_DEP_1)
	v_cmp_gt_i32_e64 s28, s42, v6
	s_and_b32 s1, s31, s28
	s_delay_alu instid0(SALU_CYCLE_1)
	s_and_saveexec_b32 s0, s1
	s_cbranch_execz .LBB479_8
; %bb.7:
	global_load_u16 v6, v[3:4], off offset:192
	s_waitcnt vmcnt(0)
	v_lshlrev_b32_e32 v15, 16, v6
.LBB479_8:
	s_or_b32 exec_lo, exec_lo, s0
	v_add_nc_u32_e32 v6, 0x80, v2
	v_mov_b32_e32 v16, 0xff800000
	v_mov_b32_e32 v32, 0xff800000
	s_delay_alu instid0(VALU_DEP_3) | instskip(NEXT) | instid1(VALU_DEP_1)
	v_cmp_gt_i32_e64 s27, s42, v6
	s_and_b32 s1, s31, s27
	s_delay_alu instid0(SALU_CYCLE_1)
	s_and_saveexec_b32 s0, s1
	s_cbranch_execz .LBB479_10
; %bb.9:
	global_load_u16 v6, v[3:4], off offset:256
	s_waitcnt vmcnt(0)
	v_lshlrev_b32_e32 v32, 16, v6
.LBB479_10:
	s_or_b32 exec_lo, exec_lo, s0
	v_add_nc_u32_e32 v6, 0xa0, v2
	s_delay_alu instid0(VALU_DEP_1) | instskip(NEXT) | instid1(VALU_DEP_1)
	v_cmp_gt_i32_e64 s26, s42, v6
	s_and_b32 s1, s31, s26
	s_delay_alu instid0(SALU_CYCLE_1)
	s_and_saveexec_b32 s0, s1
	s_cbranch_execz .LBB479_12
; %bb.11:
	global_load_u16 v6, v[3:4], off offset:320
	s_waitcnt vmcnt(0)
	v_lshlrev_b32_e32 v16, 16, v6
.LBB479_12:
	s_or_b32 exec_lo, exec_lo, s0
	v_add_nc_u32_e32 v6, 0xc0, v2
	v_mov_b32_e32 v17, 0xff800000
	v_mov_b32_e32 v33, 0xff800000
	s_delay_alu instid0(VALU_DEP_3) | instskip(NEXT) | instid1(VALU_DEP_1)
	;; [unrolled: 28-line block ×4, first 2 shown]
	v_cmp_gt_i32_e64 s21, s42, v6
	s_and_b32 s1, s31, s21
	s_delay_alu instid0(SALU_CYCLE_1)
	s_and_saveexec_b32 s0, s1
	s_cbranch_execz .LBB479_22
; %bb.21:
	global_load_u16 v6, v[3:4], off offset:640
	s_waitcnt vmcnt(0)
	v_lshlrev_b32_e32 v35, 16, v6
.LBB479_22:
	s_or_b32 exec_lo, exec_lo, s0
	v_add_nc_u32_e32 v6, 0x160, v2
	s_delay_alu instid0(VALU_DEP_1) | instskip(NEXT) | instid1(VALU_DEP_1)
	v_cmp_gt_i32_e64 s20, s42, v6
	s_and_b32 s1, s31, s20
	s_delay_alu instid0(SALU_CYCLE_1)
	s_and_saveexec_b32 s0, s1
	s_cbranch_execz .LBB479_24
; %bb.23:
	global_load_u16 v6, v[3:4], off offset:704
	s_waitcnt vmcnt(0)
	v_lshlrev_b32_e32 v19, 16, v6
.LBB479_24:
	s_or_b32 exec_lo, exec_lo, s0
	v_add_nc_u32_e32 v6, 0x180, v2
	v_dual_mov_b32 v25, 0xff800000 :: v_dual_mov_b32 v36, 0xff800000
	s_delay_alu instid0(VALU_DEP_2) | instskip(NEXT) | instid1(VALU_DEP_1)
	v_cmp_gt_i32_e64 s19, s42, v6
	s_and_b32 s1, s31, s19
	s_delay_alu instid0(SALU_CYCLE_1)
	s_and_saveexec_b32 s0, s1
	s_cbranch_execz .LBB479_26
; %bb.25:
	global_load_u16 v6, v[3:4], off offset:768
	s_waitcnt vmcnt(0)
	v_lshlrev_b32_e32 v36, 16, v6
.LBB479_26:
	s_or_b32 exec_lo, exec_lo, s0
	v_add_nc_u32_e32 v6, 0x1a0, v2
	s_delay_alu instid0(VALU_DEP_1) | instskip(NEXT) | instid1(VALU_DEP_1)
	v_cmp_gt_i32_e64 s18, s42, v6
	s_and_b32 s1, s31, s18
	s_delay_alu instid0(SALU_CYCLE_1)
	s_and_saveexec_b32 s0, s1
	s_cbranch_execz .LBB479_28
; %bb.27:
	global_load_u16 v6, v[3:4], off offset:832
	s_waitcnt vmcnt(0)
	v_lshlrev_b32_e32 v25, 16, v6
.LBB479_28:
	s_or_b32 exec_lo, exec_lo, s0
	v_add_nc_u32_e32 v6, 0x1c0, v2
	v_dual_mov_b32 v26, 0xff800000 :: v_dual_mov_b32 v37, 0xff800000
	s_delay_alu instid0(VALU_DEP_2) | instskip(NEXT) | instid1(VALU_DEP_1)
	v_cmp_gt_i32_e64 s17, s42, v6
	s_and_b32 s1, s31, s17
	s_delay_alu instid0(SALU_CYCLE_1)
	s_and_saveexec_b32 s0, s1
	s_cbranch_execz .LBB479_30
; %bb.29:
	global_load_u16 v6, v[3:4], off offset:896
	s_waitcnt vmcnt(0)
	v_lshlrev_b32_e32 v37, 16, v6
.LBB479_30:
	s_or_b32 exec_lo, exec_lo, s0
	v_add_nc_u32_e32 v6, 0x1e0, v2
	s_delay_alu instid0(VALU_DEP_1) | instskip(NEXT) | instid1(VALU_DEP_1)
	v_cmp_gt_i32_e64 s16, s42, v6
	s_and_b32 s1, s31, s16
	s_delay_alu instid0(SALU_CYCLE_1)
	s_and_saveexec_b32 s0, s1
	s_cbranch_execz .LBB479_32
; %bb.31:
	global_load_u16 v6, v[3:4], off offset:960
	s_waitcnt vmcnt(0)
	v_lshlrev_b32_e32 v26, 16, v6
.LBB479_32:
	s_or_b32 exec_lo, exec_lo, s0
	v_add_nc_u32_e32 v6, 0x200, v2
	v_mov_b32_e32 v28, 0xff800000
	v_mov_b32_e32 v38, 0xff800000
	s_delay_alu instid0(VALU_DEP_3) | instskip(NEXT) | instid1(VALU_DEP_1)
	v_cmp_gt_i32_e64 s15, s42, v6
	s_and_b32 s1, s31, s15
	s_delay_alu instid0(SALU_CYCLE_1)
	s_and_saveexec_b32 s0, s1
	s_cbranch_execz .LBB479_34
; %bb.33:
	global_load_u16 v6, v[3:4], off offset:1024
	s_waitcnt vmcnt(0)
	v_lshlrev_b32_e32 v38, 16, v6
.LBB479_34:
	s_or_b32 exec_lo, exec_lo, s0
	v_add_nc_u32_e32 v6, 0x220, v2
	s_delay_alu instid0(VALU_DEP_1) | instskip(NEXT) | instid1(VALU_DEP_1)
	v_cmp_gt_i32_e64 s14, s42, v6
	s_and_b32 s1, s31, s14
	s_delay_alu instid0(SALU_CYCLE_1)
	s_and_saveexec_b32 s0, s1
	s_cbranch_execz .LBB479_36
; %bb.35:
	global_load_u16 v6, v[3:4], off offset:1088
	s_waitcnt vmcnt(0)
	v_lshlrev_b32_e32 v28, 16, v6
.LBB479_36:
	s_or_b32 exec_lo, exec_lo, s0
	v_add_nc_u32_e32 v6, 0x240, v2
	v_mov_b32_e32 v29, 0xff800000
	v_mov_b32_e32 v39, 0xff800000
	s_delay_alu instid0(VALU_DEP_3) | instskip(NEXT) | instid1(VALU_DEP_1)
	v_cmp_gt_i32_e64 s13, s42, v6
	s_and_b32 s1, s31, s13
	s_delay_alu instid0(SALU_CYCLE_1)
	s_and_saveexec_b32 s0, s1
	s_cbranch_execz .LBB479_38
; %bb.37:
	global_load_u16 v6, v[3:4], off offset:1152
	s_waitcnt vmcnt(0)
	v_lshlrev_b32_e32 v39, 16, v6
.LBB479_38:
	s_or_b32 exec_lo, exec_lo, s0
	v_add_nc_u32_e32 v6, 0x260, v2
	s_delay_alu instid0(VALU_DEP_1) | instskip(NEXT) | instid1(VALU_DEP_1)
	v_cmp_gt_i32_e64 s12, s42, v6
	s_and_b32 s1, s31, s12
	s_delay_alu instid0(SALU_CYCLE_1)
	s_and_saveexec_b32 s0, s1
	s_cbranch_execz .LBB479_40
; %bb.39:
	global_load_u16 v6, v[3:4], off offset:1216
	s_waitcnt vmcnt(0)
	v_lshlrev_b32_e32 v29, 16, v6
.LBB479_40:
	s_or_b32 exec_lo, exec_lo, s0
	v_add_nc_u32_e32 v6, 0x280, v2
	v_dual_mov_b32 v31, 0xff800000 :: v_dual_mov_b32 v40, 0xff800000
	s_delay_alu instid0(VALU_DEP_2) | instskip(NEXT) | instid1(VALU_DEP_1)
	v_cmp_gt_i32_e64 s11, s42, v6
	s_and_b32 s1, s31, s11
	s_delay_alu instid0(SALU_CYCLE_1)
	s_and_saveexec_b32 s0, s1
	s_cbranch_execz .LBB479_42
; %bb.41:
	global_load_u16 v6, v[3:4], off offset:1280
	s_waitcnt vmcnt(0)
	v_lshlrev_b32_e32 v40, 16, v6
.LBB479_42:
	s_or_b32 exec_lo, exec_lo, s0
	v_add_nc_u32_e32 v6, 0x2a0, v2
	s_delay_alu instid0(VALU_DEP_1) | instskip(NEXT) | instid1(VALU_DEP_1)
	v_cmp_gt_i32_e64 s10, s42, v6
	s_and_b32 s1, s31, s10
	s_delay_alu instid0(SALU_CYCLE_1)
	s_and_saveexec_b32 s0, s1
	s_cbranch_execz .LBB479_44
; %bb.43:
	global_load_u16 v6, v[3:4], off offset:1344
	s_waitcnt vmcnt(0)
	v_lshlrev_b32_e32 v31, 16, v6
.LBB479_44:
	s_or_b32 exec_lo, exec_lo, s0
	v_add_nc_u32_e32 v6, 0x2c0, v2
	v_mov_b32_e32 v13, 0xff800000
	v_mov_b32_e32 v41, 0xff800000
	s_delay_alu instid0(VALU_DEP_3) | instskip(NEXT) | instid1(VALU_DEP_1)
	v_cmp_gt_i32_e64 s9, s42, v6
	s_and_b32 s1, s31, s9
	s_delay_alu instid0(SALU_CYCLE_1)
	s_and_saveexec_b32 s0, s1
	s_cbranch_execz .LBB479_46
; %bb.45:
	global_load_u16 v6, v[3:4], off offset:1408
	s_waitcnt vmcnt(0)
	v_lshlrev_b32_e32 v41, 16, v6
.LBB479_46:
	s_or_b32 exec_lo, exec_lo, s0
	v_add_nc_u32_e32 v6, 0x2e0, v2
	s_delay_alu instid0(VALU_DEP_1) | instskip(NEXT) | instid1(VALU_DEP_1)
	v_cmp_gt_i32_e64 s8, s42, v6
	s_and_b32 s1, s31, s8
	s_delay_alu instid0(SALU_CYCLE_1)
	s_and_saveexec_b32 s0, s1
	s_cbranch_execz .LBB479_48
; %bb.47:
	global_load_u16 v6, v[3:4], off offset:1472
	s_waitcnt vmcnt(0)
	v_lshlrev_b32_e32 v13, 16, v6
.LBB479_48:
	s_or_b32 exec_lo, exec_lo, s0
	v_add_nc_u32_e32 v6, 0x300, v2
	v_mov_b32_e32 v11, 0xff800000
	v_mov_b32_e32 v23, 0xff800000
	s_delay_alu instid0(VALU_DEP_3) | instskip(NEXT) | instid1(VALU_DEP_1)
	;; [unrolled: 28-line block ×3, first 2 shown]
	v_cmp_gt_i32_e64 s5, s42, v6
	s_and_b32 s1, s31, s5
	s_delay_alu instid0(SALU_CYCLE_1)
	s_and_saveexec_b32 s0, s1
	s_cbranch_execz .LBB479_54
; %bb.53:
	global_load_u16 v6, v[3:4], off offset:1664
	s_waitcnt vmcnt(0)
	v_lshlrev_b32_e32 v12, 16, v6
.LBB479_54:
	s_or_b32 exec_lo, exec_lo, s0
	v_add_nc_u32_e32 v6, 0x360, v2
	s_delay_alu instid0(VALU_DEP_1) | instskip(NEXT) | instid1(VALU_DEP_1)
	v_cmp_gt_i32_e64 s4, s42, v6
	s_and_b32 s1, s31, s4
	s_delay_alu instid0(SALU_CYCLE_1)
	s_and_saveexec_b32 s0, s1
	s_cbranch_execz .LBB479_56
; %bb.55:
	global_load_u16 v6, v[3:4], off offset:1728
	s_waitcnt vmcnt(0)
	v_lshlrev_b32_e32 v10, 16, v6
.LBB479_56:
	s_or_b32 exec_lo, exec_lo, s0
	v_add_nc_u32_e32 v6, 0x380, v2
	v_dual_mov_b32 v7, 0xff800000 :: v_dual_mov_b32 v8, 0xff800000
	s_delay_alu instid0(VALU_DEP_2) | instskip(NEXT) | instid1(VALU_DEP_1)
	v_cmp_gt_i32_e64 s3, s42, v6
	s_and_b32 s1, s31, s3
	s_delay_alu instid0(SALU_CYCLE_1)
	s_and_saveexec_b32 s0, s1
	s_cbranch_execz .LBB479_58
; %bb.57:
	global_load_u16 v6, v[3:4], off offset:1792
	s_waitcnt vmcnt(0)
	v_lshlrev_b32_e32 v8, 16, v6
.LBB479_58:
	s_or_b32 exec_lo, exec_lo, s0
	v_add_nc_u32_e32 v6, 0x3a0, v2
	s_delay_alu instid0(VALU_DEP_1) | instskip(NEXT) | instid1(VALU_DEP_1)
	v_cmp_gt_i32_e64 s2, s42, v6
	s_and_b32 s1, s31, s2
	s_delay_alu instid0(SALU_CYCLE_1)
	s_and_saveexec_b32 s0, s1
	s_cbranch_execz .LBB479_60
; %bb.59:
	global_load_u16 v6, v[3:4], off offset:1856
	s_waitcnt vmcnt(0)
	v_lshlrev_b32_e32 v7, 16, v6
.LBB479_60:
	s_or_b32 exec_lo, exec_lo, s0
	v_add_nc_u32_e32 v6, 0x3c0, v2
	v_mov_b32_e32 v9, 0xff800000
	s_delay_alu instid0(VALU_DEP_2) | instskip(SKIP_1) | instid1(VALU_DEP_2)
	v_cmp_gt_i32_e64 s1, s42, v6
	v_mov_b32_e32 v6, 0xff800000
	s_and_b32 s33, s31, s1
	s_delay_alu instid0(SALU_CYCLE_1)
	s_and_saveexec_b32 s0, s33
	s_cbranch_execz .LBB479_62
; %bb.61:
	global_load_u16 v9, v[3:4], off offset:1920
	s_waitcnt vmcnt(0)
	v_lshlrev_b32_e32 v9, 16, v9
.LBB479_62:
	s_or_b32 exec_lo, exec_lo, s0
	v_add_nc_u32_e32 v2, 0x3e0, v2
	s_delay_alu instid0(VALU_DEP_1) | instskip(NEXT) | instid1(VALU_DEP_1)
	v_cmp_gt_i32_e64 s0, s42, v2
	s_and_b32 s33, s31, s0
	s_delay_alu instid0(SALU_CYCLE_1)
	s_and_saveexec_b32 s31, s33
	s_cbranch_execz .LBB479_64
; %bb.63:
	global_load_u16 v2, v[3:4], off offset:1984
	s_waitcnt vmcnt(0)
	v_lshlrev_b32_e32 v6, 16, v2
.LBB479_64:
	s_or_b32 exec_lo, exec_lo, s31
	v_cmp_gt_f32_e64 s31, v27, v14
	v_mbcnt_lo_u32_b32 v4, -1, 0
	s_mov_b32 s33, exec_lo
	s_delay_alu instid0(VALU_DEP_2) | instskip(NEXT) | instid1(VALU_DEP_2)
	v_cndmask_b32_e64 v2, v14, v27, s31
	v_xor_b32_e32 v3, 16, v4
	v_xor_b32_e32 v20, 8, v4
	s_delay_alu instid0(VALU_DEP_3) | instskip(NEXT) | instid1(VALU_DEP_1)
	v_cmp_gt_f32_e64 s31, v2, v30
	v_cndmask_b32_e64 v2, v30, v2, s31
	s_delay_alu instid0(VALU_DEP_1) | instskip(NEXT) | instid1(VALU_DEP_1)
	v_cmp_gt_f32_e64 s31, v2, v15
	v_cndmask_b32_e64 v2, v15, v2, s31
	s_delay_alu instid0(VALU_DEP_1) | instskip(NEXT) | instid1(VALU_DEP_1)
	;; [unrolled: 3-line block ×27, first 2 shown]
	v_cmp_gt_f32_e64 s31, v2, v7
	v_cndmask_b32_e64 v2, v7, v2, s31
	v_cmp_gt_i32_e64 s31, 32, v3
	s_delay_alu instid0(VALU_DEP_1) | instskip(NEXT) | instid1(VALU_DEP_3)
	v_cndmask_b32_e64 v3, v4, v3, s31
	v_cmp_gt_f32_e64 s31, v2, v9
	s_delay_alu instid0(VALU_DEP_2) | instskip(NEXT) | instid1(VALU_DEP_2)
	v_lshlrev_b32_e32 v3, 2, v3
	v_cndmask_b32_e64 v2, v9, v2, s31
	s_delay_alu instid0(VALU_DEP_1) | instskip(NEXT) | instid1(VALU_DEP_1)
	v_cmp_gt_f32_e64 s31, v2, v6
	v_cndmask_b32_e64 v2, v6, v2, s31
	v_cmp_gt_i32_e64 s31, 32, v20
	ds_bpermute_b32 v21, v3, v2
	v_cndmask_b32_e64 v20, v4, v20, s31
	s_delay_alu instid0(VALU_DEP_1) | instskip(SKIP_2) | instid1(VALU_DEP_1)
	v_lshlrev_b32_e32 v20, 2, v20
	s_waitcnt lgkmcnt(0)
	v_cmp_lt_f32_e64 s31, v2, v21
	v_cndmask_b32_e64 v2, v2, v21, s31
	v_xor_b32_e32 v21, 4, v4
	ds_bpermute_b32 v22, v20, v2
	v_cmp_gt_i32_e64 s31, 32, v21
	s_delay_alu instid0(VALU_DEP_1) | instskip(NEXT) | instid1(VALU_DEP_1)
	v_cndmask_b32_e64 v21, v4, v21, s31
	v_lshlrev_b32_e32 v21, 2, v21
	s_waitcnt lgkmcnt(0)
	v_cmp_lt_f32_e64 s31, v2, v22
	s_delay_alu instid0(VALU_DEP_1) | instskip(SKIP_3) | instid1(VALU_DEP_1)
	v_cndmask_b32_e64 v2, v2, v22, s31
	v_xor_b32_e32 v22, 2, v4
	ds_bpermute_b32 v24, v21, v2
	v_cmp_gt_i32_e64 s31, 32, v22
	v_cndmask_b32_e64 v22, v4, v22, s31
	s_delay_alu instid0(VALU_DEP_1) | instskip(SKIP_2) | instid1(VALU_DEP_1)
	v_lshlrev_b32_e32 v22, 2, v22
	s_waitcnt lgkmcnt(0)
	v_cmp_lt_f32_e64 s31, v2, v24
	v_cndmask_b32_e64 v2, v2, v24, s31
	v_xor_b32_e32 v24, 1, v4
	ds_bpermute_b32 v42, v22, v2
	v_cmp_gt_i32_e64 s31, 32, v24
	s_delay_alu instid0(VALU_DEP_1) | instskip(NEXT) | instid1(VALU_DEP_1)
	v_cndmask_b32_e64 v4, v4, v24, s31
	v_lshlrev_b32_e32 v24, 2, v4
	s_waitcnt lgkmcnt(0)
	v_cmp_lt_f32_e64 s31, v2, v42
	s_delay_alu instid0(VALU_DEP_1) | instskip(SKIP_3) | instid1(VALU_DEP_1)
	v_cndmask_b32_e64 v2, v2, v42, s31
	ds_bpermute_b32 v4, v24, v2
	s_waitcnt lgkmcnt(0)
	v_cmp_lt_f32_e64 s31, v2, v4
	v_cndmask_b32_e64 v2, v2, v4, s31
	s_delay_alu instid0(VALU_DEP_1)
	v_sub_f32_e32 v15, v15, v2
	v_sub_f32_e32 v4, v27, v2
	;; [unrolled: 1-line block ×6, first 2 shown]
	s_delay_alu instid0(VALU_DEP_4)
	v_dual_sub_f32 v30, v32, v2 :: v_dual_mul_f32 v29, 0x3fb8aa3b, v27
	v_sub_f32_e32 v43, v35, v2
	v_sub_f32_e32 v32, v33, v2
	;; [unrolled: 1-line block ×3, first 2 shown]
	v_cmp_ngt_f32_e64 s31, 0xc2ce8ed0, v4
	v_rndne_f32_e32 v69, v29
	v_sub_f32_e32 v52, v31, v2
	v_fma_f32 v68, 0x3fb8aa3b, v27, -v29
	v_mul_f32_e32 v31, 0x3fb8aa3b, v15
	v_sub_f32_e32 v23, v23, v2
	v_sub_f32_e32 v29, v29, v69
	v_dual_sub_f32 v49, v39, v2 :: v_dual_mul_f32 v62, 0x3fb8aa3b, v52
	v_sub_f32_e32 v46, v26, v2
	v_dual_mul_f32 v26, 0x3fb8aa3b, v4 :: v_dual_sub_f32 v19, v19, v2
	v_dual_mul_f32 v39, 0x3fb8aa3b, v43 :: v_dual_sub_f32 v16, v16, v2
	v_mul_f32_e32 v35, 0x3fb8aa3b, v32
	s_delay_alu instid0(VALU_DEP_3)
	v_fma_f32 v64, 0x3fb8aa3b, v4, -v26
	v_sub_f32_e32 v51, v40, v2
	v_fma_f32 v70, 0x3fb8aa3b, v15, -v31
	v_rndne_f32_e32 v71, v31
	v_fma_f32 v76, 0x3fb8aa3b, v32, -v35
	v_fmac_f32_e32 v64, 0x32a5705f, v4
	v_dual_sub_f32 v48, v28, v2 :: v_dual_mul_f32 v61, 0x3fb8aa3b, v51
	v_sub_f32_e32 v47, v38, v2
	v_sub_f32_e32 v31, v31, v71
	v_rndne_f32_e32 v65, v26
	s_delay_alu instid0(VALU_DEP_4) | instskip(NEXT) | instid1(VALU_DEP_4)
	v_mul_f32_e32 v58, 0x3fb8aa3b, v48
	v_dual_sub_f32 v44, v36, v2 :: v_dual_mul_f32 v57, 0x3fb8aa3b, v47
	v_dual_mul_f32 v36, 0x3fb8aa3b, v17 :: v_dual_sub_f32 v25, v25, v2
	v_dual_mul_f32 v40, 0x3fb8aa3b, v19 :: v_dual_sub_f32 v45, v37, v2
	s_delay_alu instid0(VALU_DEP_3) | instskip(NEXT) | instid1(VALU_DEP_3)
	v_dual_sub_f32 v42, v34, v2 :: v_dual_mul_f32 v53, 0x3fb8aa3b, v44
	v_mul_f32_e32 v54, 0x3fb8aa3b, v25
	s_delay_alu instid0(VALU_DEP_3) | instskip(SKIP_3) | instid1(VALU_DEP_4)
	v_dual_sub_f32 v18, v18, v2 :: v_dual_mul_f32 v55, 0x3fb8aa3b, v45
	v_mul_f32_e32 v34, 0x3fb8aa3b, v16
	v_fma_f32 v84, 0x3fb8aa3b, v43, -v39
	v_rndne_f32_e32 v85, v39
	v_mul_f32_e32 v38, 0x3fb8aa3b, v18
	v_rndne_f32_e32 v93, v55
	v_fma_f32 v92, 0x3fb8aa3b, v45, -v55
	v_fmac_f32_e32 v76, 0x32a5705f, v32
	v_fma_f32 v74, 0x3fb8aa3b, v16, -v34
	v_rndne_f32_e32 v75, v34
	v_dual_sub_f32 v55, v55, v93 :: v_dual_fmac_f32 v70, 0x32a5705f, v15
	v_fmac_f32_e32 v68, 0x32a5705f, v27
	v_dual_sub_f32 v26, v26, v65 :: v_dual_mul_f32 v37, 0x3fb8aa3b, v42
	v_mul_f32_e32 v59, 0x3fb8aa3b, v49
	s_delay_alu instid0(VALU_DEP_4) | instskip(NEXT) | instid1(VALU_DEP_4)
	v_add_f32_e32 v31, v31, v70
	v_dual_mul_f32 v28, 0x3fb8aa3b, v14 :: v_dual_add_f32 v29, v29, v68
	v_rndne_f32_e32 v77, v35
	v_fma_f32 v88, 0x3fb8aa3b, v44, -v53
	v_rndne_f32_e32 v89, v53
	s_delay_alu instid0(VALU_DEP_4)
	v_fma_f32 v66, 0x3fb8aa3b, v14, -v28
	v_rndne_f32_e32 v67, v28
	v_mul_f32_e32 v33, 0x3fb8aa3b, v30
	v_fma_f32 v90, 0x3fb8aa3b, v25, -v54
	v_rndne_f32_e32 v91, v54
	v_dual_fmac_f32 v66, 0x32a5705f, v14 :: v_dual_sub_f32 v35, v35, v77
	v_sub_f32_e32 v28, v28, v67
	v_add_f32_e32 v26, v26, v64
	v_dual_fmac_f32 v74, 0x32a5705f, v16 :: v_dual_sub_f32 v39, v39, v85
	v_fmac_f32_e32 v84, 0x32a5705f, v43
	v_sub_f32_e32 v34, v34, v75
	v_fma_f32 v78, 0x3fb8aa3b, v17, -v36
	v_rndne_f32_e32 v81, v37
	s_delay_alu instid0(VALU_DEP_4) | instskip(NEXT) | instid1(VALU_DEP_4)
	v_dual_add_f32 v28, v28, v66 :: v_dual_add_f32 v39, v39, v84
	v_dual_add_f32 v34, v34, v74 :: v_dual_sub_f32 v53, v53, v89
	v_fmac_f32_e32 v88, 0x32a5705f, v44
	v_fmac_f32_e32 v90, 0x32a5705f, v25
	v_sub_f32_e32 v54, v54, v91
	v_exp_f32_e32 v26, v26
	v_fma_f32 v80, 0x3fb8aa3b, v42, -v37
	v_fma_f32 v86, 0x3fb8aa3b, v19, -v40
	v_rndne_f32_e32 v87, v40
	v_dual_fmac_f32 v78, 0x32a5705f, v17 :: v_dual_add_f32 v53, v53, v88
	v_sub_f32_e32 v37, v37, v81
	v_fma_f32 v88, 0x3fb8aa3b, v52, -v62
	v_add_f32_e32 v54, v54, v90
	v_rndne_f32_e32 v90, v62
	v_cvt_i32_f32_e32 v65, v65
	v_exp_f32_e32 v28, v28
	v_sub_f32_e32 v40, v40, v87
	v_cvt_i32_f32_e32 v67, v67
	v_fmac_f32_e32 v88, 0x32a5705f, v52
	v_sub_f32_e32 v62, v62, v90
	v_fmac_f32_e32 v86, 0x32a5705f, v19
	v_exp_f32_e32 v29, v29
	v_ldexp_f32 v26, v26, v65
	v_rndne_f32_e32 v83, v38
	v_fma_f32 v68, 0x3fb8aa3b, v47, -v57
	v_rndne_f32_e32 v70, v57
	v_add_f32_e32 v40, v40, v86
	v_cvt_i32_f32_e32 v69, v69
	v_ldexp_f32 v28, v28, v67
	v_cndmask_b32_e64 v26, 0, v26, s31
	v_cmp_ngt_f32_e64 s31, 0xc2ce8ed0, v14
	v_fma_f32 v72, 0x3fb8aa3b, v30, -v33
	v_rndne_f32_e32 v73, v33
	v_fma_f32 v82, 0x3fb8aa3b, v18, -v38
	v_dual_sub_f32 v38, v38, v83 :: v_dual_sub_f32 v57, v57, v70
	v_fma_f32 v84, 0x3fb8aa3b, v51, -v61
	v_rndne_f32_e32 v86, v61
	v_fmac_f32_e32 v68, 0x32a5705f, v47
	v_exp_f32_e32 v40, v40
	v_ldexp_f32 v29, v29, v69
	v_cndmask_b32_e64 v28, 0, v28, s31
	v_cmp_ngt_f32_e64 s31, 0xc2ce8ed0, v27
	v_dual_mul_f32 v56, 0x3fb8aa3b, v46 :: v_dual_sub_f32 v33, v33, v73
	v_dual_fmac_f32 v80, 0x32a5705f, v42 :: v_dual_add_f32 v57, v57, v68
	v_fmac_f32_e32 v72, 0x32a5705f, v30
	v_cvt_i32_f32_e32 v87, v87
	v_dual_fmac_f32 v84, 0x32a5705f, v51 :: v_dual_sub_f32 v61, v61, v86
	v_fmac_f32_e32 v82, 0x32a5705f, v18
	v_exp_f32_e32 v31, v31
	v_exp_f32_e32 v39, v39
	v_cndmask_b32_e64 v29, 0, v29, s31
	v_add_f32_e32 v61, v61, v84
	v_cmp_nlt_f32_e64 s31, 0x42b17218, v4
	v_mul_f32_e32 v63, 0x3fb8aa3b, v41
	v_dual_add_f32 v37, v37, v80 :: v_dual_mul_f32 v60, 0x3fb8aa3b, v50
	v_dual_add_f32 v33, v33, v72 :: v_dual_add_f32 v38, v38, v82
	v_cvt_i32_f32_e32 v71, v71
	v_cvt_i32_f32_e32 v85, v85
	v_ldexp_f32 v69, v40, v87
	v_cndmask_b32_e64 v40, 0x7f800000, v26, s31
	v_cmp_nlt_f32_e64 s31, 0x42b17218, v14
	v_rndne_f32_e32 v79, v36
	v_exp_f32_e32 v33, v33
	v_exp_f32_e32 v38, v38
	v_ldexp_f32 v31, v31, v71
	v_ldexp_f32 v68, v39, v85
	v_cndmask_b32_e64 v39, 0x7f800000, v28, s31
	v_cmp_ngt_f32_e64 s31, 0xc2ce8ed0, v15
	v_add_f32_e32 v35, v35, v76
	v_fma_f32 v76, 0x3fb8aa3b, v49, -v59
	v_fmac_f32_e32 v92, 0x32a5705f, v45
	v_sub_f32_e32 v36, v36, v79
	v_cvt_i32_f32_e32 v73, v73
	v_cvt_i32_f32_e32 v83, v83
	v_cndmask_b32_e64 v4, 0, v31, s31
	v_add_f32_e32 v55, v55, v92
	v_cmp_nlt_f32_e64 s31, 0x42b17218, v27
	v_fmac_f32_e32 v76, 0x32a5705f, v49
	v_add_f32_e32 v36, v36, v78
	v_rndne_f32_e32 v78, v59
	v_exp_f32_e32 v34, v34
	v_exp_f32_e32 v37, v37
	v_ldexp_f32 v33, v33, v73
	v_ldexp_f32 v67, v38, v83
	v_cndmask_b32_e64 v38, 0x7f800000, v29, s31
	v_cmp_ngt_f32_e64 s31, 0xc2ce8ed0, v30
	v_cvt_i32_f32_e32 v75, v75
	v_cvt_i32_f32_e32 v81, v81
	v_sub_f32_e32 v59, v59, v78
	v_fma_f32 v64, 0x3fb8aa3b, v46, -v56
	v_cndmask_b32_e64 v26, 0, v33, s31
	v_cmp_nlt_f32_e64 s31, 0x42b17218, v15
	v_rndne_f32_e32 v66, v56
	v_add_f32_e32 v59, v59, v76
	v_exp_f32_e32 v35, v35
	v_exp_f32_e32 v36, v36
	v_ldexp_f32 v34, v34, v75
	v_ldexp_f32 v65, v37, v81
	v_add_f32_e32 v14, v40, v39
	v_cndmask_b32_e64 v37, 0x7f800000, v4, s31
	v_cmp_ngt_f32_e64 s31, 0xc2ce8ed0, v16
	v_cvt_i32_f32_e32 v77, v77
	v_cvt_i32_f32_e32 v79, v79
	v_fmac_f32_e32 v64, 0x32a5705f, v46
	v_sub_f32_e32 v56, v56, v66
	v_add_f32_e32 v4, v14, v38
	v_cndmask_b32_e64 v14, 0, v34, s31
	v_cmp_nlt_f32_e64 s31, 0x42b17218, v30
	v_ldexp_f32 v35, v35, v77
	v_add_f32_e32 v56, v56, v64
	v_ldexp_f32 v64, v36, v79
	v_exp_f32_e32 v53, v53
	v_cndmask_b32_e64 v36, 0x7f800000, v26, s31
	v_cmp_ngt_f32_e64 s31, 0xc2ce8ed0, v32
	v_cvt_i32_f32_e32 v89, v89
	v_exp_f32_e32 v54, v54
	v_cvt_i32_f32_e32 v91, v91
	v_exp_f32_e32 v55, v55
	v_cndmask_b32_e64 v15, 0, v35, s31
	v_cmp_nlt_f32_e64 s31, 0x42b17218, v16
	v_cvt_i32_f32_e32 v93, v93
	v_ldexp_f32 v53, v53, v89
	v_exp_f32_e32 v56, v56
	v_fma_f32 v72, 0x3fb8aa3b, v48, -v58
	v_cndmask_b32_e64 v35, 0x7f800000, v14, s31
	v_cmp_ngt_f32_e64 s31, 0xc2ce8ed0, v17
	v_ldexp_f32 v54, v54, v91
	v_ldexp_f32 v55, v55, v93
	v_rndne_f32_e32 v74, v58
	v_cvt_i32_f32_e32 v66, v66
	v_cndmask_b32_e64 v14, 0, v64, s31
	v_cmp_nlt_f32_e64 s31, 0x42b17218, v32
	v_fmac_f32_e32 v72, 0x32a5705f, v48
	v_sub_f32_e32 v58, v58, v74
	v_exp_f32_e32 v57, v57
	v_ldexp_f32 v56, v56, v66
	v_cndmask_b32_e64 v34, 0x7f800000, v15, s31
	v_cmp_ngt_f32_e64 s31, 0xc2ce8ed0, v42
	v_cvt_i32_f32_e32 v70, v70
	v_add_f32_e32 v58, v58, v72
	v_fma_f32 v80, 0x3fb8aa3b, v50, -v60
	v_rndne_f32_e32 v82, v60
	v_cndmask_b32_e64 v15, 0, v65, s31
	v_cmp_nlt_f32_e64 s31, 0x42b17218, v17
	v_exp_f32_e32 v58, v58
	v_ldexp_f32 v57, v57, v70
	v_cvt_i32_f32_e32 v74, v74
	v_fmac_f32_e32 v80, 0x32a5705f, v50
	v_cndmask_b32_e64 v33, 0x7f800000, v14, s31
	v_cmp_ngt_f32_e64 s31, 0xc2ce8ed0, v18
	v_sub_f32_e32 v60, v60, v82
	v_exp_f32_e32 v59, v59
	v_cvt_i32_f32_e32 v78, v78
	v_cvt_i32_f32_e32 v82, v82
	v_cndmask_b32_e64 v14, 0, v67, s31
	v_cmp_nlt_f32_e64 s31, 0x42b17218, v42
	v_ldexp_f32 v58, v58, v74
	v_add_f32_e32 v60, v60, v80
	v_exp_f32_e32 v61, v61
	v_cvt_i32_f32_e32 v86, v86
	v_cndmask_b32_e64 v32, 0x7f800000, v15, s31
	v_cmp_ngt_f32_e64 s31, 0xc2ce8ed0, v43
	v_exp_f32_e32 v60, v60
	v_ldexp_f32 v59, v59, v78
	v_fma_f32 v92, 0x3fb8aa3b, v41, -v63
	s_delay_alu instid0(VALU_DEP_3) | instskip(SKIP_1) | instid1(TRANS32_DEP_2)
	v_cndmask_b32_e64 v15, 0, v68, s31
	v_cmp_nlt_f32_e64 s31, 0x42b17218, v18
	v_ldexp_f32 v42, v61, v86
	s_delay_alu instid0(VALU_DEP_4) | instskip(NEXT) | instid1(VALU_DEP_3)
	v_fmac_f32_e32 v92, 0x32a5705f, v41
	v_cndmask_b32_e64 v31, 0x7f800000, v14, s31
	v_cmp_ngt_f32_e64 s31, 0xc2ce8ed0, v19
	s_delay_alu instid0(TRANS32_DEP_1) | instskip(NEXT) | instid1(VALU_DEP_2)
	v_ldexp_f32 v60, v60, v82
	v_cndmask_b32_e64 v14, 0, v69, s31
	v_cmp_nlt_f32_e64 s31, 0x42b17218, v43
	s_delay_alu instid0(VALU_DEP_1) | instskip(SKIP_1) | instid1(VALU_DEP_1)
	v_cndmask_b32_e64 v30, 0x7f800000, v15, s31
	v_cmp_ngt_f32_e64 s31, 0xc2ce8ed0, v44
	v_cndmask_b32_e64 v15, 0, v53, s31
	v_cmp_nlt_f32_e64 s31, 0x42b17218, v19
	s_delay_alu instid0(VALU_DEP_1) | instskip(SKIP_1) | instid1(VALU_DEP_1)
	v_cndmask_b32_e64 v29, 0x7f800000, v14, s31
	v_cmp_ngt_f32_e64 s31, 0xc2ce8ed0, v25
	v_cndmask_b32_e64 v14, 0, v54, s31
	v_cmp_nlt_f32_e64 s31, 0x42b17218, v44
	v_sub_f32_e32 v44, v13, v2
	v_cvt_i32_f32_e32 v13, v90
	s_delay_alu instid0(VALU_DEP_3) | instskip(SKIP_1) | instid1(VALU_DEP_1)
	v_cndmask_b32_e64 v28, 0x7f800000, v15, s31
	v_cmp_ngt_f32_e64 s31, 0xc2ce8ed0, v45
	v_cndmask_b32_e64 v15, 0, v55, s31
	v_cmp_nlt_f32_e64 s31, 0x42b17218, v25
	s_delay_alu instid0(VALU_DEP_1) | instskip(SKIP_1) | instid1(VALU_DEP_1)
	v_cndmask_b32_e64 v27, 0x7f800000, v14, s31
	v_cmp_ngt_f32_e64 s31, 0xc2ce8ed0, v46
	v_cndmask_b32_e64 v14, 0, v56, s31
	v_cmp_nlt_f32_e64 s31, 0x42b17218, v45
	v_mul_f32_e32 v45, 0x3fb8aa3b, v44
	s_delay_alu instid0(VALU_DEP_2) | instskip(SKIP_1) | instid1(VALU_DEP_1)
	v_cndmask_b32_e64 v26, 0x7f800000, v15, s31
	v_cmp_ngt_f32_e64 s31, 0xc2ce8ed0, v47
	v_cndmask_b32_e64 v15, 0, v57, s31
	v_cmp_nlt_f32_e64 s31, 0x42b17218, v46
	v_rndne_f32_e32 v46, v45
	s_delay_alu instid0(VALU_DEP_2) | instskip(SKIP_1) | instid1(VALU_DEP_1)
	v_cndmask_b32_e64 v25, 0x7f800000, v14, s31
	v_cmp_ngt_f32_e64 s31, 0xc2ce8ed0, v48
	v_cndmask_b32_e64 v14, 0, v58, s31
	v_cmp_nlt_f32_e64 s31, 0x42b17218, v47
	s_delay_alu instid0(VALU_DEP_1) | instskip(SKIP_1) | instid1(VALU_DEP_1)
	v_cndmask_b32_e64 v19, 0x7f800000, v15, s31
	v_cmp_ngt_f32_e64 s31, 0xc2ce8ed0, v49
	v_cndmask_b32_e64 v15, 0, v59, s31
	v_cmp_nlt_f32_e64 s31, 0x42b17218, v48
	s_delay_alu instid0(VALU_DEP_1) | instskip(SKIP_1) | instid1(VALU_DEP_1)
	v_cndmask_b32_e64 v18, 0x7f800000, v14, s31
	v_cmp_ngt_f32_e64 s31, 0xc2ce8ed0, v50
	v_cndmask_b32_e64 v14, 0, v60, s31
	v_cmp_nlt_f32_e64 s31, 0x42b17218, v49
	v_sub_f32_e32 v49, v12, v2
	s_delay_alu instid0(VALU_DEP_2) | instskip(SKIP_2) | instid1(VALU_DEP_2)
	v_cndmask_b32_e64 v17, 0x7f800000, v15, s31
	v_cmp_nlt_f32_e64 s31, 0x42b17218, v50
	v_add_f32_e32 v15, v62, v88
	v_cndmask_b32_e64 v16, 0x7f800000, v14, s31
	v_rndne_f32_e32 v14, v63
	v_cmp_ngt_f32_e64 s31, 0xc2ce8ed0, v51
	s_delay_alu instid0(VALU_DEP_4) | instskip(NEXT) | instid1(VALU_DEP_2)
	v_exp_f32_e32 v43, v15
	v_cvt_i32_f32_e32 v47, v14
	s_delay_alu instid0(VALU_DEP_2) | instskip(SKIP_2) | instid1(VALU_DEP_2)
	v_cndmask_b32_e64 v15, 0, v42, s31
	v_sub_f32_e32 v42, v63, v14
	v_cmp_nlt_f32_e64 s31, 0x42b17218, v51
	v_add_f32_e32 v42, v42, v92
	s_delay_alu instid0(VALU_DEP_2) | instskip(NEXT) | instid1(TRANS32_DEP_1)
	v_cndmask_b32_e64 v15, 0x7f800000, v15, s31
	v_ldexp_f32 v13, v43, v13
	v_fma_f32 v43, 0x3fb8aa3b, v44, -v45
	v_cmp_ngt_f32_e64 s31, 0xc2ce8ed0, v52
	v_exp_f32_e32 v42, v42
	v_sub_f32_e32 v45, v45, v46
	s_delay_alu instid0(VALU_DEP_3) | instskip(NEXT) | instid1(VALU_DEP_3)
	v_fmac_f32_e32 v43, 0x32a5705f, v44
	v_cndmask_b32_e64 v13, 0, v13, s31
	v_cmp_nlt_f32_e64 s31, 0x42b17218, v52
	s_delay_alu instid0(VALU_DEP_1)
	v_cndmask_b32_e64 v14, 0x7f800000, v13, s31
	s_waitcnt_depctr 0xfff
	v_ldexp_f32 v13, v42, v47
	v_add_f32_e32 v42, v45, v43
	v_cmp_ngt_f32_e64 s31, 0xc2ce8ed0, v41
	v_mul_f32_e32 v43, 0x3fb8aa3b, v23
	v_sub_f32_e32 v45, v11, v2
	v_cvt_i32_f32_e32 v11, v46
	v_exp_f32_e32 v42, v42
	v_cndmask_b32_e64 v13, 0, v13, s31
	v_cmp_nlt_f32_e64 s31, 0x42b17218, v41
	v_fma_f32 v41, 0x3fb8aa3b, v23, -v43
	v_rndne_f32_e32 v46, v43
	v_mul_f32_e32 v47, 0x3fb8aa3b, v45
	s_delay_alu instid0(VALU_DEP_4) | instskip(NEXT) | instid1(VALU_DEP_4)
	v_cndmask_b32_e64 v13, 0x7f800000, v13, s31
	v_fmac_f32_e32 v41, 0x32a5705f, v23
	v_cmp_ngt_f32_e64 s31, 0xc2ce8ed0, v44
	s_delay_alu instid0(TRANS32_DEP_1) | instskip(SKIP_3) | instid1(VALU_DEP_4)
	v_ldexp_f32 v11, v42, v11
	v_sub_f32_e32 v42, v43, v46
	v_fma_f32 v43, 0x3fb8aa3b, v45, -v47
	v_rndne_f32_e32 v48, v47
	v_cndmask_b32_e64 v11, 0, v11, s31
	s_delay_alu instid0(VALU_DEP_4) | instskip(SKIP_1) | instid1(VALU_DEP_4)
	v_add_f32_e32 v41, v42, v41
	v_cmp_nlt_f32_e64 s31, 0x42b17218, v44
	v_dual_fmac_f32 v43, 0x32a5705f, v45 :: v_dual_sub_f32 v42, v47, v48
	v_dual_mul_f32 v47, 0x3fb8aa3b, v49 :: v_dual_sub_f32 v44, v10, v2
	s_delay_alu instid0(VALU_DEP_3) | instskip(SKIP_1) | instid1(VALU_DEP_3)
	v_cndmask_b32_e64 v12, 0x7f800000, v11, s31
	v_exp_f32_e32 v11, v41
	v_add_f32_e32 v41, v42, v43
	s_delay_alu instid0(VALU_DEP_3)
	v_fma_f32 v42, 0x3fb8aa3b, v49, -v47
	v_rndne_f32_e32 v43, v47
	v_cvt_i32_f32_e32 v10, v46
	v_cmp_ngt_f32_e64 s31, 0xc2ce8ed0, v23
	v_exp_f32_e32 v41, v41
	v_fmac_f32_e32 v42, 0x32a5705f, v49
	v_dual_sub_f32 v46, v47, v43 :: v_dual_mul_f32 v47, 0x3fb8aa3b, v44
	s_delay_alu instid0(TRANS32_DEP_2) | instskip(SKIP_1) | instid1(VALU_DEP_3)
	v_ldexp_f32 v10, v11, v10
	v_cvt_i32_f32_e32 v11, v48
	v_add_f32_e32 v42, v46, v42
	s_delay_alu instid0(VALU_DEP_4)
	v_fma_f32 v46, 0x3fb8aa3b, v44, -v47
	v_rndne_f32_e32 v48, v47
	v_cndmask_b32_e64 v10, 0, v10, s31
	v_cmp_nlt_f32_e64 s31, 0x42b17218, v23
	v_ldexp_f32 v41, v41, v11
	v_exp_f32_e32 v42, v42
	v_fmac_f32_e32 v46, 0x32a5705f, v44
	v_sub_f32_e32 v47, v47, v48
	v_cndmask_b32_e64 v11, 0x7f800000, v10, s31
	v_cmp_ngt_f32_e64 s31, 0xc2ce8ed0, v45
	v_cvt_i32_f32_e32 v10, v43
	v_cvt_i32_f32_e32 v43, v48
	s_delay_alu instid0(VALU_DEP_3) | instskip(SKIP_4) | instid1(VALU_DEP_3)
	v_cndmask_b32_e64 v23, 0, v41, s31
	v_add_f32_e32 v41, v47, v46
	v_cmp_nlt_f32_e64 s31, 0x42b17218, v45
	v_ldexp_f32 v42, v42, v10
	v_sub_f32_e32 v46, v7, v2
	v_cndmask_b32_e64 v10, 0x7f800000, v23, s31
	v_exp_f32_e32 v23, v41
	v_cmp_ngt_f32_e64 s31, 0xc2ce8ed0, v49
	s_delay_alu instid0(VALU_DEP_1)
	v_cndmask_b32_e64 v41, 0, v42, s31
	v_sub_f32_e32 v42, v8, v2
	v_cmp_nlt_f32_e64 s31, 0x42b17218, v49
	s_waitcnt_depctr 0xfff
	v_ldexp_f32 v23, v23, v43
	v_cndmask_b32_e64 v8, 0x7f800000, v41, s31
	v_mul_f32_e32 v41, 0x3fb8aa3b, v42
	v_cmp_ngt_f32_e64 s31, 0xc2ce8ed0, v44
	s_delay_alu instid0(VALU_DEP_2) | instskip(SKIP_1) | instid1(VALU_DEP_3)
	v_fma_f32 v43, 0x3fb8aa3b, v42, -v41
	v_rndne_f32_e32 v45, v41
	v_cndmask_b32_e64 v23, 0, v23, s31
	v_cmp_nlt_f32_e64 s31, 0x42b17218, v44
	v_sub_f32_e32 v44, v9, v2
	v_fmac_f32_e32 v43, 0x32a5705f, v42
	v_dual_sub_f32 v41, v41, v45 :: v_dual_sub_f32 v2, v6, v2
	s_delay_alu instid0(VALU_DEP_4) | instskip(SKIP_2) | instid1(VALU_DEP_4)
	v_cndmask_b32_e64 v7, 0x7f800000, v23, s31
	v_mul_f32_e32 v23, 0x3fb8aa3b, v46
	v_mul_f32_e32 v47, 0x3fb8aa3b, v44
	v_add_f32_e32 v9, v41, v43
	v_mul_f32_e32 v49, 0x3fb8aa3b, v2
	v_cvt_i32_f32_e32 v45, v45
	v_rndne_f32_e32 v43, v23
	v_fma_f32 v41, 0x3fb8aa3b, v46, -v23
	v_rndne_f32_e32 v48, v47
	v_rndne_f32_e32 v50, v49
	v_exp_f32_e32 v9, v9
	v_sub_f32_e32 v6, v23, v43
	v_fma_f32 v23, 0x3fb8aa3b, v44, -v47
	v_fmac_f32_e32 v41, 0x32a5705f, v46
	v_cmp_ngt_f32_e64 s31, 0xc2ce8ed0, v42
	v_cvt_i32_f32_e32 v43, v43
	s_delay_alu instid0(VALU_DEP_4) | instskip(NEXT) | instid1(VALU_DEP_4)
	v_dual_fmac_f32 v23, 0x32a5705f, v44 :: v_dual_add_f32 v4, v4, v37
	v_dual_add_f32 v6, v6, v41 :: v_dual_sub_f32 v41, v47, v48
	v_fma_f32 v47, 0x3fb8aa3b, v2, -v49
	s_delay_alu instid0(TRANS32_DEP_1) | instskip(NEXT) | instid1(VALU_DEP_4)
	v_ldexp_f32 v9, v9, v45
	v_add_f32_e32 v4, v4, v36
	s_delay_alu instid0(VALU_DEP_4) | instskip(SKIP_2) | instid1(VALU_DEP_3)
	v_exp_f32_e32 v6, v6
	v_add_f32_e32 v23, v41, v23
	v_fmac_f32_e32 v47, 0x32a5705f, v2
	v_dual_sub_f32 v41, v49, v50 :: v_dual_add_f32 v4, v4, v35
	v_cndmask_b32_e64 v9, 0, v9, s31
	v_cmp_nlt_f32_e64 s31, 0x42b17218, v42
	v_exp_f32_e32 v23, v23
	s_delay_alu instid0(VALU_DEP_3) | instskip(NEXT) | instid1(TRANS32_DEP_2)
	v_dual_add_f32 v41, v41, v47 :: v_dual_add_f32 v4, v4, v34
	v_ldexp_f32 v6, v6, v43
	s_delay_alu instid0(VALU_DEP_3) | instskip(SKIP_4) | instid1(VALU_DEP_3)
	v_cndmask_b32_e64 v9, 0x7f800000, v9, s31
	v_cmp_ngt_f32_e64 s31, 0xc2ce8ed0, v46
	v_cvt_i32_f32_e32 v42, v48
	v_add_f32_e32 v4, v4, v33
	v_exp_f32_e32 v41, v41
	v_cndmask_b32_e64 v6, 0, v6, s31
	v_cmp_nlt_f32_e64 s31, 0x42b17218, v46
	s_delay_alu instid0(VALU_DEP_3) | instskip(SKIP_2) | instid1(VALU_DEP_4)
	v_add_f32_e32 v4, v4, v32
	v_ldexp_f32 v23, v23, v42
	v_cvt_i32_f32_e32 v42, v50
	v_cndmask_b32_e64 v6, 0x7f800000, v6, s31
	s_delay_alu instid0(VALU_DEP_4)
	v_add_f32_e32 v4, v4, v31
	v_cmp_ngt_f32_e64 s31, 0xc2ce8ed0, v44
	s_delay_alu instid0(TRANS32_DEP_1) | instid1(VALU_DEP_4)
	v_ldexp_f32 v41, v41, v42
	s_delay_alu instid0(VALU_DEP_3) | instskip(NEXT) | instid1(VALU_DEP_3)
	v_add_f32_e32 v4, v4, v30
	v_cndmask_b32_e64 v23, 0, v23, s31
	v_cmp_nlt_f32_e64 s31, 0x42b17218, v44
	s_delay_alu instid0(VALU_DEP_3) | instskip(NEXT) | instid1(VALU_DEP_1)
	v_add_f32_e32 v4, v4, v29
	v_add_f32_e32 v4, v4, v28
	s_delay_alu instid0(VALU_DEP_1) | instskip(NEXT) | instid1(VALU_DEP_1)
	v_add_f32_e32 v4, v4, v27
	v_add_f32_e32 v4, v4, v26
	s_delay_alu instid0(VALU_DEP_1) | instskip(NEXT) | instid1(VALU_DEP_1)
	v_add_f32_e32 v4, v4, v25
	v_add_f32_e32 v4, v4, v19
	s_delay_alu instid0(VALU_DEP_1) | instskip(NEXT) | instid1(VALU_DEP_1)
	v_add_f32_e32 v4, v4, v18
	v_add_f32_e32 v4, v4, v17
	s_delay_alu instid0(VALU_DEP_1) | instskip(NEXT) | instid1(VALU_DEP_1)
	v_add_f32_e32 v4, v4, v16
	v_add_f32_e32 v4, v4, v15
	s_delay_alu instid0(VALU_DEP_1) | instskip(NEXT) | instid1(VALU_DEP_1)
	v_add_f32_e32 v4, v4, v14
	v_add_f32_e32 v4, v4, v13
	s_delay_alu instid0(VALU_DEP_1) | instskip(NEXT) | instid1(VALU_DEP_1)
	v_add_f32_e32 v4, v4, v12
	v_add_f32_e32 v4, v4, v11
	s_delay_alu instid0(VALU_DEP_1) | instskip(NEXT) | instid1(VALU_DEP_1)
	v_add_f32_e32 v4, v4, v10
	v_add_f32_e32 v4, v4, v8
	s_delay_alu instid0(VALU_DEP_1) | instskip(NEXT) | instid1(VALU_DEP_1)
	v_add_f32_e32 v4, v4, v7
	v_add_f32_e32 v4, v4, v9
	s_delay_alu instid0(VALU_DEP_1) | instskip(SKIP_2) | instid1(VALU_DEP_1)
	v_add_f32_e32 v42, v4, v6
	v_cndmask_b32_e64 v4, 0x7f800000, v23, s31
	v_cmp_ngt_f32_e64 s31, 0xc2ce8ed0, v2
	v_cndmask_b32_e64 v23, 0, v41, s31
	v_cmp_nlt_f32_e64 s31, 0x42b17218, v2
	s_delay_alu instid0(VALU_DEP_4) | instskip(NEXT) | instid1(VALU_DEP_2)
	v_add_f32_e32 v41, v42, v4
	v_cndmask_b32_e64 v2, 0x7f800000, v23, s31
	s_delay_alu instid0(VALU_DEP_1)
	v_add_f32_e32 v23, v41, v2
	ds_bpermute_b32 v3, v3, v23
	s_waitcnt lgkmcnt(0)
	v_add_f32_e32 v3, v23, v3
	ds_bpermute_b32 v20, v20, v3
	s_waitcnt lgkmcnt(0)
	;; [unrolled: 3-line block ×4, first 2 shown]
	v_add_f32_e32 v3, v3, v20
	ds_bpermute_b32 v20, v24, v3
	v_cmpx_lt_i32_e32 0, v5
	s_cbranch_execz .LBB479_162
; %bb.65:
	s_and_b32 exec_lo, exec_lo, vcc_lo
	s_cbranch_execz .LBB479_162
; %bb.66:
	s_waitcnt lgkmcnt(0)
	v_add_f32_e32 v3, v3, v20
	v_mov_b32_e32 v5, 0x7fc0
	s_delay_alu instid0(VALU_DEP_2) | instskip(NEXT) | instid1(VALU_DEP_1)
	v_cmp_neq_f32_e64 s31, 0, v3
	s_and_saveexec_b32 s33, s31
	s_cbranch_execz .LBB479_68
; %bb.67:
	v_div_scale_f32 v5, null, v3, v3, v40
	s_delay_alu instid0(VALU_DEP_1) | instskip(SKIP_2) | instid1(VALU_DEP_1)
	v_rcp_f32_e32 v20, v5
	s_waitcnt_depctr 0xfff
	v_fma_f32 v21, -v5, v20, 1.0
	v_fmac_f32_e32 v20, v21, v20
	v_div_scale_f32 v21, vcc_lo, v40, v3, v40
	s_delay_alu instid0(VALU_DEP_1) | instskip(NEXT) | instid1(VALU_DEP_1)
	v_mul_f32_e32 v22, v21, v20
	v_fma_f32 v23, -v5, v22, v21
	s_delay_alu instid0(VALU_DEP_1) | instskip(NEXT) | instid1(VALU_DEP_1)
	v_fmac_f32_e32 v22, v23, v20
	v_fma_f32 v5, -v5, v22, v21
	s_delay_alu instid0(VALU_DEP_1) | instskip(NEXT) | instid1(VALU_DEP_1)
	v_div_fmas_f32 v5, v5, v20, v22
	v_div_fixup_f32 v5, v5, v3, v40
	s_delay_alu instid0(VALU_DEP_1) | instskip(SKIP_1) | instid1(VALU_DEP_2)
	v_bfe_u32 v20, v5, 16, 1
	v_cmp_o_f32_e32 vcc_lo, v5, v5
	v_add3_u32 v20, v5, v20, 0x7fff
	s_delay_alu instid0(VALU_DEP_1) | instskip(NEXT) | instid1(VALU_DEP_1)
	v_lshrrev_b32_e32 v20, 16, v20
	v_cndmask_b32_e32 v5, 0x7fc0, v20, vcc_lo
.LBB479_68:
	s_or_b32 exec_lo, exec_lo, s33
	v_add_co_u32 v0, vcc_lo, s36, v0
	v_add_co_ci_u32_e32 v1, vcc_lo, s37, v1, vcc_lo
	global_store_b16 v[0:1], v5, off
	s_and_b32 exec_lo, exec_lo, s30
	s_cbranch_execz .LBB479_162
; %bb.69:
	v_mov_b32_e32 v5, 0x7fc0
	s_and_saveexec_b32 s30, s31
	s_cbranch_execz .LBB479_71
; %bb.70:
	v_div_scale_f32 v5, null, v3, v3, v39
	s_delay_alu instid0(VALU_DEP_1) | instskip(SKIP_2) | instid1(VALU_DEP_1)
	v_rcp_f32_e32 v20, v5
	s_waitcnt_depctr 0xfff
	v_fma_f32 v21, -v5, v20, 1.0
	v_fmac_f32_e32 v20, v21, v20
	v_div_scale_f32 v21, vcc_lo, v39, v3, v39
	s_delay_alu instid0(VALU_DEP_1) | instskip(NEXT) | instid1(VALU_DEP_1)
	v_mul_f32_e32 v22, v21, v20
	v_fma_f32 v23, -v5, v22, v21
	s_delay_alu instid0(VALU_DEP_1) | instskip(NEXT) | instid1(VALU_DEP_1)
	v_fmac_f32_e32 v22, v23, v20
	v_fma_f32 v5, -v5, v22, v21
	s_delay_alu instid0(VALU_DEP_1) | instskip(NEXT) | instid1(VALU_DEP_1)
	v_div_fmas_f32 v5, v5, v20, v22
	v_div_fixup_f32 v5, v5, v3, v39
	s_delay_alu instid0(VALU_DEP_1) | instskip(SKIP_1) | instid1(VALU_DEP_2)
	v_bfe_u32 v20, v5, 16, 1
	v_cmp_o_f32_e32 vcc_lo, v5, v5
	v_add3_u32 v20, v5, v20, 0x7fff
	s_delay_alu instid0(VALU_DEP_1) | instskip(NEXT) | instid1(VALU_DEP_1)
	v_lshrrev_b32_e32 v20, 16, v20
	v_cndmask_b32_e32 v5, 0x7fc0, v20, vcc_lo
.LBB479_71:
	s_or_b32 exec_lo, exec_lo, s30
	global_store_b16 v[0:1], v5, off offset:64
	s_and_b32 exec_lo, exec_lo, s29
	s_cbranch_execz .LBB479_162
; %bb.72:
	v_mov_b32_e32 v5, 0x7fc0
	s_and_saveexec_b32 s29, s31
	s_cbranch_execz .LBB479_74
; %bb.73:
	v_div_scale_f32 v5, null, v3, v3, v38
	s_delay_alu instid0(VALU_DEP_1) | instskip(SKIP_2) | instid1(VALU_DEP_1)
	v_rcp_f32_e32 v20, v5
	s_waitcnt_depctr 0xfff
	v_fma_f32 v21, -v5, v20, 1.0
	v_fmac_f32_e32 v20, v21, v20
	v_div_scale_f32 v21, vcc_lo, v38, v3, v38
	s_delay_alu instid0(VALU_DEP_1) | instskip(NEXT) | instid1(VALU_DEP_1)
	v_mul_f32_e32 v22, v21, v20
	v_fma_f32 v23, -v5, v22, v21
	s_delay_alu instid0(VALU_DEP_1) | instskip(NEXT) | instid1(VALU_DEP_1)
	v_fmac_f32_e32 v22, v23, v20
	v_fma_f32 v5, -v5, v22, v21
	s_delay_alu instid0(VALU_DEP_1) | instskip(NEXT) | instid1(VALU_DEP_1)
	v_div_fmas_f32 v5, v5, v20, v22
	v_div_fixup_f32 v5, v5, v3, v38
	s_delay_alu instid0(VALU_DEP_1) | instskip(SKIP_1) | instid1(VALU_DEP_2)
	v_bfe_u32 v20, v5, 16, 1
	v_cmp_o_f32_e32 vcc_lo, v5, v5
	v_add3_u32 v20, v5, v20, 0x7fff
	s_delay_alu instid0(VALU_DEP_1) | instskip(NEXT) | instid1(VALU_DEP_1)
	v_lshrrev_b32_e32 v20, 16, v20
	v_cndmask_b32_e32 v5, 0x7fc0, v20, vcc_lo
.LBB479_74:
	s_or_b32 exec_lo, exec_lo, s29
	global_store_b16 v[0:1], v5, off offset:128
	;; [unrolled: 33-line block ×31, first 2 shown]
.LBB479_162:
	s_nop 0
	s_sendmsg sendmsg(MSG_DEALLOC_VGPRS)
	s_endpgm
	.section	.rodata,"a",@progbits
	.p2align	6, 0x0
	.amdhsa_kernel _ZN12_GLOBAL__N_120softmax_warp_forwardIN3c108BFloat16ES2_fLi10ELb0ELb0ELi32EEEvPT0_PKT_iiiPKbib
		.amdhsa_group_segment_fixed_size 0
		.amdhsa_private_segment_fixed_size 0
		.amdhsa_kernarg_size 304
		.amdhsa_user_sgpr_count 15
		.amdhsa_user_sgpr_dispatch_ptr 0
		.amdhsa_user_sgpr_queue_ptr 0
		.amdhsa_user_sgpr_kernarg_segment_ptr 1
		.amdhsa_user_sgpr_dispatch_id 0
		.amdhsa_user_sgpr_private_segment_size 0
		.amdhsa_wavefront_size32 1
		.amdhsa_uses_dynamic_stack 0
		.amdhsa_enable_private_segment 0
		.amdhsa_system_sgpr_workgroup_id_x 1
		.amdhsa_system_sgpr_workgroup_id_y 0
		.amdhsa_system_sgpr_workgroup_id_z 0
		.amdhsa_system_sgpr_workgroup_info 0
		.amdhsa_system_vgpr_workitem_id 1
		.amdhsa_next_free_vgpr 94
		.amdhsa_next_free_sgpr 44
		.amdhsa_reserve_vcc 1
		.amdhsa_float_round_mode_32 0
		.amdhsa_float_round_mode_16_64 0
		.amdhsa_float_denorm_mode_32 3
		.amdhsa_float_denorm_mode_16_64 3
		.amdhsa_dx10_clamp 1
		.amdhsa_ieee_mode 1
		.amdhsa_fp16_overflow 0
		.amdhsa_workgroup_processor_mode 1
		.amdhsa_memory_ordered 1
		.amdhsa_forward_progress 0
		.amdhsa_shared_vgpr_count 0
		.amdhsa_exception_fp_ieee_invalid_op 0
		.amdhsa_exception_fp_denorm_src 0
		.amdhsa_exception_fp_ieee_div_zero 0
		.amdhsa_exception_fp_ieee_overflow 0
		.amdhsa_exception_fp_ieee_underflow 0
		.amdhsa_exception_fp_ieee_inexact 0
		.amdhsa_exception_int_div_zero 0
	.end_amdhsa_kernel
	.section	.text._ZN12_GLOBAL__N_120softmax_warp_forwardIN3c108BFloat16ES2_fLi10ELb0ELb0ELi32EEEvPT0_PKT_iiiPKbib,"axG",@progbits,_ZN12_GLOBAL__N_120softmax_warp_forwardIN3c108BFloat16ES2_fLi10ELb0ELb0ELi32EEEvPT0_PKT_iiiPKbib,comdat
.Lfunc_end479:
	.size	_ZN12_GLOBAL__N_120softmax_warp_forwardIN3c108BFloat16ES2_fLi10ELb0ELb0ELi32EEEvPT0_PKT_iiiPKbib, .Lfunc_end479-_ZN12_GLOBAL__N_120softmax_warp_forwardIN3c108BFloat16ES2_fLi10ELb0ELb0ELi32EEEvPT0_PKT_iiiPKbib
                                        ; -- End function
	.section	.AMDGPU.csdata,"",@progbits
; Kernel info:
; codeLenInByte = 12360
; NumSgprs: 46
; NumVgprs: 94
; ScratchSize: 0
; MemoryBound: 0
; FloatMode: 240
; IeeeMode: 1
; LDSByteSize: 0 bytes/workgroup (compile time only)
; SGPRBlocks: 5
; VGPRBlocks: 11
; NumSGPRsForWavesPerEU: 46
; NumVGPRsForWavesPerEU: 94
; Occupancy: 16
; WaveLimiterHint : 0
; COMPUTE_PGM_RSRC2:SCRATCH_EN: 0
; COMPUTE_PGM_RSRC2:USER_SGPR: 15
; COMPUTE_PGM_RSRC2:TRAP_HANDLER: 0
; COMPUTE_PGM_RSRC2:TGID_X_EN: 1
; COMPUTE_PGM_RSRC2:TGID_Y_EN: 0
; COMPUTE_PGM_RSRC2:TGID_Z_EN: 0
; COMPUTE_PGM_RSRC2:TIDIG_COMP_CNT: 1
	.section	.text._ZN12_GLOBAL__N_120softmax_warp_forwardIN3c108BFloat16ES2_fLi11ELb0ELb0ELi64EEEvPT0_PKT_iiiPKbib,"axG",@progbits,_ZN12_GLOBAL__N_120softmax_warp_forwardIN3c108BFloat16ES2_fLi11ELb0ELb0ELi64EEEvPT0_PKT_iiiPKbib,comdat
	.globl	_ZN12_GLOBAL__N_120softmax_warp_forwardIN3c108BFloat16ES2_fLi11ELb0ELb0ELi64EEEvPT0_PKT_iiiPKbib ; -- Begin function _ZN12_GLOBAL__N_120softmax_warp_forwardIN3c108BFloat16ES2_fLi11ELb0ELb0ELi64EEEvPT0_PKT_iiiPKbib
	.p2align	8
	.type	_ZN12_GLOBAL__N_120softmax_warp_forwardIN3c108BFloat16ES2_fLi11ELb0ELb0ELi64EEEvPT0_PKT_iiiPKbib,@function
_ZN12_GLOBAL__N_120softmax_warp_forwardIN3c108BFloat16ES2_fLi11ELb0ELb0ELi64EEEvPT0_PKT_iiiPKbib: ; @_ZN12_GLOBAL__N_120softmax_warp_forwardIN3c108BFloat16ES2_fLi11ELb0ELb0ELi64EEEvPT0_PKT_iiiPKbib
; %bb.0:
	s_clause 0x1
	s_load_b32 s2, s[0:1], 0x3c
	s_load_b256 s[36:43], s[0:1], 0x0
	v_bfe_u32 v1, v0, 10, 10
	v_dual_mov_b32 v13, 0xff800000 :: v_dual_mov_b32 v26, 0xff800000
	s_waitcnt lgkmcnt(0)
	s_lshr_b32 s0, s2, 16
	s_delay_alu instid0(VALU_DEP_2) | instid1(SALU_CYCLE_1)
	v_mad_u64_u32 v[3:4], null, s15, s0, v[1:2]
	v_and_b32_e32 v2, 0x3ff, v0
	s_delay_alu instid0(VALU_DEP_1) | instskip(NEXT) | instid1(VALU_DEP_3)
	v_cmp_gt_i32_e32 vcc_lo, s42, v2
	v_mad_u64_u32 v[0:1], null, v3, s41, v[2:3]
	v_sub_nc_u32_e32 v5, s40, v3
	s_delay_alu instid0(VALU_DEP_1) | instskip(NEXT) | instid1(VALU_DEP_3)
	v_cmp_lt_i32_e64 s31, 0, v5
	v_ashrrev_i32_e32 v1, 31, v0
	s_delay_alu instid0(VALU_DEP_2) | instskip(NEXT) | instid1(VALU_DEP_1)
	s_and_b32 s1, s31, vcc_lo
	v_lshlrev_b64 v[0:1], 1, v[0:1]
	s_delay_alu instid0(VALU_DEP_1) | instskip(NEXT) | instid1(VALU_DEP_1)
	v_add_co_u32 v3, s0, s38, v0
	v_add_co_ci_u32_e64 v4, s0, s39, v1, s0
	s_and_saveexec_b32 s0, s1
	s_cbranch_execz .LBB480_2
; %bb.1:
	global_load_u16 v6, v[3:4], off
	s_waitcnt vmcnt(0)
	v_lshlrev_b32_e32 v26, 16, v6
.LBB480_2:
	s_or_b32 exec_lo, exec_lo, s0
	v_add_nc_u32_e32 v6, 64, v2
	s_delay_alu instid0(VALU_DEP_1) | instskip(NEXT) | instid1(VALU_DEP_1)
	v_cmp_gt_i32_e64 s30, s42, v6
	s_and_b32 s1, s31, s30
	s_delay_alu instid0(SALU_CYCLE_1)
	s_and_saveexec_b32 s0, s1
	s_cbranch_execz .LBB480_4
; %bb.3:
	global_load_u16 v6, v[3:4], off offset:128
	s_waitcnt vmcnt(0)
	v_lshlrev_b32_e32 v13, 16, v6
.LBB480_4:
	s_or_b32 exec_lo, exec_lo, s0
	v_add_nc_u32_e32 v6, 0x80, v2
	v_dual_mov_b32 v14, 0xff800000 :: v_dual_mov_b32 v29, 0xff800000
	s_delay_alu instid0(VALU_DEP_2) | instskip(NEXT) | instid1(VALU_DEP_1)
	v_cmp_gt_i32_e64 s29, s42, v6
	s_and_b32 s1, s31, s29
	s_delay_alu instid0(SALU_CYCLE_1)
	s_and_saveexec_b32 s0, s1
	s_cbranch_execz .LBB480_6
; %bb.5:
	global_load_u16 v6, v[3:4], off offset:256
	s_waitcnt vmcnt(0)
	v_lshlrev_b32_e32 v29, 16, v6
.LBB480_6:
	s_or_b32 exec_lo, exec_lo, s0
	v_add_nc_u32_e32 v6, 0xc0, v2
	s_delay_alu instid0(VALU_DEP_1) | instskip(NEXT) | instid1(VALU_DEP_1)
	v_cmp_gt_i32_e64 s28, s42, v6
	s_and_b32 s1, s31, s28
	s_delay_alu instid0(SALU_CYCLE_1)
	s_and_saveexec_b32 s0, s1
	s_cbranch_execz .LBB480_8
; %bb.7:
	global_load_u16 v6, v[3:4], off offset:384
	s_waitcnt vmcnt(0)
	v_lshlrev_b32_e32 v14, 16, v6
.LBB480_8:
	s_or_b32 exec_lo, exec_lo, s0
	v_add_nc_u32_e32 v6, 0x100, v2
	v_mov_b32_e32 v15, 0xff800000
	v_mov_b32_e32 v31, 0xff800000
	s_delay_alu instid0(VALU_DEP_3) | instskip(NEXT) | instid1(VALU_DEP_1)
	v_cmp_gt_i32_e64 s27, s42, v6
	s_and_b32 s1, s31, s27
	s_delay_alu instid0(SALU_CYCLE_1)
	s_and_saveexec_b32 s0, s1
	s_cbranch_execz .LBB480_10
; %bb.9:
	global_load_u16 v6, v[3:4], off offset:512
	s_waitcnt vmcnt(0)
	v_lshlrev_b32_e32 v31, 16, v6
.LBB480_10:
	s_or_b32 exec_lo, exec_lo, s0
	v_add_nc_u32_e32 v6, 0x140, v2
	s_delay_alu instid0(VALU_DEP_1) | instskip(NEXT) | instid1(VALU_DEP_1)
	v_cmp_gt_i32_e64 s26, s42, v6
	s_and_b32 s1, s31, s26
	s_delay_alu instid0(SALU_CYCLE_1)
	s_and_saveexec_b32 s0, s1
	s_cbranch_execz .LBB480_12
; %bb.11:
	global_load_u16 v6, v[3:4], off offset:640
	s_waitcnt vmcnt(0)
	v_lshlrev_b32_e32 v15, 16, v6
.LBB480_12:
	s_or_b32 exec_lo, exec_lo, s0
	v_add_nc_u32_e32 v6, 0x180, v2
	v_dual_mov_b32 v16, 0xff800000 :: v_dual_mov_b32 v33, 0xff800000
	s_delay_alu instid0(VALU_DEP_2) | instskip(NEXT) | instid1(VALU_DEP_1)
	v_cmp_gt_i32_e64 s25, s42, v6
	s_and_b32 s1, s31, s25
	s_delay_alu instid0(SALU_CYCLE_1)
	s_and_saveexec_b32 s0, s1
	s_cbranch_execz .LBB480_14
; %bb.13:
	global_load_u16 v6, v[3:4], off offset:768
	s_waitcnt vmcnt(0)
	v_lshlrev_b32_e32 v33, 16, v6
.LBB480_14:
	s_or_b32 exec_lo, exec_lo, s0
	v_add_nc_u32_e32 v6, 0x1c0, v2
	s_delay_alu instid0(VALU_DEP_1) | instskip(NEXT) | instid1(VALU_DEP_1)
	v_cmp_gt_i32_e64 s24, s42, v6
	s_and_b32 s1, s31, s24
	s_delay_alu instid0(SALU_CYCLE_1)
	s_and_saveexec_b32 s0, s1
	s_cbranch_execz .LBB480_16
; %bb.15:
	global_load_u16 v6, v[3:4], off offset:896
	s_waitcnt vmcnt(0)
	v_lshlrev_b32_e32 v16, 16, v6
.LBB480_16:
	s_or_b32 exec_lo, exec_lo, s0
	v_add_nc_u32_e32 v6, 0x200, v2
	v_dual_mov_b32 v17, 0xff800000 :: v_dual_mov_b32 v34, 0xff800000
	s_delay_alu instid0(VALU_DEP_2) | instskip(NEXT) | instid1(VALU_DEP_1)
	;; [unrolled: 27-line block ×3, first 2 shown]
	v_cmp_gt_i32_e64 s21, s42, v6
	s_and_b32 s1, s31, s21
	s_delay_alu instid0(SALU_CYCLE_1)
	s_and_saveexec_b32 s0, s1
	s_cbranch_execz .LBB480_22
; %bb.21:
	global_load_u16 v6, v[3:4], off offset:1280
	s_waitcnt vmcnt(0)
	v_lshlrev_b32_e32 v35, 16, v6
.LBB480_22:
	s_or_b32 exec_lo, exec_lo, s0
	v_add_nc_u32_e32 v6, 0x2c0, v2
	s_delay_alu instid0(VALU_DEP_1) | instskip(NEXT) | instid1(VALU_DEP_1)
	v_cmp_gt_i32_e64 s20, s42, v6
	s_and_b32 s1, s31, s20
	s_delay_alu instid0(SALU_CYCLE_1)
	s_and_saveexec_b32 s0, s1
	s_cbranch_execz .LBB480_24
; %bb.23:
	global_load_u16 v6, v[3:4], off offset:1408
	s_waitcnt vmcnt(0)
	v_lshlrev_b32_e32 v20, 16, v6
.LBB480_24:
	s_or_b32 exec_lo, exec_lo, s0
	v_add_nc_u32_e32 v6, 0x300, v2
	v_mov_b32_e32 v24, 0xff800000
	v_mov_b32_e32 v36, 0xff800000
	s_delay_alu instid0(VALU_DEP_3) | instskip(NEXT) | instid1(VALU_DEP_1)
	v_cmp_gt_i32_e64 s19, s42, v6
	s_and_b32 s1, s31, s19
	s_delay_alu instid0(SALU_CYCLE_1)
	s_and_saveexec_b32 s0, s1
	s_cbranch_execz .LBB480_26
; %bb.25:
	global_load_u16 v6, v[3:4], off offset:1536
	s_waitcnt vmcnt(0)
	v_lshlrev_b32_e32 v36, 16, v6
.LBB480_26:
	s_or_b32 exec_lo, exec_lo, s0
	v_add_nc_u32_e32 v6, 0x340, v2
	s_delay_alu instid0(VALU_DEP_1) | instskip(NEXT) | instid1(VALU_DEP_1)
	v_cmp_gt_i32_e64 s18, s42, v6
	s_and_b32 s1, s31, s18
	s_delay_alu instid0(SALU_CYCLE_1)
	s_and_saveexec_b32 s0, s1
	s_cbranch_execz .LBB480_28
; %bb.27:
	global_load_u16 v6, v[3:4], off offset:1664
	s_waitcnt vmcnt(0)
	v_lshlrev_b32_e32 v24, 16, v6
.LBB480_28:
	s_or_b32 exec_lo, exec_lo, s0
	v_add_nc_u32_e32 v6, 0x380, v2
	v_mov_b32_e32 v25, 0xff800000
	v_mov_b32_e32 v37, 0xff800000
	s_delay_alu instid0(VALU_DEP_3) | instskip(NEXT) | instid1(VALU_DEP_1)
	v_cmp_gt_i32_e64 s17, s42, v6
	s_and_b32 s1, s31, s17
	s_delay_alu instid0(SALU_CYCLE_1)
	s_and_saveexec_b32 s0, s1
	s_cbranch_execz .LBB480_30
; %bb.29:
	global_load_u16 v6, v[3:4], off offset:1792
	s_waitcnt vmcnt(0)
	v_lshlrev_b32_e32 v37, 16, v6
.LBB480_30:
	s_or_b32 exec_lo, exec_lo, s0
	v_add_nc_u32_e32 v6, 0x3c0, v2
	s_delay_alu instid0(VALU_DEP_1) | instskip(NEXT) | instid1(VALU_DEP_1)
	v_cmp_gt_i32_e64 s16, s42, v6
	s_and_b32 s1, s31, s16
	s_delay_alu instid0(SALU_CYCLE_1)
	s_and_saveexec_b32 s0, s1
	s_cbranch_execz .LBB480_32
; %bb.31:
	global_load_u16 v6, v[3:4], off offset:1920
	s_waitcnt vmcnt(0)
	v_lshlrev_b32_e32 v25, 16, v6
.LBB480_32:
	s_or_b32 exec_lo, exec_lo, s0
	v_or_b32_e32 v6, 0x400, v2
	v_dual_mov_b32 v27, 0xff800000 :: v_dual_mov_b32 v38, 0xff800000
	s_delay_alu instid0(VALU_DEP_2) | instskip(NEXT) | instid1(VALU_DEP_1)
	v_cmp_gt_i32_e64 s15, s42, v6
	s_and_b32 s1, s31, s15
	s_delay_alu instid0(SALU_CYCLE_1)
	s_and_saveexec_b32 s0, s1
	s_cbranch_execz .LBB480_34
; %bb.33:
	global_load_u16 v6, v[3:4], off offset:2048
	s_waitcnt vmcnt(0)
	v_lshlrev_b32_e32 v38, 16, v6
.LBB480_34:
	s_or_b32 exec_lo, exec_lo, s0
	v_add_nc_u32_e32 v6, 0x440, v2
	s_delay_alu instid0(VALU_DEP_1) | instskip(NEXT) | instid1(VALU_DEP_1)
	v_cmp_gt_i32_e64 s14, s42, v6
	s_and_b32 s1, s31, s14
	s_delay_alu instid0(SALU_CYCLE_1)
	s_and_saveexec_b32 s0, s1
	s_cbranch_execz .LBB480_36
; %bb.35:
	global_load_u16 v6, v[3:4], off offset:2176
	s_waitcnt vmcnt(0)
	v_lshlrev_b32_e32 v27, 16, v6
.LBB480_36:
	s_or_b32 exec_lo, exec_lo, s0
	v_add_nc_u32_e32 v6, 0x480, v2
	v_dual_mov_b32 v28, 0xff800000 :: v_dual_mov_b32 v39, 0xff800000
	s_delay_alu instid0(VALU_DEP_2) | instskip(NEXT) | instid1(VALU_DEP_1)
	v_cmp_gt_i32_e64 s13, s42, v6
	s_and_b32 s1, s31, s13
	s_delay_alu instid0(SALU_CYCLE_1)
	s_and_saveexec_b32 s0, s1
	s_cbranch_execz .LBB480_38
; %bb.37:
	global_load_u16 v6, v[3:4], off offset:2304
	s_waitcnt vmcnt(0)
	v_lshlrev_b32_e32 v39, 16, v6
.LBB480_38:
	s_or_b32 exec_lo, exec_lo, s0
	v_add_nc_u32_e32 v6, 0x4c0, v2
	s_delay_alu instid0(VALU_DEP_1) | instskip(NEXT) | instid1(VALU_DEP_1)
	v_cmp_gt_i32_e64 s12, s42, v6
	s_and_b32 s1, s31, s12
	s_delay_alu instid0(SALU_CYCLE_1)
	s_and_saveexec_b32 s0, s1
	s_cbranch_execz .LBB480_40
; %bb.39:
	global_load_u16 v6, v[3:4], off offset:2432
	s_waitcnt vmcnt(0)
	v_lshlrev_b32_e32 v28, 16, v6
.LBB480_40:
	s_or_b32 exec_lo, exec_lo, s0
	v_add_nc_u32_e32 v6, 0x500, v2
	v_mov_b32_e32 v30, 0xff800000
	v_mov_b32_e32 v40, 0xff800000
	s_delay_alu instid0(VALU_DEP_3) | instskip(NEXT) | instid1(VALU_DEP_1)
	v_cmp_gt_i32_e64 s11, s42, v6
	s_and_b32 s1, s31, s11
	s_delay_alu instid0(SALU_CYCLE_1)
	s_and_saveexec_b32 s0, s1
	s_cbranch_execz .LBB480_42
; %bb.41:
	global_load_u16 v6, v[3:4], off offset:2560
	s_waitcnt vmcnt(0)
	v_lshlrev_b32_e32 v40, 16, v6
.LBB480_42:
	s_or_b32 exec_lo, exec_lo, s0
	v_add_nc_u32_e32 v6, 0x540, v2
	s_delay_alu instid0(VALU_DEP_1) | instskip(NEXT) | instid1(VALU_DEP_1)
	v_cmp_gt_i32_e64 s10, s42, v6
	s_and_b32 s1, s31, s10
	s_delay_alu instid0(SALU_CYCLE_1)
	s_and_saveexec_b32 s0, s1
	s_cbranch_execz .LBB480_44
; %bb.43:
	global_load_u16 v6, v[3:4], off offset:2688
	s_waitcnt vmcnt(0)
	v_lshlrev_b32_e32 v30, 16, v6
.LBB480_44:
	s_or_b32 exec_lo, exec_lo, s0
	v_add_nc_u32_e32 v6, 0x580, v2
	v_dual_mov_b32 v32, 0xff800000 :: v_dual_mov_b32 v41, 0xff800000
	s_delay_alu instid0(VALU_DEP_2) | instskip(NEXT) | instid1(VALU_DEP_1)
	v_cmp_gt_i32_e64 s9, s42, v6
	s_and_b32 s1, s31, s9
	s_delay_alu instid0(SALU_CYCLE_1)
	s_and_saveexec_b32 s0, s1
	s_cbranch_execz .LBB480_46
; %bb.45:
	global_load_u16 v6, v[3:4], off offset:2816
	s_waitcnt vmcnt(0)
	v_lshlrev_b32_e32 v41, 16, v6
.LBB480_46:
	s_or_b32 exec_lo, exec_lo, s0
	v_add_nc_u32_e32 v6, 0x5c0, v2
	s_delay_alu instid0(VALU_DEP_1) | instskip(NEXT) | instid1(VALU_DEP_1)
	v_cmp_gt_i32_e64 s8, s42, v6
	s_and_b32 s1, s31, s8
	s_delay_alu instid0(SALU_CYCLE_1)
	s_and_saveexec_b32 s0, s1
	s_cbranch_execz .LBB480_48
; %bb.47:
	global_load_u16 v6, v[3:4], off offset:2944
	s_waitcnt vmcnt(0)
	v_lshlrev_b32_e32 v32, 16, v6
.LBB480_48:
	s_or_b32 exec_lo, exec_lo, s0
	v_add_nc_u32_e32 v6, 0x600, v2
	v_dual_mov_b32 v11, 0xff800000 :: v_dual_mov_b32 v42, 0xff800000
	s_delay_alu instid0(VALU_DEP_2) | instskip(NEXT) | instid1(VALU_DEP_1)
	v_cmp_gt_i32_e64 s7, s42, v6
	s_and_b32 s1, s31, s7
	s_delay_alu instid0(SALU_CYCLE_1)
	s_and_saveexec_b32 s0, s1
	s_cbranch_execz .LBB480_50
; %bb.49:
	global_load_u16 v6, v[3:4], off offset:3072
	s_waitcnt vmcnt(0)
	v_lshlrev_b32_e32 v42, 16, v6
.LBB480_50:
	s_or_b32 exec_lo, exec_lo, s0
	v_add_nc_u32_e32 v6, 0x640, v2
	s_delay_alu instid0(VALU_DEP_1) | instskip(NEXT) | instid1(VALU_DEP_1)
	v_cmp_gt_i32_e64 s6, s42, v6
	s_and_b32 s1, s31, s6
	s_delay_alu instid0(SALU_CYCLE_1)
	s_and_saveexec_b32 s0, s1
	s_cbranch_execz .LBB480_52
; %bb.51:
	global_load_u16 v6, v[3:4], off offset:3200
	s_waitcnt vmcnt(0)
	v_lshlrev_b32_e32 v11, 16, v6
.LBB480_52:
	s_or_b32 exec_lo, exec_lo, s0
	v_add_nc_u32_e32 v6, 0x680, v2
	v_mov_b32_e32 v10, 0xff800000
	v_mov_b32_e32 v12, 0xff800000
	s_delay_alu instid0(VALU_DEP_3) | instskip(NEXT) | instid1(VALU_DEP_1)
	v_cmp_gt_i32_e64 s5, s42, v6
	s_and_b32 s1, s31, s5
	s_delay_alu instid0(SALU_CYCLE_1)
	s_and_saveexec_b32 s0, s1
	s_cbranch_execz .LBB480_54
; %bb.53:
	global_load_u16 v6, v[3:4], off offset:3328
	s_waitcnt vmcnt(0)
	v_lshlrev_b32_e32 v12, 16, v6
.LBB480_54:
	s_or_b32 exec_lo, exec_lo, s0
	v_add_nc_u32_e32 v6, 0x6c0, v2
	s_delay_alu instid0(VALU_DEP_1) | instskip(NEXT) | instid1(VALU_DEP_1)
	v_cmp_gt_i32_e64 s4, s42, v6
	s_and_b32 s1, s31, s4
	s_delay_alu instid0(SALU_CYCLE_1)
	s_and_saveexec_b32 s0, s1
	s_cbranch_execz .LBB480_56
; %bb.55:
	global_load_u16 v6, v[3:4], off offset:3456
	s_waitcnt vmcnt(0)
	v_lshlrev_b32_e32 v10, 16, v6
.LBB480_56:
	s_or_b32 exec_lo, exec_lo, s0
	v_add_nc_u32_e32 v6, 0x700, v2
	v_dual_mov_b32 v7, 0xff800000 :: v_dual_mov_b32 v8, 0xff800000
	s_delay_alu instid0(VALU_DEP_2) | instskip(NEXT) | instid1(VALU_DEP_1)
	v_cmp_gt_i32_e64 s3, s42, v6
	s_and_b32 s1, s31, s3
	s_delay_alu instid0(SALU_CYCLE_1)
	s_and_saveexec_b32 s0, s1
	s_cbranch_execz .LBB480_58
; %bb.57:
	global_load_u16 v6, v[3:4], off offset:3584
	s_waitcnt vmcnt(0)
	v_lshlrev_b32_e32 v8, 16, v6
.LBB480_58:
	s_or_b32 exec_lo, exec_lo, s0
	v_add_nc_u32_e32 v6, 0x740, v2
	s_delay_alu instid0(VALU_DEP_1) | instskip(NEXT) | instid1(VALU_DEP_1)
	v_cmp_gt_i32_e64 s2, s42, v6
	s_and_b32 s1, s31, s2
	s_delay_alu instid0(SALU_CYCLE_1)
	s_and_saveexec_b32 s0, s1
	s_cbranch_execz .LBB480_60
; %bb.59:
	global_load_u16 v6, v[3:4], off offset:3712
	s_waitcnt vmcnt(0)
	v_lshlrev_b32_e32 v7, 16, v6
.LBB480_60:
	s_or_b32 exec_lo, exec_lo, s0
	v_add_nc_u32_e32 v6, 0x780, v2
	v_mov_b32_e32 v9, 0xff800000
	s_delay_alu instid0(VALU_DEP_2) | instskip(SKIP_1) | instid1(VALU_DEP_2)
	v_cmp_gt_i32_e64 s1, s42, v6
	v_mov_b32_e32 v6, 0xff800000
	s_and_b32 s33, s31, s1
	s_delay_alu instid0(SALU_CYCLE_1)
	s_and_saveexec_b32 s0, s33
	s_cbranch_execz .LBB480_62
; %bb.61:
	global_load_u16 v9, v[3:4], off offset:3840
	s_waitcnt vmcnt(0)
	v_lshlrev_b32_e32 v9, 16, v9
.LBB480_62:
	s_or_b32 exec_lo, exec_lo, s0
	v_add_nc_u32_e32 v2, 0x7c0, v2
	s_delay_alu instid0(VALU_DEP_1) | instskip(NEXT) | instid1(VALU_DEP_1)
	v_cmp_gt_i32_e64 s0, s42, v2
	s_and_b32 s33, s31, s0
	s_delay_alu instid0(SALU_CYCLE_1)
	s_and_saveexec_b32 s31, s33
	s_cbranch_execz .LBB480_64
; %bb.63:
	global_load_u16 v2, v[3:4], off offset:3968
	s_waitcnt vmcnt(0)
	v_lshlrev_b32_e32 v6, 16, v2
.LBB480_64:
	s_or_b32 exec_lo, exec_lo, s31
	v_cmp_gt_f32_e64 s31, v26, v13
	v_mbcnt_lo_u32_b32 v4, -1, 0
	s_mov_b32 s33, exec_lo
	s_delay_alu instid0(VALU_DEP_2) | instskip(NEXT) | instid1(VALU_DEP_2)
	v_cndmask_b32_e64 v2, v13, v26, s31
	v_or_b32_e32 v3, 32, v4
	v_xor_b32_e32 v18, 16, v4
	s_delay_alu instid0(VALU_DEP_3) | instskip(NEXT) | instid1(VALU_DEP_1)
	v_cmp_gt_f32_e64 s31, v2, v29
	v_cndmask_b32_e64 v2, v29, v2, s31
	s_delay_alu instid0(VALU_DEP_1) | instskip(NEXT) | instid1(VALU_DEP_1)
	v_cmp_gt_f32_e64 s31, v2, v14
	v_cndmask_b32_e64 v2, v14, v2, s31
	s_delay_alu instid0(VALU_DEP_1) | instskip(NEXT) | instid1(VALU_DEP_1)
	;; [unrolled: 3-line block ×27, first 2 shown]
	v_cmp_gt_f32_e64 s31, v2, v7
	v_cndmask_b32_e64 v2, v7, v2, s31
	v_cmp_gt_i32_e64 s31, 64, v3
	s_delay_alu instid0(VALU_DEP_1) | instskip(NEXT) | instid1(VALU_DEP_3)
	v_cndmask_b32_e64 v3, v4, v3, s31
	v_cmp_gt_f32_e64 s31, v2, v9
	s_delay_alu instid0(VALU_DEP_2) | instskip(NEXT) | instid1(VALU_DEP_2)
	v_lshlrev_b32_e32 v3, 2, v3
	v_cndmask_b32_e64 v2, v9, v2, s31
	s_delay_alu instid0(VALU_DEP_1) | instskip(NEXT) | instid1(VALU_DEP_1)
	v_cmp_gt_f32_e64 s31, v2, v6
	v_cndmask_b32_e64 v2, v6, v2, s31
	v_cmp_gt_i32_e64 s31, 64, v18
	ds_bpermute_b32 v19, v3, v2
	v_cndmask_b32_e64 v18, v4, v18, s31
	s_delay_alu instid0(VALU_DEP_1) | instskip(SKIP_2) | instid1(VALU_DEP_1)
	v_lshlrev_b32_e32 v18, 2, v18
	s_waitcnt lgkmcnt(0)
	v_cmp_lt_f32_e64 s31, v2, v19
	v_cndmask_b32_e64 v2, v2, v19, s31
	v_xor_b32_e32 v19, 8, v4
	ds_bpermute_b32 v21, v18, v2
	v_cmp_gt_i32_e64 s31, 64, v19
	s_delay_alu instid0(VALU_DEP_1) | instskip(NEXT) | instid1(VALU_DEP_1)
	v_cndmask_b32_e64 v19, v4, v19, s31
	v_lshlrev_b32_e32 v19, 2, v19
	s_waitcnt lgkmcnt(0)
	v_cmp_lt_f32_e64 s31, v2, v21
	s_delay_alu instid0(VALU_DEP_1) | instskip(SKIP_3) | instid1(VALU_DEP_1)
	v_cndmask_b32_e64 v2, v2, v21, s31
	v_xor_b32_e32 v21, 4, v4
	ds_bpermute_b32 v22, v19, v2
	v_cmp_gt_i32_e64 s31, 64, v21
	v_cndmask_b32_e64 v21, v4, v21, s31
	s_delay_alu instid0(VALU_DEP_1) | instskip(SKIP_2) | instid1(VALU_DEP_1)
	v_lshlrev_b32_e32 v21, 2, v21
	s_waitcnt lgkmcnt(0)
	v_cmp_lt_f32_e64 s31, v2, v22
	v_cndmask_b32_e64 v2, v2, v22, s31
	v_xor_b32_e32 v22, 2, v4
	ds_bpermute_b32 v23, v21, v2
	v_cmp_gt_i32_e64 s31, 64, v22
	s_delay_alu instid0(VALU_DEP_1) | instskip(NEXT) | instid1(VALU_DEP_1)
	v_cndmask_b32_e64 v22, v4, v22, s31
	v_lshlrev_b32_e32 v22, 2, v22
	s_waitcnt lgkmcnt(0)
	v_cmp_lt_f32_e64 s31, v2, v23
	s_delay_alu instid0(VALU_DEP_1) | instskip(SKIP_3) | instid1(VALU_DEP_1)
	v_cndmask_b32_e64 v2, v2, v23, s31
	v_xor_b32_e32 v23, 1, v4
	ds_bpermute_b32 v43, v22, v2
	v_cmp_gt_i32_e64 s31, 64, v23
	v_cndmask_b32_e64 v4, v4, v23, s31
	s_delay_alu instid0(VALU_DEP_1) | instskip(SKIP_2) | instid1(VALU_DEP_1)
	v_lshlrev_b32_e32 v23, 2, v4
	s_waitcnt lgkmcnt(0)
	v_cmp_lt_f32_e64 s31, v2, v43
	v_cndmask_b32_e64 v2, v2, v43, s31
	ds_bpermute_b32 v4, v23, v2
	s_waitcnt lgkmcnt(0)
	v_cmp_lt_f32_e64 s31, v2, v4
	s_delay_alu instid0(VALU_DEP_1) | instskip(NEXT) | instid1(VALU_DEP_1)
	v_cndmask_b32_e64 v2, v2, v4, s31
	v_sub_f32_e32 v16, v16, v2
	v_sub_f32_e32 v4, v26, v2
	;; [unrolled: 1-line block ×7, first 2 shown]
	v_dual_mul_f32 v64, 0x3fb8aa3b, v53 :: v_dual_sub_f32 v25, v25, v2
	v_mul_f32_e32 v60, 0x3fb8aa3b, v49
	v_dual_sub_f32 v48, v27, v2 :: v_dual_mul_f32 v27, 0x3fb8aa3b, v4
	v_sub_f32_e32 v43, v34, v2
	s_delay_alu instid0(VALU_DEP_4) | instskip(NEXT) | instid1(VALU_DEP_3)
	v_dual_mul_f32 v57, 0x3fb8aa3b, v25 :: v_dual_sub_f32 v50, v28, v2
	v_mul_f32_e32 v59, 0x3fb8aa3b, v48
	s_delay_alu instid0(VALU_DEP_4)
	v_fma_f32 v66, 0x3fb8aa3b, v4, -v27
	v_sub_f32_e32 v51, v40, v2
	v_sub_f32_e32 v41, v32, v2
	;; [unrolled: 1-line block ×3, first 2 shown]
	v_rndne_f32_e32 v67, v27
	v_dual_fmac_f32 v66, 0x32a5705f, v4 :: v_dual_sub_f32 v47, v38, v2
	v_dual_mul_f32 v62, 0x3fb8aa3b, v51 :: v_dual_sub_f32 v45, v36, v2
	v_dual_mul_f32 v36, 0x3fb8aa3b, v16 :: v_dual_sub_f32 v13, v13, v2
	v_mul_f32_e32 v34, 0x3fb8aa3b, v15
	s_delay_alu instid0(VALU_DEP_4) | instskip(NEXT) | instid1(VALU_DEP_4)
	v_dual_mul_f32 v58, 0x3fb8aa3b, v47 :: v_dual_sub_f32 v17, v17, v2
	v_dual_mul_f32 v54, 0x3fb8aa3b, v45 :: v_dual_sub_f32 v29, v31, v2
	s_delay_alu instid0(VALU_DEP_4) | instskip(NEXT) | instid1(VALU_DEP_3)
	v_dual_mul_f32 v28, 0x3fb8aa3b, v13 :: v_dual_sub_f32 v31, v33, v2
	v_mul_f32_e32 v38, 0x3fb8aa3b, v17
	v_sub_f32_e32 v44, v35, v2
	v_dual_mul_f32 v30, 0x3fb8aa3b, v26 :: v_dual_sub_f32 v27, v27, v67
	s_delay_alu instid0(VALU_DEP_4) | instskip(NEXT) | instid1(VALU_DEP_3)
	v_dual_mul_f32 v35, 0x3fb8aa3b, v31 :: v_dual_sub_f32 v24, v24, v2
	v_dual_mul_f32 v39, 0x3fb8aa3b, v44 :: v_dual_sub_f32 v46, v37, v2
	v_fma_f32 v68, 0x3fb8aa3b, v13, -v28
	v_rndne_f32_e32 v69, v28
	s_delay_alu instid0(VALU_DEP_4)
	v_mul_f32_e32 v55, 0x3fb8aa3b, v24
	v_mul_f32_e32 v61, 0x3fb8aa3b, v50
	v_rndne_f32_e32 v71, v30
	v_rndne_f32_e32 v79, v35
	v_sub_f32_e32 v28, v28, v69
	v_mul_f32_e32 v56, 0x3fb8aa3b, v46
	v_fmac_f32_e32 v68, 0x32a5705f, v13
	v_dual_sub_f32 v14, v14, v2 :: v_dual_mul_f32 v33, 0x3fb8aa3b, v29
	v_fma_f32 v70, 0x3fb8aa3b, v26, -v30
	v_fma_f32 v78, 0x3fb8aa3b, v31, -v35
	v_sub_f32_e32 v35, v35, v79
	v_dual_add_f32 v27, v27, v66 :: v_dual_add_f32 v28, v28, v68
	v_fma_f32 v66, 0x3fb8aa3b, v46, -v56
	v_rndne_f32_e32 v68, v56
	v_dual_sub_f32 v30, v30, v71 :: v_dual_mul_f32 v65, 0x3fb8aa3b, v41
	v_dual_sub_f32 v40, v42, v2 :: v_dual_mul_f32 v63, 0x3fb8aa3b, v52
	v_dual_mul_f32 v42, 0x3fb8aa3b, v20 :: v_dual_mul_f32 v37, 0x3fb8aa3b, v43
	v_rndne_f32_e32 v75, v33
	v_mul_f32_e32 v32, 0x3fb8aa3b, v14
	v_fmac_f32_e32 v66, 0x32a5705f, v46
	s_delay_alu instid0(VALU_DEP_4)
	v_fma_f32 v88, 0x3fb8aa3b, v20, -v42
	v_rndne_f32_e32 v83, v37
	v_rndne_f32_e32 v89, v42
	v_fmac_f32_e32 v70, 0x32a5705f, v26
	v_sub_f32_e32 v56, v56, v68
	v_exp_f32_e32 v27, v27
	v_fma_f32 v74, 0x3fb8aa3b, v29, -v33
	v_fma_f32 v82, 0x3fb8aa3b, v43, -v37
	;; [unrolled: 1-line block ×3, first 2 shown]
	v_rndne_f32_e32 v87, v39
	v_rndne_f32_e32 v93, v55
	v_sub_f32_e32 v33, v33, v75
	v_fma_f32 v72, 0x3fb8aa3b, v14, -v32
	v_rndne_f32_e32 v73, v32
	v_fmac_f32_e32 v78, 0x32a5705f, v31
	v_dual_sub_f32 v37, v37, v83 :: v_dual_add_f32 v30, v30, v70
	v_fmac_f32_e32 v88, 0x32a5705f, v20
	v_sub_f32_e32 v42, v42, v89
	v_add_f32_e32 v56, v56, v66
	v_fma_f32 v66, 0x3fb8aa3b, v52, -v63
	v_cvt_i32_f32_e32 v67, v67
	v_exp_f32_e32 v28, v28
	v_fma_f32 v76, 0x3fb8aa3b, v15, -v34
	v_fma_f32 v92, 0x3fb8aa3b, v24, -v55
	v_dual_fmac_f32 v72, 0x32a5705f, v14 :: v_dual_sub_f32 v39, v39, v87
	v_dual_fmac_f32 v74, 0x32a5705f, v29 :: v_dual_add_f32 v35, v35, v78
	v_sub_f32_e32 v32, v32, v73
	v_dual_sub_f32 v55, v55, v93 :: v_dual_add_f32 v42, v42, v88
	v_rndne_f32_e32 v88, v61
	v_cvt_i32_f32_e32 v69, v69
	v_fmac_f32_e32 v66, 0x32a5705f, v52
	v_fmac_f32_e32 v86, 0x32a5705f, v44
	v_exp_f32_e32 v30, v30
	v_ldexp_f32 v27, v27, v67
	v_cmp_ngt_f32_e64 s31, 0xc2ce8ed0, v4
	v_fma_f32 v80, 0x3fb8aa3b, v16, -v36
	v_rndne_f32_e32 v81, v36
	v_fma_f32 v70, 0x3fb8aa3b, v25, -v57
	v_dual_add_f32 v33, v33, v74 :: v_dual_fmac_f32 v76, 0x32a5705f, v15
	v_dual_add_f32 v39, v39, v86 :: v_dual_fmac_f32 v82, 0x32a5705f, v43
	v_fma_f32 v86, 0x3fb8aa3b, v50, -v61
	v_sub_f32_e32 v61, v61, v88
	v_add_f32_e32 v32, v32, v72
	v_rndne_f32_e32 v72, v57
	v_add_f32_e32 v37, v37, v82
	v_cvt_i32_f32_e32 v71, v71
	v_ldexp_f32 v28, v28, v69
	v_cndmask_b32_e64 v27, 0, v27, s31
	v_cmp_ngt_f32_e64 s31, 0xc2ce8ed0, v13
	v_fma_f32 v84, 0x3fb8aa3b, v17, -v38
	v_rndne_f32_e32 v85, v38
	v_sub_f32_e32 v36, v36, v81
	v_dual_fmac_f32 v70, 0x32a5705f, v25 :: v_dual_sub_f32 v57, v57, v72
	v_fmac_f32_e32 v80, 0x32a5705f, v16
	v_fmac_f32_e32 v86, 0x32a5705f, v50
	v_exp_f32_e32 v32, v32
	v_exp_f32_e32 v42, v42
	v_ldexp_f32 v30, v30, v71
	v_cndmask_b32_e64 v28, 0, v28, s31
	v_cmp_ngt_f32_e64 s31, 0xc2ce8ed0, v26
	v_dual_add_f32 v57, v57, v70 :: v_dual_add_f32 v36, v36, v80
	v_add_f32_e32 v61, v61, v86
	v_rndne_f32_e32 v70, v63
	v_fmac_f32_e32 v84, 0x32a5705f, v17
	v_rndne_f32_e32 v86, v65
	v_sub_f32_e32 v38, v38, v85
	v_cvt_i32_f32_e32 v73, v73
	v_cvt_i32_f32_e32 v89, v89
	v_exp_f32_e32 v39, v39
	v_cndmask_b32_e64 v30, 0, v30, s31
	v_cmp_nlt_f32_e64 s31, 0x42b17218, v4
	v_rndne_f32_e32 v77, v34
	v_cvt_i32_f32_e32 v87, v87
	v_dual_sub_f32 v63, v63, v70 :: v_dual_add_f32 v38, v38, v84
	v_ldexp_f32 v32, v32, v73
	v_ldexp_f32 v73, v42, v89
	v_cndmask_b32_e64 v42, 0x7f800000, v27, s31
	v_cmp_nlt_f32_e64 s31, 0x42b17218, v13
	v_fma_f32 v78, 0x3fb8aa3b, v48, -v59
	v_rndne_f32_e32 v80, v59
	v_fmac_f32_e32 v92, 0x32a5705f, v24
	v_sub_f32_e32 v34, v34, v77
	v_exp_f32_e32 v33, v33
	v_exp_f32_e32 v38, v38
	v_ldexp_f32 v71, v39, v87
	v_add_f32_e32 v55, v55, v92
	v_cndmask_b32_e64 v39, 0x7f800000, v28, s31
	v_cmp_ngt_f32_e64 s31, 0xc2ce8ed0, v14
	v_fmac_f32_e32 v78, 0x32a5705f, v48
	v_sub_f32_e32 v59, v59, v80
	v_add_f32_e32 v34, v34, v76
	v_cvt_i32_f32_e32 v75, v75
	v_cvt_i32_f32_e32 v85, v85
	v_cndmask_b32_e64 v4, 0, v32, s31
	v_add_f32_e32 v59, v59, v78
	v_cmp_nlt_f32_e64 s31, 0x42b17218, v26
	v_exp_f32_e32 v34, v34
	v_exp_f32_e32 v37, v37
	v_ldexp_f32 v33, v33, v75
	v_ldexp_f32 v69, v38, v85
	v_cndmask_b32_e64 v38, 0x7f800000, v30, s31
	v_cmp_ngt_f32_e64 s31, 0xc2ce8ed0, v29
	v_cvt_i32_f32_e32 v77, v77
	v_cvt_i32_f32_e32 v83, v83
	v_exp_f32_e32 v35, v35
	v_exp_f32_e32 v36, v36
	v_cndmask_b32_e64 v26, 0, v33, s31
	v_cmp_nlt_f32_e64 s31, 0x42b17218, v14
	v_ldexp_f32 v34, v34, v77
	v_ldexp_f32 v67, v37, v83
	v_add_f32_e32 v13, v42, v39
	v_cvt_i32_f32_e32 v79, v79
	v_cndmask_b32_e64 v37, 0x7f800000, v4, s31
	v_cmp_ngt_f32_e64 s31, 0xc2ce8ed0, v15
	v_cvt_i32_f32_e32 v81, v81
	v_add_f32_e32 v4, v13, v38
	v_add_f32_e32 v63, v63, v66
	v_ldexp_f32 v35, v35, v79
	v_cndmask_b32_e64 v13, 0, v34, s31
	v_cmp_nlt_f32_e64 s31, 0x42b17218, v29
	v_ldexp_f32 v66, v36, v81
	v_fma_f32 v90, 0x3fb8aa3b, v45, -v54
	v_rndne_f32_e32 v91, v54
	v_exp_f32_e32 v55, v55
	v_cndmask_b32_e64 v36, 0x7f800000, v26, s31
	v_cmp_ngt_f32_e64 s31, 0xc2ce8ed0, v31
	v_fmac_f32_e32 v90, 0x32a5705f, v45
	v_sub_f32_e32 v54, v54, v91
	v_cvt_i32_f32_e32 v91, v91
	v_cvt_i32_f32_e32 v93, v93
	v_cndmask_b32_e64 v14, 0, v35, s31
	v_cmp_nlt_f32_e64 s31, 0x42b17218, v15
	v_add_f32_e32 v54, v54, v90
	v_exp_f32_e32 v56, v56
	v_ldexp_f32 v55, v55, v93
	v_fma_f32 v74, 0x3fb8aa3b, v47, -v58
	v_cndmask_b32_e64 v35, 0x7f800000, v13, s31
	v_cmp_ngt_f32_e64 s31, 0xc2ce8ed0, v16
	v_exp_f32_e32 v54, v54
	v_rndne_f32_e32 v76, v58
	v_cvt_i32_f32_e32 v68, v68
	v_fmac_f32_e32 v74, 0x32a5705f, v47
	v_cndmask_b32_e64 v13, 0, v66, s31
	v_cmp_nlt_f32_e64 s31, 0x42b17218, v31
	v_sub_f32_e32 v58, v58, v76
	v_exp_f32_e32 v57, v57
	v_ldexp_f32 v56, v56, v68
	v_cvt_i32_f32_e32 v72, v72
	v_cndmask_b32_e64 v34, 0x7f800000, v14, s31
	v_cmp_ngt_f32_e64 s31, 0xc2ce8ed0, v43
	v_ldexp_f32 v54, v54, v91
	v_add_f32_e32 v58, v58, v74
	v_fma_f32 v82, 0x3fb8aa3b, v49, -v60
	v_rndne_f32_e32 v84, v60
	v_cndmask_b32_e64 v14, 0, v67, s31
	v_cmp_nlt_f32_e64 s31, 0x42b17218, v16
	v_exp_f32_e32 v58, v58
	v_ldexp_f32 v57, v57, v72
	v_cvt_i32_f32_e32 v76, v76
	v_fmac_f32_e32 v82, 0x32a5705f, v49
	v_cndmask_b32_e64 v33, 0x7f800000, v13, s31
	v_cmp_ngt_f32_e64 s31, 0xc2ce8ed0, v17
	v_sub_f32_e32 v60, v60, v84
	v_exp_f32_e32 v59, v59
	v_cvt_i32_f32_e32 v80, v80
	v_fma_f32 v90, 0x3fb8aa3b, v51, -v62
	v_cndmask_b32_e64 v13, 0, v69, s31
	v_cmp_nlt_f32_e64 s31, 0x42b17218, v43
	v_ldexp_f32 v58, v58, v76
	v_add_f32_e32 v60, v60, v82
	v_rndne_f32_e32 v92, v62
	v_cvt_i32_f32_e32 v84, v84
	v_cndmask_b32_e64 v32, 0x7f800000, v14, s31
	v_cmp_ngt_f32_e64 s31, 0xc2ce8ed0, v44
	v_exp_f32_e32 v60, v60
	v_ldexp_f32 v59, v59, v80
	v_fmac_f32_e32 v90, 0x32a5705f, v51
	v_sub_f32_e32 v62, v62, v92
	v_cndmask_b32_e64 v14, 0, v71, s31
	v_cmp_nlt_f32_e64 s31, 0x42b17218, v17
	v_exp_f32_e32 v61, v61
	v_cvt_i32_f32_e32 v88, v88
	v_add_f32_e32 v62, v62, v90
	v_cvt_i32_f32_e32 v92, v92
	v_cndmask_b32_e64 v31, 0x7f800000, v13, s31
	v_cmp_ngt_f32_e64 s31, 0xc2ce8ed0, v20
	v_ldexp_f32 v60, v60, v84
	v_exp_f32_e32 v62, v62
	v_fma_f32 v74, 0x3fb8aa3b, v53, -v64
	v_rndne_f32_e32 v78, v64
	v_cndmask_b32_e64 v13, 0, v73, s31
	v_cmp_nlt_f32_e64 s31, 0x42b17218, v44
	v_ldexp_f32 v61, v61, v88
	v_exp_f32_e32 v63, v63
	v_cvt_i32_f32_e32 v70, v70
	v_fmac_f32_e32 v74, 0x32a5705f, v53
	v_cndmask_b32_e64 v30, 0x7f800000, v14, s31
	v_cmp_ngt_f32_e64 s31, 0xc2ce8ed0, v45
	v_ldexp_f32 v62, v62, v92
	v_sub_f32_e32 v64, v64, v78
	v_fma_f32 v82, 0x3fb8aa3b, v41, -v65
	v_sub_f32_e32 v65, v65, v86
	v_cndmask_b32_e64 v14, 0, v54, s31
	v_cmp_nlt_f32_e64 s31, 0x42b17218, v20
	v_add_f32_e32 v64, v64, v74
	v_ldexp_f32 v63, v63, v70
	v_fmac_f32_e32 v82, 0x32a5705f, v41
	v_add_f32_e32 v4, v4, v37
	v_cndmask_b32_e64 v29, 0x7f800000, v13, s31
	v_cmp_ngt_f32_e64 s31, 0xc2ce8ed0, v24
	v_exp_f32_e32 v64, v64
	v_cvt_i32_f32_e32 v78, v78
	v_dual_add_f32 v4, v4, v36 :: v_dual_add_f32 v43, v65, v82
	s_delay_alu instid0(VALU_DEP_3) | instskip(SKIP_1) | instid1(VALU_DEP_3)
	v_cndmask_b32_e64 v13, 0, v55, s31
	v_cmp_nlt_f32_e64 s31, 0x42b17218, v45
	v_dual_mul_f32 v45, 0x3fb8aa3b, v40 :: v_dual_add_f32 v4, v4, v35
	s_delay_alu instid0(VALU_DEP_4) | instskip(NEXT) | instid1(VALU_DEP_2)
	v_exp_f32_e32 v43, v43
	v_cndmask_b32_e64 v28, 0x7f800000, v14, s31
	v_cmp_ngt_f32_e64 s31, 0xc2ce8ed0, v46
	s_delay_alu instid0(TRANS32_DEP_2) | instskip(SKIP_1) | instid1(VALU_DEP_3)
	v_ldexp_f32 v44, v64, v78
	v_add_f32_e32 v4, v4, v34
	v_cndmask_b32_e64 v14, 0, v56, s31
	v_cmp_nlt_f32_e64 s31, 0x42b17218, v24
	s_delay_alu instid0(VALU_DEP_3) | instskip(NEXT) | instid1(VALU_DEP_2)
	v_add_f32_e32 v4, v4, v33
	v_cndmask_b32_e64 v27, 0x7f800000, v13, s31
	v_cmp_ngt_f32_e64 s31, 0xc2ce8ed0, v25
	s_delay_alu instid0(VALU_DEP_3) | instskip(NEXT) | instid1(VALU_DEP_2)
	v_add_f32_e32 v4, v4, v32
	v_cndmask_b32_e64 v13, 0, v57, s31
	v_cmp_nlt_f32_e64 s31, 0x42b17218, v46
	v_fma_f32 v46, 0x3fb8aa3b, v40, -v45
	s_delay_alu instid0(VALU_DEP_4) | instskip(NEXT) | instid1(VALU_DEP_3)
	v_add_f32_e32 v4, v4, v31
	v_cndmask_b32_e64 v26, 0x7f800000, v14, s31
	v_cmp_ngt_f32_e64 s31, 0xc2ce8ed0, v47
	s_delay_alu instid0(VALU_DEP_4) | instskip(NEXT) | instid1(VALU_DEP_4)
	v_fmac_f32_e32 v46, 0x32a5705f, v40
	v_add_f32_e32 v4, v4, v30
	s_delay_alu instid0(VALU_DEP_3) | instskip(SKIP_1) | instid1(VALU_DEP_3)
	v_cndmask_b32_e64 v14, 0, v58, s31
	v_cmp_nlt_f32_e64 s31, 0x42b17218, v25
	v_add_f32_e32 v4, v4, v29
	s_delay_alu instid0(VALU_DEP_2) | instskip(SKIP_1) | instid1(VALU_DEP_3)
	v_cndmask_b32_e64 v25, 0x7f800000, v13, s31
	v_cmp_ngt_f32_e64 s31, 0xc2ce8ed0, v48
	v_add_f32_e32 v4, v4, v28
	s_delay_alu instid0(VALU_DEP_2) | instskip(SKIP_2) | instid1(VALU_DEP_4)
	v_cndmask_b32_e64 v13, 0, v59, s31
	v_cmp_nlt_f32_e64 s31, 0x42b17218, v47
	v_rndne_f32_e32 v47, v45
	v_add_f32_e32 v4, v4, v27
	s_delay_alu instid0(VALU_DEP_3) | instskip(SKIP_1) | instid1(VALU_DEP_3)
	v_cndmask_b32_e64 v24, 0x7f800000, v14, s31
	v_cmp_ngt_f32_e64 s31, 0xc2ce8ed0, v49
	v_add_f32_e32 v4, v4, v26
	s_delay_alu instid0(VALU_DEP_2) | instskip(SKIP_1) | instid1(VALU_DEP_3)
	v_cndmask_b32_e64 v14, 0, v60, s31
	v_cmp_nlt_f32_e64 s31, 0x42b17218, v48
	v_add_f32_e32 v4, v4, v25
	s_delay_alu instid0(VALU_DEP_2) | instskip(SKIP_1) | instid1(VALU_DEP_3)
	v_cndmask_b32_e64 v20, 0x7f800000, v13, s31
	v_cmp_ngt_f32_e64 s31, 0xc2ce8ed0, v50
	v_add_f32_e32 v4, v4, v24
	s_delay_alu instid0(VALU_DEP_2) | instskip(SKIP_1) | instid1(VALU_DEP_3)
	v_cndmask_b32_e64 v13, 0, v61, s31
	v_cmp_nlt_f32_e64 s31, 0x42b17218, v49
	v_add_f32_e32 v4, v4, v20
	s_delay_alu instid0(VALU_DEP_2) | instskip(SKIP_1) | instid1(VALU_DEP_2)
	v_cndmask_b32_e64 v17, 0x7f800000, v14, s31
	v_cmp_ngt_f32_e64 s31, 0xc2ce8ed0, v51
	v_add_f32_e32 v4, v4, v17
	s_delay_alu instid0(VALU_DEP_2) | instskip(SKIP_2) | instid1(VALU_DEP_2)
	v_cndmask_b32_e64 v14, 0, v62, s31
	v_cmp_nlt_f32_e64 s31, 0x42b17218, v50
	v_sub_f32_e32 v50, v12, v2
	v_cndmask_b32_e64 v16, 0x7f800000, v13, s31
	v_cmp_ngt_f32_e64 s31, 0xc2ce8ed0, v52
	s_delay_alu instid0(VALU_DEP_2) | instskip(NEXT) | instid1(VALU_DEP_2)
	v_add_f32_e32 v4, v4, v16
	v_cndmask_b32_e64 v13, 0, v63, s31
	v_cmp_nlt_f32_e64 s31, 0x42b17218, v51
	s_delay_alu instid0(VALU_DEP_1) | instskip(SKIP_1) | instid1(VALU_DEP_2)
	v_cndmask_b32_e64 v15, 0x7f800000, v14, s31
	v_cmp_nlt_f32_e64 s31, 0x42b17218, v52
	v_add_f32_e32 v4, v4, v15
	s_delay_alu instid0(VALU_DEP_2) | instskip(SKIP_1) | instid1(VALU_DEP_2)
	v_cndmask_b32_e64 v14, 0x7f800000, v13, s31
	v_cmp_ngt_f32_e64 s31, 0xc2ce8ed0, v53
	v_add_f32_e32 v4, v4, v14
	s_delay_alu instid0(VALU_DEP_2) | instskip(SKIP_3) | instid1(VALU_DEP_3)
	v_cndmask_b32_e64 v13, 0, v44, s31
	v_sub_f32_e32 v44, v11, v2
	v_cmp_nlt_f32_e64 s31, 0x42b17218, v53
	v_cvt_i32_f32_e32 v11, v86
	v_mul_f32_e32 v48, 0x3fb8aa3b, v44
	s_delay_alu instid0(VALU_DEP_3) | instskip(NEXT) | instid1(VALU_DEP_3)
	v_cndmask_b32_e64 v13, 0x7f800000, v13, s31
	v_ldexp_f32 v11, v43, v11
	v_sub_f32_e32 v43, v45, v47
	v_cmp_ngt_f32_e64 s31, 0xc2ce8ed0, v41
	v_fma_f32 v45, 0x3fb8aa3b, v44, -v48
	v_rndne_f32_e32 v49, v48
	s_delay_alu instid0(VALU_DEP_4) | instskip(NEXT) | instid1(VALU_DEP_4)
	v_dual_add_f32 v4, v4, v13 :: v_dual_add_f32 v43, v43, v46
	v_cndmask_b32_e64 v11, 0, v11, s31
	v_cmp_nlt_f32_e64 s31, 0x42b17218, v41
	s_delay_alu instid0(VALU_DEP_4) | instskip(SKIP_1) | instid1(VALU_DEP_3)
	v_dual_fmac_f32 v45, 0x32a5705f, v44 :: v_dual_sub_f32 v46, v48, v49
	v_mul_f32_e32 v48, 0x3fb8aa3b, v50
	v_cndmask_b32_e64 v12, 0x7f800000, v11, s31
	v_exp_f32_e32 v11, v43
	s_delay_alu instid0(VALU_DEP_3) | instskip(NEXT) | instid1(VALU_DEP_3)
	v_add_f32_e32 v41, v46, v45
	v_fma_f32 v43, 0x3fb8aa3b, v50, -v48
	v_rndne_f32_e32 v45, v48
	v_sub_f32_e32 v46, v10, v2
	v_cvt_i32_f32_e32 v10, v47
	v_exp_f32_e32 v41, v41
	v_fmac_f32_e32 v43, 0x32a5705f, v50
	s_delay_alu instid0(VALU_DEP_3)
	v_dual_sub_f32 v47, v48, v45 :: v_dual_mul_f32 v48, 0x3fb8aa3b, v46
	s_delay_alu instid0(TRANS32_DEP_2) | instid1(VALU_DEP_3)
	v_ldexp_f32 v10, v11, v10
	v_cmp_ngt_f32_e64 s31, 0xc2ce8ed0, v40
	v_cvt_i32_f32_e32 v11, v49
	s_delay_alu instid0(VALU_DEP_4)
	v_add_f32_e32 v43, v47, v43
	v_fma_f32 v47, 0x3fb8aa3b, v46, -v48
	v_rndne_f32_e32 v49, v48
	v_cndmask_b32_e64 v10, 0, v10, s31
	v_cmp_nlt_f32_e64 s31, 0x42b17218, v40
	v_ldexp_f32 v41, v41, v11
	v_exp_f32_e32 v43, v43
	v_dual_fmac_f32 v47, 0x32a5705f, v46 :: v_dual_sub_f32 v48, v48, v49
	s_delay_alu instid0(VALU_DEP_3) | instskip(SKIP_3) | instid1(VALU_DEP_3)
	v_cndmask_b32_e64 v11, 0x7f800000, v10, s31
	v_cmp_ngt_f32_e64 s31, 0xc2ce8ed0, v44
	v_cvt_i32_f32_e32 v10, v45
	v_add_f32_e32 v4, v4, v12
	v_cndmask_b32_e64 v40, 0, v41, s31
	v_add_f32_e32 v41, v48, v47
	v_cmp_nlt_f32_e64 s31, 0x42b17218, v44
	s_delay_alu instid0(TRANS32_DEP_1) | instskip(SKIP_2) | instid1(VALU_DEP_4)
	v_ldexp_f32 v43, v43, v10
	v_cvt_i32_f32_e32 v44, v49
	v_dual_sub_f32 v47, v7, v2 :: v_dual_add_f32 v4, v4, v11
	v_cndmask_b32_e64 v10, 0x7f800000, v40, s31
	v_exp_f32_e32 v40, v41
	v_cmp_ngt_f32_e64 s31, 0xc2ce8ed0, v50
	s_delay_alu instid0(VALU_DEP_2) | instskip(NEXT) | instid1(VALU_DEP_2)
	v_add_f32_e32 v4, v4, v10
	v_cndmask_b32_e64 v41, 0, v43, s31
	v_sub_f32_e32 v43, v8, v2
	v_cmp_nlt_f32_e64 s31, 0x42b17218, v50
	s_waitcnt_depctr 0xfff
	v_ldexp_f32 v40, v40, v44
	v_cndmask_b32_e64 v8, 0x7f800000, v41, s31
	v_mul_f32_e32 v41, 0x3fb8aa3b, v43
	v_cmp_ngt_f32_e64 s31, 0xc2ce8ed0, v46
	s_delay_alu instid0(VALU_DEP_3) | instskip(NEXT) | instid1(VALU_DEP_3)
	v_add_f32_e32 v4, v4, v8
	v_fma_f32 v44, 0x3fb8aa3b, v43, -v41
	v_rndne_f32_e32 v45, v41
	s_delay_alu instid0(VALU_DEP_4) | instskip(SKIP_2) | instid1(VALU_DEP_4)
	v_cndmask_b32_e64 v40, 0, v40, s31
	v_cmp_nlt_f32_e64 s31, 0x42b17218, v46
	v_sub_f32_e32 v46, v9, v2
	v_dual_fmac_f32 v44, 0x32a5705f, v43 :: v_dual_sub_f32 v41, v41, v45
	v_sub_f32_e32 v2, v6, v2
	s_delay_alu instid0(VALU_DEP_4) | instskip(SKIP_1) | instid1(VALU_DEP_4)
	v_cndmask_b32_e64 v7, 0x7f800000, v40, s31
	v_mul_f32_e32 v40, 0x3fb8aa3b, v47
	v_dual_mul_f32 v48, 0x3fb8aa3b, v46 :: v_dual_add_f32 v9, v41, v44
	v_cvt_i32_f32_e32 v45, v45
	v_mul_f32_e32 v50, 0x3fb8aa3b, v2
	s_delay_alu instid0(VALU_DEP_4) | instskip(SKIP_4) | instid1(VALU_DEP_3)
	v_fma_f32 v41, 0x3fb8aa3b, v47, -v40
	v_rndne_f32_e32 v44, v40
	v_exp_f32_e32 v9, v9
	v_rndne_f32_e32 v49, v48
	v_cmp_ngt_f32_e64 s31, 0xc2ce8ed0, v43
	v_dual_fmac_f32 v41, 0x32a5705f, v47 :: v_dual_sub_f32 v6, v40, v44
	v_fma_f32 v40, 0x3fb8aa3b, v46, -v48
	v_rndne_f32_e32 v51, v50
	v_cvt_i32_f32_e32 v44, v44
	v_add_f32_e32 v4, v4, v7
	v_add_f32_e32 v6, v6, v41
	v_dual_fmac_f32 v40, 0x32a5705f, v46 :: v_dual_sub_f32 v41, v48, v49
	v_ldexp_f32 v9, v9, v45
	v_fma_f32 v48, 0x3fb8aa3b, v2, -v50
	s_delay_alu instid0(VALU_DEP_4) | instskip(NEXT) | instid1(VALU_DEP_3)
	v_exp_f32_e32 v6, v6
	v_add_f32_e32 v40, v41, v40
	s_delay_alu instid0(VALU_DEP_3) | instskip(SKIP_2) | instid1(VALU_DEP_4)
	v_cndmask_b32_e64 v9, 0, v9, s31
	v_cmp_nlt_f32_e64 s31, 0x42b17218, v43
	v_dual_fmac_f32 v48, 0x32a5705f, v2 :: v_dual_sub_f32 v41, v50, v51
	v_exp_f32_e32 v40, v40
	v_cvt_i32_f32_e32 v43, v49
	s_delay_alu instid0(VALU_DEP_3) | instskip(NEXT) | instid1(TRANS32_DEP_2)
	v_cndmask_b32_e64 v9, 0x7f800000, v9, s31
	v_ldexp_f32 v6, v6, v44
	v_cmp_ngt_f32_e64 s31, 0xc2ce8ed0, v47
	s_delay_alu instid0(VALU_DEP_3) | instskip(NEXT) | instid1(VALU_DEP_2)
	v_dual_add_f32 v41, v41, v48 :: v_dual_add_f32 v4, v4, v9
	v_cndmask_b32_e64 v6, 0, v6, s31
	v_cmp_nlt_f32_e64 s31, 0x42b17218, v47
	s_delay_alu instid0(VALU_DEP_3) | instskip(NEXT) | instid1(TRANS32_DEP_2)
	v_exp_f32_e32 v41, v41
	v_ldexp_f32 v40, v40, v43
	v_cvt_i32_f32_e32 v43, v51
	s_delay_alu instid0(VALU_DEP_3) | instskip(SKIP_1) | instid1(VALU_DEP_1)
	v_cndmask_b32_e64 v6, 0x7f800000, v6, s31
	v_cmp_ngt_f32_e64 s31, 0xc2ce8ed0, v46
	v_cndmask_b32_e64 v40, 0, v40, s31
	v_cmp_nlt_f32_e64 s31, 0x42b17218, v46
	s_delay_alu instid0(TRANS32_DEP_1) | instskip(SKIP_1) | instid1(VALU_DEP_3)
	v_ldexp_f32 v41, v41, v43
	v_add_f32_e32 v43, v4, v6
	v_cndmask_b32_e64 v4, 0x7f800000, v40, s31
	v_cmp_ngt_f32_e64 s31, 0xc2ce8ed0, v2
	s_delay_alu instid0(VALU_DEP_1) | instskip(SKIP_1) | instid1(VALU_DEP_4)
	v_cndmask_b32_e64 v40, 0, v41, s31
	v_cmp_nlt_f32_e64 s31, 0x42b17218, v2
	v_add_f32_e32 v41, v43, v4
	s_delay_alu instid0(VALU_DEP_2) | instskip(NEXT) | instid1(VALU_DEP_1)
	v_cndmask_b32_e64 v2, 0x7f800000, v40, s31
	v_add_f32_e32 v40, v41, v2
	ds_bpermute_b32 v3, v3, v40
	s_waitcnt lgkmcnt(0)
	v_add_f32_e32 v3, v40, v3
	ds_bpermute_b32 v18, v18, v3
	s_waitcnt lgkmcnt(0)
	;; [unrolled: 3-line block ×5, first 2 shown]
	v_add_f32_e32 v3, v3, v18
	ds_bpermute_b32 v18, v23, v3
	v_cmpx_lt_i32_e32 0, v5
	s_cbranch_execz .LBB480_162
; %bb.65:
	s_and_b32 exec_lo, exec_lo, vcc_lo
	s_cbranch_execz .LBB480_162
; %bb.66:
	s_waitcnt lgkmcnt(0)
	v_add_f32_e32 v3, v3, v18
	v_mov_b32_e32 v5, 0x7fc0
	s_delay_alu instid0(VALU_DEP_2) | instskip(NEXT) | instid1(VALU_DEP_1)
	v_cmp_neq_f32_e64 s31, 0, v3
	s_and_saveexec_b32 s33, s31
	s_cbranch_execz .LBB480_68
; %bb.67:
	v_div_scale_f32 v5, null, v3, v3, v42
	s_delay_alu instid0(VALU_DEP_1) | instskip(SKIP_2) | instid1(VALU_DEP_1)
	v_rcp_f32_e32 v18, v5
	s_waitcnt_depctr 0xfff
	v_fma_f32 v19, -v5, v18, 1.0
	v_fmac_f32_e32 v18, v19, v18
	v_div_scale_f32 v19, vcc_lo, v42, v3, v42
	s_delay_alu instid0(VALU_DEP_1) | instskip(NEXT) | instid1(VALU_DEP_1)
	v_mul_f32_e32 v21, v19, v18
	v_fma_f32 v22, -v5, v21, v19
	s_delay_alu instid0(VALU_DEP_1) | instskip(NEXT) | instid1(VALU_DEP_1)
	v_fmac_f32_e32 v21, v22, v18
	v_fma_f32 v5, -v5, v21, v19
	s_delay_alu instid0(VALU_DEP_1) | instskip(NEXT) | instid1(VALU_DEP_1)
	v_div_fmas_f32 v5, v5, v18, v21
	v_div_fixup_f32 v5, v5, v3, v42
	s_delay_alu instid0(VALU_DEP_1) | instskip(SKIP_1) | instid1(VALU_DEP_2)
	v_bfe_u32 v18, v5, 16, 1
	v_cmp_o_f32_e32 vcc_lo, v5, v5
	v_add3_u32 v18, v5, v18, 0x7fff
	s_delay_alu instid0(VALU_DEP_1) | instskip(NEXT) | instid1(VALU_DEP_1)
	v_lshrrev_b32_e32 v18, 16, v18
	v_cndmask_b32_e32 v5, 0x7fc0, v18, vcc_lo
.LBB480_68:
	s_or_b32 exec_lo, exec_lo, s33
	v_add_co_u32 v0, vcc_lo, s36, v0
	v_add_co_ci_u32_e32 v1, vcc_lo, s37, v1, vcc_lo
	global_store_b16 v[0:1], v5, off
	s_and_b32 exec_lo, exec_lo, s30
	s_cbranch_execz .LBB480_162
; %bb.69:
	v_mov_b32_e32 v5, 0x7fc0
	s_and_saveexec_b32 s30, s31
	s_cbranch_execz .LBB480_71
; %bb.70:
	v_div_scale_f32 v5, null, v3, v3, v39
	s_delay_alu instid0(VALU_DEP_1) | instskip(SKIP_2) | instid1(VALU_DEP_1)
	v_rcp_f32_e32 v18, v5
	s_waitcnt_depctr 0xfff
	v_fma_f32 v19, -v5, v18, 1.0
	v_fmac_f32_e32 v18, v19, v18
	v_div_scale_f32 v19, vcc_lo, v39, v3, v39
	s_delay_alu instid0(VALU_DEP_1) | instskip(NEXT) | instid1(VALU_DEP_1)
	v_mul_f32_e32 v21, v19, v18
	v_fma_f32 v22, -v5, v21, v19
	s_delay_alu instid0(VALU_DEP_1) | instskip(NEXT) | instid1(VALU_DEP_1)
	v_fmac_f32_e32 v21, v22, v18
	v_fma_f32 v5, -v5, v21, v19
	s_delay_alu instid0(VALU_DEP_1) | instskip(NEXT) | instid1(VALU_DEP_1)
	v_div_fmas_f32 v5, v5, v18, v21
	v_div_fixup_f32 v5, v5, v3, v39
	s_delay_alu instid0(VALU_DEP_1) | instskip(SKIP_1) | instid1(VALU_DEP_2)
	v_bfe_u32 v18, v5, 16, 1
	v_cmp_o_f32_e32 vcc_lo, v5, v5
	v_add3_u32 v18, v5, v18, 0x7fff
	s_delay_alu instid0(VALU_DEP_1) | instskip(NEXT) | instid1(VALU_DEP_1)
	v_lshrrev_b32_e32 v18, 16, v18
	v_cndmask_b32_e32 v5, 0x7fc0, v18, vcc_lo
.LBB480_71:
	s_or_b32 exec_lo, exec_lo, s30
	global_store_b16 v[0:1], v5, off offset:128
	s_and_b32 exec_lo, exec_lo, s29
	s_cbranch_execz .LBB480_162
; %bb.72:
	v_mov_b32_e32 v5, 0x7fc0
	s_and_saveexec_b32 s29, s31
	s_cbranch_execz .LBB480_74
; %bb.73:
	v_div_scale_f32 v5, null, v3, v3, v38
	s_delay_alu instid0(VALU_DEP_1) | instskip(SKIP_2) | instid1(VALU_DEP_1)
	v_rcp_f32_e32 v18, v5
	s_waitcnt_depctr 0xfff
	v_fma_f32 v19, -v5, v18, 1.0
	v_fmac_f32_e32 v18, v19, v18
	v_div_scale_f32 v19, vcc_lo, v38, v3, v38
	s_delay_alu instid0(VALU_DEP_1) | instskip(NEXT) | instid1(VALU_DEP_1)
	v_mul_f32_e32 v21, v19, v18
	v_fma_f32 v22, -v5, v21, v19
	s_delay_alu instid0(VALU_DEP_1) | instskip(NEXT) | instid1(VALU_DEP_1)
	v_fmac_f32_e32 v21, v22, v18
	v_fma_f32 v5, -v5, v21, v19
	s_delay_alu instid0(VALU_DEP_1) | instskip(NEXT) | instid1(VALU_DEP_1)
	v_div_fmas_f32 v5, v5, v18, v21
	v_div_fixup_f32 v5, v5, v3, v38
	s_delay_alu instid0(VALU_DEP_1) | instskip(SKIP_1) | instid1(VALU_DEP_2)
	v_bfe_u32 v18, v5, 16, 1
	v_cmp_o_f32_e32 vcc_lo, v5, v5
	v_add3_u32 v18, v5, v18, 0x7fff
	s_delay_alu instid0(VALU_DEP_1) | instskip(NEXT) | instid1(VALU_DEP_1)
	v_lshrrev_b32_e32 v18, 16, v18
	v_cndmask_b32_e32 v5, 0x7fc0, v18, vcc_lo
.LBB480_74:
	s_or_b32 exec_lo, exec_lo, s29
	global_store_b16 v[0:1], v5, off offset:256
	;; [unrolled: 33-line block ×31, first 2 shown]
.LBB480_162:
	s_nop 0
	s_sendmsg sendmsg(MSG_DEALLOC_VGPRS)
	s_endpgm
	.section	.rodata,"a",@progbits
	.p2align	6, 0x0
	.amdhsa_kernel _ZN12_GLOBAL__N_120softmax_warp_forwardIN3c108BFloat16ES2_fLi11ELb0ELb0ELi64EEEvPT0_PKT_iiiPKbib
		.amdhsa_group_segment_fixed_size 0
		.amdhsa_private_segment_fixed_size 0
		.amdhsa_kernarg_size 304
		.amdhsa_user_sgpr_count 15
		.amdhsa_user_sgpr_dispatch_ptr 0
		.amdhsa_user_sgpr_queue_ptr 0
		.amdhsa_user_sgpr_kernarg_segment_ptr 1
		.amdhsa_user_sgpr_dispatch_id 0
		.amdhsa_user_sgpr_private_segment_size 0
		.amdhsa_wavefront_size32 1
		.amdhsa_uses_dynamic_stack 0
		.amdhsa_enable_private_segment 0
		.amdhsa_system_sgpr_workgroup_id_x 1
		.amdhsa_system_sgpr_workgroup_id_y 0
		.amdhsa_system_sgpr_workgroup_id_z 0
		.amdhsa_system_sgpr_workgroup_info 0
		.amdhsa_system_vgpr_workitem_id 1
		.amdhsa_next_free_vgpr 94
		.amdhsa_next_free_sgpr 44
		.amdhsa_reserve_vcc 1
		.amdhsa_float_round_mode_32 0
		.amdhsa_float_round_mode_16_64 0
		.amdhsa_float_denorm_mode_32 3
		.amdhsa_float_denorm_mode_16_64 3
		.amdhsa_dx10_clamp 1
		.amdhsa_ieee_mode 1
		.amdhsa_fp16_overflow 0
		.amdhsa_workgroup_processor_mode 1
		.amdhsa_memory_ordered 1
		.amdhsa_forward_progress 0
		.amdhsa_shared_vgpr_count 0
		.amdhsa_exception_fp_ieee_invalid_op 0
		.amdhsa_exception_fp_denorm_src 0
		.amdhsa_exception_fp_ieee_div_zero 0
		.amdhsa_exception_fp_ieee_overflow 0
		.amdhsa_exception_fp_ieee_underflow 0
		.amdhsa_exception_fp_ieee_inexact 0
		.amdhsa_exception_int_div_zero 0
	.end_amdhsa_kernel
	.section	.text._ZN12_GLOBAL__N_120softmax_warp_forwardIN3c108BFloat16ES2_fLi11ELb0ELb0ELi64EEEvPT0_PKT_iiiPKbib,"axG",@progbits,_ZN12_GLOBAL__N_120softmax_warp_forwardIN3c108BFloat16ES2_fLi11ELb0ELb0ELi64EEEvPT0_PKT_iiiPKbib,comdat
.Lfunc_end480:
	.size	_ZN12_GLOBAL__N_120softmax_warp_forwardIN3c108BFloat16ES2_fLi11ELb0ELb0ELi64EEEvPT0_PKT_iiiPKbib, .Lfunc_end480-_ZN12_GLOBAL__N_120softmax_warp_forwardIN3c108BFloat16ES2_fLi11ELb0ELb0ELi64EEEvPT0_PKT_iiiPKbib
                                        ; -- End function
	.section	.AMDGPU.csdata,"",@progbits
; Kernel info:
; codeLenInByte = 12380
; NumSgprs: 46
; NumVgprs: 94
; ScratchSize: 0
; MemoryBound: 0
; FloatMode: 240
; IeeeMode: 1
; LDSByteSize: 0 bytes/workgroup (compile time only)
; SGPRBlocks: 5
; VGPRBlocks: 11
; NumSGPRsForWavesPerEU: 46
; NumVGPRsForWavesPerEU: 94
; Occupancy: 16
; WaveLimiterHint : 0
; COMPUTE_PGM_RSRC2:SCRATCH_EN: 0
; COMPUTE_PGM_RSRC2:USER_SGPR: 15
; COMPUTE_PGM_RSRC2:TRAP_HANDLER: 0
; COMPUTE_PGM_RSRC2:TGID_X_EN: 1
; COMPUTE_PGM_RSRC2:TGID_Y_EN: 0
; COMPUTE_PGM_RSRC2:TGID_Z_EN: 0
; COMPUTE_PGM_RSRC2:TIDIG_COMP_CNT: 1
	.section	.text._ZN12_GLOBAL__N_120softmax_warp_forwardIN3c108BFloat16ES2_fLi11ELb0ELb0ELi32EEEvPT0_PKT_iiiPKbib,"axG",@progbits,_ZN12_GLOBAL__N_120softmax_warp_forwardIN3c108BFloat16ES2_fLi11ELb0ELb0ELi32EEEvPT0_PKT_iiiPKbib,comdat
	.globl	_ZN12_GLOBAL__N_120softmax_warp_forwardIN3c108BFloat16ES2_fLi11ELb0ELb0ELi32EEEvPT0_PKT_iiiPKbib ; -- Begin function _ZN12_GLOBAL__N_120softmax_warp_forwardIN3c108BFloat16ES2_fLi11ELb0ELb0ELi32EEEvPT0_PKT_iiiPKbib
	.p2align	8
	.type	_ZN12_GLOBAL__N_120softmax_warp_forwardIN3c108BFloat16ES2_fLi11ELb0ELb0ELi32EEEvPT0_PKT_iiiPKbib,@function
_ZN12_GLOBAL__N_120softmax_warp_forwardIN3c108BFloat16ES2_fLi11ELb0ELb0ELi32EEEvPT0_PKT_iiiPKbib: ; @_ZN12_GLOBAL__N_120softmax_warp_forwardIN3c108BFloat16ES2_fLi11ELb0ELb0ELi32EEEvPT0_PKT_iiiPKbib
; %bb.0:
	s_clause 0x1
	s_load_b32 s2, s[0:1], 0x3c
	s_load_b256 s[68:75], s[0:1], 0x0
	v_bfe_u32 v1, v0, 10, 10
	v_mov_b32_e32 v63, 0xff800000
	v_mov_b32_e32 v67, 0xff800000
	s_waitcnt lgkmcnt(0)
	s_lshr_b32 s0, s2, 16
	s_delay_alu instid0(SALU_CYCLE_1) | instskip(SKIP_1) | instid1(VALU_DEP_1)
	v_mad_u64_u32 v[3:4], null, s15, s0, v[1:2]
	v_and_b32_e32 v2, 0x3ff, v0
	v_cmp_gt_i32_e32 vcc_lo, s74, v2
	s_delay_alu instid0(VALU_DEP_3) | instskip(SKIP_1) | instid1(VALU_DEP_1)
	v_mad_u64_u32 v[0:1], null, v3, s73, v[2:3]
	v_sub_nc_u32_e32 v5, s72, v3
	v_cmp_lt_i32_e64 s64, 0, v5
	s_delay_alu instid0(VALU_DEP_3) | instskip(NEXT) | instid1(VALU_DEP_2)
	v_ashrrev_i32_e32 v1, 31, v0
	s_and_b32 s1, s64, vcc_lo
	s_delay_alu instid0(VALU_DEP_1) | instskip(NEXT) | instid1(VALU_DEP_1)
	v_lshlrev_b64 v[0:1], 1, v[0:1]
	v_add_co_u32 v3, s0, s70, v0
	s_delay_alu instid0(VALU_DEP_1)
	v_add_co_ci_u32_e64 v4, s0, s71, v1, s0
	s_and_saveexec_b32 s0, s1
	s_cbranch_execz .LBB481_2
; %bb.1:
	global_load_u16 v6, v[3:4], off
	s_waitcnt vmcnt(0)
	v_lshlrev_b32_e32 v67, 16, v6
.LBB481_2:
	s_or_b32 exec_lo, exec_lo, s0
	v_add_nc_u32_e32 v6, 32, v2
	s_delay_alu instid0(VALU_DEP_1) | instskip(NEXT) | instid1(VALU_DEP_1)
	v_cmp_gt_i32_e64 s63, s74, v6
	s_and_b32 s1, s64, s63
	s_delay_alu instid0(SALU_CYCLE_1)
	s_and_saveexec_b32 s0, s1
	s_cbranch_execz .LBB481_4
; %bb.3:
	global_load_u16 v6, v[3:4], off offset:64
	s_waitcnt vmcnt(0)
	v_lshlrev_b32_e32 v63, 16, v6
.LBB481_4:
	s_or_b32 exec_lo, exec_lo, s0
	v_dual_mov_b32 v65, 0xff800000 :: v_dual_add_nc_u32 v6, 64, v2
	v_mov_b32_e32 v60, 0xff800000
	s_delay_alu instid0(VALU_DEP_2) | instskip(NEXT) | instid1(VALU_DEP_1)
	v_cmp_gt_i32_e64 s62, s74, v6
	s_and_b32 s1, s64, s62
	s_delay_alu instid0(SALU_CYCLE_1)
	s_and_saveexec_b32 s0, s1
	s_cbranch_execz .LBB481_6
; %bb.5:
	global_load_u16 v6, v[3:4], off offset:128
	s_waitcnt vmcnt(0)
	v_lshlrev_b32_e32 v65, 16, v6
.LBB481_6:
	s_or_b32 exec_lo, exec_lo, s0
	v_add_nc_u32_e32 v6, 0x60, v2
	s_delay_alu instid0(VALU_DEP_1) | instskip(NEXT) | instid1(VALU_DEP_1)
	v_cmp_gt_i32_e64 s61, s74, v6
	s_and_b32 s1, s64, s61
	s_delay_alu instid0(SALU_CYCLE_1)
	s_and_saveexec_b32 s0, s1
	s_cbranch_execz .LBB481_8
; %bb.7:
	global_load_u16 v6, v[3:4], off offset:192
	s_waitcnt vmcnt(0)
	v_lshlrev_b32_e32 v60, 16, v6
.LBB481_8:
	s_or_b32 exec_lo, exec_lo, s0
	v_add_nc_u32_e32 v6, 0x80, v2
	v_dual_mov_b32 v57, 0xff800000 :: v_dual_mov_b32 v62, 0xff800000
	s_delay_alu instid0(VALU_DEP_2) | instskip(NEXT) | instid1(VALU_DEP_1)
	v_cmp_gt_i32_e64 s60, s74, v6
	s_and_b32 s1, s64, s60
	s_delay_alu instid0(SALU_CYCLE_1)
	s_and_saveexec_b32 s0, s1
	s_cbranch_execz .LBB481_10
; %bb.9:
	global_load_u16 v6, v[3:4], off offset:256
	s_waitcnt vmcnt(0)
	v_lshlrev_b32_e32 v62, 16, v6
.LBB481_10:
	s_or_b32 exec_lo, exec_lo, s0
	v_add_nc_u32_e32 v6, 0xa0, v2
	s_delay_alu instid0(VALU_DEP_1) | instskip(NEXT) | instid1(VALU_DEP_1)
	v_cmp_gt_i32_e64 s59, s74, v6
	s_and_b32 s1, s64, s59
	s_delay_alu instid0(SALU_CYCLE_1)
	s_and_saveexec_b32 s0, s1
	s_cbranch_execz .LBB481_12
; %bb.11:
	global_load_u16 v6, v[3:4], off offset:320
	s_waitcnt vmcnt(0)
	v_lshlrev_b32_e32 v57, 16, v6
.LBB481_12:
	s_or_b32 exec_lo, exec_lo, s0
	v_add_nc_u32_e32 v6, 0xc0, v2
	v_dual_mov_b32 v55, 0xff800000 :: v_dual_mov_b32 v58, 0xff800000
	;; [unrolled: 27-line block ×5, first 2 shown]
	s_delay_alu instid0(VALU_DEP_2) | instskip(NEXT) | instid1(VALU_DEP_1)
	v_cmp_gt_i32_e64 s52, s74, v6
	s_and_b32 s1, s64, s52
	s_delay_alu instid0(SALU_CYCLE_1)
	s_and_saveexec_b32 s0, s1
	s_cbranch_execz .LBB481_26
; %bb.25:
	global_load_u16 v6, v[3:4], off offset:768
	s_waitcnt vmcnt(0)
	v_lshlrev_b32_e32 v56, 16, v6
.LBB481_26:
	s_or_b32 exec_lo, exec_lo, s0
	v_add_nc_u32_e32 v6, 0x1a0, v2
	s_delay_alu instid0(VALU_DEP_1) | instskip(NEXT) | instid1(VALU_DEP_1)
	v_cmp_gt_i32_e64 s51, s74, v6
	s_and_b32 s1, s64, s51
	s_delay_alu instid0(SALU_CYCLE_1)
	s_and_saveexec_b32 s0, s1
	s_cbranch_execz .LBB481_28
; %bb.27:
	global_load_u16 v6, v[3:4], off offset:832
	s_waitcnt vmcnt(0)
	v_lshlrev_b32_e32 v51, 16, v6
.LBB481_28:
	s_or_b32 exec_lo, exec_lo, s0
	v_add_nc_u32_e32 v6, 0x1c0, v2
	v_mov_b32_e32 v37, 0xff800000
	v_mov_b32_e32 v53, 0xff800000
	s_delay_alu instid0(VALU_DEP_3) | instskip(NEXT) | instid1(VALU_DEP_1)
	v_cmp_gt_i32_e64 s50, s74, v6
	s_and_b32 s1, s64, s50
	s_delay_alu instid0(SALU_CYCLE_1)
	s_and_saveexec_b32 s0, s1
	s_cbranch_execz .LBB481_30
; %bb.29:
	global_load_u16 v6, v[3:4], off offset:896
	s_waitcnt vmcnt(0)
	v_lshlrev_b32_e32 v53, 16, v6
.LBB481_30:
	s_or_b32 exec_lo, exec_lo, s0
	v_add_nc_u32_e32 v6, 0x1e0, v2
	s_delay_alu instid0(VALU_DEP_1) | instskip(NEXT) | instid1(VALU_DEP_1)
	v_cmp_gt_i32_e64 s49, s74, v6
	s_and_b32 s1, s64, s49
	s_delay_alu instid0(SALU_CYCLE_1)
	s_and_saveexec_b32 s0, s1
	s_cbranch_execz .LBB481_32
; %bb.31:
	global_load_u16 v6, v[3:4], off offset:960
	s_waitcnt vmcnt(0)
	v_lshlrev_b32_e32 v37, 16, v6
.LBB481_32:
	s_or_b32 exec_lo, exec_lo, s0
	v_add_nc_u32_e32 v6, 0x200, v2
	v_dual_mov_b32 v21, 0xff800000 :: v_dual_mov_b32 v44, 0xff800000
	s_delay_alu instid0(VALU_DEP_2) | instskip(NEXT) | instid1(VALU_DEP_1)
	v_cmp_gt_i32_e64 s48, s74, v6
	s_and_b32 s1, s64, s48
	s_delay_alu instid0(SALU_CYCLE_1)
	s_and_saveexec_b32 s0, s1
	s_cbranch_execz .LBB481_34
; %bb.33:
	global_load_u16 v6, v[3:4], off offset:1024
	s_waitcnt vmcnt(0)
	v_lshlrev_b32_e32 v44, 16, v6
.LBB481_34:
	s_or_b32 exec_lo, exec_lo, s0
	v_add_nc_u32_e32 v6, 0x220, v2
	s_delay_alu instid0(VALU_DEP_1) | instskip(NEXT) | instid1(VALU_DEP_1)
	v_cmp_gt_i32_e64 s47, s74, v6
	s_and_b32 s1, s64, s47
	s_delay_alu instid0(SALU_CYCLE_1)
	s_and_saveexec_b32 s0, s1
	s_cbranch_execz .LBB481_36
; %bb.35:
	global_load_u16 v6, v[3:4], off offset:1088
	s_waitcnt vmcnt(0)
	v_lshlrev_b32_e32 v21, 16, v6
.LBB481_36:
	s_or_b32 exec_lo, exec_lo, s0
	v_add_nc_u32_e32 v6, 0x240, v2
	v_dual_mov_b32 v13, 0xff800000 :: v_dual_mov_b32 v28, 0xff800000
	s_delay_alu instid0(VALU_DEP_2) | instskip(NEXT) | instid1(VALU_DEP_1)
	;; [unrolled: 27-line block ×4, first 2 shown]
	v_cmp_gt_i32_e64 s42, s74, v6
	s_and_b32 s1, s64, s42
	s_delay_alu instid0(SALU_CYCLE_1)
	s_and_saveexec_b32 s0, s1
	s_cbranch_execz .LBB481_46
; %bb.45:
	global_load_u16 v6, v[3:4], off offset:1408
	s_waitcnt vmcnt(0)
	v_lshlrev_b32_e32 v10, 16, v6
.LBB481_46:
	s_or_b32 exec_lo, exec_lo, s0
	v_add_nc_u32_e32 v6, 0x2e0, v2
	s_delay_alu instid0(VALU_DEP_1) | instskip(NEXT) | instid1(VALU_DEP_1)
	v_cmp_gt_i32_e64 s41, s74, v6
	s_and_b32 s1, s64, s41
	s_delay_alu instid0(SALU_CYCLE_1)
	s_and_saveexec_b32 s0, s1
	s_cbranch_execz .LBB481_48
; %bb.47:
	global_load_u16 v6, v[3:4], off offset:1472
	s_waitcnt vmcnt(0)
	v_lshlrev_b32_e32 v7, 16, v6
.LBB481_48:
	s_or_b32 exec_lo, exec_lo, s0
	v_add_nc_u32_e32 v6, 0x300, v2
	v_mov_b32_e32 v76, 0xff800000
	s_delay_alu instid0(VALU_DEP_2) | instskip(SKIP_1) | instid1(VALU_DEP_2)
	v_cmp_gt_i32_e64 s40, s74, v6
	v_mov_b32_e32 v6, 0xff800000
	s_and_b32 s1, s64, s40
	s_delay_alu instid0(SALU_CYCLE_1)
	s_and_saveexec_b32 s0, s1
	s_cbranch_execz .LBB481_50
; %bb.49:
	global_load_u16 v9, v[3:4], off offset:1536
	s_waitcnt vmcnt(0)
	v_lshlrev_b32_e32 v76, 16, v9
.LBB481_50:
	s_or_b32 exec_lo, exec_lo, s0
	v_add_nc_u32_e32 v9, 0x320, v2
	s_delay_alu instid0(VALU_DEP_1) | instskip(NEXT) | instid1(VALU_DEP_1)
	v_cmp_gt_i32_e64 s39, s74, v9
	s_and_b32 s1, s64, s39
	s_delay_alu instid0(SALU_CYCLE_1)
	s_and_saveexec_b32 s0, s1
	s_cbranch_execz .LBB481_52
; %bb.51:
	global_load_u16 v6, v[3:4], off offset:1600
	s_waitcnt vmcnt(0)
	v_lshlrev_b32_e32 v6, 16, v6
.LBB481_52:
	s_or_b32 exec_lo, exec_lo, s0
	v_add_nc_u32_e32 v9, 0x340, v2
	v_dual_mov_b32 v12, 0xff800000 :: v_dual_mov_b32 v75, 0xff800000
	s_delay_alu instid0(VALU_DEP_2) | instskip(NEXT) | instid1(VALU_DEP_1)
	v_cmp_gt_i32_e64 s38, s74, v9
	s_and_b32 s1, s64, s38
	s_delay_alu instid0(SALU_CYCLE_1)
	s_and_saveexec_b32 s0, s1
	s_cbranch_execz .LBB481_54
; %bb.53:
	global_load_u16 v9, v[3:4], off offset:1664
	s_waitcnt vmcnt(0)
	v_lshlrev_b32_e32 v75, 16, v9
.LBB481_54:
	s_or_b32 exec_lo, exec_lo, s0
	v_add_nc_u32_e32 v9, 0x360, v2
	s_delay_alu instid0(VALU_DEP_1) | instskip(NEXT) | instid1(VALU_DEP_1)
	v_cmp_gt_i32_e64 s37, s74, v9
	s_and_b32 s1, s64, s37
	s_delay_alu instid0(SALU_CYCLE_1)
	s_and_saveexec_b32 s0, s1
	s_cbranch_execz .LBB481_56
; %bb.55:
	global_load_u16 v9, v[3:4], off offset:1728
	s_waitcnt vmcnt(0)
	v_lshlrev_b32_e32 v12, 16, v9
.LBB481_56:
	s_or_b32 exec_lo, exec_lo, s0
	v_add_nc_u32_e32 v9, 0x380, v2
	v_mov_b32_e32 v74, 0xff800000
	s_delay_alu instid0(VALU_DEP_2) | instskip(SKIP_1) | instid1(VALU_DEP_2)
	v_cmp_gt_i32_e64 s36, s74, v9
	v_mov_b32_e32 v9, 0xff800000
	s_and_b32 s1, s64, s36
	s_delay_alu instid0(SALU_CYCLE_1)
	s_and_saveexec_b32 s0, s1
	s_cbranch_execz .LBB481_58
; %bb.57:
	global_load_u16 v11, v[3:4], off offset:1792
	s_waitcnt vmcnt(0)
	v_lshlrev_b32_e32 v74, 16, v11
.LBB481_58:
	s_or_b32 exec_lo, exec_lo, s0
	v_add_nc_u32_e32 v11, 0x3a0, v2
	s_delay_alu instid0(VALU_DEP_1) | instskip(NEXT) | instid1(VALU_DEP_1)
	v_cmp_gt_i32_e64 s35, s74, v11
	s_and_b32 s1, s64, s35
	s_delay_alu instid0(SALU_CYCLE_1)
	s_and_saveexec_b32 s0, s1
	s_cbranch_execz .LBB481_60
; %bb.59:
	global_load_u16 v9, v[3:4], off offset:1856
	s_waitcnt vmcnt(0)
	v_lshlrev_b32_e32 v9, 16, v9
.LBB481_60:
	s_or_b32 exec_lo, exec_lo, s0
	v_add_nc_u32_e32 v11, 0x3c0, v2
	v_mov_b32_e32 v50, 0xff800000
	s_delay_alu instid0(VALU_DEP_2) | instskip(SKIP_1) | instid1(VALU_DEP_2)
	v_cmp_gt_i32_e64 s34, s74, v11
	v_mov_b32_e32 v11, 0xff800000
	s_and_b32 s1, s64, s34
	s_delay_alu instid0(SALU_CYCLE_1)
	s_and_saveexec_b32 s0, s1
	s_cbranch_execz .LBB481_62
; %bb.61:
	global_load_u16 v14, v[3:4], off offset:1920
	s_waitcnt vmcnt(0)
	v_lshlrev_b32_e32 v50, 16, v14
.LBB481_62:
	s_or_b32 exec_lo, exec_lo, s0
	v_add_nc_u32_e32 v14, 0x3e0, v2
	s_delay_alu instid0(VALU_DEP_1) | instskip(NEXT) | instid1(VALU_DEP_1)
	v_cmp_gt_i32_e64 s33, s74, v14
	s_and_b32 s1, s64, s33
	s_delay_alu instid0(SALU_CYCLE_1)
	s_and_saveexec_b32 s0, s1
	s_cbranch_execz .LBB481_64
; %bb.63:
	global_load_u16 v11, v[3:4], off offset:1984
	s_waitcnt vmcnt(0)
	v_lshlrev_b32_e32 v11, 16, v11
.LBB481_64:
	s_or_b32 exec_lo, exec_lo, s0
	v_or_b32_e32 v14, 0x400, v2
	v_dual_mov_b32 v48, 0xff800000 :: v_dual_mov_b32 v49, 0xff800000
	s_delay_alu instid0(VALU_DEP_2) | instskip(NEXT) | instid1(VALU_DEP_1)
	v_cmp_gt_i32_e64 s31, s74, v14
	s_and_b32 s1, s64, s31
	s_delay_alu instid0(SALU_CYCLE_1)
	s_and_saveexec_b32 s0, s1
	s_cbranch_execz .LBB481_66
; %bb.65:
	global_load_u16 v14, v[3:4], off offset:2048
	s_waitcnt vmcnt(0)
	v_lshlrev_b32_e32 v49, 16, v14
.LBB481_66:
	s_or_b32 exec_lo, exec_lo, s0
	v_add_nc_u32_e32 v14, 0x420, v2
	s_delay_alu instid0(VALU_DEP_1) | instskip(NEXT) | instid1(VALU_DEP_1)
	v_cmp_gt_i32_e64 s30, s74, v14
	s_and_b32 s1, s64, s30
	s_delay_alu instid0(SALU_CYCLE_1)
	s_and_saveexec_b32 s0, s1
	s_cbranch_execz .LBB481_68
; %bb.67:
	global_load_u16 v14, v[3:4], off offset:2112
	s_waitcnt vmcnt(0)
	v_lshlrev_b32_e32 v48, 16, v14
.LBB481_68:
	s_or_b32 exec_lo, exec_lo, s0
	v_add_nc_u32_e32 v14, 0x440, v2
	v_dual_mov_b32 v45, 0xff800000 :: v_dual_mov_b32 v46, 0xff800000
	s_delay_alu instid0(VALU_DEP_2) | instskip(NEXT) | instid1(VALU_DEP_1)
	v_cmp_gt_i32_e64 s29, s74, v14
	s_and_b32 s1, s64, s29
	s_delay_alu instid0(SALU_CYCLE_1)
	s_and_saveexec_b32 s0, s1
	s_cbranch_execz .LBB481_70
; %bb.69:
	global_load_u16 v14, v[3:4], off offset:2176
	s_waitcnt vmcnt(0)
	v_lshlrev_b32_e32 v46, 16, v14
.LBB481_70:
	s_or_b32 exec_lo, exec_lo, s0
	v_add_nc_u32_e32 v14, 0x460, v2
	s_delay_alu instid0(VALU_DEP_1) | instskip(NEXT) | instid1(VALU_DEP_1)
	v_cmp_gt_i32_e64 s28, s74, v14
	s_and_b32 s1, s64, s28
	s_delay_alu instid0(SALU_CYCLE_1)
	s_and_saveexec_b32 s0, s1
	s_cbranch_execz .LBB481_72
; %bb.71:
	global_load_u16 v14, v[3:4], off offset:2240
	s_waitcnt vmcnt(0)
	v_lshlrev_b32_e32 v45, 16, v14
.LBB481_72:
	s_or_b32 exec_lo, exec_lo, s0
	v_add_nc_u32_e32 v14, 0x480, v2
	v_mov_b32_e32 v43, 0xff800000
	v_mov_b32_e32 v47, 0xff800000
	s_delay_alu instid0(VALU_DEP_3) | instskip(NEXT) | instid1(VALU_DEP_1)
	v_cmp_gt_i32_e64 s27, s74, v14
	s_and_b32 s1, s64, s27
	s_delay_alu instid0(SALU_CYCLE_1)
	s_and_saveexec_b32 s0, s1
	s_cbranch_execz .LBB481_74
; %bb.73:
	global_load_u16 v14, v[3:4], off offset:2304
	s_waitcnt vmcnt(0)
	v_lshlrev_b32_e32 v47, 16, v14
.LBB481_74:
	s_or_b32 exec_lo, exec_lo, s0
	v_add_nc_u32_e32 v14, 0x4a0, v2
	s_delay_alu instid0(VALU_DEP_1) | instskip(NEXT) | instid1(VALU_DEP_1)
	v_cmp_gt_i32_e64 s26, s74, v14
	s_and_b32 s1, s64, s26
	s_delay_alu instid0(SALU_CYCLE_1)
	s_and_saveexec_b32 s0, s1
	s_cbranch_execz .LBB481_76
; %bb.75:
	global_load_u16 v14, v[3:4], off offset:2368
	s_waitcnt vmcnt(0)
	v_lshlrev_b32_e32 v43, 16, v14
.LBB481_76:
	s_or_b32 exec_lo, exec_lo, s0
	v_add_nc_u32_e32 v14, 0x4c0, v2
	v_dual_mov_b32 v41, 0xff800000 :: v_dual_mov_b32 v42, 0xff800000
	s_delay_alu instid0(VALU_DEP_2) | instskip(NEXT) | instid1(VALU_DEP_1)
	v_cmp_gt_i32_e64 s25, s74, v14
	s_and_b32 s1, s64, s25
	s_delay_alu instid0(SALU_CYCLE_1)
	s_and_saveexec_b32 s0, s1
	s_cbranch_execz .LBB481_78
; %bb.77:
	global_load_u16 v14, v[3:4], off offset:2432
	s_waitcnt vmcnt(0)
	v_lshlrev_b32_e32 v42, 16, v14
.LBB481_78:
	s_or_b32 exec_lo, exec_lo, s0
	v_add_nc_u32_e32 v14, 0x4e0, v2
	s_delay_alu instid0(VALU_DEP_1) | instskip(NEXT) | instid1(VALU_DEP_1)
	v_cmp_gt_i32_e64 s24, s74, v14
	s_and_b32 s1, s64, s24
	s_delay_alu instid0(SALU_CYCLE_1)
	s_and_saveexec_b32 s0, s1
	s_cbranch_execz .LBB481_80
; %bb.79:
	global_load_u16 v14, v[3:4], off offset:2496
	s_waitcnt vmcnt(0)
	v_lshlrev_b32_e32 v41, 16, v14
.LBB481_80:
	s_or_b32 exec_lo, exec_lo, s0
	v_add_nc_u32_e32 v14, 0x500, v2
	v_dual_mov_b32 v38, 0xff800000 :: v_dual_mov_b32 v39, 0xff800000
	s_delay_alu instid0(VALU_DEP_2) | instskip(NEXT) | instid1(VALU_DEP_1)
	v_cmp_gt_i32_e64 s23, s74, v14
	s_and_b32 s1, s64, s23
	s_delay_alu instid0(SALU_CYCLE_1)
	s_and_saveexec_b32 s0, s1
	s_cbranch_execz .LBB481_82
; %bb.81:
	global_load_u16 v14, v[3:4], off offset:2560
	s_waitcnt vmcnt(0)
	v_lshlrev_b32_e32 v39, 16, v14
.LBB481_82:
	s_or_b32 exec_lo, exec_lo, s0
	v_add_nc_u32_e32 v14, 0x520, v2
	s_delay_alu instid0(VALU_DEP_1) | instskip(NEXT) | instid1(VALU_DEP_1)
	v_cmp_gt_i32_e64 s22, s74, v14
	s_and_b32 s1, s64, s22
	s_delay_alu instid0(SALU_CYCLE_1)
	s_and_saveexec_b32 s0, s1
	s_cbranch_execz .LBB481_84
; %bb.83:
	global_load_u16 v14, v[3:4], off offset:2624
	s_waitcnt vmcnt(0)
	v_lshlrev_b32_e32 v38, 16, v14
.LBB481_84:
	s_or_b32 exec_lo, exec_lo, s0
	v_add_nc_u32_e32 v14, 0x540, v2
	v_mov_b32_e32 v36, 0xff800000
	v_mov_b32_e32 v40, 0xff800000
	s_delay_alu instid0(VALU_DEP_3) | instskip(NEXT) | instid1(VALU_DEP_1)
	v_cmp_gt_i32_e64 s21, s74, v14
	s_and_b32 s1, s64, s21
	s_delay_alu instid0(SALU_CYCLE_1)
	s_and_saveexec_b32 s0, s1
	s_cbranch_execz .LBB481_86
; %bb.85:
	global_load_u16 v14, v[3:4], off offset:2688
	s_waitcnt vmcnt(0)
	v_lshlrev_b32_e32 v40, 16, v14
.LBB481_86:
	s_or_b32 exec_lo, exec_lo, s0
	v_add_nc_u32_e32 v14, 0x560, v2
	s_delay_alu instid0(VALU_DEP_1) | instskip(NEXT) | instid1(VALU_DEP_1)
	v_cmp_gt_i32_e64 s20, s74, v14
	s_and_b32 s1, s64, s20
	s_delay_alu instid0(SALU_CYCLE_1)
	s_and_saveexec_b32 s0, s1
	s_cbranch_execz .LBB481_88
; %bb.87:
	global_load_u16 v14, v[3:4], off offset:2752
	s_waitcnt vmcnt(0)
	v_lshlrev_b32_e32 v36, 16, v14
.LBB481_88:
	s_or_b32 exec_lo, exec_lo, s0
	v_add_nc_u32_e32 v14, 0x580, v2
	v_dual_mov_b32 v34, 0xff800000 :: v_dual_mov_b32 v35, 0xff800000
	s_delay_alu instid0(VALU_DEP_2) | instskip(NEXT) | instid1(VALU_DEP_1)
	v_cmp_gt_i32_e64 s19, s74, v14
	s_and_b32 s1, s64, s19
	s_delay_alu instid0(SALU_CYCLE_1)
	s_and_saveexec_b32 s0, s1
	s_cbranch_execz .LBB481_90
; %bb.89:
	global_load_u16 v14, v[3:4], off offset:2816
	s_waitcnt vmcnt(0)
	v_lshlrev_b32_e32 v35, 16, v14
.LBB481_90:
	s_or_b32 exec_lo, exec_lo, s0
	v_add_nc_u32_e32 v14, 0x5a0, v2
	s_delay_alu instid0(VALU_DEP_1) | instskip(NEXT) | instid1(VALU_DEP_1)
	v_cmp_gt_i32_e64 s18, s74, v14
	s_and_b32 s1, s64, s18
	s_delay_alu instid0(SALU_CYCLE_1)
	s_and_saveexec_b32 s0, s1
	s_cbranch_execz .LBB481_92
; %bb.91:
	global_load_u16 v14, v[3:4], off offset:2880
	s_waitcnt vmcnt(0)
	v_lshlrev_b32_e32 v34, 16, v14
.LBB481_92:
	s_or_b32 exec_lo, exec_lo, s0
	v_add_nc_u32_e32 v14, 0x5c0, v2
	v_dual_mov_b32 v31, 0xff800000 :: v_dual_mov_b32 v32, 0xff800000
	s_delay_alu instid0(VALU_DEP_2) | instskip(NEXT) | instid1(VALU_DEP_1)
	;; [unrolled: 27-line block ×3, first 2 shown]
	v_cmp_gt_i32_e64 s15, s74, v14
	s_and_b32 s1, s64, s15
	s_delay_alu instid0(SALU_CYCLE_1)
	s_and_saveexec_b32 s0, s1
	s_cbranch_execz .LBB481_98
; %bb.97:
	global_load_u16 v14, v[3:4], off offset:3072
	s_waitcnt vmcnt(0)
	v_lshlrev_b32_e32 v33, 16, v14
.LBB481_98:
	s_or_b32 exec_lo, exec_lo, s0
	v_add_nc_u32_e32 v14, 0x620, v2
	s_delay_alu instid0(VALU_DEP_1) | instskip(NEXT) | instid1(VALU_DEP_1)
	v_cmp_gt_i32_e64 s14, s74, v14
	s_and_b32 s1, s64, s14
	s_delay_alu instid0(SALU_CYCLE_1)
	s_and_saveexec_b32 s0, s1
	s_cbranch_execz .LBB481_100
; %bb.99:
	global_load_u16 v14, v[3:4], off offset:3136
	s_waitcnt vmcnt(0)
	v_lshlrev_b32_e32 v30, 16, v14
.LBB481_100:
	s_or_b32 exec_lo, exec_lo, s0
	v_add_nc_u32_e32 v14, 0x640, v2
	v_mov_b32_e32 v27, 0xff800000
	v_mov_b32_e32 v29, 0xff800000
	s_delay_alu instid0(VALU_DEP_3) | instskip(NEXT) | instid1(VALU_DEP_1)
	v_cmp_gt_i32_e64 s13, s74, v14
	s_and_b32 s1, s64, s13
	s_delay_alu instid0(SALU_CYCLE_1)
	s_and_saveexec_b32 s0, s1
	s_cbranch_execz .LBB481_102
; %bb.101:
	global_load_u16 v14, v[3:4], off offset:3200
	s_waitcnt vmcnt(0)
	v_lshlrev_b32_e32 v29, 16, v14
.LBB481_102:
	s_or_b32 exec_lo, exec_lo, s0
	v_add_nc_u32_e32 v14, 0x660, v2
	s_delay_alu instid0(VALU_DEP_1) | instskip(NEXT) | instid1(VALU_DEP_1)
	v_cmp_gt_i32_e64 s12, s74, v14
	s_and_b32 s1, s64, s12
	s_delay_alu instid0(SALU_CYCLE_1)
	s_and_saveexec_b32 s0, s1
	s_cbranch_execz .LBB481_104
; %bb.103:
	global_load_u16 v14, v[3:4], off offset:3264
	s_waitcnt vmcnt(0)
	v_lshlrev_b32_e32 v27, 16, v14
.LBB481_104:
	s_or_b32 exec_lo, exec_lo, s0
	v_add_nc_u32_e32 v14, 0x680, v2
	v_mov_b32_e32 v23, 0xff800000
	v_mov_b32_e32 v25, 0xff800000
	s_delay_alu instid0(VALU_DEP_3) | instskip(NEXT) | instid1(VALU_DEP_1)
	;; [unrolled: 28-line block ×3, first 2 shown]
	v_cmp_gt_i32_e64 s9, s74, v14
	s_and_b32 s1, s64, s9
	s_delay_alu instid0(SALU_CYCLE_1)
	s_and_saveexec_b32 s0, s1
	s_cbranch_execz .LBB481_110
; %bb.109:
	global_load_u16 v14, v[3:4], off offset:3456
	s_waitcnt vmcnt(0)
	v_lshlrev_b32_e32 v24, 16, v14
.LBB481_110:
	s_or_b32 exec_lo, exec_lo, s0
	v_add_nc_u32_e32 v14, 0x6e0, v2
	s_delay_alu instid0(VALU_DEP_1) | instskip(NEXT) | instid1(VALU_DEP_1)
	v_cmp_gt_i32_e64 s8, s74, v14
	s_and_b32 s1, s64, s8
	s_delay_alu instid0(SALU_CYCLE_1)
	s_and_saveexec_b32 s0, s1
	s_cbranch_execz .LBB481_112
; %bb.111:
	global_load_u16 v14, v[3:4], off offset:3520
	s_waitcnt vmcnt(0)
	v_lshlrev_b32_e32 v22, 16, v14
.LBB481_112:
	s_or_b32 exec_lo, exec_lo, s0
	v_add_nc_u32_e32 v14, 0x700, v2
	v_dual_mov_b32 v19, 0xff800000 :: v_dual_mov_b32 v18, 0xff800000
	s_delay_alu instid0(VALU_DEP_2) | instskip(NEXT) | instid1(VALU_DEP_1)
	v_cmp_gt_i32_e64 s7, s74, v14
	s_and_b32 s1, s64, s7
	s_delay_alu instid0(SALU_CYCLE_1)
	s_and_saveexec_b32 s0, s1
	s_cbranch_execz .LBB481_114
; %bb.113:
	global_load_u16 v14, v[3:4], off offset:3584
	s_waitcnt vmcnt(0)
	v_lshlrev_b32_e32 v18, 16, v14
.LBB481_114:
	s_or_b32 exec_lo, exec_lo, s0
	v_add_nc_u32_e32 v14, 0x720, v2
	s_delay_alu instid0(VALU_DEP_1) | instskip(NEXT) | instid1(VALU_DEP_1)
	v_cmp_gt_i32_e64 s6, s74, v14
	s_and_b32 s1, s64, s6
	s_delay_alu instid0(SALU_CYCLE_1)
	s_and_saveexec_b32 s0, s1
	s_cbranch_execz .LBB481_116
; %bb.115:
	global_load_u16 v14, v[3:4], off offset:3648
	s_waitcnt vmcnt(0)
	v_lshlrev_b32_e32 v19, 16, v14
.LBB481_116:
	s_or_b32 exec_lo, exec_lo, s0
	v_add_nc_u32_e32 v14, 0x740, v2
	v_dual_mov_b32 v20, 0xff800000 :: v_dual_mov_b32 v17, 0xff800000
	s_delay_alu instid0(VALU_DEP_2) | instskip(NEXT) | instid1(VALU_DEP_1)
	v_cmp_gt_i32_e64 s5, s74, v14
	s_and_b32 s1, s64, s5
	s_delay_alu instid0(SALU_CYCLE_1)
	s_and_saveexec_b32 s0, s1
	s_cbranch_execz .LBB481_118
; %bb.117:
	global_load_u16 v14, v[3:4], off offset:3712
	s_waitcnt vmcnt(0)
	v_lshlrev_b32_e32 v17, 16, v14
.LBB481_118:
	s_or_b32 exec_lo, exec_lo, s0
	v_add_nc_u32_e32 v14, 0x760, v2
	s_delay_alu instid0(VALU_DEP_1) | instskip(NEXT) | instid1(VALU_DEP_1)
	v_cmp_gt_i32_e64 s4, s74, v14
	s_and_b32 s1, s64, s4
	s_delay_alu instid0(SALU_CYCLE_1)
	s_and_saveexec_b32 s0, s1
	s_cbranch_execz .LBB481_120
; %bb.119:
	global_load_u16 v14, v[3:4], off offset:3776
	s_waitcnt vmcnt(0)
	v_lshlrev_b32_e32 v20, 16, v14
.LBB481_120:
	s_or_b32 exec_lo, exec_lo, s0
	v_add_nc_u32_e32 v14, 0x780, v2
	v_mov_b32_e32 v16, 0xff800000
	s_delay_alu instid0(VALU_DEP_2) | instskip(SKIP_1) | instid1(VALU_DEP_2)
	v_cmp_gt_i32_e64 s3, s74, v14
	v_mov_b32_e32 v14, 0xff800000
	s_and_b32 s1, s64, s3
	s_delay_alu instid0(SALU_CYCLE_1)
	s_and_saveexec_b32 s0, s1
	s_cbranch_execz .LBB481_122
; %bb.121:
	global_load_u16 v16, v[3:4], off offset:3840
	s_waitcnt vmcnt(0)
	v_lshlrev_b32_e32 v16, 16, v16
.LBB481_122:
	s_or_b32 exec_lo, exec_lo, s0
	v_add_nc_u32_e32 v26, 0x7a0, v2
	s_delay_alu instid0(VALU_DEP_1) | instskip(NEXT) | instid1(VALU_DEP_1)
	v_cmp_gt_i32_e64 s2, s74, v26
	s_and_b32 s1, s64, s2
	s_delay_alu instid0(SALU_CYCLE_1)
	s_and_saveexec_b32 s0, s1
	s_cbranch_execz .LBB481_124
; %bb.123:
	global_load_u16 v14, v[3:4], off offset:3904
	s_waitcnt vmcnt(0)
	v_lshlrev_b32_e32 v14, 16, v14
.LBB481_124:
	s_or_b32 exec_lo, exec_lo, s0
	v_add_nc_u32_e32 v26, 0x7c0, v2
	v_mov_b32_e32 v52, 0xff800000
	s_delay_alu instid0(VALU_DEP_2) | instskip(SKIP_1) | instid1(VALU_DEP_2)
	v_cmp_gt_i32_e64 s1, s74, v26
	v_mov_b32_e32 v26, 0xff800000
	s_and_b32 s65, s64, s1
	s_delay_alu instid0(SALU_CYCLE_1)
	s_and_saveexec_b32 s0, s65
	s_cbranch_execz .LBB481_126
; %bb.125:
	global_load_u16 v52, v[3:4], off offset:3968
	s_waitcnt vmcnt(0)
	v_lshlrev_b32_e32 v52, 16, v52
.LBB481_126:
	s_or_b32 exec_lo, exec_lo, s0
	v_add_nc_u32_e32 v2, 0x7e0, v2
	s_delay_alu instid0(VALU_DEP_1) | instskip(NEXT) | instid1(VALU_DEP_1)
	v_cmp_gt_i32_e64 s0, s74, v2
	s_and_b32 s65, s64, s0
	s_delay_alu instid0(SALU_CYCLE_1)
	s_and_saveexec_b32 s64, s65
	s_cbranch_execz .LBB481_128
; %bb.127:
	global_load_u16 v2, v[3:4], off offset:4032
	s_waitcnt vmcnt(0)
	v_lshlrev_b32_e32 v26, 16, v2
.LBB481_128:
	s_or_b32 exec_lo, exec_lo, s64
	v_cmp_gt_f32_e64 s64, v67, v63
	v_mbcnt_lo_u32_b32 v3, -1, 0
	s_mov_b32 s65, exec_lo
	s_delay_alu instid0(VALU_DEP_2) | instskip(NEXT) | instid1(VALU_DEP_2)
	v_cndmask_b32_e64 v2, v63, v67, s64
	v_xor_b32_e32 v4, 16, v3
	s_delay_alu instid0(VALU_DEP_2) | instskip(NEXT) | instid1(VALU_DEP_1)
	v_cmp_gt_f32_e64 s64, v2, v65
	v_cndmask_b32_e64 v2, v65, v2, s64
	s_delay_alu instid0(VALU_DEP_1) | instskip(NEXT) | instid1(VALU_DEP_1)
	v_cmp_gt_f32_e64 s64, v2, v60
	v_cndmask_b32_e64 v2, v60, v2, s64
	s_delay_alu instid0(VALU_DEP_1) | instskip(NEXT) | instid1(VALU_DEP_1)
	v_cmp_gt_f32_e64 s64, v2, v62
	v_cndmask_b32_e64 v2, v62, v2, s64
	s_delay_alu instid0(VALU_DEP_1) | instskip(NEXT) | instid1(VALU_DEP_1)
	v_cmp_gt_f32_e64 s64, v2, v57
	v_cndmask_b32_e64 v2, v57, v2, s64
	s_delay_alu instid0(VALU_DEP_1) | instskip(NEXT) | instid1(VALU_DEP_1)
	v_cmp_gt_f32_e64 s64, v2, v58
	v_cndmask_b32_e64 v2, v58, v2, s64
	s_delay_alu instid0(VALU_DEP_1) | instskip(NEXT) | instid1(VALU_DEP_1)
	v_cmp_gt_f32_e64 s64, v2, v55
	v_cndmask_b32_e64 v2, v55, v2, s64
	s_delay_alu instid0(VALU_DEP_1) | instskip(NEXT) | instid1(VALU_DEP_1)
	v_cmp_gt_f32_e64 s64, v2, v64
	v_cndmask_b32_e64 v2, v64, v2, s64
	s_delay_alu instid0(VALU_DEP_1) | instskip(NEXT) | instid1(VALU_DEP_1)
	v_cmp_gt_f32_e64 s64, v2, v61
	v_cndmask_b32_e64 v2, v61, v2, s64
	s_delay_alu instid0(VALU_DEP_1) | instskip(NEXT) | instid1(VALU_DEP_1)
	v_cmp_gt_f32_e64 s64, v2, v59
	v_cndmask_b32_e64 v2, v59, v2, s64
	s_delay_alu instid0(VALU_DEP_1) | instskip(NEXT) | instid1(VALU_DEP_1)
	v_cmp_gt_f32_e64 s64, v2, v54
	v_cndmask_b32_e64 v2, v54, v2, s64
	s_delay_alu instid0(VALU_DEP_1) | instskip(NEXT) | instid1(VALU_DEP_1)
	v_cmp_gt_f32_e64 s64, v2, v56
	v_cndmask_b32_e64 v2, v56, v2, s64
	s_delay_alu instid0(VALU_DEP_1) | instskip(NEXT) | instid1(VALU_DEP_1)
	v_cmp_gt_f32_e64 s64, v2, v51
	v_cndmask_b32_e64 v2, v51, v2, s64
	s_delay_alu instid0(VALU_DEP_1) | instskip(NEXT) | instid1(VALU_DEP_1)
	v_cmp_gt_f32_e64 s64, v2, v53
	v_cndmask_b32_e64 v2, v53, v2, s64
	s_delay_alu instid0(VALU_DEP_1) | instskip(NEXT) | instid1(VALU_DEP_1)
	v_cmp_gt_f32_e64 s64, v2, v37
	v_cndmask_b32_e64 v2, v37, v2, s64
	s_delay_alu instid0(VALU_DEP_1) | instskip(NEXT) | instid1(VALU_DEP_1)
	v_cmp_gt_f32_e64 s64, v2, v44
	v_cndmask_b32_e64 v2, v44, v2, s64
	s_delay_alu instid0(VALU_DEP_1) | instskip(NEXT) | instid1(VALU_DEP_1)
	v_cmp_gt_f32_e64 s64, v2, v21
	v_cndmask_b32_e64 v2, v21, v2, s64
	s_delay_alu instid0(VALU_DEP_1) | instskip(NEXT) | instid1(VALU_DEP_1)
	v_cmp_gt_f32_e64 s64, v2, v28
	v_cndmask_b32_e64 v2, v28, v2, s64
	s_delay_alu instid0(VALU_DEP_1) | instskip(NEXT) | instid1(VALU_DEP_1)
	v_cmp_gt_f32_e64 s64, v2, v13
	v_cndmask_b32_e64 v2, v13, v2, s64
	s_delay_alu instid0(VALU_DEP_1) | instskip(NEXT) | instid1(VALU_DEP_1)
	v_cmp_gt_f32_e64 s64, v2, v15
	v_cndmask_b32_e64 v2, v15, v2, s64
	s_delay_alu instid0(VALU_DEP_1) | instskip(NEXT) | instid1(VALU_DEP_1)
	v_cmp_gt_f32_e64 s64, v2, v8
	v_cndmask_b32_e64 v2, v8, v2, s64
	s_delay_alu instid0(VALU_DEP_1) | instskip(NEXT) | instid1(VALU_DEP_1)
	v_cmp_gt_f32_e64 s64, v2, v10
	v_cndmask_b32_e64 v2, v10, v2, s64
	s_delay_alu instid0(VALU_DEP_1) | instskip(NEXT) | instid1(VALU_DEP_1)
	v_cmp_gt_f32_e64 s64, v2, v7
	v_cndmask_b32_e64 v2, v7, v2, s64
	s_delay_alu instid0(VALU_DEP_1) | instskip(NEXT) | instid1(VALU_DEP_1)
	v_cmp_gt_f32_e64 s64, v2, v76
	v_cndmask_b32_e64 v2, v76, v2, s64
	s_delay_alu instid0(VALU_DEP_1) | instskip(NEXT) | instid1(VALU_DEP_1)
	v_cmp_gt_f32_e64 s64, v2, v6
	v_cndmask_b32_e64 v2, v6, v2, s64
	s_delay_alu instid0(VALU_DEP_1) | instskip(NEXT) | instid1(VALU_DEP_1)
	v_cmp_gt_f32_e64 s64, v2, v75
	v_cndmask_b32_e64 v2, v75, v2, s64
	s_delay_alu instid0(VALU_DEP_1) | instskip(NEXT) | instid1(VALU_DEP_1)
	v_cmp_gt_f32_e64 s64, v2, v12
	v_cndmask_b32_e64 v2, v12, v2, s64
	s_delay_alu instid0(VALU_DEP_1) | instskip(NEXT) | instid1(VALU_DEP_1)
	v_cmp_gt_f32_e64 s64, v2, v74
	v_cndmask_b32_e64 v2, v74, v2, s64
	s_delay_alu instid0(VALU_DEP_1) | instskip(NEXT) | instid1(VALU_DEP_1)
	v_cmp_gt_f32_e64 s64, v2, v9
	v_cndmask_b32_e64 v2, v9, v2, s64
	s_delay_alu instid0(VALU_DEP_1) | instskip(NEXT) | instid1(VALU_DEP_1)
	v_cmp_gt_f32_e64 s64, v2, v50
	v_cndmask_b32_e64 v2, v50, v2, s64
	s_delay_alu instid0(VALU_DEP_1) | instskip(NEXT) | instid1(VALU_DEP_1)
	v_cmp_gt_f32_e64 s64, v2, v11
	v_cndmask_b32_e64 v2, v11, v2, s64
	s_delay_alu instid0(VALU_DEP_1) | instskip(NEXT) | instid1(VALU_DEP_1)
	v_cmp_gt_f32_e64 s64, v2, v49
	v_cndmask_b32_e64 v2, v49, v2, s64
	s_delay_alu instid0(VALU_DEP_1) | instskip(NEXT) | instid1(VALU_DEP_1)
	v_cmp_gt_f32_e64 s64, v2, v48
	v_cndmask_b32_e64 v2, v48, v2, s64
	s_delay_alu instid0(VALU_DEP_1) | instskip(NEXT) | instid1(VALU_DEP_1)
	v_cmp_gt_f32_e64 s64, v2, v46
	v_cndmask_b32_e64 v2, v46, v2, s64
	s_delay_alu instid0(VALU_DEP_1) | instskip(NEXT) | instid1(VALU_DEP_1)
	v_cmp_gt_f32_e64 s64, v2, v45
	v_cndmask_b32_e64 v2, v45, v2, s64
	s_delay_alu instid0(VALU_DEP_1) | instskip(NEXT) | instid1(VALU_DEP_1)
	v_cmp_gt_f32_e64 s64, v2, v47
	v_cndmask_b32_e64 v2, v47, v2, s64
	s_delay_alu instid0(VALU_DEP_1) | instskip(NEXT) | instid1(VALU_DEP_1)
	v_cmp_gt_f32_e64 s64, v2, v43
	v_cndmask_b32_e64 v2, v43, v2, s64
	s_delay_alu instid0(VALU_DEP_1) | instskip(NEXT) | instid1(VALU_DEP_1)
	v_cmp_gt_f32_e64 s64, v2, v42
	v_cndmask_b32_e64 v2, v42, v2, s64
	s_delay_alu instid0(VALU_DEP_1) | instskip(NEXT) | instid1(VALU_DEP_1)
	v_cmp_gt_f32_e64 s64, v2, v41
	v_cndmask_b32_e64 v2, v41, v2, s64
	s_delay_alu instid0(VALU_DEP_1) | instskip(NEXT) | instid1(VALU_DEP_1)
	v_cmp_gt_f32_e64 s64, v2, v39
	v_cndmask_b32_e64 v2, v39, v2, s64
	s_delay_alu instid0(VALU_DEP_1) | instskip(NEXT) | instid1(VALU_DEP_1)
	v_cmp_gt_f32_e64 s64, v2, v38
	v_cndmask_b32_e64 v2, v38, v2, s64
	s_delay_alu instid0(VALU_DEP_1) | instskip(NEXT) | instid1(VALU_DEP_1)
	v_cmp_gt_f32_e64 s64, v2, v40
	v_cndmask_b32_e64 v2, v40, v2, s64
	s_delay_alu instid0(VALU_DEP_1) | instskip(NEXT) | instid1(VALU_DEP_1)
	v_cmp_gt_f32_e64 s64, v2, v36
	v_cndmask_b32_e64 v2, v36, v2, s64
	s_delay_alu instid0(VALU_DEP_1) | instskip(NEXT) | instid1(VALU_DEP_1)
	v_cmp_gt_f32_e64 s64, v2, v35
	v_cndmask_b32_e64 v2, v35, v2, s64
	s_delay_alu instid0(VALU_DEP_1) | instskip(NEXT) | instid1(VALU_DEP_1)
	v_cmp_gt_f32_e64 s64, v2, v34
	v_cndmask_b32_e64 v2, v34, v2, s64
	s_delay_alu instid0(VALU_DEP_1) | instskip(NEXT) | instid1(VALU_DEP_1)
	v_cmp_gt_f32_e64 s64, v2, v32
	v_cndmask_b32_e64 v2, v32, v2, s64
	s_delay_alu instid0(VALU_DEP_1) | instskip(NEXT) | instid1(VALU_DEP_1)
	v_cmp_gt_f32_e64 s64, v2, v31
	v_cndmask_b32_e64 v2, v31, v2, s64
	s_delay_alu instid0(VALU_DEP_1) | instskip(NEXT) | instid1(VALU_DEP_1)
	v_cmp_gt_f32_e64 s64, v2, v33
	v_cndmask_b32_e64 v2, v33, v2, s64
	s_delay_alu instid0(VALU_DEP_1) | instskip(NEXT) | instid1(VALU_DEP_1)
	v_cmp_gt_f32_e64 s64, v2, v30
	v_cndmask_b32_e64 v2, v30, v2, s64
	s_delay_alu instid0(VALU_DEP_1) | instskip(NEXT) | instid1(VALU_DEP_1)
	v_cmp_gt_f32_e64 s64, v2, v29
	v_cndmask_b32_e64 v2, v29, v2, s64
	s_delay_alu instid0(VALU_DEP_1) | instskip(NEXT) | instid1(VALU_DEP_1)
	v_cmp_gt_f32_e64 s64, v2, v27
	v_cndmask_b32_e64 v2, v27, v2, s64
	s_delay_alu instid0(VALU_DEP_1) | instskip(NEXT) | instid1(VALU_DEP_1)
	v_cmp_gt_f32_e64 s64, v2, v25
	v_cndmask_b32_e64 v2, v25, v2, s64
	s_delay_alu instid0(VALU_DEP_1) | instskip(NEXT) | instid1(VALU_DEP_1)
	v_cmp_gt_f32_e64 s64, v2, v23
	v_cndmask_b32_e64 v2, v23, v2, s64
	s_delay_alu instid0(VALU_DEP_1) | instskip(NEXT) | instid1(VALU_DEP_1)
	v_cmp_gt_f32_e64 s64, v2, v24
	v_cndmask_b32_e64 v2, v24, v2, s64
	s_delay_alu instid0(VALU_DEP_1) | instskip(NEXT) | instid1(VALU_DEP_1)
	v_cmp_gt_f32_e64 s64, v2, v22
	v_cndmask_b32_e64 v2, v22, v2, s64
	s_delay_alu instid0(VALU_DEP_1) | instskip(NEXT) | instid1(VALU_DEP_1)
	v_cmp_gt_f32_e64 s64, v2, v18
	v_cndmask_b32_e64 v2, v18, v2, s64
	s_delay_alu instid0(VALU_DEP_1) | instskip(NEXT) | instid1(VALU_DEP_1)
	v_cmp_gt_f32_e64 s64, v2, v19
	v_cndmask_b32_e64 v2, v19, v2, s64
	s_delay_alu instid0(VALU_DEP_1) | instskip(NEXT) | instid1(VALU_DEP_1)
	v_cmp_gt_f32_e64 s64, v2, v17
	v_cndmask_b32_e64 v2, v17, v2, s64
	s_delay_alu instid0(VALU_DEP_1) | instskip(NEXT) | instid1(VALU_DEP_1)
	v_cmp_gt_f32_e64 s64, v2, v20
	v_cndmask_b32_e64 v2, v20, v2, s64
	s_delay_alu instid0(VALU_DEP_1) | instskip(NEXT) | instid1(VALU_DEP_1)
	v_cmp_gt_f32_e64 s64, v2, v16
	v_cndmask_b32_e64 v2, v16, v2, s64
	s_delay_alu instid0(VALU_DEP_1) | instskip(NEXT) | instid1(VALU_DEP_1)
	v_cmp_gt_f32_e64 s64, v2, v14
	v_cndmask_b32_e64 v2, v14, v2, s64
	s_delay_alu instid0(VALU_DEP_1) | instskip(NEXT) | instid1(VALU_DEP_1)
	v_cmp_gt_f32_e64 s64, v2, v52
	v_cndmask_b32_e64 v2, v52, v2, s64
	s_delay_alu instid0(VALU_DEP_1) | instskip(NEXT) | instid1(VALU_DEP_1)
	v_cmp_gt_f32_e64 s64, v2, v26
	v_cndmask_b32_e64 v2, v26, v2, s64
	v_cmp_gt_i32_e64 s64, 32, v4
	s_delay_alu instid0(VALU_DEP_1) | instskip(NEXT) | instid1(VALU_DEP_1)
	v_cndmask_b32_e64 v4, v3, v4, s64
	v_lshlrev_b32_e32 v66, 2, v4
	ds_bpermute_b32 v4, v66, v2
	s_waitcnt lgkmcnt(0)
	v_cmp_lt_f32_e64 s64, v2, v4
	s_delay_alu instid0(VALU_DEP_1) | instskip(SKIP_1) | instid1(VALU_DEP_1)
	v_cndmask_b32_e64 v2, v2, v4, s64
	v_xor_b32_e32 v4, 8, v3
	v_cmp_gt_i32_e64 s64, 32, v4
	s_delay_alu instid0(VALU_DEP_1) | instskip(NEXT) | instid1(VALU_DEP_1)
	v_cndmask_b32_e64 v4, v3, v4, s64
	v_lshlrev_b32_e32 v68, 2, v4
	ds_bpermute_b32 v4, v68, v2
	s_waitcnt lgkmcnt(0)
	v_cmp_lt_f32_e64 s64, v2, v4
	s_delay_alu instid0(VALU_DEP_1) | instskip(SKIP_1) | instid1(VALU_DEP_1)
	v_cndmask_b32_e64 v2, v2, v4, s64
	v_xor_b32_e32 v4, 4, v3
	;; [unrolled: 10-line block ×4, first 2 shown]
	v_cmp_gt_i32_e64 s64, 32, v4
	s_delay_alu instid0(VALU_DEP_1) | instskip(NEXT) | instid1(VALU_DEP_1)
	v_cndmask_b32_e64 v3, v3, v4, s64
	v_lshlrev_b32_e32 v72, 2, v3
	ds_bpermute_b32 v3, v72, v2
	s_waitcnt lgkmcnt(0)
	v_cmp_lt_f32_e64 s64, v2, v3
	s_delay_alu instid0(VALU_DEP_1) | instskip(NEXT) | instid1(VALU_DEP_1)
	v_cndmask_b32_e64 v73, v2, v3, s64
	v_sub_f32_e32 v2, v67, v73
	v_sub_f32_e32 v48, v48, v73
	;; [unrolled: 1-line block ×5, first 2 shown]
	v_mul_f32_e32 v3, 0x3fb8aa3b, v2
	v_cmp_ngt_f32_e64 s64, 0xc2ce8ed0, v2
	v_sub_f32_e32 v40, v40, v73
	v_sub_f32_e32 v39, v39, v73
	;; [unrolled: 1-line block ×3, first 2 shown]
	v_fma_f32 v4, 0x3fb8aa3b, v2, -v3
	v_rndne_f32_e32 v67, v3
	v_sub_f32_e32 v34, v34, v73
	v_sub_f32_e32 v30, v30, v73
	;; [unrolled: 1-line block ×3, first 2 shown]
	s_delay_alu instid0(VALU_DEP_4) | instskip(SKIP_3) | instid1(VALU_DEP_4)
	v_dual_fmac_f32 v4, 0x32a5705f, v2 :: v_dual_sub_f32 v3, v3, v67
	v_sub_f32_e32 v24, v24, v73
	v_sub_f32_e32 v36, v36, v73
	;; [unrolled: 1-line block ×3, first 2 shown]
	v_dual_sub_f32 v18, v18, v73 :: v_dual_add_f32 v3, v3, v4
	v_cvt_i32_f32_e32 v4, v67
	v_sub_f32_e32 v26, v26, v73
	v_sub_f32_e32 v14, v14, v73
	;; [unrolled: 1-line block ×3, first 2 shown]
	v_exp_f32_e32 v3, v3
	v_sub_f32_e32 v16, v16, v73
	v_sub_f32_e32 v9, v9, v73
	;; [unrolled: 1-line block ×9, first 2 shown]
	v_ldexp_f32 v3, v3, v4
	v_sub_f32_e32 v33, v33, v73
	v_sub_f32_e32 v29, v29, v73
	;; [unrolled: 1-line block ×4, first 2 shown]
	v_cndmask_b32_e64 v3, 0, v3, s64
	v_cmp_nlt_f32_e64 s64, 0x42b17218, v2
	v_sub_f32_e32 v2, v63, v73
	v_sub_f32_e32 v23, v23, v73
	;; [unrolled: 1-line block ×4, first 2 shown]
	v_cndmask_b32_e64 v69, 0x7f800000, v3, s64
	v_mul_f32_e32 v3, 0x3fb8aa3b, v2
	v_cmp_ngt_f32_e64 s64, 0xc2ce8ed0, v2
	s_delay_alu instid0(VALU_DEP_2) | instskip(SKIP_1) | instid1(VALU_DEP_1)
	v_fma_f32 v4, 0x3fb8aa3b, v2, -v3
	v_rndne_f32_e32 v63, v3
	v_dual_fmac_f32 v4, 0x32a5705f, v2 :: v_dual_sub_f32 v3, v3, v63
	s_delay_alu instid0(VALU_DEP_1) | instskip(SKIP_1) | instid1(VALU_DEP_2)
	v_add_f32_e32 v3, v3, v4
	v_cvt_i32_f32_e32 v4, v63
	v_exp_f32_e32 v3, v3
	s_waitcnt_depctr 0xfff
	v_ldexp_f32 v3, v3, v4
	s_delay_alu instid0(VALU_DEP_1) | instskip(SKIP_1) | instid1(VALU_DEP_1)
	v_cndmask_b32_e64 v3, 0, v3, s64
	v_cmp_nlt_f32_e64 s64, 0x42b17218, v2
	v_cndmask_b32_e64 v67, 0x7f800000, v3, s64
	v_sub_f32_e32 v3, v65, v73
	s_delay_alu instid0(VALU_DEP_2) | instskip(NEXT) | instid1(VALU_DEP_2)
	v_add_f32_e32 v2, v69, v67
	v_mul_f32_e32 v4, 0x3fb8aa3b, v3
	v_cmp_ngt_f32_e64 s64, 0xc2ce8ed0, v3
	s_delay_alu instid0(VALU_DEP_2) | instskip(SKIP_1) | instid1(VALU_DEP_1)
	v_fma_f32 v63, 0x3fb8aa3b, v3, -v4
	v_rndne_f32_e32 v65, v4
	v_dual_fmac_f32 v63, 0x32a5705f, v3 :: v_dual_sub_f32 v4, v4, v65
	s_delay_alu instid0(VALU_DEP_1) | instskip(SKIP_1) | instid1(VALU_DEP_2)
	v_add_f32_e32 v4, v4, v63
	v_cvt_i32_f32_e32 v63, v65
	v_exp_f32_e32 v4, v4
	s_waitcnt_depctr 0xfff
	v_ldexp_f32 v4, v4, v63
	s_delay_alu instid0(VALU_DEP_1) | instskip(SKIP_2) | instid1(VALU_DEP_2)
	v_cndmask_b32_e64 v4, 0, v4, s64
	v_cmp_nlt_f32_e64 s64, 0x42b17218, v3
	v_sub_f32_e32 v3, v60, v73
	v_cndmask_b32_e64 v65, 0x7f800000, v4, s64
	s_delay_alu instid0(VALU_DEP_2) | instskip(SKIP_1) | instid1(VALU_DEP_2)
	v_mul_f32_e32 v4, 0x3fb8aa3b, v3
	v_cmp_ngt_f32_e64 s64, 0xc2ce8ed0, v3
	v_fma_f32 v60, 0x3fb8aa3b, v3, -v4
	v_rndne_f32_e32 v63, v4
	s_delay_alu instid0(VALU_DEP_2) | instskip(NEXT) | instid1(VALU_DEP_2)
	v_fmac_f32_e32 v60, 0x32a5705f, v3
	v_sub_f32_e32 v4, v4, v63
	s_delay_alu instid0(VALU_DEP_1) | instskip(SKIP_1) | instid1(VALU_DEP_2)
	v_add_f32_e32 v4, v4, v60
	v_cvt_i32_f32_e32 v60, v63
	v_exp_f32_e32 v4, v4
	s_waitcnt_depctr 0xfff
	v_ldexp_f32 v4, v4, v60
	s_delay_alu instid0(VALU_DEP_1) | instskip(SKIP_2) | instid1(VALU_DEP_2)
	v_cndmask_b32_e64 v4, 0, v4, s64
	v_cmp_nlt_f32_e64 s64, 0x42b17218, v3
	v_sub_f32_e32 v3, v62, v73
	v_cndmask_b32_e64 v63, 0x7f800000, v4, s64
	s_delay_alu instid0(VALU_DEP_2) | instskip(SKIP_1) | instid1(VALU_DEP_2)
	v_mul_f32_e32 v4, 0x3fb8aa3b, v3
	v_cmp_ngt_f32_e64 s64, 0xc2ce8ed0, v3
	v_fma_f32 v60, 0x3fb8aa3b, v3, -v4
	v_rndne_f32_e32 v62, v4
	s_delay_alu instid0(VALU_DEP_2) | instskip(NEXT) | instid1(VALU_DEP_2)
	v_fmac_f32_e32 v60, 0x32a5705f, v3
	v_sub_f32_e32 v4, v4, v62
	s_delay_alu instid0(VALU_DEP_1) | instskip(SKIP_1) | instid1(VALU_DEP_2)
	v_add_f32_e32 v4, v4, v60
	v_cvt_i32_f32_e32 v60, v62
	v_exp_f32_e32 v4, v4
	s_waitcnt_depctr 0xfff
	v_ldexp_f32 v4, v4, v60
	s_delay_alu instid0(VALU_DEP_1) | instskip(SKIP_2) | instid1(VALU_DEP_2)
	v_cndmask_b32_e64 v4, 0, v4, s64
	v_cmp_nlt_f32_e64 s64, 0x42b17218, v3
	v_sub_f32_e32 v3, v57, v73
	v_cndmask_b32_e64 v62, 0x7f800000, v4, s64
	s_delay_alu instid0(VALU_DEP_2) | instskip(SKIP_1) | instid1(VALU_DEP_2)
	v_mul_f32_e32 v4, 0x3fb8aa3b, v3
	v_cmp_ngt_f32_e64 s64, 0xc2ce8ed0, v3
	v_fma_f32 v57, 0x3fb8aa3b, v3, -v4
	v_rndne_f32_e32 v60, v4
	s_delay_alu instid0(VALU_DEP_1) | instskip(NEXT) | instid1(VALU_DEP_1)
	v_dual_fmac_f32 v57, 0x32a5705f, v3 :: v_dual_sub_f32 v4, v4, v60
	v_add_f32_e32 v4, v4, v57
	v_cvt_i32_f32_e32 v57, v60
	s_delay_alu instid0(VALU_DEP_2) | instskip(SKIP_2) | instid1(VALU_DEP_1)
	v_exp_f32_e32 v4, v4
	s_waitcnt_depctr 0xfff
	v_ldexp_f32 v4, v4, v57
	v_cndmask_b32_e64 v4, 0, v4, s64
	v_cmp_nlt_f32_e64 s64, 0x42b17218, v3
	v_sub_f32_e32 v3, v58, v73
	s_delay_alu instid0(VALU_DEP_2) | instskip(NEXT) | instid1(VALU_DEP_2)
	v_cndmask_b32_e64 v60, 0x7f800000, v4, s64
	v_mul_f32_e32 v4, 0x3fb8aa3b, v3
	v_cmp_ngt_f32_e64 s64, 0xc2ce8ed0, v3
	s_delay_alu instid0(VALU_DEP_2) | instskip(SKIP_1) | instid1(VALU_DEP_2)
	v_fma_f32 v57, 0x3fb8aa3b, v3, -v4
	v_rndne_f32_e32 v58, v4
	v_dual_add_f32 v2, v2, v65 :: v_dual_fmac_f32 v57, 0x32a5705f, v3
	s_delay_alu instid0(VALU_DEP_2) | instskip(NEXT) | instid1(VALU_DEP_2)
	v_sub_f32_e32 v4, v4, v58
	v_add_f32_e32 v2, v2, v63
	s_delay_alu instid0(VALU_DEP_2) | instskip(SKIP_1) | instid1(VALU_DEP_2)
	v_add_f32_e32 v4, v4, v57
	v_cvt_i32_f32_e32 v57, v58
	v_exp_f32_e32 v4, v4
	s_waitcnt_depctr 0xfff
	v_ldexp_f32 v4, v4, v57
	s_delay_alu instid0(VALU_DEP_1) | instskip(SKIP_2) | instid1(VALU_DEP_2)
	v_cndmask_b32_e64 v4, 0, v4, s64
	v_cmp_nlt_f32_e64 s64, 0x42b17218, v3
	v_sub_f32_e32 v3, v55, v73
	v_cndmask_b32_e64 v58, 0x7f800000, v4, s64
	s_delay_alu instid0(VALU_DEP_2) | instskip(SKIP_1) | instid1(VALU_DEP_2)
	v_mul_f32_e32 v4, 0x3fb8aa3b, v3
	v_cmp_ngt_f32_e64 s64, 0xc2ce8ed0, v3
	v_fma_f32 v55, 0x3fb8aa3b, v3, -v4
	v_rndne_f32_e32 v57, v4
	s_delay_alu instid0(VALU_DEP_1) | instskip(NEXT) | instid1(VALU_DEP_1)
	v_dual_fmac_f32 v55, 0x32a5705f, v3 :: v_dual_sub_f32 v4, v4, v57
	v_add_f32_e32 v4, v4, v55
	v_cvt_i32_f32_e32 v55, v57
	s_delay_alu instid0(VALU_DEP_2) | instskip(SKIP_2) | instid1(VALU_DEP_1)
	v_exp_f32_e32 v4, v4
	s_waitcnt_depctr 0xfff
	v_ldexp_f32 v4, v4, v55
	v_cndmask_b32_e64 v4, 0, v4, s64
	v_cmp_nlt_f32_e64 s64, 0x42b17218, v3
	v_sub_f32_e32 v3, v64, v73
	s_delay_alu instid0(VALU_DEP_2) | instskip(NEXT) | instid1(VALU_DEP_2)
	v_cndmask_b32_e64 v57, 0x7f800000, v4, s64
	v_mul_f32_e32 v4, 0x3fb8aa3b, v3
	v_cmp_ngt_f32_e64 s64, 0xc2ce8ed0, v3
	s_delay_alu instid0(VALU_DEP_2) | instskip(SKIP_1) | instid1(VALU_DEP_1)
	v_fma_f32 v55, 0x3fb8aa3b, v3, -v4
	v_rndne_f32_e32 v64, v4
	v_dual_fmac_f32 v55, 0x32a5705f, v3 :: v_dual_sub_f32 v4, v4, v64
	s_delay_alu instid0(VALU_DEP_1) | instskip(SKIP_1) | instid1(VALU_DEP_2)
	v_add_f32_e32 v4, v4, v55
	v_cvt_i32_f32_e32 v55, v64
	v_exp_f32_e32 v4, v4
	s_waitcnt_depctr 0xfff
	v_ldexp_f32 v4, v4, v55
	s_delay_alu instid0(VALU_DEP_1) | instskip(SKIP_2) | instid1(VALU_DEP_2)
	v_cndmask_b32_e64 v4, 0, v4, s64
	v_cmp_nlt_f32_e64 s64, 0x42b17218, v3
	v_sub_f32_e32 v3, v61, v73
	v_cndmask_b32_e64 v55, 0x7f800000, v4, s64
	s_delay_alu instid0(VALU_DEP_2) | instskip(SKIP_1) | instid1(VALU_DEP_2)
	v_mul_f32_e32 v4, 0x3fb8aa3b, v3
	v_cmp_ngt_f32_e64 s64, 0xc2ce8ed0, v3
	v_fma_f32 v61, 0x3fb8aa3b, v3, -v4
	v_rndne_f32_e32 v64, v4
	s_delay_alu instid0(VALU_DEP_1) | instskip(NEXT) | instid1(VALU_DEP_1)
	v_dual_fmac_f32 v61, 0x32a5705f, v3 :: v_dual_sub_f32 v4, v4, v64
	v_add_f32_e32 v4, v4, v61
	v_cvt_i32_f32_e32 v61, v64
	s_delay_alu instid0(VALU_DEP_2) | instskip(SKIP_2) | instid1(VALU_DEP_1)
	v_exp_f32_e32 v4, v4
	s_waitcnt_depctr 0xfff
	v_ldexp_f32 v4, v4, v61
	v_cndmask_b32_e64 v4, 0, v4, s64
	v_cmp_nlt_f32_e64 s64, 0x42b17218, v3
	v_sub_f32_e32 v3, v59, v73
	s_delay_alu instid0(VALU_DEP_2) | instskip(NEXT) | instid1(VALU_DEP_2)
	v_cndmask_b32_e64 v64, 0x7f800000, v4, s64
	v_mul_f32_e32 v4, 0x3fb8aa3b, v3
	v_cmp_ngt_f32_e64 s64, 0xc2ce8ed0, v3
	s_delay_alu instid0(VALU_DEP_2) | instskip(SKIP_1) | instid1(VALU_DEP_2)
	v_fma_f32 v59, 0x3fb8aa3b, v3, -v4
	v_rndne_f32_e32 v61, v4
	v_dual_add_f32 v2, v2, v62 :: v_dual_fmac_f32 v59, 0x32a5705f, v3
	s_delay_alu instid0(VALU_DEP_2) | instskip(NEXT) | instid1(VALU_DEP_2)
	v_sub_f32_e32 v4, v4, v61
	v_add_f32_e32 v2, v2, v60
	s_delay_alu instid0(VALU_DEP_2) | instskip(SKIP_1) | instid1(VALU_DEP_2)
	v_add_f32_e32 v4, v4, v59
	v_cvt_i32_f32_e32 v59, v61
	v_exp_f32_e32 v4, v4
	s_waitcnt_depctr 0xfff
	v_ldexp_f32 v4, v4, v59
	s_delay_alu instid0(VALU_DEP_1) | instskip(SKIP_2) | instid1(VALU_DEP_2)
	v_cndmask_b32_e64 v4, 0, v4, s64
	v_cmp_nlt_f32_e64 s64, 0x42b17218, v3
	v_sub_f32_e32 v3, v54, v73
	v_cndmask_b32_e64 v61, 0x7f800000, v4, s64
	s_delay_alu instid0(VALU_DEP_2) | instskip(SKIP_1) | instid1(VALU_DEP_2)
	v_mul_f32_e32 v4, 0x3fb8aa3b, v3
	v_cmp_ngt_f32_e64 s64, 0xc2ce8ed0, v3
	v_fma_f32 v54, 0x3fb8aa3b, v3, -v4
	v_rndne_f32_e32 v59, v4
	s_delay_alu instid0(VALU_DEP_2) | instskip(NEXT) | instid1(VALU_DEP_2)
	v_fmac_f32_e32 v54, 0x32a5705f, v3
	v_sub_f32_e32 v4, v4, v59
	s_delay_alu instid0(VALU_DEP_1) | instskip(SKIP_1) | instid1(VALU_DEP_2)
	v_add_f32_e32 v4, v4, v54
	v_cvt_i32_f32_e32 v54, v59
	v_exp_f32_e32 v4, v4
	s_waitcnt_depctr 0xfff
	v_ldexp_f32 v4, v4, v54
	s_delay_alu instid0(VALU_DEP_1) | instskip(SKIP_2) | instid1(VALU_DEP_2)
	v_cndmask_b32_e64 v4, 0, v4, s64
	v_cmp_nlt_f32_e64 s64, 0x42b17218, v3
	v_dual_sub_f32 v3, v56, v73 :: v_dual_add_f32 v2, v2, v58
	v_cndmask_b32_e64 v59, 0x7f800000, v4, s64
	s_delay_alu instid0(VALU_DEP_2) | instskip(SKIP_1) | instid1(VALU_DEP_2)
	v_mul_f32_e32 v4, 0x3fb8aa3b, v3
	v_cmp_ngt_f32_e64 s64, 0xc2ce8ed0, v3
	v_fma_f32 v54, 0x3fb8aa3b, v3, -v4
	v_rndne_f32_e32 v56, v4
	s_delay_alu instid0(VALU_DEP_2) | instskip(NEXT) | instid1(VALU_DEP_2)
	v_fmac_f32_e32 v54, 0x32a5705f, v3
	v_sub_f32_e32 v4, v4, v56
	s_delay_alu instid0(VALU_DEP_1) | instskip(SKIP_1) | instid1(VALU_DEP_2)
	v_add_f32_e32 v4, v4, v54
	v_cvt_i32_f32_e32 v54, v56
	v_exp_f32_e32 v4, v4
	s_waitcnt_depctr 0xfff
	v_ldexp_f32 v4, v4, v54
	s_delay_alu instid0(VALU_DEP_1) | instskip(SKIP_2) | instid1(VALU_DEP_2)
	v_cndmask_b32_e64 v4, 0, v4, s64
	v_cmp_nlt_f32_e64 s64, 0x42b17218, v3
	v_sub_f32_e32 v3, v51, v73
	v_cndmask_b32_e64 v56, 0x7f800000, v4, s64
	s_delay_alu instid0(VALU_DEP_2) | instskip(SKIP_1) | instid1(VALU_DEP_2)
	v_mul_f32_e32 v4, 0x3fb8aa3b, v3
	v_cmp_ngt_f32_e64 s64, 0xc2ce8ed0, v3
	v_fma_f32 v51, 0x3fb8aa3b, v3, -v4
	v_rndne_f32_e32 v54, v4
	s_delay_alu instid0(VALU_DEP_1) | instskip(NEXT) | instid1(VALU_DEP_1)
	v_dual_fmac_f32 v51, 0x32a5705f, v3 :: v_dual_sub_f32 v4, v4, v54
	v_add_f32_e32 v4, v4, v51
	v_cvt_i32_f32_e32 v51, v54
	s_delay_alu instid0(VALU_DEP_2) | instskip(SKIP_2) | instid1(VALU_DEP_1)
	v_exp_f32_e32 v4, v4
	s_waitcnt_depctr 0xfff
	v_ldexp_f32 v4, v4, v51
	v_cndmask_b32_e64 v4, 0, v4, s64
	v_cmp_nlt_f32_e64 s64, 0x42b17218, v3
	v_sub_f32_e32 v3, v53, v73
	s_delay_alu instid0(VALU_DEP_2) | instskip(NEXT) | instid1(VALU_DEP_2)
	v_cndmask_b32_e64 v54, 0x7f800000, v4, s64
	v_mul_f32_e32 v4, 0x3fb8aa3b, v3
	v_cmp_ngt_f32_e64 s64, 0xc2ce8ed0, v3
	s_delay_alu instid0(VALU_DEP_2) | instskip(SKIP_1) | instid1(VALU_DEP_1)
	v_fma_f32 v51, 0x3fb8aa3b, v3, -v4
	v_rndne_f32_e32 v53, v4
	v_dual_fmac_f32 v51, 0x32a5705f, v3 :: v_dual_sub_f32 v4, v4, v53
	s_delay_alu instid0(VALU_DEP_1) | instskip(SKIP_1) | instid1(VALU_DEP_2)
	v_add_f32_e32 v4, v4, v51
	v_cvt_i32_f32_e32 v51, v53
	v_exp_f32_e32 v4, v4
	s_waitcnt_depctr 0xfff
	v_ldexp_f32 v4, v4, v51
	s_delay_alu instid0(VALU_DEP_1) | instskip(SKIP_2) | instid1(VALU_DEP_2)
	v_cndmask_b32_e64 v4, 0, v4, s64
	v_cmp_nlt_f32_e64 s64, 0x42b17218, v3
	v_sub_f32_e32 v3, v37, v73
	v_cndmask_b32_e64 v53, 0x7f800000, v4, s64
	s_delay_alu instid0(VALU_DEP_2) | instskip(SKIP_1) | instid1(VALU_DEP_2)
	v_mul_f32_e32 v4, 0x3fb8aa3b, v3
	v_cmp_ngt_f32_e64 s64, 0xc2ce8ed0, v3
	v_fma_f32 v37, 0x3fb8aa3b, v3, -v4
	v_rndne_f32_e32 v51, v4
	s_delay_alu instid0(VALU_DEP_2) | instskip(NEXT) | instid1(VALU_DEP_2)
	v_fmac_f32_e32 v37, 0x32a5705f, v3
	v_sub_f32_e32 v4, v4, v51
	s_delay_alu instid0(VALU_DEP_1) | instskip(SKIP_1) | instid1(VALU_DEP_2)
	v_add_f32_e32 v4, v4, v37
	v_cvt_i32_f32_e32 v37, v51
	v_exp_f32_e32 v4, v4
	s_waitcnt_depctr 0xfff
	v_ldexp_f32 v4, v4, v37
	s_delay_alu instid0(VALU_DEP_1) | instskip(SKIP_2) | instid1(VALU_DEP_2)
	v_cndmask_b32_e64 v4, 0, v4, s64
	v_cmp_nlt_f32_e64 s64, 0x42b17218, v3
	v_sub_f32_e32 v3, v44, v73
	v_cndmask_b32_e64 v51, 0x7f800000, v4, s64
	s_delay_alu instid0(VALU_DEP_2) | instskip(SKIP_1) | instid1(VALU_DEP_2)
	v_mul_f32_e32 v4, 0x3fb8aa3b, v3
	v_cmp_ngt_f32_e64 s64, 0xc2ce8ed0, v3
	v_fma_f32 v37, 0x3fb8aa3b, v3, -v4
	v_rndne_f32_e32 v44, v4
	s_delay_alu instid0(VALU_DEP_1) | instskip(NEXT) | instid1(VALU_DEP_1)
	v_dual_fmac_f32 v37, 0x32a5705f, v3 :: v_dual_sub_f32 v4, v4, v44
	v_add_f32_e32 v4, v4, v37
	v_cvt_i32_f32_e32 v37, v44
	s_delay_alu instid0(VALU_DEP_2) | instskip(SKIP_2) | instid1(VALU_DEP_1)
	v_exp_f32_e32 v4, v4
	s_waitcnt_depctr 0xfff
	v_ldexp_f32 v4, v4, v37
	v_cndmask_b32_e64 v4, 0, v4, s64
	v_cmp_nlt_f32_e64 s64, 0x42b17218, v3
	v_sub_f32_e32 v3, v21, v73
	s_delay_alu instid0(VALU_DEP_2) | instskip(NEXT) | instid1(VALU_DEP_2)
	v_cndmask_b32_e64 v44, 0x7f800000, v4, s64
	v_mul_f32_e32 v4, 0x3fb8aa3b, v3
	v_cmp_ngt_f32_e64 s64, 0xc2ce8ed0, v3
	s_delay_alu instid0(VALU_DEP_2) | instskip(SKIP_1) | instid1(VALU_DEP_2)
	v_fma_f32 v21, 0x3fb8aa3b, v3, -v4
	v_rndne_f32_e32 v37, v4
	v_dual_add_f32 v2, v2, v57 :: v_dual_fmac_f32 v21, 0x32a5705f, v3
	s_delay_alu instid0(VALU_DEP_2) | instskip(NEXT) | instid1(VALU_DEP_2)
	v_sub_f32_e32 v4, v4, v37
	v_add_f32_e32 v2, v2, v55
	s_delay_alu instid0(VALU_DEP_2) | instskip(SKIP_1) | instid1(VALU_DEP_2)
	v_add_f32_e32 v4, v4, v21
	v_cvt_i32_f32_e32 v21, v37
	v_exp_f32_e32 v4, v4
	s_waitcnt_depctr 0xfff
	v_ldexp_f32 v4, v4, v21
	s_delay_alu instid0(VALU_DEP_1) | instskip(SKIP_2) | instid1(VALU_DEP_2)
	v_cndmask_b32_e64 v4, 0, v4, s64
	v_cmp_nlt_f32_e64 s64, 0x42b17218, v3
	v_sub_f32_e32 v3, v28, v73
	v_cndmask_b32_e64 v37, 0x7f800000, v4, s64
	s_delay_alu instid0(VALU_DEP_2) | instskip(SKIP_1) | instid1(VALU_DEP_2)
	v_mul_f32_e32 v4, 0x3fb8aa3b, v3
	v_cmp_ngt_f32_e64 s64, 0xc2ce8ed0, v3
	v_fma_f32 v21, 0x3fb8aa3b, v3, -v4
	v_rndne_f32_e32 v28, v4
	s_delay_alu instid0(VALU_DEP_1) | instskip(NEXT) | instid1(VALU_DEP_1)
	v_dual_fmac_f32 v21, 0x32a5705f, v3 :: v_dual_sub_f32 v4, v4, v28
	v_add_f32_e32 v4, v4, v21
	v_cvt_i32_f32_e32 v21, v28
	s_delay_alu instid0(VALU_DEP_2) | instskip(SKIP_2) | instid1(VALU_DEP_1)
	v_exp_f32_e32 v4, v4
	s_waitcnt_depctr 0xfff
	v_ldexp_f32 v4, v4, v21
	v_cndmask_b32_e64 v4, 0, v4, s64
	v_cmp_nlt_f32_e64 s64, 0x42b17218, v3
	v_sub_f32_e32 v3, v13, v73
	s_delay_alu instid0(VALU_DEP_2) | instskip(NEXT) | instid1(VALU_DEP_2)
	v_cndmask_b32_e64 v28, 0x7f800000, v4, s64
	v_mul_f32_e32 v4, 0x3fb8aa3b, v3
	v_cmp_ngt_f32_e64 s64, 0xc2ce8ed0, v3
	s_delay_alu instid0(VALU_DEP_2) | instskip(SKIP_1) | instid1(VALU_DEP_1)
	v_fma_f32 v13, 0x3fb8aa3b, v3, -v4
	v_rndne_f32_e32 v21, v4
	v_dual_fmac_f32 v13, 0x32a5705f, v3 :: v_dual_sub_f32 v4, v4, v21
	s_delay_alu instid0(VALU_DEP_1) | instskip(SKIP_1) | instid1(VALU_DEP_2)
	v_add_f32_e32 v4, v4, v13
	v_cvt_i32_f32_e32 v13, v21
	v_exp_f32_e32 v4, v4
	s_waitcnt_depctr 0xfff
	v_ldexp_f32 v4, v4, v13
	s_delay_alu instid0(VALU_DEP_1) | instskip(SKIP_2) | instid1(VALU_DEP_2)
	v_cndmask_b32_e64 v4, 0, v4, s64
	v_cmp_nlt_f32_e64 s64, 0x42b17218, v3
	v_dual_sub_f32 v3, v15, v73 :: v_dual_add_f32 v2, v2, v64
	v_cndmask_b32_e64 v21, 0x7f800000, v4, s64
	s_delay_alu instid0(VALU_DEP_2) | instskip(SKIP_1) | instid1(VALU_DEP_2)
	v_mul_f32_e32 v4, 0x3fb8aa3b, v3
	v_cmp_ngt_f32_e64 s64, 0xc2ce8ed0, v3
	v_fma_f32 v13, 0x3fb8aa3b, v3, -v4
	v_rndne_f32_e32 v15, v4
	s_delay_alu instid0(VALU_DEP_2) | instskip(NEXT) | instid1(VALU_DEP_2)
	v_fmac_f32_e32 v13, 0x32a5705f, v3
	v_sub_f32_e32 v4, v4, v15
	s_delay_alu instid0(VALU_DEP_1) | instskip(SKIP_1) | instid1(VALU_DEP_2)
	v_add_f32_e32 v4, v4, v13
	v_cvt_i32_f32_e32 v13, v15
	v_exp_f32_e32 v4, v4
	s_waitcnt_depctr 0xfff
	v_ldexp_f32 v4, v4, v13
	s_delay_alu instid0(VALU_DEP_1) | instskip(SKIP_2) | instid1(VALU_DEP_2)
	v_cndmask_b32_e64 v4, 0, v4, s64
	v_cmp_nlt_f32_e64 s64, 0x42b17218, v3
	v_sub_f32_e32 v3, v8, v73
	v_cndmask_b32_e64 v15, 0x7f800000, v4, s64
	s_delay_alu instid0(VALU_DEP_2) | instskip(SKIP_1) | instid1(VALU_DEP_2)
	v_mul_f32_e32 v4, 0x3fb8aa3b, v3
	v_cmp_ngt_f32_e64 s64, 0xc2ce8ed0, v3
	v_fma_f32 v8, 0x3fb8aa3b, v3, -v4
	v_rndne_f32_e32 v13, v4
	s_delay_alu instid0(VALU_DEP_2) | instskip(NEXT) | instid1(VALU_DEP_2)
	v_fmac_f32_e32 v8, 0x32a5705f, v3
	v_sub_f32_e32 v4, v4, v13
	s_delay_alu instid0(VALU_DEP_1) | instskip(SKIP_1) | instid1(VALU_DEP_2)
	v_add_f32_e32 v4, v4, v8
	v_cvt_i32_f32_e32 v8, v13
	v_exp_f32_e32 v4, v4
	s_waitcnt_depctr 0xfff
	v_ldexp_f32 v4, v4, v8
	s_delay_alu instid0(VALU_DEP_1) | instskip(SKIP_2) | instid1(VALU_DEP_2)
	v_cndmask_b32_e64 v4, 0, v4, s64
	v_cmp_nlt_f32_e64 s64, 0x42b17218, v3
	v_sub_f32_e32 v3, v10, v73
	v_cndmask_b32_e64 v13, 0x7f800000, v4, s64
	s_delay_alu instid0(VALU_DEP_2) | instskip(SKIP_1) | instid1(VALU_DEP_2)
	v_mul_f32_e32 v4, 0x3fb8aa3b, v3
	v_cmp_ngt_f32_e64 s64, 0xc2ce8ed0, v3
	v_fma_f32 v8, 0x3fb8aa3b, v3, -v4
	v_rndne_f32_e32 v10, v4
	s_delay_alu instid0(VALU_DEP_2) | instskip(NEXT) | instid1(VALU_DEP_2)
	v_fmac_f32_e32 v8, 0x32a5705f, v3
	v_sub_f32_e32 v4, v4, v10
	s_delay_alu instid0(VALU_DEP_1) | instskip(SKIP_1) | instid1(VALU_DEP_2)
	v_add_f32_e32 v4, v4, v8
	v_cvt_i32_f32_e32 v8, v10
	v_exp_f32_e32 v4, v4
	s_waitcnt_depctr 0xfff
	v_ldexp_f32 v4, v4, v8
	s_delay_alu instid0(VALU_DEP_1) | instskip(SKIP_2) | instid1(VALU_DEP_2)
	v_cndmask_b32_e64 v4, 0, v4, s64
	v_cmp_nlt_f32_e64 s64, 0x42b17218, v3
	v_sub_f32_e32 v3, v7, v73
	v_cndmask_b32_e64 v10, 0x7f800000, v4, s64
	s_delay_alu instid0(VALU_DEP_2) | instskip(SKIP_1) | instid1(VALU_DEP_2)
	v_mul_f32_e32 v4, 0x3fb8aa3b, v3
	v_cmp_ngt_f32_e64 s64, 0xc2ce8ed0, v3
	v_fma_f32 v7, 0x3fb8aa3b, v3, -v4
	v_rndne_f32_e32 v8, v4
	s_delay_alu instid0(VALU_DEP_1) | instskip(NEXT) | instid1(VALU_DEP_1)
	v_dual_fmac_f32 v7, 0x32a5705f, v3 :: v_dual_sub_f32 v4, v4, v8
	v_add_f32_e32 v4, v4, v7
	v_cvt_i32_f32_e32 v7, v8
	s_delay_alu instid0(VALU_DEP_2) | instskip(SKIP_2) | instid1(VALU_DEP_1)
	v_exp_f32_e32 v4, v4
	s_waitcnt_depctr 0xfff
	v_ldexp_f32 v4, v4, v7
	v_cndmask_b32_e64 v4, 0, v4, s64
	v_cmp_nlt_f32_e64 s64, 0x42b17218, v3
	v_sub_f32_e32 v3, v76, v73
	s_delay_alu instid0(VALU_DEP_2) | instskip(NEXT) | instid1(VALU_DEP_2)
	v_cndmask_b32_e64 v8, 0x7f800000, v4, s64
	v_mul_f32_e32 v4, 0x3fb8aa3b, v3
	v_cmp_ngt_f32_e64 s64, 0xc2ce8ed0, v3
	s_delay_alu instid0(VALU_DEP_2) | instskip(SKIP_1) | instid1(VALU_DEP_2)
	v_fma_f32 v7, 0x3fb8aa3b, v3, -v4
	v_rndne_f32_e32 v76, v4
	v_dual_add_f32 v2, v2, v61 :: v_dual_fmac_f32 v7, 0x32a5705f, v3
	s_delay_alu instid0(VALU_DEP_2) | instskip(NEXT) | instid1(VALU_DEP_2)
	v_sub_f32_e32 v4, v4, v76
	v_add_f32_e32 v2, v2, v59
	s_delay_alu instid0(VALU_DEP_2) | instskip(SKIP_1) | instid1(VALU_DEP_2)
	v_add_f32_e32 v4, v4, v7
	v_cvt_i32_f32_e32 v7, v76
	v_exp_f32_e32 v4, v4
	s_waitcnt_depctr 0xfff
	v_ldexp_f32 v4, v4, v7
	s_delay_alu instid0(VALU_DEP_1) | instskip(SKIP_2) | instid1(VALU_DEP_2)
	v_cndmask_b32_e64 v4, 0, v4, s64
	v_cmp_nlt_f32_e64 s64, 0x42b17218, v3
	v_sub_f32_e32 v3, v6, v73
	v_cndmask_b32_e64 v7, 0x7f800000, v4, s64
	s_delay_alu instid0(VALU_DEP_2) | instskip(SKIP_1) | instid1(VALU_DEP_2)
	v_mul_f32_e32 v4, 0x3fb8aa3b, v3
	v_cmp_ngt_f32_e64 s64, 0xc2ce8ed0, v3
	v_fma_f32 v6, 0x3fb8aa3b, v3, -v4
	v_rndne_f32_e32 v76, v4
	s_delay_alu instid0(VALU_DEP_2) | instskip(NEXT) | instid1(VALU_DEP_2)
	v_fmac_f32_e32 v6, 0x32a5705f, v3
	v_sub_f32_e32 v4, v4, v76
	s_delay_alu instid0(VALU_DEP_1) | instskip(SKIP_1) | instid1(VALU_DEP_2)
	v_add_f32_e32 v4, v4, v6
	v_cvt_i32_f32_e32 v6, v76
	v_exp_f32_e32 v4, v4
	s_waitcnt_depctr 0xfff
	v_ldexp_f32 v4, v4, v6
	s_delay_alu instid0(VALU_DEP_1) | instskip(SKIP_2) | instid1(VALU_DEP_2)
	v_cndmask_b32_e64 v4, 0, v4, s64
	v_cmp_nlt_f32_e64 s64, 0x42b17218, v3
	v_sub_f32_e32 v3, v75, v73
	v_cndmask_b32_e64 v6, 0x7f800000, v4, s64
	s_delay_alu instid0(VALU_DEP_2) | instskip(SKIP_1) | instid1(VALU_DEP_2)
	v_mul_f32_e32 v4, 0x3fb8aa3b, v3
	v_cmp_ngt_f32_e64 s64, 0xc2ce8ed0, v3
	v_fma_f32 v75, 0x3fb8aa3b, v3, -v4
	v_rndne_f32_e32 v76, v4
	s_delay_alu instid0(VALU_DEP_1) | instskip(NEXT) | instid1(VALU_DEP_1)
	v_dual_fmac_f32 v75, 0x32a5705f, v3 :: v_dual_sub_f32 v4, v4, v76
	v_add_f32_e32 v4, v4, v75
	v_cvt_i32_f32_e32 v75, v76
	s_delay_alu instid0(VALU_DEP_2) | instskip(SKIP_2) | instid1(VALU_DEP_1)
	v_exp_f32_e32 v4, v4
	s_waitcnt_depctr 0xfff
	v_ldexp_f32 v4, v4, v75
	v_cndmask_b32_e64 v4, 0, v4, s64
	v_cmp_nlt_f32_e64 s64, 0x42b17218, v3
	v_dual_sub_f32 v3, v12, v73 :: v_dual_add_f32 v2, v2, v56
	s_delay_alu instid0(VALU_DEP_2) | instskip(NEXT) | instid1(VALU_DEP_2)
	v_cndmask_b32_e64 v4, 0x7f800000, v4, s64
	v_mul_f32_e32 v12, 0x3fb8aa3b, v3
	s_delay_alu instid0(VALU_DEP_3) | instskip(SKIP_1) | instid1(VALU_DEP_3)
	v_add_f32_e32 v2, v2, v54
	v_cmp_ngt_f32_e64 s64, 0xc2ce8ed0, v3
	v_fma_f32 v75, 0x3fb8aa3b, v3, -v12
	s_delay_alu instid0(VALU_DEP_3) | instskip(SKIP_1) | instid1(VALU_DEP_3)
	v_add_f32_e32 v2, v2, v53
	v_rndne_f32_e32 v76, v12
	v_fmac_f32_e32 v75, 0x32a5705f, v3
	s_delay_alu instid0(VALU_DEP_3) | instskip(NEXT) | instid1(VALU_DEP_3)
	v_add_f32_e32 v2, v2, v51
	v_sub_f32_e32 v12, v12, v76
	s_delay_alu instid0(VALU_DEP_2) | instskip(NEXT) | instid1(VALU_DEP_2)
	v_add_f32_e32 v2, v2, v44
	v_add_f32_e32 v12, v12, v75
	v_cvt_i32_f32_e32 v75, v76
	s_delay_alu instid0(VALU_DEP_3) | instskip(NEXT) | instid1(VALU_DEP_3)
	v_add_f32_e32 v2, v2, v37
	v_exp_f32_e32 v12, v12
	s_delay_alu instid0(VALU_DEP_1) | instskip(NEXT) | instid1(VALU_DEP_1)
	v_add_f32_e32 v2, v2, v28
	v_add_f32_e32 v2, v2, v21
	s_waitcnt_depctr 0xfff
	v_ldexp_f32 v12, v12, v75
	v_add_f32_e32 v2, v2, v15
	s_delay_alu instid0(VALU_DEP_2) | instskip(SKIP_1) | instid1(VALU_DEP_3)
	v_cndmask_b32_e64 v12, 0, v12, s64
	v_cmp_nlt_f32_e64 s64, 0x42b17218, v3
	v_add_f32_e32 v2, v2, v13
	s_delay_alu instid0(VALU_DEP_2) | instskip(NEXT) | instid1(VALU_DEP_2)
	v_cndmask_b32_e64 v3, 0x7f800000, v12, s64
	v_add_f32_e32 v2, v2, v10
	s_delay_alu instid0(VALU_DEP_1) | instskip(NEXT) | instid1(VALU_DEP_1)
	v_add_f32_e32 v2, v2, v8
	v_add_f32_e32 v2, v2, v7
	s_delay_alu instid0(VALU_DEP_1) | instskip(NEXT) | instid1(VALU_DEP_1)
	v_add_f32_e32 v2, v2, v6
	v_add_f32_e32 v2, v2, v4
	s_delay_alu instid0(VALU_DEP_1) | instskip(SKIP_1) | instid1(VALU_DEP_1)
	v_add_f32_e32 v12, v2, v3
	v_sub_f32_e32 v2, v74, v73
	v_mul_f32_e32 v74, 0x3fb8aa3b, v2
	v_cmp_ngt_f32_e64 s64, 0xc2ce8ed0, v2
	s_delay_alu instid0(VALU_DEP_2) | instskip(SKIP_1) | instid1(VALU_DEP_1)
	v_fma_f32 v75, 0x3fb8aa3b, v2, -v74
	v_rndne_f32_e32 v76, v74
	v_dual_fmac_f32 v75, 0x32a5705f, v2 :: v_dual_sub_f32 v74, v74, v76
	s_delay_alu instid0(VALU_DEP_1) | instskip(SKIP_1) | instid1(VALU_DEP_2)
	v_add_f32_e32 v74, v74, v75
	v_cvt_i32_f32_e32 v75, v76
	v_exp_f32_e32 v74, v74
	s_waitcnt_depctr 0xfff
	v_ldexp_f32 v74, v74, v75
	s_delay_alu instid0(VALU_DEP_1) | instskip(SKIP_1) | instid1(VALU_DEP_1)
	v_cndmask_b32_e64 v74, 0, v74, s64
	v_cmp_nlt_f32_e64 s64, 0x42b17218, v2
	v_cndmask_b32_e64 v2, 0x7f800000, v74, s64
	v_cmp_ngt_f32_e64 s64, 0xc2ce8ed0, v9
	s_delay_alu instid0(VALU_DEP_2) | instskip(SKIP_1) | instid1(VALU_DEP_1)
	v_add_f32_e32 v74, v12, v2
	v_mul_f32_e32 v12, 0x3fb8aa3b, v9
	v_fma_f32 v75, 0x3fb8aa3b, v9, -v12
	v_rndne_f32_e32 v76, v12
	s_delay_alu instid0(VALU_DEP_1) | instskip(NEXT) | instid1(VALU_DEP_1)
	v_dual_fmac_f32 v75, 0x32a5705f, v9 :: v_dual_sub_f32 v12, v12, v76
	v_add_f32_e32 v12, v12, v75
	v_cvt_i32_f32_e32 v75, v76
	s_delay_alu instid0(VALU_DEP_2) | instskip(SKIP_2) | instid1(VALU_DEP_1)
	v_exp_f32_e32 v12, v12
	s_waitcnt_depctr 0xfff
	v_ldexp_f32 v12, v12, v75
	v_cndmask_b32_e64 v12, 0, v12, s64
	v_cmp_nlt_f32_e64 s64, 0x42b17218, v9
	v_sub_f32_e32 v9, v50, v73
	s_delay_alu instid0(VALU_DEP_2) | instskip(NEXT) | instid1(VALU_DEP_2)
	v_cndmask_b32_e64 v12, 0x7f800000, v12, s64
	v_mul_f32_e32 v50, 0x3fb8aa3b, v9
	v_cmp_ngt_f32_e64 s64, 0xc2ce8ed0, v9
	s_delay_alu instid0(VALU_DEP_3) | instskip(NEXT) | instid1(VALU_DEP_3)
	v_add_f32_e32 v74, v74, v12
	v_fma_f32 v75, 0x3fb8aa3b, v9, -v50
	v_rndne_f32_e32 v76, v50
	s_delay_alu instid0(VALU_DEP_1) | instskip(NEXT) | instid1(VALU_DEP_1)
	v_dual_fmac_f32 v75, 0x32a5705f, v9 :: v_dual_sub_f32 v50, v50, v76
	v_add_f32_e32 v50, v50, v75
	v_cvt_i32_f32_e32 v75, v76
	s_delay_alu instid0(VALU_DEP_2) | instskip(SKIP_2) | instid1(VALU_DEP_1)
	v_exp_f32_e32 v50, v50
	s_waitcnt_depctr 0xfff
	v_ldexp_f32 v50, v50, v75
	v_cndmask_b32_e64 v50, 0, v50, s64
	v_cmp_nlt_f32_e64 s64, 0x42b17218, v9
	s_delay_alu instid0(VALU_DEP_1) | instskip(SKIP_1) | instid1(VALU_DEP_2)
	v_cndmask_b32_e64 v9, 0x7f800000, v50, s64
	v_cmp_ngt_f32_e64 s64, 0xc2ce8ed0, v11
	v_add_f32_e32 v50, v74, v9
	v_mul_f32_e32 v74, 0x3fb8aa3b, v11
	s_delay_alu instid0(VALU_DEP_1) | instskip(SKIP_1) | instid1(VALU_DEP_1)
	v_fma_f32 v75, 0x3fb8aa3b, v11, -v74
	v_rndne_f32_e32 v76, v74
	v_dual_fmac_f32 v75, 0x32a5705f, v11 :: v_dual_sub_f32 v74, v74, v76
	s_delay_alu instid0(VALU_DEP_1) | instskip(SKIP_1) | instid1(VALU_DEP_2)
	v_add_f32_e32 v74, v74, v75
	v_cvt_i32_f32_e32 v75, v76
	v_exp_f32_e32 v74, v74
	s_waitcnt_depctr 0xfff
	v_ldexp_f32 v74, v74, v75
	s_delay_alu instid0(VALU_DEP_1) | instskip(SKIP_1) | instid1(VALU_DEP_1)
	v_cndmask_b32_e64 v74, 0, v74, s64
	v_cmp_nlt_f32_e64 s64, 0x42b17218, v11
	v_cndmask_b32_e64 v11, 0x7f800000, v74, s64
	v_mul_f32_e32 v74, 0x3fb8aa3b, v49
	v_cmp_ngt_f32_e64 s64, 0xc2ce8ed0, v49
	s_delay_alu instid0(VALU_DEP_3) | instskip(NEXT) | instid1(VALU_DEP_3)
	v_add_f32_e32 v50, v50, v11
	v_fma_f32 v75, 0x3fb8aa3b, v49, -v74
	v_rndne_f32_e32 v76, v74
	s_delay_alu instid0(VALU_DEP_1) | instskip(NEXT) | instid1(VALU_DEP_1)
	v_dual_fmac_f32 v75, 0x32a5705f, v49 :: v_dual_sub_f32 v74, v74, v76
	v_add_f32_e32 v74, v74, v75
	v_cvt_i32_f32_e32 v75, v76
	s_delay_alu instid0(VALU_DEP_2) | instskip(SKIP_2) | instid1(VALU_DEP_1)
	v_exp_f32_e32 v74, v74
	s_waitcnt_depctr 0xfff
	v_ldexp_f32 v74, v74, v75
	v_cndmask_b32_e64 v74, 0, v74, s64
	v_cmp_nlt_f32_e64 s64, 0x42b17218, v49
	s_delay_alu instid0(VALU_DEP_1) | instskip(SKIP_1) | instid1(VALU_DEP_2)
	v_cndmask_b32_e64 v49, 0x7f800000, v74, s64
	v_cmp_ngt_f32_e64 s64, 0xc2ce8ed0, v48
	v_add_f32_e32 v74, v50, v49
	v_mul_f32_e32 v50, 0x3fb8aa3b, v48
	s_delay_alu instid0(VALU_DEP_1) | instskip(SKIP_1) | instid1(VALU_DEP_2)
	v_fma_f32 v75, 0x3fb8aa3b, v48, -v50
	v_rndne_f32_e32 v76, v50
	v_fmac_f32_e32 v75, 0x32a5705f, v48
	s_delay_alu instid0(VALU_DEP_2) | instskip(NEXT) | instid1(VALU_DEP_1)
	v_sub_f32_e32 v50, v50, v76
	v_add_f32_e32 v50, v50, v75
	v_cvt_i32_f32_e32 v75, v76
	s_delay_alu instid0(VALU_DEP_2) | instskip(SKIP_2) | instid1(VALU_DEP_1)
	v_exp_f32_e32 v50, v50
	s_waitcnt_depctr 0xfff
	v_ldexp_f32 v50, v50, v75
	v_cndmask_b32_e64 v50, 0, v50, s64
	v_cmp_nlt_f32_e64 s64, 0x42b17218, v48
	v_mul_f32_e32 v48, 0x3fb8aa3b, v46
	s_delay_alu instid0(VALU_DEP_2) | instskip(NEXT) | instid1(VALU_DEP_2)
	v_cndmask_b32_e64 v50, 0x7f800000, v50, s64
	v_fma_f32 v75, 0x3fb8aa3b, v46, -v48
	v_rndne_f32_e32 v76, v48
	v_cmp_ngt_f32_e64 s64, 0xc2ce8ed0, v46
	s_delay_alu instid0(VALU_DEP_4) | instskip(NEXT) | instid1(VALU_DEP_3)
	v_add_f32_e32 v74, v74, v50
	v_dual_fmac_f32 v75, 0x32a5705f, v46 :: v_dual_sub_f32 v48, v48, v76
	s_delay_alu instid0(VALU_DEP_1) | instskip(SKIP_1) | instid1(VALU_DEP_2)
	v_add_f32_e32 v48, v48, v75
	v_cvt_i32_f32_e32 v75, v76
	v_exp_f32_e32 v48, v48
	s_waitcnt_depctr 0xfff
	v_ldexp_f32 v48, v48, v75
	s_delay_alu instid0(VALU_DEP_1) | instskip(SKIP_2) | instid1(VALU_DEP_2)
	v_cndmask_b32_e64 v48, 0, v48, s64
	v_cmp_nlt_f32_e64 s64, 0x42b17218, v46
	v_mul_f32_e32 v46, 0x3fb8aa3b, v45
	v_cndmask_b32_e64 v48, 0x7f800000, v48, s64
	s_delay_alu instid0(VALU_DEP_2) | instskip(SKIP_2) | instid1(VALU_DEP_3)
	v_fma_f32 v75, 0x3fb8aa3b, v45, -v46
	v_rndne_f32_e32 v76, v46
	v_cmp_ngt_f32_e64 s64, 0xc2ce8ed0, v45
	v_dual_add_f32 v74, v74, v48 :: v_dual_fmac_f32 v75, 0x32a5705f, v45
	s_delay_alu instid0(VALU_DEP_3) | instskip(NEXT) | instid1(VALU_DEP_1)
	v_sub_f32_e32 v46, v46, v76
	v_add_f32_e32 v46, v46, v75
	v_cvt_i32_f32_e32 v75, v76
	s_delay_alu instid0(VALU_DEP_2) | instskip(SKIP_2) | instid1(VALU_DEP_1)
	v_exp_f32_e32 v46, v46
	s_waitcnt_depctr 0xfff
	v_ldexp_f32 v46, v46, v75
	v_cndmask_b32_e64 v46, 0, v46, s64
	v_cmp_nlt_f32_e64 s64, 0x42b17218, v45
	s_delay_alu instid0(VALU_DEP_1) | instskip(SKIP_1) | instid1(VALU_DEP_2)
	v_cndmask_b32_e64 v46, 0x7f800000, v46, s64
	v_cmp_ngt_f32_e64 s64, 0xc2ce8ed0, v47
	v_dual_add_f32 v45, v74, v46 :: v_dual_mul_f32 v74, 0x3fb8aa3b, v47
	s_delay_alu instid0(VALU_DEP_1) | instskip(SKIP_1) | instid1(VALU_DEP_1)
	v_fma_f32 v75, 0x3fb8aa3b, v47, -v74
	v_rndne_f32_e32 v76, v74
	v_dual_fmac_f32 v75, 0x32a5705f, v47 :: v_dual_sub_f32 v74, v74, v76
	s_delay_alu instid0(VALU_DEP_1) | instskip(SKIP_1) | instid1(VALU_DEP_2)
	v_add_f32_e32 v74, v74, v75
	v_cvt_i32_f32_e32 v75, v76
	v_exp_f32_e32 v74, v74
	s_waitcnt_depctr 0xfff
	v_ldexp_f32 v74, v74, v75
	s_delay_alu instid0(VALU_DEP_1) | instskip(SKIP_1) | instid1(VALU_DEP_1)
	v_cndmask_b32_e64 v74, 0, v74, s64
	v_cmp_nlt_f32_e64 s64, 0x42b17218, v47
	v_cndmask_b32_e64 v47, 0x7f800000, v74, s64
	v_cmp_ngt_f32_e64 s64, 0xc2ce8ed0, v43
	s_delay_alu instid0(VALU_DEP_2) | instskip(SKIP_1) | instid1(VALU_DEP_1)
	v_add_f32_e32 v74, v45, v47
	v_mul_f32_e32 v45, 0x3fb8aa3b, v43
	v_fma_f32 v75, 0x3fb8aa3b, v43, -v45
	v_rndne_f32_e32 v76, v45
	s_delay_alu instid0(VALU_DEP_2) | instskip(NEXT) | instid1(VALU_DEP_2)
	v_fmac_f32_e32 v75, 0x32a5705f, v43
	v_sub_f32_e32 v45, v45, v76
	s_delay_alu instid0(VALU_DEP_1) | instskip(SKIP_1) | instid1(VALU_DEP_2)
	v_add_f32_e32 v45, v45, v75
	v_cvt_i32_f32_e32 v75, v76
	v_exp_f32_e32 v45, v45
	s_waitcnt_depctr 0xfff
	v_ldexp_f32 v45, v45, v75
	s_delay_alu instid0(VALU_DEP_1) | instskip(SKIP_1) | instid1(VALU_DEP_1)
	v_cndmask_b32_e64 v45, 0, v45, s64
	v_cmp_nlt_f32_e64 s64, 0x42b17218, v43
	v_cndmask_b32_e64 v45, 0x7f800000, v45, s64
	v_cmp_ngt_f32_e64 s64, 0xc2ce8ed0, v42
	s_delay_alu instid0(VALU_DEP_2) | instskip(NEXT) | instid1(VALU_DEP_1)
	v_dual_add_f32 v43, v74, v45 :: v_dual_mul_f32 v74, 0x3fb8aa3b, v42
	v_fma_f32 v75, 0x3fb8aa3b, v42, -v74
	v_rndne_f32_e32 v76, v74
	s_delay_alu instid0(VALU_DEP_1) | instskip(NEXT) | instid1(VALU_DEP_1)
	v_dual_fmac_f32 v75, 0x32a5705f, v42 :: v_dual_sub_f32 v74, v74, v76
	v_add_f32_e32 v74, v74, v75
	v_cvt_i32_f32_e32 v75, v76
	s_delay_alu instid0(VALU_DEP_2) | instskip(SKIP_2) | instid1(VALU_DEP_1)
	v_exp_f32_e32 v74, v74
	s_waitcnt_depctr 0xfff
	v_ldexp_f32 v74, v74, v75
	v_cndmask_b32_e64 v74, 0, v74, s64
	v_cmp_nlt_f32_e64 s64, 0x42b17218, v42
	s_delay_alu instid0(VALU_DEP_1) | instskip(SKIP_1) | instid1(VALU_DEP_2)
	v_cndmask_b32_e64 v42, 0x7f800000, v74, s64
	v_cmp_ngt_f32_e64 s64, 0xc2ce8ed0, v41
	v_dual_add_f32 v74, v43, v42 :: v_dual_mul_f32 v43, 0x3fb8aa3b, v41
	s_delay_alu instid0(VALU_DEP_1) | instskip(SKIP_1) | instid1(VALU_DEP_2)
	v_fma_f32 v75, 0x3fb8aa3b, v41, -v43
	v_rndne_f32_e32 v76, v43
	v_fmac_f32_e32 v75, 0x32a5705f, v41
	s_delay_alu instid0(VALU_DEP_2) | instskip(NEXT) | instid1(VALU_DEP_1)
	v_sub_f32_e32 v43, v43, v76
	v_add_f32_e32 v43, v43, v75
	v_cvt_i32_f32_e32 v75, v76
	s_delay_alu instid0(VALU_DEP_2) | instskip(SKIP_2) | instid1(VALU_DEP_1)
	v_exp_f32_e32 v43, v43
	s_waitcnt_depctr 0xfff
	v_ldexp_f32 v43, v43, v75
	v_cndmask_b32_e64 v43, 0, v43, s64
	v_cmp_nlt_f32_e64 s64, 0x42b17218, v41
	v_mul_f32_e32 v41, 0x3fb8aa3b, v39
	s_delay_alu instid0(VALU_DEP_2) | instskip(NEXT) | instid1(VALU_DEP_2)
	v_cndmask_b32_e64 v43, 0x7f800000, v43, s64
	v_fma_f32 v75, 0x3fb8aa3b, v39, -v41
	v_rndne_f32_e32 v76, v41
	v_cmp_ngt_f32_e64 s64, 0xc2ce8ed0, v39
	s_delay_alu instid0(VALU_DEP_4) | instskip(NEXT) | instid1(VALU_DEP_4)
	v_add_f32_e32 v74, v74, v43
	v_fmac_f32_e32 v75, 0x32a5705f, v39
	s_delay_alu instid0(VALU_DEP_4) | instskip(NEXT) | instid1(VALU_DEP_1)
	v_sub_f32_e32 v41, v41, v76
	v_add_f32_e32 v41, v41, v75
	v_cvt_i32_f32_e32 v75, v76
	s_delay_alu instid0(VALU_DEP_2) | instskip(SKIP_2) | instid1(VALU_DEP_1)
	v_exp_f32_e32 v41, v41
	s_waitcnt_depctr 0xfff
	v_ldexp_f32 v41, v41, v75
	v_cndmask_b32_e64 v41, 0, v41, s64
	v_cmp_nlt_f32_e64 s64, 0x42b17218, v39
	v_mul_f32_e32 v39, 0x3fb8aa3b, v38
	s_delay_alu instid0(VALU_DEP_2) | instskip(NEXT) | instid1(VALU_DEP_2)
	v_cndmask_b32_e64 v41, 0x7f800000, v41, s64
	v_fma_f32 v75, 0x3fb8aa3b, v38, -v39
	v_rndne_f32_e32 v76, v39
	v_cmp_ngt_f32_e64 s64, 0xc2ce8ed0, v38
	s_delay_alu instid0(VALU_DEP_3) | instskip(NEXT) | instid1(VALU_DEP_3)
	v_dual_add_f32 v74, v74, v41 :: v_dual_fmac_f32 v75, 0x32a5705f, v38
	v_sub_f32_e32 v39, v39, v76
	s_delay_alu instid0(VALU_DEP_1) | instskip(SKIP_1) | instid1(VALU_DEP_2)
	v_add_f32_e32 v39, v39, v75
	v_cvt_i32_f32_e32 v75, v76
	v_exp_f32_e32 v39, v39
	s_waitcnt_depctr 0xfff
	v_ldexp_f32 v39, v39, v75
	s_delay_alu instid0(VALU_DEP_1) | instskip(SKIP_1) | instid1(VALU_DEP_1)
	v_cndmask_b32_e64 v39, 0, v39, s64
	v_cmp_nlt_f32_e64 s64, 0x42b17218, v38
	v_cndmask_b32_e64 v39, 0x7f800000, v39, s64
	v_cmp_ngt_f32_e64 s64, 0xc2ce8ed0, v40
	s_delay_alu instid0(VALU_DEP_2) | instskip(SKIP_1) | instid1(VALU_DEP_1)
	v_add_f32_e32 v38, v74, v39
	v_mul_f32_e32 v74, 0x3fb8aa3b, v40
	v_fma_f32 v75, 0x3fb8aa3b, v40, -v74
	v_rndne_f32_e32 v76, v74
	s_delay_alu instid0(VALU_DEP_2) | instskip(NEXT) | instid1(VALU_DEP_2)
	v_fmac_f32_e32 v75, 0x32a5705f, v40
	v_sub_f32_e32 v74, v74, v76
	s_delay_alu instid0(VALU_DEP_1) | instskip(SKIP_1) | instid1(VALU_DEP_2)
	v_add_f32_e32 v74, v74, v75
	v_cvt_i32_f32_e32 v75, v76
	v_exp_f32_e32 v74, v74
	s_waitcnt_depctr 0xfff
	v_ldexp_f32 v74, v74, v75
	s_delay_alu instid0(VALU_DEP_1) | instskip(SKIP_1) | instid1(VALU_DEP_1)
	v_cndmask_b32_e64 v74, 0, v74, s64
	v_cmp_nlt_f32_e64 s64, 0x42b17218, v40
	v_cndmask_b32_e64 v40, 0x7f800000, v74, s64
	v_cmp_ngt_f32_e64 s64, 0xc2ce8ed0, v36
	s_delay_alu instid0(VALU_DEP_2) | instskip(SKIP_1) | instid1(VALU_DEP_1)
	v_add_f32_e32 v74, v38, v40
	v_mul_f32_e32 v38, 0x3fb8aa3b, v36
	v_fma_f32 v75, 0x3fb8aa3b, v36, -v38
	v_rndne_f32_e32 v76, v38
	s_delay_alu instid0(VALU_DEP_2) | instskip(NEXT) | instid1(VALU_DEP_2)
	v_fmac_f32_e32 v75, 0x32a5705f, v36
	v_sub_f32_e32 v38, v38, v76
	s_delay_alu instid0(VALU_DEP_1) | instskip(SKIP_1) | instid1(VALU_DEP_2)
	v_add_f32_e32 v38, v38, v75
	v_cvt_i32_f32_e32 v75, v76
	v_exp_f32_e32 v38, v38
	s_waitcnt_depctr 0xfff
	v_ldexp_f32 v38, v38, v75
	s_delay_alu instid0(VALU_DEP_1) | instskip(SKIP_1) | instid1(VALU_DEP_1)
	v_cndmask_b32_e64 v38, 0, v38, s64
	v_cmp_nlt_f32_e64 s64, 0x42b17218, v36
	v_cndmask_b32_e64 v38, 0x7f800000, v38, s64
	v_cmp_ngt_f32_e64 s64, 0xc2ce8ed0, v35
	s_delay_alu instid0(VALU_DEP_2) | instskip(SKIP_1) | instid1(VALU_DEP_1)
	v_add_f32_e32 v36, v74, v38
	v_mul_f32_e32 v74, 0x3fb8aa3b, v35
	v_fma_f32 v75, 0x3fb8aa3b, v35, -v74
	v_rndne_f32_e32 v76, v74
	s_delay_alu instid0(VALU_DEP_1) | instskip(NEXT) | instid1(VALU_DEP_1)
	v_dual_fmac_f32 v75, 0x32a5705f, v35 :: v_dual_sub_f32 v74, v74, v76
	v_add_f32_e32 v74, v74, v75
	v_cvt_i32_f32_e32 v75, v76
	s_delay_alu instid0(VALU_DEP_2) | instskip(SKIP_2) | instid1(VALU_DEP_1)
	v_exp_f32_e32 v74, v74
	s_waitcnt_depctr 0xfff
	v_ldexp_f32 v74, v74, v75
	v_cndmask_b32_e64 v74, 0, v74, s64
	v_cmp_nlt_f32_e64 s64, 0x42b17218, v35
	s_delay_alu instid0(VALU_DEP_1) | instskip(SKIP_1) | instid1(VALU_DEP_2)
	v_cndmask_b32_e64 v35, 0x7f800000, v74, s64
	v_cmp_ngt_f32_e64 s64, 0xc2ce8ed0, v34
	v_add_f32_e32 v74, v36, v35
	v_mul_f32_e32 v36, 0x3fb8aa3b, v34
	s_delay_alu instid0(VALU_DEP_1) | instskip(SKIP_1) | instid1(VALU_DEP_1)
	v_fma_f32 v75, 0x3fb8aa3b, v34, -v36
	v_rndne_f32_e32 v76, v36
	v_dual_fmac_f32 v75, 0x32a5705f, v34 :: v_dual_sub_f32 v36, v36, v76
	s_delay_alu instid0(VALU_DEP_1) | instskip(SKIP_1) | instid1(VALU_DEP_2)
	v_add_f32_e32 v36, v36, v75
	v_cvt_i32_f32_e32 v75, v76
	v_exp_f32_e32 v36, v36
	s_waitcnt_depctr 0xfff
	v_ldexp_f32 v36, v36, v75
	s_delay_alu instid0(VALU_DEP_1) | instskip(SKIP_2) | instid1(VALU_DEP_2)
	v_cndmask_b32_e64 v36, 0, v36, s64
	v_cmp_nlt_f32_e64 s64, 0x42b17218, v34
	v_mul_f32_e32 v34, 0x3fb8aa3b, v32
	v_cndmask_b32_e64 v36, 0x7f800000, v36, s64
	s_delay_alu instid0(VALU_DEP_2) | instskip(SKIP_2) | instid1(VALU_DEP_4)
	v_fma_f32 v75, 0x3fb8aa3b, v32, -v34
	v_rndne_f32_e32 v76, v34
	v_cmp_ngt_f32_e64 s64, 0xc2ce8ed0, v32
	v_add_f32_e32 v74, v74, v36
	s_delay_alu instid0(VALU_DEP_4) | instskip(NEXT) | instid1(VALU_DEP_4)
	v_fmac_f32_e32 v75, 0x32a5705f, v32
	v_sub_f32_e32 v34, v34, v76
	s_delay_alu instid0(VALU_DEP_1) | instskip(SKIP_1) | instid1(VALU_DEP_2)
	v_add_f32_e32 v34, v34, v75
	v_cvt_i32_f32_e32 v75, v76
	v_exp_f32_e32 v34, v34
	s_waitcnt_depctr 0xfff
	v_ldexp_f32 v34, v34, v75
	s_delay_alu instid0(VALU_DEP_1) | instskip(SKIP_2) | instid1(VALU_DEP_2)
	v_cndmask_b32_e64 v34, 0, v34, s64
	v_cmp_nlt_f32_e64 s64, 0x42b17218, v32
	v_mul_f32_e32 v32, 0x3fb8aa3b, v31
	v_cndmask_b32_e64 v34, 0x7f800000, v34, s64
	s_delay_alu instid0(VALU_DEP_2) | instskip(SKIP_2) | instid1(VALU_DEP_3)
	v_fma_f32 v75, 0x3fb8aa3b, v31, -v32
	v_rndne_f32_e32 v76, v32
	v_cmp_ngt_f32_e64 s64, 0xc2ce8ed0, v31
	v_dual_add_f32 v74, v74, v34 :: v_dual_fmac_f32 v75, 0x32a5705f, v31
	s_delay_alu instid0(VALU_DEP_3) | instskip(NEXT) | instid1(VALU_DEP_1)
	v_sub_f32_e32 v32, v32, v76
	v_add_f32_e32 v32, v32, v75
	v_cvt_i32_f32_e32 v75, v76
	s_delay_alu instid0(VALU_DEP_2) | instskip(SKIP_2) | instid1(VALU_DEP_1)
	v_exp_f32_e32 v32, v32
	s_waitcnt_depctr 0xfff
	v_ldexp_f32 v32, v32, v75
	v_cndmask_b32_e64 v32, 0, v32, s64
	v_cmp_nlt_f32_e64 s64, 0x42b17218, v31
	s_delay_alu instid0(VALU_DEP_1) | instskip(SKIP_1) | instid1(VALU_DEP_2)
	v_cndmask_b32_e64 v32, 0x7f800000, v32, s64
	v_cmp_ngt_f32_e64 s64, 0xc2ce8ed0, v33
	v_dual_add_f32 v31, v74, v32 :: v_dual_mul_f32 v74, 0x3fb8aa3b, v33
	s_delay_alu instid0(VALU_DEP_1) | instskip(SKIP_1) | instid1(VALU_DEP_1)
	v_fma_f32 v75, 0x3fb8aa3b, v33, -v74
	v_rndne_f32_e32 v76, v74
	v_dual_fmac_f32 v75, 0x32a5705f, v33 :: v_dual_sub_f32 v74, v74, v76
	s_delay_alu instid0(VALU_DEP_1) | instskip(SKIP_1) | instid1(VALU_DEP_2)
	v_add_f32_e32 v74, v74, v75
	v_cvt_i32_f32_e32 v75, v76
	v_exp_f32_e32 v74, v74
	s_waitcnt_depctr 0xfff
	v_ldexp_f32 v74, v74, v75
	s_delay_alu instid0(VALU_DEP_1) | instskip(SKIP_1) | instid1(VALU_DEP_1)
	v_cndmask_b32_e64 v74, 0, v74, s64
	v_cmp_nlt_f32_e64 s64, 0x42b17218, v33
	v_cndmask_b32_e64 v33, 0x7f800000, v74, s64
	v_cmp_ngt_f32_e64 s64, 0xc2ce8ed0, v30
	s_delay_alu instid0(VALU_DEP_2) | instskip(NEXT) | instid1(VALU_DEP_1)
	v_dual_add_f32 v74, v31, v33 :: v_dual_mul_f32 v31, 0x3fb8aa3b, v30
	v_fma_f32 v75, 0x3fb8aa3b, v30, -v31
	v_rndne_f32_e32 v76, v31
	s_delay_alu instid0(VALU_DEP_2) | instskip(NEXT) | instid1(VALU_DEP_2)
	v_fmac_f32_e32 v75, 0x32a5705f, v30
	v_sub_f32_e32 v31, v31, v76
	s_delay_alu instid0(VALU_DEP_1) | instskip(SKIP_1) | instid1(VALU_DEP_2)
	v_add_f32_e32 v31, v31, v75
	v_cvt_i32_f32_e32 v75, v76
	v_exp_f32_e32 v31, v31
	s_waitcnt_depctr 0xfff
	v_ldexp_f32 v31, v31, v75
	s_delay_alu instid0(VALU_DEP_1) | instskip(SKIP_1) | instid1(VALU_DEP_1)
	v_cndmask_b32_e64 v31, 0, v31, s64
	v_cmp_nlt_f32_e64 s64, 0x42b17218, v30
	v_cndmask_b32_e64 v31, 0x7f800000, v31, s64
	v_cmp_ngt_f32_e64 s64, 0xc2ce8ed0, v29
	s_delay_alu instid0(VALU_DEP_2) | instskip(SKIP_1) | instid1(VALU_DEP_1)
	v_add_f32_e32 v30, v74, v31
	v_mul_f32_e32 v74, 0x3fb8aa3b, v29
	v_fma_f32 v75, 0x3fb8aa3b, v29, -v74
	v_rndne_f32_e32 v76, v74
	s_delay_alu instid0(VALU_DEP_1) | instskip(NEXT) | instid1(VALU_DEP_1)
	v_dual_fmac_f32 v75, 0x32a5705f, v29 :: v_dual_sub_f32 v74, v74, v76
	v_add_f32_e32 v74, v74, v75
	v_cvt_i32_f32_e32 v75, v76
	s_delay_alu instid0(VALU_DEP_2) | instskip(SKIP_2) | instid1(VALU_DEP_1)
	v_exp_f32_e32 v74, v74
	s_waitcnt_depctr 0xfff
	v_ldexp_f32 v74, v74, v75
	v_cndmask_b32_e64 v74, 0, v74, s64
	v_cmp_nlt_f32_e64 s64, 0x42b17218, v29
	s_delay_alu instid0(VALU_DEP_1) | instskip(SKIP_1) | instid1(VALU_DEP_2)
	v_cndmask_b32_e64 v29, 0x7f800000, v74, s64
	v_cmp_ngt_f32_e64 s64, 0xc2ce8ed0, v27
	v_add_f32_e32 v74, v30, v29
	v_mul_f32_e32 v30, 0x3fb8aa3b, v27
	s_delay_alu instid0(VALU_DEP_1) | instskip(SKIP_1) | instid1(VALU_DEP_1)
	v_fma_f32 v75, 0x3fb8aa3b, v27, -v30
	v_rndne_f32_e32 v76, v30
	v_dual_fmac_f32 v75, 0x32a5705f, v27 :: v_dual_sub_f32 v30, v30, v76
	s_delay_alu instid0(VALU_DEP_1) | instskip(SKIP_1) | instid1(VALU_DEP_2)
	v_add_f32_e32 v30, v30, v75
	v_cvt_i32_f32_e32 v75, v76
	v_exp_f32_e32 v30, v30
	s_waitcnt_depctr 0xfff
	v_ldexp_f32 v30, v30, v75
	s_delay_alu instid0(VALU_DEP_1) | instskip(SKIP_2) | instid1(VALU_DEP_2)
	v_cndmask_b32_e64 v30, 0, v30, s64
	v_cmp_nlt_f32_e64 s64, 0x42b17218, v27
	v_mul_f32_e32 v27, 0x3fb8aa3b, v25
	v_cndmask_b32_e64 v30, 0x7f800000, v30, s64
	s_delay_alu instid0(VALU_DEP_2) | instskip(SKIP_2) | instid1(VALU_DEP_3)
	v_fma_f32 v75, 0x3fb8aa3b, v25, -v27
	v_rndne_f32_e32 v76, v27
	v_cmp_ngt_f32_e64 s64, 0xc2ce8ed0, v25
	v_dual_add_f32 v74, v74, v30 :: v_dual_fmac_f32 v75, 0x32a5705f, v25
	s_delay_alu instid0(VALU_DEP_3) | instskip(NEXT) | instid1(VALU_DEP_1)
	v_sub_f32_e32 v27, v27, v76
	v_add_f32_e32 v27, v27, v75
	v_cvt_i32_f32_e32 v75, v76
	s_delay_alu instid0(VALU_DEP_2) | instskip(SKIP_2) | instid1(VALU_DEP_1)
	v_exp_f32_e32 v27, v27
	s_waitcnt_depctr 0xfff
	v_ldexp_f32 v27, v27, v75
	v_cndmask_b32_e64 v27, 0, v27, s64
	v_cmp_nlt_f32_e64 s64, 0x42b17218, v25
	s_delay_alu instid0(VALU_DEP_1) | instskip(SKIP_1) | instid1(VALU_DEP_2)
	v_cndmask_b32_e64 v27, 0x7f800000, v27, s64
	v_cmp_ngt_f32_e64 s64, 0xc2ce8ed0, v23
	v_add_f32_e32 v25, v74, v27
	v_mul_f32_e32 v74, 0x3fb8aa3b, v23
	s_delay_alu instid0(VALU_DEP_1) | instskip(SKIP_1) | instid1(VALU_DEP_1)
	v_fma_f32 v75, 0x3fb8aa3b, v23, -v74
	v_rndne_f32_e32 v76, v74
	v_dual_fmac_f32 v75, 0x32a5705f, v23 :: v_dual_sub_f32 v74, v74, v76
	s_delay_alu instid0(VALU_DEP_1) | instskip(SKIP_1) | instid1(VALU_DEP_2)
	v_add_f32_e32 v74, v74, v75
	v_cvt_i32_f32_e32 v75, v76
	v_exp_f32_e32 v74, v74
	s_waitcnt_depctr 0xfff
	v_ldexp_f32 v74, v74, v75
	s_delay_alu instid0(VALU_DEP_1) | instskip(SKIP_1) | instid1(VALU_DEP_1)
	v_cndmask_b32_e64 v74, 0, v74, s64
	v_cmp_nlt_f32_e64 s64, 0x42b17218, v23
	v_cndmask_b32_e64 v23, 0x7f800000, v74, s64
	v_mul_f32_e32 v74, 0x3fb8aa3b, v24
	v_cmp_ngt_f32_e64 s64, 0xc2ce8ed0, v24
	s_delay_alu instid0(VALU_DEP_3) | instskip(NEXT) | instid1(VALU_DEP_3)
	v_add_f32_e32 v25, v25, v23
	v_fma_f32 v75, 0x3fb8aa3b, v24, -v74
	v_rndne_f32_e32 v76, v74
	s_delay_alu instid0(VALU_DEP_2) | instskip(NEXT) | instid1(VALU_DEP_2)
	v_fmac_f32_e32 v75, 0x32a5705f, v24
	v_sub_f32_e32 v74, v74, v76
	s_delay_alu instid0(VALU_DEP_1) | instskip(SKIP_1) | instid1(VALU_DEP_2)
	v_add_f32_e32 v74, v74, v75
	v_cvt_i32_f32_e32 v75, v76
	v_exp_f32_e32 v74, v74
	s_waitcnt_depctr 0xfff
	v_ldexp_f32 v74, v74, v75
	s_delay_alu instid0(VALU_DEP_1) | instskip(SKIP_1) | instid1(VALU_DEP_1)
	v_cndmask_b32_e64 v74, 0, v74, s64
	v_cmp_nlt_f32_e64 s64, 0x42b17218, v24
	v_cndmask_b32_e64 v24, 0x7f800000, v74, s64
	v_cmp_ngt_f32_e64 s64, 0xc2ce8ed0, v22
	s_delay_alu instid0(VALU_DEP_2) | instskip(NEXT) | instid1(VALU_DEP_1)
	v_dual_add_f32 v74, v25, v24 :: v_dual_mul_f32 v25, 0x3fb8aa3b, v22
	v_fma_f32 v75, 0x3fb8aa3b, v22, -v25
	v_rndne_f32_e32 v76, v25
	s_delay_alu instid0(VALU_DEP_2) | instskip(NEXT) | instid1(VALU_DEP_2)
	v_fmac_f32_e32 v75, 0x32a5705f, v22
	v_sub_f32_e32 v25, v25, v76
	s_delay_alu instid0(VALU_DEP_1) | instskip(SKIP_1) | instid1(VALU_DEP_2)
	v_add_f32_e32 v25, v25, v75
	v_cvt_i32_f32_e32 v75, v76
	v_exp_f32_e32 v25, v25
	s_waitcnt_depctr 0xfff
	v_ldexp_f32 v25, v25, v75
	s_delay_alu instid0(VALU_DEP_1) | instskip(SKIP_1) | instid1(VALU_DEP_1)
	v_cndmask_b32_e64 v25, 0, v25, s64
	v_cmp_nlt_f32_e64 s64, 0x42b17218, v22
	v_cndmask_b32_e64 v25, 0x7f800000, v25, s64
	v_cmp_ngt_f32_e64 s64, 0xc2ce8ed0, v18
	s_delay_alu instid0(VALU_DEP_2) | instskip(SKIP_1) | instid1(VALU_DEP_1)
	v_add_f32_e32 v22, v74, v25
	v_mul_f32_e32 v74, 0x3fb8aa3b, v18
	v_fma_f32 v75, 0x3fb8aa3b, v18, -v74
	v_rndne_f32_e32 v76, v74
	s_delay_alu instid0(VALU_DEP_1) | instskip(NEXT) | instid1(VALU_DEP_1)
	v_dual_fmac_f32 v75, 0x32a5705f, v18 :: v_dual_sub_f32 v74, v74, v76
	v_add_f32_e32 v74, v74, v75
	v_cvt_i32_f32_e32 v75, v76
	s_delay_alu instid0(VALU_DEP_2) | instskip(SKIP_2) | instid1(VALU_DEP_1)
	v_exp_f32_e32 v74, v74
	s_waitcnt_depctr 0xfff
	v_ldexp_f32 v74, v74, v75
	v_cndmask_b32_e64 v74, 0, v74, s64
	v_cmp_nlt_f32_e64 s64, 0x42b17218, v18
	s_delay_alu instid0(VALU_DEP_1) | instskip(SKIP_2) | instid1(VALU_DEP_3)
	v_cndmask_b32_e64 v18, 0x7f800000, v74, s64
	v_mul_f32_e32 v74, 0x3fb8aa3b, v19
	v_cmp_ngt_f32_e64 s64, 0xc2ce8ed0, v19
	v_add_f32_e32 v22, v22, v18
	s_delay_alu instid0(VALU_DEP_3) | instskip(SKIP_1) | instid1(VALU_DEP_1)
	v_fma_f32 v75, 0x3fb8aa3b, v19, -v74
	v_rndne_f32_e32 v76, v74
	v_dual_fmac_f32 v75, 0x32a5705f, v19 :: v_dual_sub_f32 v74, v74, v76
	s_delay_alu instid0(VALU_DEP_1) | instskip(SKIP_1) | instid1(VALU_DEP_2)
	v_add_f32_e32 v74, v74, v75
	v_cvt_i32_f32_e32 v75, v76
	v_exp_f32_e32 v74, v74
	s_waitcnt_depctr 0xfff
	v_ldexp_f32 v74, v74, v75
	s_delay_alu instid0(VALU_DEP_1) | instskip(SKIP_1) | instid1(VALU_DEP_1)
	v_cndmask_b32_e64 v74, 0, v74, s64
	v_cmp_nlt_f32_e64 s64, 0x42b17218, v19
	v_cndmask_b32_e64 v19, 0x7f800000, v74, s64
	v_mul_f32_e32 v74, 0x3fb8aa3b, v17
	v_cmp_ngt_f32_e64 s64, 0xc2ce8ed0, v17
	s_delay_alu instid0(VALU_DEP_3) | instskip(NEXT) | instid1(VALU_DEP_3)
	v_add_f32_e32 v22, v22, v19
	v_fma_f32 v75, 0x3fb8aa3b, v17, -v74
	v_rndne_f32_e32 v76, v74
	s_delay_alu instid0(VALU_DEP_1) | instskip(NEXT) | instid1(VALU_DEP_1)
	v_dual_fmac_f32 v75, 0x32a5705f, v17 :: v_dual_sub_f32 v74, v74, v76
	v_add_f32_e32 v74, v74, v75
	v_cvt_i32_f32_e32 v75, v76
	s_delay_alu instid0(VALU_DEP_2) | instskip(SKIP_2) | instid1(VALU_DEP_1)
	v_exp_f32_e32 v74, v74
	s_waitcnt_depctr 0xfff
	v_ldexp_f32 v74, v74, v75
	v_cndmask_b32_e64 v74, 0, v74, s64
	v_cmp_nlt_f32_e64 s64, 0x42b17218, v17
	s_delay_alu instid0(VALU_DEP_1) | instskip(SKIP_1) | instid1(VALU_DEP_2)
	v_cndmask_b32_e64 v17, 0x7f800000, v74, s64
	v_cmp_ngt_f32_e64 s64, 0xc2ce8ed0, v20
	v_add_f32_e32 v74, v22, v17
	v_mul_f32_e32 v22, 0x3fb8aa3b, v20
	s_delay_alu instid0(VALU_DEP_1) | instskip(SKIP_1) | instid1(VALU_DEP_2)
	v_fma_f32 v75, 0x3fb8aa3b, v20, -v22
	v_rndne_f32_e32 v76, v22
	v_fmac_f32_e32 v75, 0x32a5705f, v20
	s_delay_alu instid0(VALU_DEP_2) | instskip(NEXT) | instid1(VALU_DEP_1)
	v_sub_f32_e32 v22, v22, v76
	v_add_f32_e32 v22, v22, v75
	v_cvt_i32_f32_e32 v75, v76
	s_delay_alu instid0(VALU_DEP_2) | instskip(SKIP_2) | instid1(VALU_DEP_1)
	v_exp_f32_e32 v22, v22
	s_waitcnt_depctr 0xfff
	v_ldexp_f32 v22, v22, v75
	v_cndmask_b32_e64 v22, 0, v22, s64
	v_cmp_nlt_f32_e64 s64, 0x42b17218, v20
	v_mul_f32_e32 v20, 0x3fb8aa3b, v16
	s_delay_alu instid0(VALU_DEP_2) | instskip(NEXT) | instid1(VALU_DEP_2)
	v_cndmask_b32_e64 v22, 0x7f800000, v22, s64
	v_fma_f32 v75, 0x3fb8aa3b, v16, -v20
	v_rndne_f32_e32 v76, v20
	v_cmp_ngt_f32_e64 s64, 0xc2ce8ed0, v16
	s_delay_alu instid0(VALU_DEP_3) | instskip(NEXT) | instid1(VALU_DEP_3)
	v_dual_add_f32 v74, v74, v22 :: v_dual_fmac_f32 v75, 0x32a5705f, v16
	v_sub_f32_e32 v20, v20, v76
	s_delay_alu instid0(VALU_DEP_1) | instskip(SKIP_1) | instid1(VALU_DEP_2)
	v_add_f32_e32 v20, v20, v75
	v_cvt_i32_f32_e32 v75, v76
	v_exp_f32_e32 v20, v20
	s_waitcnt_depctr 0xfff
	v_ldexp_f32 v20, v20, v75
	s_delay_alu instid0(VALU_DEP_1) | instskip(SKIP_2) | instid1(VALU_DEP_2)
	v_cndmask_b32_e64 v20, 0, v20, s64
	v_cmp_nlt_f32_e64 s64, 0x42b17218, v16
	v_mul_f32_e32 v16, 0x3fb8aa3b, v14
	v_cndmask_b32_e64 v20, 0x7f800000, v20, s64
	s_delay_alu instid0(VALU_DEP_2) | instskip(SKIP_2) | instid1(VALU_DEP_3)
	v_fma_f32 v75, 0x3fb8aa3b, v14, -v16
	v_rndne_f32_e32 v76, v16
	v_cmp_ngt_f32_e64 s64, 0xc2ce8ed0, v14
	v_dual_add_f32 v74, v74, v20 :: v_dual_fmac_f32 v75, 0x32a5705f, v14
	s_delay_alu instid0(VALU_DEP_3) | instskip(NEXT) | instid1(VALU_DEP_1)
	v_sub_f32_e32 v16, v16, v76
	v_add_f32_e32 v16, v16, v75
	v_cvt_i32_f32_e32 v75, v76
	s_delay_alu instid0(VALU_DEP_2) | instskip(SKIP_2) | instid1(VALU_DEP_1)
	v_exp_f32_e32 v16, v16
	s_waitcnt_depctr 0xfff
	v_ldexp_f32 v16, v16, v75
	v_cndmask_b32_e64 v16, 0, v16, s64
	v_cmp_nlt_f32_e64 s64, 0x42b17218, v14
	v_dual_sub_f32 v14, v52, v73 :: v_dual_mul_f32 v73, 0x3fb8aa3b, v26
	s_delay_alu instid0(VALU_DEP_2) | instskip(NEXT) | instid1(VALU_DEP_2)
	v_cndmask_b32_e64 v16, 0x7f800000, v16, s64
	v_mul_f32_e32 v52, 0x3fb8aa3b, v14
	v_cmp_ngt_f32_e64 s64, 0xc2ce8ed0, v14
	s_delay_alu instid0(VALU_DEP_3) | instskip(NEXT) | instid1(VALU_DEP_3)
	v_add_f32_e32 v74, v74, v16
	v_fma_f32 v75, 0x3fb8aa3b, v14, -v52
	v_rndne_f32_e32 v76, v52
	s_delay_alu instid0(VALU_DEP_1) | instskip(NEXT) | instid1(VALU_DEP_1)
	v_dual_fmac_f32 v75, 0x32a5705f, v14 :: v_dual_sub_f32 v52, v52, v76
	v_add_f32_e32 v52, v52, v75
	v_cvt_i32_f32_e32 v75, v76
	s_delay_alu instid0(VALU_DEP_2) | instskip(SKIP_3) | instid1(VALU_DEP_2)
	v_exp_f32_e32 v52, v52
	s_waitcnt_depctr 0xfff
	v_ldexp_f32 v52, v52, v75
	v_rndne_f32_e32 v75, v73
	v_cndmask_b32_e64 v52, 0, v52, s64
	v_cmp_nlt_f32_e64 s64, 0x42b17218, v14
	s_delay_alu instid0(VALU_DEP_1) | instskip(SKIP_1) | instid1(VALU_DEP_2)
	v_cndmask_b32_e64 v14, 0x7f800000, v52, s64
	v_cmp_ngt_f32_e64 s64, 0xc2ce8ed0, v26
	v_add_f32_e32 v52, v74, v14
	v_fma_f32 v74, 0x3fb8aa3b, v26, -v73
	s_delay_alu instid0(VALU_DEP_1) | instskip(NEXT) | instid1(VALU_DEP_1)
	v_dual_sub_f32 v73, v73, v75 :: v_dual_fmac_f32 v74, 0x32a5705f, v26
	v_add_f32_e32 v73, v73, v74
	v_cvt_i32_f32_e32 v74, v75
	s_delay_alu instid0(VALU_DEP_2) | instskip(SKIP_2) | instid1(VALU_DEP_1)
	v_exp_f32_e32 v73, v73
	s_waitcnt_depctr 0xfff
	v_ldexp_f32 v73, v73, v74
	v_cndmask_b32_e64 v73, 0, v73, s64
	v_cmp_nlt_f32_e64 s64, 0x42b17218, v26
	s_delay_alu instid0(VALU_DEP_1) | instskip(NEXT) | instid1(VALU_DEP_1)
	v_cndmask_b32_e64 v26, 0x7f800000, v73, s64
	v_add_f32_e32 v52, v52, v26
	ds_bpermute_b32 v66, v66, v52
	s_waitcnt lgkmcnt(0)
	v_add_f32_e32 v52, v52, v66
	ds_bpermute_b32 v66, v68, v52
	s_waitcnt lgkmcnt(0)
	;; [unrolled: 3-line block ×4, first 2 shown]
	v_add_f32_e32 v52, v52, v66
	ds_bpermute_b32 v66, v72, v52
	v_cmpx_lt_i32_e32 0, v5
	s_cbranch_execz .LBB481_322
; %bb.129:
	s_and_b32 exec_lo, exec_lo, vcc_lo
	s_cbranch_execz .LBB481_322
; %bb.130:
	s_waitcnt lgkmcnt(0)
	v_dual_add_f32 v5, v52, v66 :: v_dual_mov_b32 v52, 0x7fc0
	s_delay_alu instid0(VALU_DEP_1) | instskip(NEXT) | instid1(VALU_DEP_1)
	v_cmp_neq_f32_e64 s64, 0, v5
	s_and_saveexec_b32 s65, s64
	s_cbranch_execz .LBB481_132
; %bb.131:
	v_div_scale_f32 v52, null, v5, v5, v69
	s_delay_alu instid0(VALU_DEP_1) | instskip(SKIP_2) | instid1(VALU_DEP_1)
	v_rcp_f32_e32 v66, v52
	s_waitcnt_depctr 0xfff
	v_fma_f32 v68, -v52, v66, 1.0
	v_fmac_f32_e32 v66, v68, v66
	v_div_scale_f32 v68, vcc_lo, v69, v5, v69
	s_delay_alu instid0(VALU_DEP_1) | instskip(NEXT) | instid1(VALU_DEP_1)
	v_mul_f32_e32 v70, v68, v66
	v_fma_f32 v71, -v52, v70, v68
	s_delay_alu instid0(VALU_DEP_1) | instskip(NEXT) | instid1(VALU_DEP_1)
	v_fmac_f32_e32 v70, v71, v66
	v_fma_f32 v52, -v52, v70, v68
	s_delay_alu instid0(VALU_DEP_1) | instskip(NEXT) | instid1(VALU_DEP_1)
	v_div_fmas_f32 v52, v52, v66, v70
	v_div_fixup_f32 v52, v52, v5, v69
	s_delay_alu instid0(VALU_DEP_1) | instskip(SKIP_1) | instid1(VALU_DEP_2)
	v_bfe_u32 v66, v52, 16, 1
	v_cmp_o_f32_e32 vcc_lo, v52, v52
	v_add3_u32 v66, v52, v66, 0x7fff
	s_delay_alu instid0(VALU_DEP_1) | instskip(NEXT) | instid1(VALU_DEP_1)
	v_lshrrev_b32_e32 v66, 16, v66
	v_cndmask_b32_e32 v52, 0x7fc0, v66, vcc_lo
.LBB481_132:
	s_or_b32 exec_lo, exec_lo, s65
	v_add_co_u32 v0, vcc_lo, s68, v0
	v_add_co_ci_u32_e32 v1, vcc_lo, s69, v1, vcc_lo
	global_store_b16 v[0:1], v52, off
	s_and_b32 exec_lo, exec_lo, s63
	s_cbranch_execz .LBB481_322
; %bb.133:
	v_mov_b32_e32 v52, 0x7fc0
	s_and_saveexec_b32 s63, s64
	s_cbranch_execz .LBB481_135
; %bb.134:
	v_div_scale_f32 v52, null, v5, v5, v67
	s_delay_alu instid0(VALU_DEP_1) | instskip(SKIP_2) | instid1(VALU_DEP_1)
	v_rcp_f32_e32 v66, v52
	s_waitcnt_depctr 0xfff
	v_fma_f32 v68, -v52, v66, 1.0
	v_fmac_f32_e32 v66, v68, v66
	v_div_scale_f32 v68, vcc_lo, v67, v5, v67
	s_delay_alu instid0(VALU_DEP_1) | instskip(NEXT) | instid1(VALU_DEP_1)
	v_mul_f32_e32 v69, v68, v66
	v_fma_f32 v70, -v52, v69, v68
	s_delay_alu instid0(VALU_DEP_1) | instskip(NEXT) | instid1(VALU_DEP_1)
	v_fmac_f32_e32 v69, v70, v66
	v_fma_f32 v52, -v52, v69, v68
	s_delay_alu instid0(VALU_DEP_1) | instskip(NEXT) | instid1(VALU_DEP_1)
	v_div_fmas_f32 v52, v52, v66, v69
	v_div_fixup_f32 v52, v52, v5, v67
	s_delay_alu instid0(VALU_DEP_1) | instskip(SKIP_1) | instid1(VALU_DEP_2)
	v_bfe_u32 v66, v52, 16, 1
	v_cmp_o_f32_e32 vcc_lo, v52, v52
	v_add3_u32 v66, v52, v66, 0x7fff
	s_delay_alu instid0(VALU_DEP_1) | instskip(NEXT) | instid1(VALU_DEP_1)
	v_lshrrev_b32_e32 v66, 16, v66
	v_cndmask_b32_e32 v52, 0x7fc0, v66, vcc_lo
.LBB481_135:
	s_or_b32 exec_lo, exec_lo, s63
	global_store_b16 v[0:1], v52, off offset:64
	s_and_b32 exec_lo, exec_lo, s62
	s_cbranch_execz .LBB481_322
; %bb.136:
	v_mov_b32_e32 v52, 0x7fc0
	s_and_saveexec_b32 s62, s64
	s_cbranch_execz .LBB481_138
; %bb.137:
	v_div_scale_f32 v52, null, v5, v5, v65
	s_delay_alu instid0(VALU_DEP_1) | instskip(SKIP_2) | instid1(VALU_DEP_1)
	v_rcp_f32_e32 v66, v52
	s_waitcnt_depctr 0xfff
	v_fma_f32 v67, -v52, v66, 1.0
	v_fmac_f32_e32 v66, v67, v66
	v_div_scale_f32 v67, vcc_lo, v65, v5, v65
	s_delay_alu instid0(VALU_DEP_1) | instskip(NEXT) | instid1(VALU_DEP_1)
	v_mul_f32_e32 v68, v67, v66
	v_fma_f32 v69, -v52, v68, v67
	s_delay_alu instid0(VALU_DEP_1) | instskip(NEXT) | instid1(VALU_DEP_1)
	v_fmac_f32_e32 v68, v69, v66
	v_fma_f32 v52, -v52, v68, v67
	s_delay_alu instid0(VALU_DEP_1) | instskip(NEXT) | instid1(VALU_DEP_1)
	v_div_fmas_f32 v52, v52, v66, v68
	v_div_fixup_f32 v52, v52, v5, v65
	s_delay_alu instid0(VALU_DEP_1) | instskip(SKIP_1) | instid1(VALU_DEP_2)
	v_bfe_u32 v65, v52, 16, 1
	v_cmp_o_f32_e32 vcc_lo, v52, v52
	v_add3_u32 v65, v52, v65, 0x7fff
	s_delay_alu instid0(VALU_DEP_1) | instskip(NEXT) | instid1(VALU_DEP_1)
	v_lshrrev_b32_e32 v65, 16, v65
	v_cndmask_b32_e32 v52, 0x7fc0, v65, vcc_lo
.LBB481_138:
	s_or_b32 exec_lo, exec_lo, s62
	global_store_b16 v[0:1], v52, off offset:128
	;; [unrolled: 33-line block ×63, first 2 shown]
.LBB481_322:
	s_nop 0
	s_sendmsg sendmsg(MSG_DEALLOC_VGPRS)
	s_endpgm
	.section	.rodata,"a",@progbits
	.p2align	6, 0x0
	.amdhsa_kernel _ZN12_GLOBAL__N_120softmax_warp_forwardIN3c108BFloat16ES2_fLi11ELb0ELb0ELi32EEEvPT0_PKT_iiiPKbib
		.amdhsa_group_segment_fixed_size 0
		.amdhsa_private_segment_fixed_size 0
		.amdhsa_kernarg_size 304
		.amdhsa_user_sgpr_count 15
		.amdhsa_user_sgpr_dispatch_ptr 0
		.amdhsa_user_sgpr_queue_ptr 0
		.amdhsa_user_sgpr_kernarg_segment_ptr 1
		.amdhsa_user_sgpr_dispatch_id 0
		.amdhsa_user_sgpr_private_segment_size 0
		.amdhsa_wavefront_size32 1
		.amdhsa_uses_dynamic_stack 0
		.amdhsa_enable_private_segment 0
		.amdhsa_system_sgpr_workgroup_id_x 1
		.amdhsa_system_sgpr_workgroup_id_y 0
		.amdhsa_system_sgpr_workgroup_id_z 0
		.amdhsa_system_sgpr_workgroup_info 0
		.amdhsa_system_vgpr_workitem_id 1
		.amdhsa_next_free_vgpr 77
		.amdhsa_next_free_sgpr 76
		.amdhsa_reserve_vcc 1
		.amdhsa_float_round_mode_32 0
		.amdhsa_float_round_mode_16_64 0
		.amdhsa_float_denorm_mode_32 3
		.amdhsa_float_denorm_mode_16_64 3
		.amdhsa_dx10_clamp 1
		.amdhsa_ieee_mode 1
		.amdhsa_fp16_overflow 0
		.amdhsa_workgroup_processor_mode 1
		.amdhsa_memory_ordered 1
		.amdhsa_forward_progress 0
		.amdhsa_shared_vgpr_count 0
		.amdhsa_exception_fp_ieee_invalid_op 0
		.amdhsa_exception_fp_denorm_src 0
		.amdhsa_exception_fp_ieee_div_zero 0
		.amdhsa_exception_fp_ieee_overflow 0
		.amdhsa_exception_fp_ieee_underflow 0
		.amdhsa_exception_fp_ieee_inexact 0
		.amdhsa_exception_int_div_zero 0
	.end_amdhsa_kernel
	.section	.text._ZN12_GLOBAL__N_120softmax_warp_forwardIN3c108BFloat16ES2_fLi11ELb0ELb0ELi32EEEvPT0_PKT_iiiPKbib,"axG",@progbits,_ZN12_GLOBAL__N_120softmax_warp_forwardIN3c108BFloat16ES2_fLi11ELb0ELb0ELi32EEEvPT0_PKT_iiiPKbib,comdat
.Lfunc_end481:
	.size	_ZN12_GLOBAL__N_120softmax_warp_forwardIN3c108BFloat16ES2_fLi11ELb0ELb0ELi32EEEvPT0_PKT_iiiPKbib, .Lfunc_end481-_ZN12_GLOBAL__N_120softmax_warp_forwardIN3c108BFloat16ES2_fLi11ELb0ELb0ELi32EEEvPT0_PKT_iiiPKbib
                                        ; -- End function
	.section	.AMDGPU.csdata,"",@progbits
; Kernel info:
; codeLenInByte = 24952
; NumSgprs: 78
; NumVgprs: 77
; ScratchSize: 0
; MemoryBound: 0
; FloatMode: 240
; IeeeMode: 1
; LDSByteSize: 0 bytes/workgroup (compile time only)
; SGPRBlocks: 9
; VGPRBlocks: 9
; NumSGPRsForWavesPerEU: 78
; NumVGPRsForWavesPerEU: 77
; Occupancy: 16
; WaveLimiterHint : 0
; COMPUTE_PGM_RSRC2:SCRATCH_EN: 0
; COMPUTE_PGM_RSRC2:USER_SGPR: 15
; COMPUTE_PGM_RSRC2:TRAP_HANDLER: 0
; COMPUTE_PGM_RSRC2:TGID_X_EN: 1
; COMPUTE_PGM_RSRC2:TGID_Y_EN: 0
; COMPUTE_PGM_RSRC2:TGID_Z_EN: 0
; COMPUTE_PGM_RSRC2:TIDIG_COMP_CNT: 1
	.section	.text._ZN2at6native12_GLOBAL__N_123cunn_SoftMaxForwardGmemILi8EN3c108BFloat16EfS4_NS1_29SoftMaxForwardWithMulEpilogueElEEvPT2_PKT0_T4_,"axG",@progbits,_ZN2at6native12_GLOBAL__N_123cunn_SoftMaxForwardGmemILi8EN3c108BFloat16EfS4_NS1_29SoftMaxForwardWithMulEpilogueElEEvPT2_PKT0_T4_,comdat
	.globl	_ZN2at6native12_GLOBAL__N_123cunn_SoftMaxForwardGmemILi8EN3c108BFloat16EfS4_NS1_29SoftMaxForwardWithMulEpilogueElEEvPT2_PKT0_T4_ ; -- Begin function _ZN2at6native12_GLOBAL__N_123cunn_SoftMaxForwardGmemILi8EN3c108BFloat16EfS4_NS1_29SoftMaxForwardWithMulEpilogueElEEvPT2_PKT0_T4_
	.p2align	8
	.type	_ZN2at6native12_GLOBAL__N_123cunn_SoftMaxForwardGmemILi8EN3c108BFloat16EfS4_NS1_29SoftMaxForwardWithMulEpilogueElEEvPT2_PKT0_T4_,@function
_ZN2at6native12_GLOBAL__N_123cunn_SoftMaxForwardGmemILi8EN3c108BFloat16EfS4_NS1_29SoftMaxForwardWithMulEpilogueElEEvPT2_PKT0_T4_: ; @_ZN2at6native12_GLOBAL__N_123cunn_SoftMaxForwardGmemILi8EN3c108BFloat16EfS4_NS1_29SoftMaxForwardWithMulEpilogueElEEvPT2_PKT0_T4_
; %bb.0:
	s_clause 0x1
	s_load_b64 s[12:13], s[0:1], 0x10
	s_load_b128 s[8:11], s[0:1], 0x0
	v_dual_mov_b32 v1, 0 :: v_dual_lshlrev_b32 v2, 3, v0
	v_mov_b32_e32 v7, 0xff7fffff
	s_mov_b32 s5, 0
	s_delay_alu instid0(VALU_DEP_2) | instskip(SKIP_1) | instid1(VALU_DEP_1)
	v_dual_mov_b32 v3, v1 :: v_dual_lshlrev_b32 v6, 4, v0
	s_waitcnt lgkmcnt(0)
	v_cmp_gt_i64_e64 s2, s[12:13], v[2:3]
	s_mul_i32 s3, s15, s13
	s_mul_hi_u32 s4, s15, s12
	s_mul_i32 s6, s15, s12
	s_add_i32 s7, s4, s3
	s_delay_alu instid0(VALU_DEP_1)
	s_and_saveexec_b32 s4, s2
	s_cbranch_execz .LBB482_4
; %bb.1:
	s_load_b32 s3, s[0:1], 0x24
	s_lshl_b64 s[16:17], s[6:7], 1
	v_mov_b32_e32 v5, v1
	v_dual_mov_b32 v7, 0xff7fffff :: v_dual_mov_b32 v4, v0
	s_waitcnt lgkmcnt(0)
	s_and_b32 s14, s3, 0xffff
	s_add_u32 s3, s10, s16
	s_addc_u32 s15, s11, s17
	v_add_co_u32 v2, s3, s3, v6
	s_delay_alu instid0(VALU_DEP_1) | instskip(SKIP_1) | instid1(VALU_DEP_2)
	v_add_co_ci_u32_e64 v3, null, s15, 0, s3
	s_lshl_b32 s15, s14, 4
	v_add_co_u32 v2, vcc_lo, v2, 14
	s_delay_alu instid0(VALU_DEP_2)
	v_add_co_ci_u32_e32 v3, vcc_lo, 0, v3, vcc_lo
	s_set_inst_prefetch_distance 0x1
	.p2align	6
.LBB482_2:                              ; =>This Inner Loop Header: Depth=1
	global_load_b128 v[8:11], v[2:3], off offset:-14
	v_add_co_u32 v4, vcc_lo, v4, s14
	v_add_co_ci_u32_e32 v5, vcc_lo, 0, v5, vcc_lo
	v_add_co_u32 v2, s3, v2, s15
	s_delay_alu instid0(VALU_DEP_1)
	v_add_co_ci_u32_e64 v3, s3, 0, v3, s3
	s_waitcnt vmcnt(0)
	v_lshlrev_b32_e32 v12, 16, v8
	v_and_b32_e32 v8, 0xffff0000, v8
	v_lshlrev_b32_e32 v13, 16, v9
	v_and_b32_e32 v9, 0xffff0000, v9
	;; [unrolled: 2-line block ×3, first 2 shown]
	v_max3_f32 v12, v7, v12, v8
	v_lshlrev_b64 v[7:8], 3, v[4:5]
	s_delay_alu instid0(VALU_DEP_2) | instskip(NEXT) | instid1(VALU_DEP_2)
	v_max3_f32 v9, v12, v13, v9
	v_cmp_le_i64_e32 vcc_lo, s[12:13], v[7:8]
	v_lshlrev_b32_e32 v7, 16, v11
	v_and_b32_e32 v8, 0xffff0000, v11
	s_delay_alu instid0(VALU_DEP_4) | instskip(SKIP_1) | instid1(VALU_DEP_1)
	v_max3_f32 v9, v9, v14, v10
	s_or_b32 s5, vcc_lo, s5
	v_max3_f32 v7, v9, v7, v8
	s_and_not1_b32 exec_lo, exec_lo, s5
	s_cbranch_execnz .LBB482_2
; %bb.3:
	s_set_inst_prefetch_distance 0x2
	s_or_b32 exec_lo, exec_lo, s5
.LBB482_4:
	s_delay_alu instid0(SALU_CYCLE_1)
	s_or_b32 exec_lo, exec_lo, s4
	v_mbcnt_lo_u32_b32 v2, -1, 0
	v_lshrrev_b32_e32 v13, 3, v0
	s_barrier
	buffer_gl0_inv
	v_cmp_gt_u32_e32 vcc_lo, 16, v2
	v_cndmask_b32_e64 v3, 0, 1, vcc_lo
	v_cmp_gt_u32_e32 vcc_lo, 24, v2
	s_delay_alu instid0(VALU_DEP_2) | instskip(SKIP_1) | instid1(VALU_DEP_2)
	v_lshlrev_b32_e32 v3, 4, v3
	v_cndmask_b32_e64 v4, 0, 1, vcc_lo
	v_add_lshl_u32 v8, v3, v2, 2
	ds_bpermute_b32 v3, v8, v7
	s_waitcnt lgkmcnt(0)
	v_cmp_lt_f32_e32 vcc_lo, v7, v3
	v_dual_cndmask_b32 v3, v7, v3 :: v_dual_lshlrev_b32 v4, 3, v4
	s_delay_alu instid0(VALU_DEP_1) | instskip(SKIP_3) | instid1(VALU_DEP_1)
	v_add_lshl_u32 v9, v4, v2, 2
	v_cmp_gt_u32_e32 vcc_lo, 28, v2
	ds_bpermute_b32 v4, v9, v3
	v_cndmask_b32_e64 v5, 0, 1, vcc_lo
	v_lshlrev_b32_e32 v5, 2, v5
	s_delay_alu instid0(VALU_DEP_1)
	v_add_lshl_u32 v10, v5, v2, 2
	s_waitcnt lgkmcnt(0)
	v_cmp_lt_f32_e32 vcc_lo, v3, v4
	v_cndmask_b32_e32 v3, v3, v4, vcc_lo
	v_cmp_gt_u32_e32 vcc_lo, 30, v2
	ds_bpermute_b32 v4, v10, v3
	v_cndmask_b32_e64 v5, 0, 1, vcc_lo
	s_delay_alu instid0(VALU_DEP_1) | instskip(NEXT) | instid1(VALU_DEP_1)
	v_lshlrev_b32_e32 v5, 1, v5
	v_add_lshl_u32 v11, v5, v2, 2
	s_waitcnt lgkmcnt(0)
	v_cmp_lt_f32_e32 vcc_lo, v3, v4
	v_cndmask_b32_e32 v3, v3, v4, vcc_lo
	v_cmp_ne_u32_e32 vcc_lo, 31, v2
	ds_bpermute_b32 v4, v11, v3
	v_add_co_ci_u32_e32 v5, vcc_lo, 0, v2, vcc_lo
	s_delay_alu instid0(VALU_DEP_1)
	v_lshlrev_b32_e32 v12, 2, v5
	s_waitcnt lgkmcnt(0)
	v_cmp_lt_f32_e32 vcc_lo, v3, v4
	v_cndmask_b32_e32 v2, v3, v4, vcc_lo
	v_and_b32_e32 v3, 31, v0
	ds_bpermute_b32 v4, v12, v2
	v_cmp_eq_u32_e32 vcc_lo, 0, v3
	s_and_saveexec_b32 s4, vcc_lo
	s_cbranch_execz .LBB482_6
; %bb.5:
	s_waitcnt lgkmcnt(0)
	v_cmp_lt_f32_e64 s3, v2, v4
	v_add_nc_u32_e32 v5, 0, v13
	s_delay_alu instid0(VALU_DEP_2)
	v_cndmask_b32_e64 v2, v2, v4, s3
	ds_store_b32 v5, v2
.LBB482_6:
	s_or_b32 exec_lo, exec_lo, s4
	s_waitcnt lgkmcnt(0)
	s_barrier
	buffer_gl0_inv
	s_load_b32 s14, s[0:1], 0x24
	v_mov_b32_e32 v2, 0xff7fffff
	v_lshl_add_u32 v14, v3, 2, 0
	s_waitcnt lgkmcnt(0)
	s_bfe_u32 s0, s14, 0xb0005
	s_delay_alu instid0(SALU_CYCLE_1) | instskip(NEXT) | instid1(VALU_DEP_1)
	v_cmp_gt_u32_e64 s0, s0, v0
	s_and_saveexec_b32 s1, s0
	s_cbranch_execnz .LBB482_24
; %bb.7:
	s_or_b32 exec_lo, exec_lo, s1
	v_cmp_gt_u32_e64 s1, 32, v0
	s_delay_alu instid0(VALU_DEP_1)
	s_and_saveexec_b32 s4, s1
	s_cbranch_execnz .LBB482_25
.LBB482_8:
	s_or_b32 exec_lo, exec_lo, s4
	v_cmp_eq_u32_e64 s3, 0, v0
	s_delay_alu instid0(VALU_DEP_1)
	s_and_saveexec_b32 s4, s3
	s_cbranch_execz .LBB482_10
.LBB482_9:
	v_mov_b32_e32 v3, 0
	s_waitcnt lgkmcnt(0)
	ds_store_b32 v3, v2
.LBB482_10:
	s_or_b32 exec_lo, exec_lo, s4
	v_mov_b32_e32 v15, 0
	s_waitcnt lgkmcnt(0)
	s_barrier
	buffer_gl0_inv
	s_mov_b32 s16, 0
	ds_load_b32 v7, v15
	s_and_saveexec_b32 s15, s2
	s_cbranch_execz .LBB482_14
; %bb.11:
	s_lshl_b64 s[4:5], s[6:7], 1
	s_and_b32 s17, s14, 0xffff
	s_add_u32 s4, s10, s4
	s_addc_u32 s5, s11, s5
	v_add_co_u32 v2, s4, s4, v6
	s_delay_alu instid0(VALU_DEP_1) | instskip(SKIP_1) | instid1(VALU_DEP_3)
	v_add_co_ci_u32_e64 v3, null, s5, 0, s4
	v_mov_b32_e32 v5, v1
	v_add_co_u32 v2, s4, v2, 14
	s_delay_alu instid0(VALU_DEP_1)
	v_add_co_ci_u32_e64 v3, s4, 0, v3, s4
	v_dual_mov_b32 v15, 0 :: v_dual_mov_b32 v4, v0
	s_lshl_b32 s18, s17, 4
.LBB482_12:                             ; =>This Inner Loop Header: Depth=1
	global_load_b128 v[16:19], v[2:3], off offset:-14
	v_add_co_u32 v4, s4, v4, s17
	s_delay_alu instid0(VALU_DEP_1) | instskip(SKIP_1) | instid1(VALU_DEP_1)
	v_add_co_ci_u32_e64 v5, s4, 0, v5, s4
	v_add_co_u32 v2, s5, v2, s18
	v_add_co_ci_u32_e64 v3, s5, 0, v3, s5
	s_waitcnt vmcnt(0)
	v_lshlrev_b32_e32 v21, 16, v17
	v_lshlrev_b32_e32 v20, 16, v16
	v_and_b32_e32 v17, 0xffff0000, v17
	v_and_b32_e32 v16, 0xffff0000, v16
	v_lshlrev_b32_e32 v23, 16, v19
	s_waitcnt lgkmcnt(0)
	v_sub_f32_e32 v21, v21, v7
	v_sub_f32_e32 v20, v20, v7
	;; [unrolled: 1-line block ×4, first 2 shown]
	s_delay_alu instid0(VALU_DEP_4) | instskip(NEXT) | instid1(VALU_DEP_3)
	v_dual_mul_f32 v21, 0x3fb8aa3b, v21 :: v_dual_lshlrev_b32 v22, 16, v18
	v_dual_mul_f32 v20, 0x3fb8aa3b, v20 :: v_dual_mul_f32 v17, 0x3fb8aa3b, v17
	s_delay_alu instid0(VALU_DEP_3) | instskip(NEXT) | instid1(VALU_DEP_3)
	v_mul_f32_e32 v16, 0x3fb8aa3b, v16
	v_exp_f32_e32 v21, v21
	s_delay_alu instid0(VALU_DEP_2) | instskip(SKIP_1) | instid1(VALU_DEP_2)
	v_exp_f32_e32 v20, v20
	v_and_b32_e32 v18, 0xffff0000, v18
	v_exp_f32_e32 v16, v16
	v_exp_f32_e32 v17, v17
	s_delay_alu instid0(TRANS32_DEP_3) | instskip(SKIP_4) | instid1(VALU_DEP_3)
	v_dual_add_f32 v15, v15, v20 :: v_dual_sub_f32 v22, v22, v7
	s_waitcnt_depctr 0xfff
	v_dual_add_f32 v15, v15, v16 :: v_dual_mul_f32 v20, 0x3fb8aa3b, v22
	v_sub_f32_e32 v18, v18, v7
	v_sub_f32_e32 v16, v23, v7
	v_add_f32_e32 v15, v15, v21
	s_delay_alu instid0(VALU_DEP_4) | instskip(NEXT) | instid1(VALU_DEP_1)
	v_exp_f32_e32 v20, v20
	v_dual_mul_f32 v18, 0x3fb8aa3b, v18 :: v_dual_add_f32 v15, v15, v17
	v_and_b32_e32 v19, 0xffff0000, v19
	s_delay_alu instid0(VALU_DEP_2) | instskip(SKIP_3) | instid1(VALU_DEP_1)
	v_exp_f32_e32 v18, v18
	s_waitcnt_depctr 0xfff
	v_add_f32_e32 v20, v15, v20
	v_dual_sub_f32 v19, v19, v7 :: v_dual_mul_f32 v16, 0x3fb8aa3b, v16
	v_mul_f32_e32 v17, 0x3fb8aa3b, v19
	s_delay_alu instid0(VALU_DEP_2) | instskip(SKIP_1) | instid1(VALU_DEP_2)
	v_exp_f32_e32 v19, v16
	v_lshlrev_b64 v[15:16], 3, v[4:5]
	v_exp_f32_e32 v17, v17
	v_add_f32_e32 v18, v20, v18
	s_delay_alu instid0(VALU_DEP_2) | instskip(SKIP_3) | instid1(VALU_DEP_1)
	v_cmp_le_i64_e64 s4, s[12:13], v[15:16]
	s_waitcnt_depctr 0xfff
	v_add_f32_e32 v15, v18, v19
	s_or_b32 s16, s4, s16
	v_add_f32_e32 v15, v15, v17
	s_and_not1_b32 exec_lo, exec_lo, s16
	s_cbranch_execnz .LBB482_12
; %bb.13:
	s_or_b32 exec_lo, exec_lo, s16
.LBB482_14:
	s_delay_alu instid0(SALU_CYCLE_1)
	s_or_b32 exec_lo, exec_lo, s15
	ds_bpermute_b32 v2, v8, v15
	s_waitcnt lgkmcnt(0)
	s_barrier
	buffer_gl0_inv
	v_add_f32_e32 v2, v15, v2
	ds_bpermute_b32 v3, v9, v2
	s_waitcnt lgkmcnt(0)
	v_add_f32_e32 v2, v2, v3
	ds_bpermute_b32 v3, v10, v2
	s_waitcnt lgkmcnt(0)
	;; [unrolled: 3-line block ×3, first 2 shown]
	v_add_f32_e32 v2, v2, v3
	ds_bpermute_b32 v3, v12, v2
	s_and_saveexec_b32 s4, vcc_lo
	s_cbranch_execz .LBB482_16
; %bb.15:
	v_add_nc_u32_e32 v4, 0, v13
	s_waitcnt lgkmcnt(0)
	v_add_f32_e32 v2, v2, v3
	ds_store_b32 v4, v2
.LBB482_16:
	s_or_b32 exec_lo, exec_lo, s4
	v_mov_b32_e32 v2, 0
	s_waitcnt lgkmcnt(0)
	s_barrier
	buffer_gl0_inv
	s_and_saveexec_b32 s4, s0
	s_cbranch_execnz .LBB482_26
; %bb.17:
	s_or_b32 exec_lo, exec_lo, s4
	s_and_saveexec_b32 s0, s1
	s_cbranch_execnz .LBB482_27
.LBB482_18:
	s_or_b32 exec_lo, exec_lo, s0
	s_and_saveexec_b32 s0, s3
	s_cbranch_execz .LBB482_20
.LBB482_19:
	s_waitcnt lgkmcnt(0)
	v_div_scale_f32 v3, null, v2, v2, 1.0
	v_div_scale_f32 v8, vcc_lo, 1.0, v2, 1.0
	s_delay_alu instid0(VALU_DEP_2) | instskip(SKIP_2) | instid1(VALU_DEP_1)
	v_rcp_f32_e32 v4, v3
	s_waitcnt_depctr 0xfff
	v_fma_f32 v5, -v3, v4, 1.0
	v_fmac_f32_e32 v4, v5, v4
	s_delay_alu instid0(VALU_DEP_1) | instskip(NEXT) | instid1(VALU_DEP_1)
	v_mul_f32_e32 v5, v8, v4
	v_fma_f32 v9, -v3, v5, v8
	s_delay_alu instid0(VALU_DEP_1) | instskip(NEXT) | instid1(VALU_DEP_1)
	v_fmac_f32_e32 v5, v9, v4
	v_fma_f32 v3, -v3, v5, v8
	s_delay_alu instid0(VALU_DEP_1) | instskip(NEXT) | instid1(VALU_DEP_1)
	v_div_fmas_f32 v3, v3, v4, v5
	v_div_fixup_f32 v2, v3, v2, 1.0
	v_mov_b32_e32 v3, 0
	ds_store_b32 v3, v2
.LBB482_20:
	s_or_b32 exec_lo, exec_lo, s0
	s_waitcnt lgkmcnt(0)
	s_barrier
	buffer_gl0_inv
	s_and_saveexec_b32 s0, s2
	s_cbranch_execz .LBB482_23
; %bb.21:
	v_mov_b32_e32 v2, 0
	s_lshl_b64 s[0:1], s[6:7], 1
	s_delay_alu instid0(SALU_CYCLE_1)
	s_add_u32 s7, s10, s0
	s_addc_u32 s10, s11, s1
	ds_load_b32 v2, v2
	s_add_u32 s8, s8, s0
	s_addc_u32 s9, s9, s1
	s_and_b32 s11, s14, 0xffff
	s_mov_b32 s14, 0
	s_lshl_b32 s15, s11, 4
.LBB482_22:                             ; =>This Inner Loop Header: Depth=1
	v_add_co_u32 v3, s0, s7, v6
	s_delay_alu instid0(VALU_DEP_1) | instskip(SKIP_4) | instid1(VALU_DEP_1)
	v_add_co_ci_u32_e64 v4, null, s10, 0, s0
	v_add_co_u32 v0, vcc_lo, v0, s11
	v_add_co_ci_u32_e32 v1, vcc_lo, 0, v1, vcc_lo
	global_load_b128 v[8:11], v[3:4], off
	v_add_co_u32 v3, s0, s8, v6
	v_add_co_ci_u32_e64 v4, null, s9, 0, s0
	v_lshlrev_b64 v[12:13], 3, v[0:1]
	s_add_u32 s7, s7, s15
	s_addc_u32 s10, s10, 0
	s_add_u32 s8, s8, s15
	s_addc_u32 s9, s9, 0
	s_waitcnt vmcnt(0)
	v_lshlrev_b32_e32 v5, 16, v8
	v_and_b32_e32 v8, 0xffff0000, v8
	v_lshlrev_b32_e32 v15, 16, v10
	v_and_b32_e32 v10, 0xffff0000, v10
	v_lshlrev_b32_e32 v14, 16, v9
	s_delay_alu instid0(VALU_DEP_4) | instskip(SKIP_1) | instid1(VALU_DEP_4)
	v_dual_sub_f32 v8, v8, v7 :: v_dual_and_b32 v9, 0xffff0000, v9
	v_sub_f32_e32 v5, v5, v7
	v_sub_f32_e32 v10, v10, v7
	;; [unrolled: 1-line block ×3, first 2 shown]
	v_lshlrev_b32_e32 v16, 16, v11
	s_delay_alu instid0(VALU_DEP_4) | instskip(SKIP_1) | instid1(VALU_DEP_4)
	v_dual_mul_f32 v8, 0x3fb8aa3b, v8 :: v_dual_mul_f32 v5, 0x3fb8aa3b, v5
	v_sub_f32_e32 v9, v9, v7
	v_mul_f32_e32 v15, 0x3fb8aa3b, v15
	s_delay_alu instid0(VALU_DEP_4) | instskip(NEXT) | instid1(VALU_DEP_4)
	v_sub_f32_e32 v16, v16, v7
	v_exp_f32_e32 v8, v8
	v_and_b32_e32 v11, 0xffff0000, v11
	v_exp_f32_e32 v5, v5
	v_dual_sub_f32 v14, v14, v7 :: v_dual_mul_f32 v9, 0x3fb8aa3b, v9
	v_mul_f32_e32 v16, 0x3fb8aa3b, v16
	v_exp_f32_e32 v15, v15
	s_delay_alu instid0(VALU_DEP_2) | instskip(NEXT) | instid1(VALU_DEP_3)
	v_mul_f32_e32 v14, 0x3fb8aa3b, v14
	v_exp_f32_e32 v9, v9
	s_waitcnt lgkmcnt(0)
	v_dual_mul_f32 v8, v2, v8 :: v_dual_sub_f32 v11, v11, v7
	s_delay_alu instid0(TRANS32_DEP_3) | instskip(SKIP_2) | instid1(VALU_DEP_2)
	v_dual_mul_f32 v10, 0x3fb8aa3b, v10 :: v_dual_mul_f32 v5, v2, v5
	v_exp_f32_e32 v16, v16
	v_exp_f32_e32 v14, v14
	v_mul_f32_e32 v11, 0x3fb8aa3b, v11
	s_delay_alu instid0(VALU_DEP_2)
	v_exp_f32_e32 v10, v10
	v_bfe_u32 v18, v8, 16, 1
	v_mul_f32_e32 v15, v2, v15
	v_cmp_o_f32_e32 vcc_lo, v8, v8
	v_exp_f32_e32 v11, v11
	v_bfe_u32 v17, v5, 16, 1
	v_add3_u32 v18, v8, v18, 0x7fff
	v_mul_f32_e32 v16, v2, v16
	v_mul_f32_e32 v14, v2, v14
	v_bfe_u32 v21, v15, 16, 1
	v_mul_f32_e32 v10, v2, v10
	v_lshrrev_b32_e32 v18, 16, v18
	v_mul_f32_e32 v9, v2, v9
	v_bfe_u32 v23, v16, 16, 1
	v_mul_f32_e32 v11, v2, v11
	v_bfe_u32 v19, v14, 16, 1
	v_bfe_u32 v22, v10, 16, 1
	v_cmp_o_f32_e64 s4, v16, v16
	v_add3_u32 v23, v16, v23, 0x7fff
	v_cndmask_b32_e32 v16, 0x7fc0, v18, vcc_lo
	v_bfe_u32 v20, v9, 16, 1
	v_bfe_u32 v24, v11, 16, 1
	v_add3_u32 v17, v5, v17, 0x7fff
	v_add3_u32 v19, v14, v19, 0x7fff
	;; [unrolled: 1-line block ×6, first 2 shown]
	v_lshrrev_b32_e32 v17, 16, v17
	v_lshrrev_b32_e32 v8, 16, v19
	;; [unrolled: 1-line block ×3, first 2 shown]
	v_cmp_o_f32_e64 s0, v14, v14
	v_cmp_o_f32_e64 s1, v9, v9
	v_lshrrev_b32_e32 v9, 16, v21
	v_lshrrev_b32_e32 v14, 16, v22
	v_cmp_o_f32_e64 s2, v15, v15
	v_cmp_o_f32_e64 s3, v10, v10
	v_lshrrev_b32_e32 v10, 16, v23
	v_lshrrev_b32_e32 v15, 16, v24
	v_cmp_o_f32_e64 s5, v11, v11
	v_cmp_o_f32_e64 s6, v5, v5
	v_cndmask_b32_e64 v8, 0x7fc0, v8, s0
	v_cndmask_b32_e64 v9, 0x7fc0, v9, s2
	;; [unrolled: 1-line block ×7, first 2 shown]
	v_cmp_le_i64_e32 vcc_lo, s[12:13], v[12:13]
	v_perm_b32 v11, v11, v10, 0x5040100
	s_delay_alu instid0(VALU_DEP_4) | instskip(NEXT) | instid1(VALU_DEP_4)
	v_perm_b32 v10, v14, v9, 0x5040100
	v_perm_b32 v9, v15, v8, 0x5040100
	;; [unrolled: 1-line block ×3, first 2 shown]
	s_or_b32 s14, vcc_lo, s14
	global_store_b128 v[3:4], v[8:11], off
	s_and_not1_b32 exec_lo, exec_lo, s14
	s_cbranch_execnz .LBB482_22
.LBB482_23:
	s_nop 0
	s_sendmsg sendmsg(MSG_DEALLOC_VGPRS)
	s_endpgm
.LBB482_24:
	ds_load_b32 v2, v14
	s_or_b32 exec_lo, exec_lo, s1
	v_cmp_gt_u32_e64 s1, 32, v0
	s_delay_alu instid0(VALU_DEP_1)
	s_and_saveexec_b32 s4, s1
	s_cbranch_execz .LBB482_8
.LBB482_25:
	s_waitcnt lgkmcnt(0)
	ds_bpermute_b32 v3, v8, v2
	s_waitcnt lgkmcnt(0)
	v_cmp_lt_f32_e64 s3, v2, v3
	s_delay_alu instid0(VALU_DEP_1) | instskip(SKIP_3) | instid1(VALU_DEP_1)
	v_cndmask_b32_e64 v2, v2, v3, s3
	ds_bpermute_b32 v3, v9, v2
	s_waitcnt lgkmcnt(0)
	v_cmp_lt_f32_e64 s3, v2, v3
	v_cndmask_b32_e64 v2, v2, v3, s3
	ds_bpermute_b32 v3, v10, v2
	s_waitcnt lgkmcnt(0)
	v_cmp_lt_f32_e64 s3, v2, v3
	s_delay_alu instid0(VALU_DEP_1) | instskip(SKIP_3) | instid1(VALU_DEP_1)
	v_cndmask_b32_e64 v2, v2, v3, s3
	ds_bpermute_b32 v3, v11, v2
	s_waitcnt lgkmcnt(0)
	v_cmp_lt_f32_e64 s3, v2, v3
	v_cndmask_b32_e64 v2, v2, v3, s3
	ds_bpermute_b32 v3, v12, v2
	s_waitcnt lgkmcnt(0)
	v_cmp_lt_f32_e64 s3, v2, v3
	s_delay_alu instid0(VALU_DEP_1) | instskip(SKIP_2) | instid1(VALU_DEP_1)
	v_cndmask_b32_e64 v2, v2, v3, s3
	s_or_b32 exec_lo, exec_lo, s4
	v_cmp_eq_u32_e64 s3, 0, v0
	s_and_saveexec_b32 s4, s3
	s_cbranch_execnz .LBB482_9
	s_branch .LBB482_10
.LBB482_26:
	ds_load_b32 v2, v14
	s_or_b32 exec_lo, exec_lo, s4
	s_and_saveexec_b32 s0, s1
	s_cbranch_execz .LBB482_18
.LBB482_27:
	s_waitcnt lgkmcnt(0)
	ds_bpermute_b32 v3, v8, v2
	s_waitcnt lgkmcnt(0)
	v_add_f32_e32 v2, v2, v3
	ds_bpermute_b32 v3, v9, v2
	s_waitcnt lgkmcnt(0)
	v_add_f32_e32 v2, v2, v3
	;; [unrolled: 3-line block ×5, first 2 shown]
	s_or_b32 exec_lo, exec_lo, s0
	s_and_saveexec_b32 s0, s3
	s_cbranch_execnz .LBB482_19
	s_branch .LBB482_20
	.section	.rodata,"a",@progbits
	.p2align	6, 0x0
	.amdhsa_kernel _ZN2at6native12_GLOBAL__N_123cunn_SoftMaxForwardGmemILi8EN3c108BFloat16EfS4_NS1_29SoftMaxForwardWithMulEpilogueElEEvPT2_PKT0_T4_
		.amdhsa_group_segment_fixed_size 0
		.amdhsa_private_segment_fixed_size 0
		.amdhsa_kernarg_size 280
		.amdhsa_user_sgpr_count 15
		.amdhsa_user_sgpr_dispatch_ptr 0
		.amdhsa_user_sgpr_queue_ptr 0
		.amdhsa_user_sgpr_kernarg_segment_ptr 1
		.amdhsa_user_sgpr_dispatch_id 0
		.amdhsa_user_sgpr_private_segment_size 0
		.amdhsa_wavefront_size32 1
		.amdhsa_uses_dynamic_stack 0
		.amdhsa_enable_private_segment 0
		.amdhsa_system_sgpr_workgroup_id_x 1
		.amdhsa_system_sgpr_workgroup_id_y 0
		.amdhsa_system_sgpr_workgroup_id_z 0
		.amdhsa_system_sgpr_workgroup_info 0
		.amdhsa_system_vgpr_workitem_id 0
		.amdhsa_next_free_vgpr 25
		.amdhsa_next_free_sgpr 19
		.amdhsa_reserve_vcc 1
		.amdhsa_float_round_mode_32 0
		.amdhsa_float_round_mode_16_64 0
		.amdhsa_float_denorm_mode_32 3
		.amdhsa_float_denorm_mode_16_64 3
		.amdhsa_dx10_clamp 1
		.amdhsa_ieee_mode 1
		.amdhsa_fp16_overflow 0
		.amdhsa_workgroup_processor_mode 1
		.amdhsa_memory_ordered 1
		.amdhsa_forward_progress 0
		.amdhsa_shared_vgpr_count 0
		.amdhsa_exception_fp_ieee_invalid_op 0
		.amdhsa_exception_fp_denorm_src 0
		.amdhsa_exception_fp_ieee_div_zero 0
		.amdhsa_exception_fp_ieee_overflow 0
		.amdhsa_exception_fp_ieee_underflow 0
		.amdhsa_exception_fp_ieee_inexact 0
		.amdhsa_exception_int_div_zero 0
	.end_amdhsa_kernel
	.section	.text._ZN2at6native12_GLOBAL__N_123cunn_SoftMaxForwardGmemILi8EN3c108BFloat16EfS4_NS1_29SoftMaxForwardWithMulEpilogueElEEvPT2_PKT0_T4_,"axG",@progbits,_ZN2at6native12_GLOBAL__N_123cunn_SoftMaxForwardGmemILi8EN3c108BFloat16EfS4_NS1_29SoftMaxForwardWithMulEpilogueElEEvPT2_PKT0_T4_,comdat
.Lfunc_end482:
	.size	_ZN2at6native12_GLOBAL__N_123cunn_SoftMaxForwardGmemILi8EN3c108BFloat16EfS4_NS1_29SoftMaxForwardWithMulEpilogueElEEvPT2_PKT0_T4_, .Lfunc_end482-_ZN2at6native12_GLOBAL__N_123cunn_SoftMaxForwardGmemILi8EN3c108BFloat16EfS4_NS1_29SoftMaxForwardWithMulEpilogueElEEvPT2_PKT0_T4_
                                        ; -- End function
	.section	.AMDGPU.csdata,"",@progbits
; Kernel info:
; codeLenInByte = 2684
; NumSgprs: 21
; NumVgprs: 25
; ScratchSize: 0
; MemoryBound: 0
; FloatMode: 240
; IeeeMode: 1
; LDSByteSize: 0 bytes/workgroup (compile time only)
; SGPRBlocks: 2
; VGPRBlocks: 3
; NumSGPRsForWavesPerEU: 21
; NumVGPRsForWavesPerEU: 25
; Occupancy: 16
; WaveLimiterHint : 0
; COMPUTE_PGM_RSRC2:SCRATCH_EN: 0
; COMPUTE_PGM_RSRC2:USER_SGPR: 15
; COMPUTE_PGM_RSRC2:TRAP_HANDLER: 0
; COMPUTE_PGM_RSRC2:TGID_X_EN: 1
; COMPUTE_PGM_RSRC2:TGID_Y_EN: 0
; COMPUTE_PGM_RSRC2:TGID_Z_EN: 0
; COMPUTE_PGM_RSRC2:TIDIG_COMP_CNT: 0
	.section	.text._ZN2at6native12_GLOBAL__N_123cunn_SoftMaxForwardFastILi8EN3c108BFloat16EfS4_NS1_29SoftMaxForwardWithMulEpilogueEEEvPT2_PKT0_i,"axG",@progbits,_ZN2at6native12_GLOBAL__N_123cunn_SoftMaxForwardFastILi8EN3c108BFloat16EfS4_NS1_29SoftMaxForwardWithMulEpilogueEEEvPT2_PKT0_i,comdat
	.globl	_ZN2at6native12_GLOBAL__N_123cunn_SoftMaxForwardFastILi8EN3c108BFloat16EfS4_NS1_29SoftMaxForwardWithMulEpilogueEEEvPT2_PKT0_i ; -- Begin function _ZN2at6native12_GLOBAL__N_123cunn_SoftMaxForwardFastILi8EN3c108BFloat16EfS4_NS1_29SoftMaxForwardWithMulEpilogueEEEvPT2_PKT0_i
	.p2align	8
	.type	_ZN2at6native12_GLOBAL__N_123cunn_SoftMaxForwardFastILi8EN3c108BFloat16EfS4_NS1_29SoftMaxForwardWithMulEpilogueEEEvPT2_PKT0_i,@function
_ZN2at6native12_GLOBAL__N_123cunn_SoftMaxForwardFastILi8EN3c108BFloat16EfS4_NS1_29SoftMaxForwardWithMulEpilogueEEEvPT2_PKT0_i: ; @_ZN2at6native12_GLOBAL__N_123cunn_SoftMaxForwardFastILi8EN3c108BFloat16EfS4_NS1_29SoftMaxForwardWithMulEpilogueEEEvPT2_PKT0_i
; %bb.0:
	s_clause 0x1
	s_load_b32 s14, s[0:1], 0x10
	s_load_b128 s[8:11], s[0:1], 0x0
	s_mov_b32 s5, 0
	s_waitcnt lgkmcnt(0)
	s_ashr_i32 s2, s14, 31
	s_mul_hi_u32 s3, s14, s15
	s_mul_i32 s4, s2, s15
	s_mul_i32 s2, s14, s15
	s_add_i32 s3, s3, s4
	s_delay_alu instid0(SALU_CYCLE_1) | instskip(NEXT) | instid1(SALU_CYCLE_1)
	s_lshl_b64 s[12:13], s[2:3], 1
	s_add_u32 s6, s10, s12
	s_addc_u32 s7, s11, s13
	s_bfe_u32 s4, s6, 0x30001
	s_delay_alu instid0(SALU_CYCLE_1) | instskip(SKIP_2) | instid1(SALU_CYCLE_1)
	s_cmp_lg_u32 s4, 0
	v_cmp_le_u32_e64 s2, s4, v0
	s_cselect_b32 s19, -1, 0
	s_and_b32 vcc_lo, exec_lo, s19
	s_cbranch_vccz .LBB483_25
; %bb.1:
	s_lshl_b64 s[10:11], s[4:5], 1
	v_mov_b32_e32 v5, 0xff7fffff
	s_sub_u32 s16, s6, s10
	s_subb_u32 s17, s7, s11
	s_add_i32 s3, s4, s14
	s_delay_alu instid0(SALU_CYCLE_1) | instskip(SKIP_1) | instid1(SALU_CYCLE_1)
	v_cmp_gt_i32_e32 vcc_lo, s3, v0
	s_and_b32 s5, s2, vcc_lo
	s_and_saveexec_b32 s2, s5
	s_cbranch_execz .LBB483_3
; %bb.2:
	v_lshlrev_b32_e32 v1, 1, v0
	global_load_u16 v1, v1, s[16:17]
	s_waitcnt vmcnt(0)
	v_lshlrev_b32_e32 v1, 16, v1
	s_delay_alu instid0(VALU_DEP_1) | instskip(NEXT) | instid1(VALU_DEP_1)
	v_max_f32_e32 v1, v1, v1
	v_max_f32_e32 v5, 0xff7fffff, v1
.LBB483_3:
	s_or_b32 exec_lo, exec_lo, s2
	s_load_b32 s2, s[0:1], 0x24
	s_add_u32 s10, s0, 24
	s_addc_u32 s11, s1, 0
	s_waitcnt lgkmcnt(0)
	s_and_b32 s2, s2, 0xffff
	s_delay_alu instid0(SALU_CYCLE_1) | instskip(SKIP_1) | instid1(SALU_CYCLE_1)
	v_sub_nc_u32_e64 v1, s3, s2 clamp
	s_lshl_b32 s2, s2, 1
	s_add_u32 s2, s16, s2
	s_addc_u32 s3, s17, 0
	s_delay_alu instid0(VALU_DEP_1)
	v_readfirstlane_b32 s5, v1
	s_branch .LBB483_5
.LBB483_4:
	v_mov_b32_e32 v5, 0xff7fffff
	s_add_u32 s10, s0, 24
	s_addc_u32 s11, s1, 0
	s_mov_b32 s5, s14
	s_mov_b64 s[2:3], s[6:7]
.LBB483_5:
	s_load_b32 s16, s[10:11], 0x0
	v_mov_b32_e32 v1, 0
	v_lshlrev_b32_e32 v11, 3, v0
	s_waitcnt lgkmcnt(0)
	s_cmp_lt_u32 s15, s16
	s_cselect_b32 s16, 12, 18
	s_delay_alu instid0(SALU_CYCLE_1) | instskip(SKIP_4) | instid1(VALU_DEP_1)
	s_add_u32 s10, s10, s16
	s_addc_u32 s11, s11, 0
	global_load_u16 v3, v1, s[10:11]
	s_waitcnt vmcnt(0)
	v_readfirstlane_b32 s10, v3
	s_lshl_b32 s10, s10, 3
	s_delay_alu instid0(SALU_CYCLE_1) | instskip(SKIP_1) | instid1(VALU_DEP_1)
	v_cvt_f32_u32_e32 v1, s10
	s_sub_i32 s16, 0, s10
	v_rcp_iflag_f32_e32 v1, v1
	s_waitcnt_depctr 0xfff
	v_mul_f32_e32 v1, 0x4f7ffffe, v1
	s_delay_alu instid0(VALU_DEP_1) | instskip(NEXT) | instid1(VALU_DEP_1)
	v_cvt_u32_f32_e32 v1, v1
	v_readfirstlane_b32 s11, v1
	s_delay_alu instid0(VALU_DEP_1) | instskip(NEXT) | instid1(SALU_CYCLE_1)
	s_mul_i32 s16, s16, s11
	s_mul_hi_u32 s16, s11, s16
	s_delay_alu instid0(SALU_CYCLE_1) | instskip(NEXT) | instid1(SALU_CYCLE_1)
	s_add_i32 s11, s11, s16
	s_mul_hi_u32 s11, s5, s11
	s_delay_alu instid0(SALU_CYCLE_1) | instskip(NEXT) | instid1(SALU_CYCLE_1)
	s_mul_i32 s11, s11, s10
	s_sub_i32 s11, s5, s11
	s_delay_alu instid0(SALU_CYCLE_1) | instskip(SKIP_2) | instid1(SALU_CYCLE_1)
	s_sub_i32 s16, s11, s10
	s_cmp_ge_u32 s11, s10
	s_cselect_b32 s11, s16, s11
	s_sub_i32 s16, s11, s10
	s_cmp_ge_u32 s11, s10
	s_cselect_b32 s10, s16, s11
	s_mov_b32 s16, 0
	s_sub_i32 s10, s5, s10
	s_mov_b32 s11, exec_lo
	v_cmpx_gt_i32_e64 s10, v11
	s_cbranch_execz .LBB483_9
; %bb.6:
	v_mov_b32_e32 v1, v0
	s_set_inst_prefetch_distance 0x1
	.p2align	6
.LBB483_7:                              ; =>This Inner Loop Header: Depth=1
	s_delay_alu instid0(VALU_DEP_1) | instskip(NEXT) | instid1(VALU_DEP_1)
	v_ashrrev_i32_e32 v2, 31, v1
	v_lshlrev_b64 v[6:7], 4, v[1:2]
	v_add_nc_u32_e32 v1, v1, v3
	s_delay_alu instid0(VALU_DEP_2) | instskip(NEXT) | instid1(VALU_DEP_3)
	v_add_co_u32 v6, vcc_lo, s2, v6
	v_add_co_ci_u32_e32 v7, vcc_lo, s3, v7, vcc_lo
	global_load_b128 v[6:9], v[6:7], off
	s_waitcnt vmcnt(0)
	v_lshlrev_b32_e32 v2, 16, v6
	v_and_b32_e32 v4, 0xffff0000, v6
	v_lshlrev_b32_e32 v6, 16, v7
	v_and_b32_e32 v7, 0xffff0000, v7
	s_delay_alu instid0(VALU_DEP_3) | instskip(SKIP_3) | instid1(VALU_DEP_4)
	v_max3_f32 v2, v5, v2, v4
	v_lshlrev_b32_e32 v4, 16, v8
	v_and_b32_e32 v5, 0xffff0000, v8
	v_and_b32_e32 v8, 0xffff0000, v9
	v_max3_f32 v2, v2, v6, v7
	v_lshlrev_b32_e32 v6, 3, v1
	v_lshlrev_b32_e32 v7, 16, v9
	s_delay_alu instid0(VALU_DEP_3) | instskip(NEXT) | instid1(VALU_DEP_3)
	v_max3_f32 v2, v2, v4, v5
	v_cmp_le_i32_e32 vcc_lo, s10, v6
	s_delay_alu instid0(VALU_DEP_2) | instskip(SKIP_1) | instid1(SALU_CYCLE_1)
	v_max3_f32 v5, v2, v7, v8
	s_or_b32 s16, vcc_lo, s16
	s_and_not1_b32 exec_lo, exec_lo, s16
	s_cbranch_execnz .LBB483_7
; %bb.8:
	s_set_inst_prefetch_distance 0x2
	s_or_b32 exec_lo, exec_lo, s16
.LBB483_9:
	s_delay_alu instid0(SALU_CYCLE_1) | instskip(SKIP_2) | instid1(VALU_DEP_1)
	s_or_b32 exec_lo, exec_lo, s11
	v_add_nc_u32_e32 v1, s10, v0
	s_mov_b32 s10, exec_lo
	v_cmpx_gt_i32_e64 s5, v1
	s_cbranch_execz .LBB483_13
; %bb.10:
	s_mov_b32 s11, 0
	.p2align	6
.LBB483_11:                             ; =>This Inner Loop Header: Depth=1
	v_ashrrev_i32_e32 v2, 31, v1
	v_max_f32_e32 v4, v5, v5
	s_delay_alu instid0(VALU_DEP_2) | instskip(NEXT) | instid1(VALU_DEP_1)
	v_lshlrev_b64 v[6:7], 1, v[1:2]
	v_add_co_u32 v6, vcc_lo, s2, v6
	s_delay_alu instid0(VALU_DEP_2) | instskip(SKIP_3) | instid1(VALU_DEP_1)
	v_add_co_ci_u32_e32 v7, vcc_lo, s3, v7, vcc_lo
	global_load_u16 v2, v[6:7], off
	s_waitcnt vmcnt(0)
	v_lshlrev_b32_e32 v2, 16, v2
	v_dual_max_f32 v2, v2, v2 :: v_dual_add_nc_u32 v1, v1, v3
	s_delay_alu instid0(VALU_DEP_1) | instskip(NEXT) | instid1(VALU_DEP_2)
	v_cmp_le_i32_e32 vcc_lo, s5, v1
	v_max_f32_e32 v5, v4, v2
	s_or_b32 s11, vcc_lo, s11
	s_delay_alu instid0(SALU_CYCLE_1)
	s_and_not1_b32 exec_lo, exec_lo, s11
	s_cbranch_execnz .LBB483_11
; %bb.12:
	s_or_b32 exec_lo, exec_lo, s11
.LBB483_13:
	s_delay_alu instid0(SALU_CYCLE_1)
	s_or_b32 exec_lo, exec_lo, s10
	v_mbcnt_lo_u32_b32 v1, -1, 0
	v_lshrrev_b32_e32 v9, 3, v0
	s_barrier
	buffer_gl0_inv
	v_cmp_gt_u32_e32 vcc_lo, 16, v1
	v_cndmask_b32_e64 v2, 0, 1, vcc_lo
	v_cmp_gt_u32_e32 vcc_lo, 24, v1
	s_delay_alu instid0(VALU_DEP_2) | instskip(SKIP_1) | instid1(VALU_DEP_2)
	v_lshlrev_b32_e32 v2, 4, v2
	v_cndmask_b32_e64 v4, 0, 1, vcc_lo
	v_add_lshl_u32 v3, v2, v1, 2
	s_delay_alu instid0(VALU_DEP_2)
	v_lshlrev_b32_e32 v4, 3, v4
	ds_bpermute_b32 v2, v3, v5
	v_add_lshl_u32 v4, v4, v1, 2
	s_waitcnt lgkmcnt(0)
	v_cmp_lt_f32_e32 vcc_lo, v5, v2
	v_cndmask_b32_e32 v2, v5, v2, vcc_lo
	v_cmp_gt_u32_e32 vcc_lo, 28, v1
	v_cndmask_b32_e64 v5, 0, 1, vcc_lo
	s_delay_alu instid0(VALU_DEP_1)
	v_lshlrev_b32_e32 v5, 2, v5
	ds_bpermute_b32 v6, v4, v2
	v_add_lshl_u32 v5, v5, v1, 2
	s_waitcnt lgkmcnt(0)
	v_cmp_lt_f32_e32 vcc_lo, v2, v6
	v_cndmask_b32_e32 v2, v2, v6, vcc_lo
	v_cmp_gt_u32_e32 vcc_lo, 30, v1
	ds_bpermute_b32 v7, v5, v2
	v_cndmask_b32_e64 v6, 0, 1, vcc_lo
	s_delay_alu instid0(VALU_DEP_1) | instskip(NEXT) | instid1(VALU_DEP_1)
	v_lshlrev_b32_e32 v6, 1, v6
	v_add_lshl_u32 v6, v6, v1, 2
	s_waitcnt lgkmcnt(0)
	v_cmp_lt_f32_e32 vcc_lo, v2, v7
	v_cndmask_b32_e32 v2, v2, v7, vcc_lo
	v_cmp_ne_u32_e32 vcc_lo, 31, v1
	ds_bpermute_b32 v7, v6, v2
	v_add_co_ci_u32_e32 v8, vcc_lo, 0, v1, vcc_lo
	s_waitcnt lgkmcnt(0)
	v_cmp_lt_f32_e32 vcc_lo, v2, v7
	v_cndmask_b32_e32 v1, v2, v7, vcc_lo
	s_delay_alu instid0(VALU_DEP_3) | instskip(SKIP_3) | instid1(VALU_DEP_1)
	v_lshlrev_b32_e32 v7, 2, v8
	v_and_b32_e32 v2, 31, v0
	ds_bpermute_b32 v8, v7, v1
	v_cmp_eq_u32_e64 s2, 0, v2
	s_and_saveexec_b32 s3, s2
	s_cbranch_execz .LBB483_15
; %bb.14:
	s_waitcnt lgkmcnt(0)
	v_cmp_lt_f32_e32 vcc_lo, v1, v8
	v_dual_cndmask_b32 v1, v1, v8 :: v_dual_add_nc_u32 v10, 0, v9
	ds_store_b32 v10, v1
.LBB483_15:
	s_or_b32 exec_lo, exec_lo, s3
	s_waitcnt lgkmcnt(0)
	s_barrier
	buffer_gl0_inv
	s_load_b32 s5, s[0:1], 0x24
	s_add_u32 s10, s0, 24
	s_addc_u32 s11, s1, 0
	v_mov_b32_e32 v1, 0xff7fffff
	v_lshl_add_u32 v10, v2, 2, 0
	s_waitcnt lgkmcnt(0)
	s_bfe_u32 s0, s5, 0xb0005
	s_delay_alu instid0(SALU_CYCLE_1) | instskip(NEXT) | instid1(VALU_DEP_1)
	v_cmp_gt_u32_e64 s0, s0, v0
	s_and_saveexec_b32 s1, s0
	s_cbranch_execnz .LBB483_23
; %bb.16:
	s_or_b32 exec_lo, exec_lo, s1
	v_cmp_gt_u32_e64 s1, 32, v0
	s_delay_alu instid0(VALU_DEP_1)
	s_and_saveexec_b32 s3, s1
	s_cbranch_execnz .LBB483_24
.LBB483_17:
	s_or_b32 exec_lo, exec_lo, s3
	v_cmp_eq_u32_e64 s3, 0, v0
	s_delay_alu instid0(VALU_DEP_1)
	s_and_saveexec_b32 s16, s3
	s_cbranch_execz .LBB483_19
.LBB483_18:
	v_mov_b32_e32 v2, 0
	s_waitcnt lgkmcnt(0)
	ds_store_b32 v2, v1
.LBB483_19:
	s_or_b32 exec_lo, exec_lo, s16
	v_mov_b32_e32 v12, 0
	s_waitcnt lgkmcnt(0)
	s_barrier
	buffer_gl0_inv
	s_and_b32 s18, s5, 0xffff
	ds_load_b32 v8, v12
	s_and_not1_b32 vcc_lo, exec_lo, s19
	s_mov_b32 s5, 0
	s_cbranch_vccnz .LBB483_26
; %bb.20:
	s_lshl_b64 s[16:17], s[4:5], 1
	v_cmp_le_u32_e32 vcc_lo, s4, v0
	s_sub_u32 s16, s6, s16
	s_subb_u32 s17, s7, s17
	s_add_i32 s5, s4, s14
	v_mov_b32_e32 v12, 0
	v_cmp_gt_i32_e64 s4, s5, v0
	s_delay_alu instid0(VALU_DEP_1) | instskip(NEXT) | instid1(SALU_CYCLE_1)
	s_and_b32 s19, vcc_lo, s4
	s_and_saveexec_b32 s4, s19
	s_cbranch_execz .LBB483_22
; %bb.21:
	v_lshlrev_b32_e32 v1, 1, v0
	global_load_u16 v1, v1, s[16:17]
	s_waitcnt vmcnt(0)
	v_lshlrev_b32_e32 v1, 16, v1
	s_waitcnt lgkmcnt(0)
	s_delay_alu instid0(VALU_DEP_1) | instskip(NEXT) | instid1(VALU_DEP_1)
	v_sub_f32_e32 v1, v1, v8
	v_mul_f32_e32 v1, 0x3fb8aa3b, v1
	s_delay_alu instid0(VALU_DEP_1)
	v_exp_f32_e32 v1, v1
	s_waitcnt_depctr 0xfff
	v_add_f32_e32 v12, 0, v1
.LBB483_22:
	s_or_b32 exec_lo, exec_lo, s4
	v_sub_nc_u32_e64 v1, s5, s18 clamp
	s_lshl_b32 s4, s18, 1
	s_delay_alu instid0(SALU_CYCLE_1) | instskip(SKIP_1) | instid1(VALU_DEP_1)
	s_add_u32 s4, s16, s4
	s_addc_u32 s5, s17, 0
	v_readfirstlane_b32 s19, v1
	s_branch .LBB483_27
.LBB483_23:
	ds_load_b32 v1, v10
	s_or_b32 exec_lo, exec_lo, s1
	v_cmp_gt_u32_e64 s1, 32, v0
	s_delay_alu instid0(VALU_DEP_1)
	s_and_saveexec_b32 s3, s1
	s_cbranch_execz .LBB483_17
.LBB483_24:
	s_waitcnt lgkmcnt(0)
	ds_bpermute_b32 v2, v3, v1
	s_waitcnt lgkmcnt(0)
	v_cmp_lt_f32_e32 vcc_lo, v1, v2
	v_cndmask_b32_e32 v1, v1, v2, vcc_lo
	ds_bpermute_b32 v2, v4, v1
	s_waitcnt lgkmcnt(0)
	v_cmp_lt_f32_e32 vcc_lo, v1, v2
	v_cndmask_b32_e32 v1, v1, v2, vcc_lo
	;; [unrolled: 4-line block ×5, first 2 shown]
	s_or_b32 exec_lo, exec_lo, s3
	v_cmp_eq_u32_e64 s3, 0, v0
	s_delay_alu instid0(VALU_DEP_1)
	s_and_saveexec_b32 s16, s3
	s_cbranch_execnz .LBB483_18
	s_branch .LBB483_19
.LBB483_25:
                                        ; implicit-def: $sgpr2_sgpr3
                                        ; implicit-def: $sgpr5
                                        ; implicit-def: $vgpr5
                                        ; implicit-def: $sgpr10_sgpr11
	s_cbranch_execnz .LBB483_4
	s_branch .LBB483_5
.LBB483_26:
	s_mov_b64 s[4:5], s[6:7]
	s_mov_b32 s19, s14
.LBB483_27:
	s_load_b32 s16, s[10:11], 0x0
	v_mov_b32_e32 v1, 0
	s_waitcnt lgkmcnt(0)
	s_cmp_lt_u32 s15, s16
	s_cselect_b32 s15, 12, 18
	s_delay_alu instid0(SALU_CYCLE_1) | instskip(SKIP_4) | instid1(VALU_DEP_1)
	s_add_u32 s10, s10, s15
	s_addc_u32 s11, s11, 0
	global_load_u16 v13, v1, s[10:11]
	s_waitcnt vmcnt(0)
	v_readfirstlane_b32 s10, v13
	s_lshl_b32 s10, s10, 3
	s_delay_alu instid0(SALU_CYCLE_1) | instskip(SKIP_1) | instid1(VALU_DEP_1)
	v_cvt_f32_u32_e32 v1, s10
	s_sub_i32 s15, 0, s10
	v_rcp_iflag_f32_e32 v1, v1
	s_waitcnt_depctr 0xfff
	v_mul_f32_e32 v1, 0x4f7ffffe, v1
	s_delay_alu instid0(VALU_DEP_1) | instskip(NEXT) | instid1(VALU_DEP_1)
	v_cvt_u32_f32_e32 v1, v1
	v_readfirstlane_b32 s11, v1
	s_delay_alu instid0(VALU_DEP_1) | instskip(NEXT) | instid1(SALU_CYCLE_1)
	s_mul_i32 s15, s15, s11
	s_mul_hi_u32 s15, s11, s15
	s_delay_alu instid0(SALU_CYCLE_1) | instskip(NEXT) | instid1(SALU_CYCLE_1)
	s_add_i32 s11, s11, s15
	s_mul_hi_u32 s11, s19, s11
	s_delay_alu instid0(SALU_CYCLE_1) | instskip(NEXT) | instid1(SALU_CYCLE_1)
	s_mul_i32 s11, s11, s10
	s_sub_i32 s11, s19, s11
	s_delay_alu instid0(SALU_CYCLE_1) | instskip(SKIP_2) | instid1(SALU_CYCLE_1)
	s_sub_i32 s15, s11, s10
	s_cmp_ge_u32 s11, s10
	s_cselect_b32 s11, s15, s11
	s_sub_i32 s15, s11, s10
	s_cmp_ge_u32 s11, s10
	s_cselect_b32 s10, s15, s11
	s_mov_b32 s15, 0
	s_sub_i32 s10, s19, s10
	s_mov_b32 s11, exec_lo
	v_cmpx_gt_i32_e64 s10, v11
	s_cbranch_execz .LBB483_31
; %bb.28:
	v_mov_b32_e32 v1, v0
.LBB483_29:                             ; =>This Inner Loop Header: Depth=1
	s_delay_alu instid0(VALU_DEP_1) | instskip(NEXT) | instid1(VALU_DEP_1)
	v_ashrrev_i32_e32 v2, 31, v1
	v_lshlrev_b64 v[14:15], 4, v[1:2]
	v_add_nc_u32_e32 v1, v1, v13
	s_delay_alu instid0(VALU_DEP_2) | instskip(NEXT) | instid1(VALU_DEP_3)
	v_add_co_u32 v14, vcc_lo, s4, v14
	v_add_co_ci_u32_e32 v15, vcc_lo, s5, v15, vcc_lo
	global_load_b128 v[14:17], v[14:15], off
	s_waitcnt vmcnt(0)
	v_and_b32_e32 v11, 0xffff0000, v14
	v_lshlrev_b32_e32 v2, 16, v14
	v_lshlrev_b32_e32 v14, 16, v15
	v_and_b32_e32 v15, 0xffff0000, v15
	s_delay_alu instid0(VALU_DEP_4) | instskip(NEXT) | instid1(VALU_DEP_4)
	v_sub_f32_e32 v11, v11, v8
	v_sub_f32_e32 v2, v2, v8
	s_delay_alu instid0(VALU_DEP_3) | instskip(NEXT) | instid1(VALU_DEP_3)
	v_sub_f32_e32 v15, v15, v8
	v_dual_sub_f32 v14, v14, v8 :: v_dual_mul_f32 v11, 0x3fb8aa3b, v11
	s_delay_alu instid0(VALU_DEP_3) | instskip(NEXT) | instid1(VALU_DEP_3)
	v_mul_f32_e32 v2, 0x3fb8aa3b, v2
	v_dual_mul_f32 v15, 0x3fb8aa3b, v15 :: v_dual_lshlrev_b32 v18, 16, v16
	v_and_b32_e32 v16, 0xffff0000, v16
	s_delay_alu instid0(VALU_DEP_4) | instskip(NEXT) | instid1(VALU_DEP_3)
	v_exp_f32_e32 v11, v11
	v_exp_f32_e32 v2, v2
	s_delay_alu instid0(VALU_DEP_2) | instskip(SKIP_2) | instid1(VALU_DEP_1)
	v_sub_f32_e32 v18, v18, v8
	v_exp_f32_e32 v15, v15
	v_sub_f32_e32 v16, v16, v8
	v_mul_f32_e32 v16, 0x3fb8aa3b, v16
	s_waitcnt_depctr 0xfff
	v_add_f32_e32 v2, v12, v2
	v_lshlrev_b32_e32 v12, 16, v17
	s_delay_alu instid0(VALU_DEP_2) | instskip(SKIP_2) | instid1(VALU_DEP_4)
	v_dual_add_f32 v2, v2, v11 :: v_dual_and_b32 v11, 0xffff0000, v17
	v_mul_f32_e32 v14, 0x3fb8aa3b, v14
	v_mul_f32_e32 v18, 0x3fb8aa3b, v18
	v_sub_f32_e32 v12, v12, v8
	s_delay_alu instid0(VALU_DEP_4) | instskip(NEXT) | instid1(VALU_DEP_4)
	v_sub_f32_e32 v11, v11, v8
	v_exp_f32_e32 v14, v14
	s_delay_alu instid0(VALU_DEP_3) | instskip(NEXT) | instid1(VALU_DEP_1)
	v_exp_f32_e32 v17, v18
	v_dual_mul_f32 v12, 0x3fb8aa3b, v12 :: v_dual_mul_f32 v11, 0x3fb8aa3b, v11
	s_delay_alu instid0(VALU_DEP_1) | instskip(NEXT) | instid1(VALU_DEP_1)
	v_exp_f32_e32 v12, v12
	v_exp_f32_e32 v11, v11
	v_add_f32_e32 v2, v2, v14
	v_exp_f32_e32 v14, v16
	s_delay_alu instid0(VALU_DEP_1) | instskip(NEXT) | instid1(VALU_DEP_1)
	v_add_f32_e32 v2, v2, v15
	v_add_f32_e32 v2, v2, v17
	s_waitcnt_depctr 0xfff
	v_add_f32_e32 v2, v2, v14
	v_lshlrev_b32_e32 v14, 3, v1
	s_delay_alu instid0(VALU_DEP_2) | instskip(NEXT) | instid1(VALU_DEP_2)
	v_add_f32_e32 v2, v2, v12
	v_cmp_le_i32_e32 vcc_lo, s10, v14
	s_delay_alu instid0(VALU_DEP_2) | instskip(SKIP_1) | instid1(SALU_CYCLE_1)
	v_add_f32_e32 v12, v2, v11
	s_or_b32 s15, vcc_lo, s15
	s_and_not1_b32 exec_lo, exec_lo, s15
	s_cbranch_execnz .LBB483_29
; %bb.30:
	s_or_b32 exec_lo, exec_lo, s15
.LBB483_31:
	s_delay_alu instid0(SALU_CYCLE_1) | instskip(SKIP_2) | instid1(VALU_DEP_1)
	s_or_b32 exec_lo, exec_lo, s11
	v_add_nc_u32_e32 v1, s10, v0
	s_mov_b32 s10, exec_lo
	v_cmpx_gt_i32_e64 s19, v1
	s_cbranch_execz .LBB483_35
; %bb.32:
	s_mov_b32 s11, 0
	.p2align	6
.LBB483_33:                             ; =>This Inner Loop Header: Depth=1
	v_ashrrev_i32_e32 v2, 31, v1
	s_waitcnt_depctr 0xfff
	v_lshlrev_b64 v[14:15], 1, v[1:2]
	v_add_nc_u32_e32 v1, v1, v13
	s_delay_alu instid0(VALU_DEP_2) | instskip(NEXT) | instid1(VALU_DEP_3)
	v_add_co_u32 v14, vcc_lo, s4, v14
	v_add_co_ci_u32_e32 v15, vcc_lo, s5, v15, vcc_lo
	s_delay_alu instid0(VALU_DEP_3) | instskip(SKIP_4) | instid1(VALU_DEP_1)
	v_cmp_le_i32_e32 vcc_lo, s19, v1
	global_load_u16 v2, v[14:15], off
	s_or_b32 s11, vcc_lo, s11
	s_waitcnt vmcnt(0)
	v_lshlrev_b32_e32 v2, 16, v2
	v_sub_f32_e32 v2, v2, v8
	s_delay_alu instid0(VALU_DEP_1) | instskip(NEXT) | instid1(VALU_DEP_1)
	v_mul_f32_e32 v2, 0x3fb8aa3b, v2
	v_exp_f32_e32 v2, v2
	s_waitcnt_depctr 0xfff
	v_add_f32_e32 v12, v12, v2
	s_and_not1_b32 exec_lo, exec_lo, s11
	s_cbranch_execnz .LBB483_33
; %bb.34:
	s_or_b32 exec_lo, exec_lo, s11
.LBB483_35:
	s_delay_alu instid0(SALU_CYCLE_1)
	s_or_b32 exec_lo, exec_lo, s10
	ds_bpermute_b32 v1, v3, v12
	s_waitcnt lgkmcnt(0)
	s_barrier
	buffer_gl0_inv
	v_add_f32_e32 v1, v12, v1
	ds_bpermute_b32 v2, v4, v1
	s_waitcnt lgkmcnt(0)
	v_add_f32_e32 v1, v1, v2
	ds_bpermute_b32 v2, v5, v1
	s_waitcnt lgkmcnt(0)
	;; [unrolled: 3-line block ×3, first 2 shown]
	v_add_f32_e32 v1, v1, v2
	ds_bpermute_b32 v2, v7, v1
	s_and_saveexec_b32 s4, s2
	s_cbranch_execz .LBB483_37
; %bb.36:
	v_add_nc_u32_e32 v9, 0, v9
	s_waitcnt lgkmcnt(0)
	v_add_f32_e32 v1, v1, v2
	ds_store_b32 v9, v1
.LBB483_37:
	s_or_b32 exec_lo, exec_lo, s4
	v_mov_b32_e32 v1, 0
	s_waitcnt lgkmcnt(0)
	s_barrier
	buffer_gl0_inv
	s_and_saveexec_b32 s2, s0
	s_cbranch_execnz .LBB483_45
; %bb.38:
	s_or_b32 exec_lo, exec_lo, s2
	s_and_saveexec_b32 s0, s1
	s_cbranch_execnz .LBB483_46
.LBB483_39:
	s_or_b32 exec_lo, exec_lo, s0
	s_and_saveexec_b32 s0, s3
	s_cbranch_execz .LBB483_41
.LBB483_40:
	s_waitcnt lgkmcnt(0)
	v_div_scale_f32 v2, null, v1, v1, 1.0
	v_div_scale_f32 v5, vcc_lo, 1.0, v1, 1.0
	s_delay_alu instid0(VALU_DEP_2) | instskip(SKIP_2) | instid1(VALU_DEP_1)
	v_rcp_f32_e32 v3, v2
	s_waitcnt_depctr 0xfff
	v_fma_f32 v4, -v2, v3, 1.0
	v_fmac_f32_e32 v3, v4, v3
	s_delay_alu instid0(VALU_DEP_1) | instskip(NEXT) | instid1(VALU_DEP_1)
	v_mul_f32_e32 v4, v5, v3
	v_fma_f32 v6, -v2, v4, v5
	s_delay_alu instid0(VALU_DEP_1) | instskip(NEXT) | instid1(VALU_DEP_1)
	v_fmac_f32_e32 v4, v6, v3
	v_fma_f32 v2, -v2, v4, v5
	s_delay_alu instid0(VALU_DEP_1) | instskip(NEXT) | instid1(VALU_DEP_1)
	v_div_fmas_f32 v2, v2, v3, v4
	v_div_fixup_f32 v1, v2, v1, 1.0
	v_mov_b32_e32 v2, 0
	ds_store_b32 v2, v1
.LBB483_41:
	s_or_b32 exec_lo, exec_lo, s0
	s_waitcnt lgkmcnt(0)
	s_barrier
	buffer_gl0_inv
	s_mov_b32 s0, exec_lo
	v_cmpx_gt_i32_e64 s14, v0
	s_cbranch_execz .LBB483_44
; %bb.42:
	v_mov_b32_e32 v1, 0
	s_add_u32 s2, s8, s12
	s_mov_b32 s1, 0
	s_addc_u32 s3, s9, s13
	ds_load_b32 v2, v1
	s_set_inst_prefetch_distance 0x1
	.p2align	6
.LBB483_43:                             ; =>This Inner Loop Header: Depth=1
	v_ashrrev_i32_e32 v1, 31, v0
	s_delay_alu instid0(VALU_DEP_1) | instskip(SKIP_1) | instid1(VALU_DEP_2)
	v_lshlrev_b64 v[3:4], 1, v[0:1]
	v_add_nc_u32_e32 v0, s18, v0
	v_add_co_u32 v5, vcc_lo, s6, v3
	s_delay_alu instid0(VALU_DEP_3) | instskip(NEXT) | instid1(VALU_DEP_3)
	v_add_co_ci_u32_e32 v6, vcc_lo, s7, v4, vcc_lo
	v_cmp_le_i32_e32 vcc_lo, s14, v0
	global_load_u16 v1, v[5:6], off
	s_or_b32 s1, vcc_lo, s1
	s_waitcnt vmcnt(0)
	v_lshlrev_b32_e32 v1, 16, v1
	s_delay_alu instid0(VALU_DEP_1) | instskip(NEXT) | instid1(VALU_DEP_1)
	v_sub_f32_e32 v1, v1, v8
	v_mul_f32_e32 v1, 0x3fb8aa3b, v1
	s_delay_alu instid0(VALU_DEP_1) | instskip(SKIP_3) | instid1(VALU_DEP_1)
	v_exp_f32_e32 v1, v1
	s_waitcnt lgkmcnt(0)
	s_waitcnt_depctr 0xfff
	v_mul_f32_e32 v1, v2, v1
	v_bfe_u32 v5, v1, 16, 1
	v_cmp_o_f32_e64 s0, v1, v1
	s_delay_alu instid0(VALU_DEP_2) | instskip(NEXT) | instid1(VALU_DEP_1)
	v_add3_u32 v5, v1, v5, 0x7fff
	v_lshrrev_b32_e32 v5, 16, v5
	s_delay_alu instid0(VALU_DEP_1) | instskip(SKIP_1) | instid1(VALU_DEP_1)
	v_cndmask_b32_e64 v1, 0x7fc0, v5, s0
	v_add_co_u32 v3, s0, s2, v3
	v_add_co_ci_u32_e64 v4, s0, s3, v4, s0
	global_store_b16 v[3:4], v1, off
	s_and_not1_b32 exec_lo, exec_lo, s1
	s_cbranch_execnz .LBB483_43
.LBB483_44:
	s_set_inst_prefetch_distance 0x2
	s_nop 0
	s_sendmsg sendmsg(MSG_DEALLOC_VGPRS)
	s_endpgm
.LBB483_45:
	ds_load_b32 v1, v10
	s_or_b32 exec_lo, exec_lo, s2
	s_and_saveexec_b32 s0, s1
	s_cbranch_execz .LBB483_39
.LBB483_46:
	s_waitcnt lgkmcnt(0)
	ds_bpermute_b32 v2, v3, v1
	s_waitcnt lgkmcnt(0)
	v_add_f32_e32 v1, v1, v2
	ds_bpermute_b32 v2, v4, v1
	s_waitcnt lgkmcnt(0)
	v_add_f32_e32 v1, v1, v2
	;; [unrolled: 3-line block ×5, first 2 shown]
	s_or_b32 exec_lo, exec_lo, s0
	s_and_saveexec_b32 s0, s3
	s_cbranch_execnz .LBB483_40
	s_branch .LBB483_41
	.section	.rodata,"a",@progbits
	.p2align	6, 0x0
	.amdhsa_kernel _ZN2at6native12_GLOBAL__N_123cunn_SoftMaxForwardFastILi8EN3c108BFloat16EfS4_NS1_29SoftMaxForwardWithMulEpilogueEEEvPT2_PKT0_i
		.amdhsa_group_segment_fixed_size 0
		.amdhsa_private_segment_fixed_size 0
		.amdhsa_kernarg_size 280
		.amdhsa_user_sgpr_count 15
		.amdhsa_user_sgpr_dispatch_ptr 0
		.amdhsa_user_sgpr_queue_ptr 0
		.amdhsa_user_sgpr_kernarg_segment_ptr 1
		.amdhsa_user_sgpr_dispatch_id 0
		.amdhsa_user_sgpr_private_segment_size 0
		.amdhsa_wavefront_size32 1
		.amdhsa_uses_dynamic_stack 0
		.amdhsa_enable_private_segment 0
		.amdhsa_system_sgpr_workgroup_id_x 1
		.amdhsa_system_sgpr_workgroup_id_y 0
		.amdhsa_system_sgpr_workgroup_id_z 0
		.amdhsa_system_sgpr_workgroup_info 0
		.amdhsa_system_vgpr_workitem_id 0
		.amdhsa_next_free_vgpr 19
		.amdhsa_next_free_sgpr 20
		.amdhsa_reserve_vcc 1
		.amdhsa_float_round_mode_32 0
		.amdhsa_float_round_mode_16_64 0
		.amdhsa_float_denorm_mode_32 3
		.amdhsa_float_denorm_mode_16_64 3
		.amdhsa_dx10_clamp 1
		.amdhsa_ieee_mode 1
		.amdhsa_fp16_overflow 0
		.amdhsa_workgroup_processor_mode 1
		.amdhsa_memory_ordered 1
		.amdhsa_forward_progress 0
		.amdhsa_shared_vgpr_count 0
		.amdhsa_exception_fp_ieee_invalid_op 0
		.amdhsa_exception_fp_denorm_src 0
		.amdhsa_exception_fp_ieee_div_zero 0
		.amdhsa_exception_fp_ieee_overflow 0
		.amdhsa_exception_fp_ieee_underflow 0
		.amdhsa_exception_fp_ieee_inexact 0
		.amdhsa_exception_int_div_zero 0
	.end_amdhsa_kernel
	.section	.text._ZN2at6native12_GLOBAL__N_123cunn_SoftMaxForwardFastILi8EN3c108BFloat16EfS4_NS1_29SoftMaxForwardWithMulEpilogueEEEvPT2_PKT0_i,"axG",@progbits,_ZN2at6native12_GLOBAL__N_123cunn_SoftMaxForwardFastILi8EN3c108BFloat16EfS4_NS1_29SoftMaxForwardWithMulEpilogueEEEvPT2_PKT0_i,comdat
.Lfunc_end483:
	.size	_ZN2at6native12_GLOBAL__N_123cunn_SoftMaxForwardFastILi8EN3c108BFloat16EfS4_NS1_29SoftMaxForwardWithMulEpilogueEEEvPT2_PKT0_i, .Lfunc_end483-_ZN2at6native12_GLOBAL__N_123cunn_SoftMaxForwardFastILi8EN3c108BFloat16EfS4_NS1_29SoftMaxForwardWithMulEpilogueEEEvPT2_PKT0_i
                                        ; -- End function
	.section	.AMDGPU.csdata,"",@progbits
; Kernel info:
; codeLenInByte = 2892
; NumSgprs: 22
; NumVgprs: 19
; ScratchSize: 0
; MemoryBound: 0
; FloatMode: 240
; IeeeMode: 1
; LDSByteSize: 0 bytes/workgroup (compile time only)
; SGPRBlocks: 2
; VGPRBlocks: 2
; NumSGPRsForWavesPerEU: 22
; NumVGPRsForWavesPerEU: 19
; Occupancy: 16
; WaveLimiterHint : 0
; COMPUTE_PGM_RSRC2:SCRATCH_EN: 0
; COMPUTE_PGM_RSRC2:USER_SGPR: 15
; COMPUTE_PGM_RSRC2:TRAP_HANDLER: 0
; COMPUTE_PGM_RSRC2:TGID_X_EN: 1
; COMPUTE_PGM_RSRC2:TGID_Y_EN: 0
; COMPUTE_PGM_RSRC2:TGID_Z_EN: 0
; COMPUTE_PGM_RSRC2:TIDIG_COMP_CNT: 0
	.section	.text._ZN12_GLOBAL__N_120softmax_warp_forwardIN3c108BFloat16EffLi0ELb0ELb0ELi64EEEvPT0_PKT_iiiPKbib,"axG",@progbits,_ZN12_GLOBAL__N_120softmax_warp_forwardIN3c108BFloat16EffLi0ELb0ELb0ELi64EEEvPT0_PKT_iiiPKbib,comdat
	.globl	_ZN12_GLOBAL__N_120softmax_warp_forwardIN3c108BFloat16EffLi0ELb0ELb0ELi64EEEvPT0_PKT_iiiPKbib ; -- Begin function _ZN12_GLOBAL__N_120softmax_warp_forwardIN3c108BFloat16EffLi0ELb0ELb0ELi64EEEvPT0_PKT_iiiPKbib
	.p2align	8
	.type	_ZN12_GLOBAL__N_120softmax_warp_forwardIN3c108BFloat16EffLi0ELb0ELb0ELi64EEEvPT0_PKT_iiiPKbib,@function
_ZN12_GLOBAL__N_120softmax_warp_forwardIN3c108BFloat16EffLi0ELb0ELb0ELi64EEEvPT0_PKT_iiiPKbib: ; @_ZN12_GLOBAL__N_120softmax_warp_forwardIN3c108BFloat16EffLi0ELb0ELb0ELi64EEEvPT0_PKT_iiiPKbib
; %bb.0:
	s_clause 0x1
	s_load_b32 s2, s[0:1], 0x3c
	s_load_b256 s[4:11], s[0:1], 0x0
	v_bfe_u32 v1, v0, 10, 10
	v_and_b32_e32 v2, 0x3ff, v0
	v_mov_b32_e32 v5, 0xff800000
	s_waitcnt lgkmcnt(0)
	s_lshr_b32 s0, s2, 16
	s_delay_alu instid0(SALU_CYCLE_1) | instskip(SKIP_2) | instid1(VALU_DEP_1)
	s_mul_i32 s15, s15, s0
	v_cmp_gt_i32_e64 s0, s10, v2
	v_add_lshl_u32 v3, s15, v1, 1
	v_mad_u64_u32 v[0:1], null, v3, s9, v[2:3]
	v_sub_nc_u32_e32 v4, s8, v3
	s_delay_alu instid0(VALU_DEP_1) | instskip(NEXT) | instid1(VALU_DEP_3)
	v_cmp_lt_i32_e32 vcc_lo, 0, v4
	v_ashrrev_i32_e32 v1, 31, v0
	s_and_b32 s2, s0, vcc_lo
	s_delay_alu instid0(VALU_DEP_1) | instskip(NEXT) | instid1(VALU_DEP_1)
	v_lshlrev_b64 v[6:7], 1, v[0:1]
	v_add_co_u32 v2, s1, s6, v6
	v_mov_b32_e32 v6, 0xff800000
	s_delay_alu instid0(VALU_DEP_3)
	v_add_co_ci_u32_e64 v3, s1, s7, v7, s1
	s_and_saveexec_b32 s1, s2
	s_cbranch_execz .LBB484_2
; %bb.1:
	global_load_u16 v6, v[2:3], off
	s_waitcnt vmcnt(0)
	v_lshlrev_b32_e32 v6, 16, v6
.LBB484_2:
	s_or_b32 exec_lo, exec_lo, s1
	v_cmp_lt_i32_e64 s1, 1, v4
	s_delay_alu instid0(VALU_DEP_1) | instskip(NEXT) | instid1(SALU_CYCLE_1)
	s_and_b32 s1, s0, s1
	s_and_saveexec_b32 s2, s1
	s_cbranch_execz .LBB484_4
; %bb.3:
	s_mov_b32 s11, 0
	s_delay_alu instid0(SALU_CYCLE_1) | instskip(NEXT) | instid1(SALU_CYCLE_1)
	s_lshl_b64 s[6:7], s[10:11], 1
	v_add_co_u32 v2, s1, v2, s6
	s_delay_alu instid0(VALU_DEP_1)
	v_add_co_ci_u32_e64 v3, s1, s7, v3, s1
	global_load_u16 v2, v[2:3], off
	s_waitcnt vmcnt(0)
	v_lshlrev_b32_e32 v5, 16, v2
.LBB484_4:
	s_or_b32 exec_lo, exec_lo, s2
	s_and_saveexec_b32 s1, vcc_lo
	s_cbranch_execz .LBB484_10
; %bb.5:
	v_lshlrev_b64 v[0:1], 2, v[0:1]
	s_delay_alu instid0(VALU_DEP_1) | instskip(NEXT) | instid1(VALU_DEP_2)
	v_add_co_u32 v0, vcc_lo, s4, v0
	v_add_co_ci_u32_e32 v1, vcc_lo, s5, v1, vcc_lo
	s_and_saveexec_b32 s1, s0
	s_cbranch_execz .LBB484_7
; %bb.6:
	v_sub_f32_e32 v2, v6, v6
	s_delay_alu instid0(VALU_DEP_1) | instskip(NEXT) | instid1(VALU_DEP_1)
	v_mul_f32_e32 v3, 0x3fb8aa3b, v2
	v_rndne_f32_e32 v6, v3
	v_fma_f32 v7, 0x3fb8aa3b, v2, -v3
	s_delay_alu instid0(VALU_DEP_2) | instskip(NEXT) | instid1(VALU_DEP_2)
	v_sub_f32_e32 v3, v3, v6
	v_fmamk_f32 v7, v2, 0x32a5705f, v7
	v_cvt_i32_f32_e32 v6, v6
	s_delay_alu instid0(VALU_DEP_2) | instskip(SKIP_1) | instid1(VALU_DEP_2)
	v_add_f32_e32 v3, v3, v7
	v_cmp_ngt_f32_e32 vcc_lo, 0xc2ce8ed0, v2
	v_exp_f32_e32 v3, v3
	s_waitcnt_depctr 0xfff
	v_ldexp_f32 v3, v3, v6
	s_delay_alu instid0(VALU_DEP_1) | instskip(SKIP_1) | instid1(VALU_DEP_2)
	v_cndmask_b32_e32 v3, 0, v3, vcc_lo
	v_cmp_nlt_f32_e32 vcc_lo, 0x42b17218, v2
	v_cndmask_b32_e32 v2, 0x7f800000, v3, vcc_lo
	s_delay_alu instid0(VALU_DEP_1) | instskip(NEXT) | instid1(VALU_DEP_1)
	v_div_scale_f32 v3, vcc_lo, v2, v2, v2
	v_rcp_f32_e32 v6, v3
	s_waitcnt_depctr 0xfff
	v_fma_f32 v7, -v3, v6, 1.0
	s_delay_alu instid0(VALU_DEP_1) | instskip(NEXT) | instid1(VALU_DEP_1)
	v_fmac_f32_e32 v6, v7, v6
	v_mul_f32_e32 v7, v3, v6
	s_delay_alu instid0(VALU_DEP_1) | instskip(NEXT) | instid1(VALU_DEP_1)
	v_fma_f32 v8, -v3, v7, v3
	v_fmac_f32_e32 v7, v8, v6
	s_delay_alu instid0(VALU_DEP_1) | instskip(NEXT) | instid1(VALU_DEP_1)
	v_fma_f32 v3, -v3, v7, v3
	v_div_fmas_f32 v3, v3, v6, v7
	v_cmp_neq_f32_e32 vcc_lo, 0, v2
	s_delay_alu instid0(VALU_DEP_2) | instskip(NEXT) | instid1(VALU_DEP_1)
	v_div_fixup_f32 v3, v3, v2, v2
	v_cndmask_b32_e32 v2, 0x7fc00000, v3, vcc_lo
	global_store_b32 v[0:1], v2, off
.LBB484_7:
	s_or_b32 exec_lo, exec_lo, s1
	v_cmp_ne_u32_e32 vcc_lo, 1, v4
	s_and_b32 exec_lo, exec_lo, vcc_lo
	s_cbranch_execz .LBB484_10
; %bb.8:
	s_and_b32 exec_lo, exec_lo, s0
	s_cbranch_execz .LBB484_10
; %bb.9:
	v_sub_f32_e32 v2, v5, v5
	s_mov_b32 s11, 0
	s_delay_alu instid0(SALU_CYCLE_1) | instskip(NEXT) | instid1(VALU_DEP_1)
	s_lshl_b64 s[0:1], s[10:11], 2
	v_mul_f32_e32 v3, 0x3fb8aa3b, v2
	s_delay_alu instid0(VALU_DEP_1) | instskip(SKIP_1) | instid1(VALU_DEP_2)
	v_rndne_f32_e32 v4, v3
	v_fma_f32 v5, 0x3fb8aa3b, v2, -v3
	v_sub_f32_e32 v3, v3, v4
	s_delay_alu instid0(VALU_DEP_2) | instskip(SKIP_2) | instid1(VALU_DEP_3)
	v_fmamk_f32 v5, v2, 0x32a5705f, v5
	v_cvt_i32_f32_e32 v4, v4
	v_cmp_ngt_f32_e32 vcc_lo, 0xc2ce8ed0, v2
	v_add_f32_e32 v3, v3, v5
	s_delay_alu instid0(VALU_DEP_1) | instskip(SKIP_2) | instid1(VALU_DEP_1)
	v_exp_f32_e32 v3, v3
	s_waitcnt_depctr 0xfff
	v_ldexp_f32 v3, v3, v4
	v_cndmask_b32_e32 v3, 0, v3, vcc_lo
	v_cmp_nlt_f32_e32 vcc_lo, 0x42b17218, v2
	s_delay_alu instid0(VALU_DEP_2) | instskip(NEXT) | instid1(VALU_DEP_1)
	v_cndmask_b32_e32 v2, 0x7f800000, v3, vcc_lo
	v_div_scale_f32 v3, vcc_lo, v2, v2, v2
	s_delay_alu instid0(VALU_DEP_1) | instskip(SKIP_2) | instid1(VALU_DEP_1)
	v_rcp_f32_e32 v4, v3
	s_waitcnt_depctr 0xfff
	v_fma_f32 v5, -v3, v4, 1.0
	v_fmac_f32_e32 v4, v5, v4
	s_delay_alu instid0(VALU_DEP_1) | instskip(NEXT) | instid1(VALU_DEP_1)
	v_mul_f32_e32 v5, v3, v4
	v_fma_f32 v6, -v3, v5, v3
	s_delay_alu instid0(VALU_DEP_1) | instskip(NEXT) | instid1(VALU_DEP_1)
	v_fmac_f32_e32 v5, v6, v4
	v_fma_f32 v3, -v3, v5, v3
	s_delay_alu instid0(VALU_DEP_1) | instskip(SKIP_2) | instid1(VALU_DEP_3)
	v_div_fmas_f32 v3, v3, v4, v5
	v_add_co_u32 v0, vcc_lo, v0, s0
	v_add_co_ci_u32_e32 v1, vcc_lo, s1, v1, vcc_lo
	v_div_fixup_f32 v3, v3, v2, v2
	v_cmp_neq_f32_e32 vcc_lo, 0, v2
	s_delay_alu instid0(VALU_DEP_2)
	v_cndmask_b32_e32 v2, 0x7fc00000, v3, vcc_lo
	global_store_b32 v[0:1], v2, off
.LBB484_10:
	s_nop 0
	s_sendmsg sendmsg(MSG_DEALLOC_VGPRS)
	s_endpgm
	.section	.rodata,"a",@progbits
	.p2align	6, 0x0
	.amdhsa_kernel _ZN12_GLOBAL__N_120softmax_warp_forwardIN3c108BFloat16EffLi0ELb0ELb0ELi64EEEvPT0_PKT_iiiPKbib
		.amdhsa_group_segment_fixed_size 0
		.amdhsa_private_segment_fixed_size 0
		.amdhsa_kernarg_size 304
		.amdhsa_user_sgpr_count 15
		.amdhsa_user_sgpr_dispatch_ptr 0
		.amdhsa_user_sgpr_queue_ptr 0
		.amdhsa_user_sgpr_kernarg_segment_ptr 1
		.amdhsa_user_sgpr_dispatch_id 0
		.amdhsa_user_sgpr_private_segment_size 0
		.amdhsa_wavefront_size32 1
		.amdhsa_uses_dynamic_stack 0
		.amdhsa_enable_private_segment 0
		.amdhsa_system_sgpr_workgroup_id_x 1
		.amdhsa_system_sgpr_workgroup_id_y 0
		.amdhsa_system_sgpr_workgroup_id_z 0
		.amdhsa_system_sgpr_workgroup_info 0
		.amdhsa_system_vgpr_workitem_id 1
		.amdhsa_next_free_vgpr 9
		.amdhsa_next_free_sgpr 16
		.amdhsa_reserve_vcc 1
		.amdhsa_float_round_mode_32 0
		.amdhsa_float_round_mode_16_64 0
		.amdhsa_float_denorm_mode_32 3
		.amdhsa_float_denorm_mode_16_64 3
		.amdhsa_dx10_clamp 1
		.amdhsa_ieee_mode 1
		.amdhsa_fp16_overflow 0
		.amdhsa_workgroup_processor_mode 1
		.amdhsa_memory_ordered 1
		.amdhsa_forward_progress 0
		.amdhsa_shared_vgpr_count 0
		.amdhsa_exception_fp_ieee_invalid_op 0
		.amdhsa_exception_fp_denorm_src 0
		.amdhsa_exception_fp_ieee_div_zero 0
		.amdhsa_exception_fp_ieee_overflow 0
		.amdhsa_exception_fp_ieee_underflow 0
		.amdhsa_exception_fp_ieee_inexact 0
		.amdhsa_exception_int_div_zero 0
	.end_amdhsa_kernel
	.section	.text._ZN12_GLOBAL__N_120softmax_warp_forwardIN3c108BFloat16EffLi0ELb0ELb0ELi64EEEvPT0_PKT_iiiPKbib,"axG",@progbits,_ZN12_GLOBAL__N_120softmax_warp_forwardIN3c108BFloat16EffLi0ELb0ELb0ELi64EEEvPT0_PKT_iiiPKbib,comdat
.Lfunc_end484:
	.size	_ZN12_GLOBAL__N_120softmax_warp_forwardIN3c108BFloat16EffLi0ELb0ELb0ELi64EEEvPT0_PKT_iiiPKbib, .Lfunc_end484-_ZN12_GLOBAL__N_120softmax_warp_forwardIN3c108BFloat16EffLi0ELb0ELb0ELi64EEEvPT0_PKT_iiiPKbib
                                        ; -- End function
	.section	.AMDGPU.csdata,"",@progbits
; Kernel info:
; codeLenInByte = 780
; NumSgprs: 18
; NumVgprs: 9
; ScratchSize: 0
; MemoryBound: 0
; FloatMode: 240
; IeeeMode: 1
; LDSByteSize: 0 bytes/workgroup (compile time only)
; SGPRBlocks: 2
; VGPRBlocks: 1
; NumSGPRsForWavesPerEU: 18
; NumVGPRsForWavesPerEU: 9
; Occupancy: 16
; WaveLimiterHint : 0
; COMPUTE_PGM_RSRC2:SCRATCH_EN: 0
; COMPUTE_PGM_RSRC2:USER_SGPR: 15
; COMPUTE_PGM_RSRC2:TRAP_HANDLER: 0
; COMPUTE_PGM_RSRC2:TGID_X_EN: 1
; COMPUTE_PGM_RSRC2:TGID_Y_EN: 0
; COMPUTE_PGM_RSRC2:TGID_Z_EN: 0
; COMPUTE_PGM_RSRC2:TIDIG_COMP_CNT: 1
	.section	.text._ZN12_GLOBAL__N_120softmax_warp_forwardIN3c108BFloat16EffLi0ELb0ELb0ELi32EEEvPT0_PKT_iiiPKbib,"axG",@progbits,_ZN12_GLOBAL__N_120softmax_warp_forwardIN3c108BFloat16EffLi0ELb0ELb0ELi32EEEvPT0_PKT_iiiPKbib,comdat
	.globl	_ZN12_GLOBAL__N_120softmax_warp_forwardIN3c108BFloat16EffLi0ELb0ELb0ELi32EEEvPT0_PKT_iiiPKbib ; -- Begin function _ZN12_GLOBAL__N_120softmax_warp_forwardIN3c108BFloat16EffLi0ELb0ELb0ELi32EEEvPT0_PKT_iiiPKbib
	.p2align	8
	.type	_ZN12_GLOBAL__N_120softmax_warp_forwardIN3c108BFloat16EffLi0ELb0ELb0ELi32EEEvPT0_PKT_iiiPKbib,@function
_ZN12_GLOBAL__N_120softmax_warp_forwardIN3c108BFloat16EffLi0ELb0ELb0ELi32EEEvPT0_PKT_iiiPKbib: ; @_ZN12_GLOBAL__N_120softmax_warp_forwardIN3c108BFloat16EffLi0ELb0ELb0ELi32EEEvPT0_PKT_iiiPKbib
; %bb.0:
	s_clause 0x1
	s_load_b32 s2, s[0:1], 0x3c
	s_load_b256 s[4:11], s[0:1], 0x0
	v_bfe_u32 v1, v0, 10, 10
	v_and_b32_e32 v2, 0x3ff, v0
	v_mov_b32_e32 v5, 0xff800000
	s_waitcnt lgkmcnt(0)
	s_lshr_b32 s0, s2, 16
	s_delay_alu instid0(SALU_CYCLE_1) | instskip(SKIP_2) | instid1(VALU_DEP_1)
	s_mul_i32 s15, s15, s0
	v_cmp_gt_i32_e64 s0, s10, v2
	v_add_lshl_u32 v3, s15, v1, 1
	v_mad_u64_u32 v[0:1], null, v3, s9, v[2:3]
	v_sub_nc_u32_e32 v4, s8, v3
	s_delay_alu instid0(VALU_DEP_1) | instskip(NEXT) | instid1(VALU_DEP_3)
	v_cmp_lt_i32_e32 vcc_lo, 0, v4
	v_ashrrev_i32_e32 v1, 31, v0
	s_and_b32 s2, s0, vcc_lo
	s_delay_alu instid0(VALU_DEP_1) | instskip(NEXT) | instid1(VALU_DEP_1)
	v_lshlrev_b64 v[6:7], 1, v[0:1]
	v_add_co_u32 v2, s1, s6, v6
	v_mov_b32_e32 v6, 0xff800000
	s_delay_alu instid0(VALU_DEP_3)
	v_add_co_ci_u32_e64 v3, s1, s7, v7, s1
	s_and_saveexec_b32 s1, s2
	s_cbranch_execz .LBB485_2
; %bb.1:
	global_load_u16 v6, v[2:3], off
	s_waitcnt vmcnt(0)
	v_lshlrev_b32_e32 v6, 16, v6
.LBB485_2:
	s_or_b32 exec_lo, exec_lo, s1
	v_cmp_lt_i32_e64 s1, 1, v4
	s_delay_alu instid0(VALU_DEP_1) | instskip(NEXT) | instid1(SALU_CYCLE_1)
	s_and_b32 s1, s0, s1
	s_and_saveexec_b32 s2, s1
	s_cbranch_execz .LBB485_4
; %bb.3:
	s_mov_b32 s11, 0
	s_delay_alu instid0(SALU_CYCLE_1) | instskip(NEXT) | instid1(SALU_CYCLE_1)
	s_lshl_b64 s[6:7], s[10:11], 1
	v_add_co_u32 v2, s1, v2, s6
	s_delay_alu instid0(VALU_DEP_1)
	v_add_co_ci_u32_e64 v3, s1, s7, v3, s1
	global_load_u16 v2, v[2:3], off
	s_waitcnt vmcnt(0)
	v_lshlrev_b32_e32 v5, 16, v2
.LBB485_4:
	s_or_b32 exec_lo, exec_lo, s2
	s_and_saveexec_b32 s1, vcc_lo
	s_cbranch_execz .LBB485_10
; %bb.5:
	v_lshlrev_b64 v[0:1], 2, v[0:1]
	s_delay_alu instid0(VALU_DEP_1) | instskip(NEXT) | instid1(VALU_DEP_2)
	v_add_co_u32 v0, vcc_lo, s4, v0
	v_add_co_ci_u32_e32 v1, vcc_lo, s5, v1, vcc_lo
	s_and_saveexec_b32 s1, s0
	s_cbranch_execz .LBB485_7
; %bb.6:
	v_sub_f32_e32 v2, v6, v6
	s_delay_alu instid0(VALU_DEP_1) | instskip(NEXT) | instid1(VALU_DEP_1)
	v_mul_f32_e32 v3, 0x3fb8aa3b, v2
	v_rndne_f32_e32 v6, v3
	v_fma_f32 v7, 0x3fb8aa3b, v2, -v3
	s_delay_alu instid0(VALU_DEP_2) | instskip(NEXT) | instid1(VALU_DEP_2)
	v_sub_f32_e32 v3, v3, v6
	v_fmamk_f32 v7, v2, 0x32a5705f, v7
	v_cvt_i32_f32_e32 v6, v6
	s_delay_alu instid0(VALU_DEP_2) | instskip(SKIP_1) | instid1(VALU_DEP_2)
	v_add_f32_e32 v3, v3, v7
	v_cmp_ngt_f32_e32 vcc_lo, 0xc2ce8ed0, v2
	v_exp_f32_e32 v3, v3
	s_waitcnt_depctr 0xfff
	v_ldexp_f32 v3, v3, v6
	s_delay_alu instid0(VALU_DEP_1) | instskip(SKIP_1) | instid1(VALU_DEP_2)
	v_cndmask_b32_e32 v3, 0, v3, vcc_lo
	v_cmp_nlt_f32_e32 vcc_lo, 0x42b17218, v2
	v_cndmask_b32_e32 v2, 0x7f800000, v3, vcc_lo
	s_delay_alu instid0(VALU_DEP_1) | instskip(NEXT) | instid1(VALU_DEP_1)
	v_div_scale_f32 v3, vcc_lo, v2, v2, v2
	v_rcp_f32_e32 v6, v3
	s_waitcnt_depctr 0xfff
	v_fma_f32 v7, -v3, v6, 1.0
	s_delay_alu instid0(VALU_DEP_1) | instskip(NEXT) | instid1(VALU_DEP_1)
	v_fmac_f32_e32 v6, v7, v6
	v_mul_f32_e32 v7, v3, v6
	s_delay_alu instid0(VALU_DEP_1) | instskip(NEXT) | instid1(VALU_DEP_1)
	v_fma_f32 v8, -v3, v7, v3
	v_fmac_f32_e32 v7, v8, v6
	s_delay_alu instid0(VALU_DEP_1) | instskip(NEXT) | instid1(VALU_DEP_1)
	v_fma_f32 v3, -v3, v7, v3
	v_div_fmas_f32 v3, v3, v6, v7
	v_cmp_neq_f32_e32 vcc_lo, 0, v2
	s_delay_alu instid0(VALU_DEP_2) | instskip(NEXT) | instid1(VALU_DEP_1)
	v_div_fixup_f32 v3, v3, v2, v2
	v_cndmask_b32_e32 v2, 0x7fc00000, v3, vcc_lo
	global_store_b32 v[0:1], v2, off
.LBB485_7:
	s_or_b32 exec_lo, exec_lo, s1
	v_cmp_ne_u32_e32 vcc_lo, 1, v4
	s_and_b32 exec_lo, exec_lo, vcc_lo
	s_cbranch_execz .LBB485_10
; %bb.8:
	s_and_b32 exec_lo, exec_lo, s0
	s_cbranch_execz .LBB485_10
; %bb.9:
	v_sub_f32_e32 v2, v5, v5
	s_mov_b32 s11, 0
	s_delay_alu instid0(SALU_CYCLE_1) | instskip(NEXT) | instid1(VALU_DEP_1)
	s_lshl_b64 s[0:1], s[10:11], 2
	v_mul_f32_e32 v3, 0x3fb8aa3b, v2
	s_delay_alu instid0(VALU_DEP_1) | instskip(SKIP_1) | instid1(VALU_DEP_2)
	v_rndne_f32_e32 v4, v3
	v_fma_f32 v5, 0x3fb8aa3b, v2, -v3
	v_sub_f32_e32 v3, v3, v4
	s_delay_alu instid0(VALU_DEP_2) | instskip(SKIP_2) | instid1(VALU_DEP_3)
	v_fmamk_f32 v5, v2, 0x32a5705f, v5
	v_cvt_i32_f32_e32 v4, v4
	v_cmp_ngt_f32_e32 vcc_lo, 0xc2ce8ed0, v2
	v_add_f32_e32 v3, v3, v5
	s_delay_alu instid0(VALU_DEP_1) | instskip(SKIP_2) | instid1(VALU_DEP_1)
	v_exp_f32_e32 v3, v3
	s_waitcnt_depctr 0xfff
	v_ldexp_f32 v3, v3, v4
	v_cndmask_b32_e32 v3, 0, v3, vcc_lo
	v_cmp_nlt_f32_e32 vcc_lo, 0x42b17218, v2
	s_delay_alu instid0(VALU_DEP_2) | instskip(NEXT) | instid1(VALU_DEP_1)
	v_cndmask_b32_e32 v2, 0x7f800000, v3, vcc_lo
	v_div_scale_f32 v3, vcc_lo, v2, v2, v2
	s_delay_alu instid0(VALU_DEP_1) | instskip(SKIP_2) | instid1(VALU_DEP_1)
	v_rcp_f32_e32 v4, v3
	s_waitcnt_depctr 0xfff
	v_fma_f32 v5, -v3, v4, 1.0
	v_fmac_f32_e32 v4, v5, v4
	s_delay_alu instid0(VALU_DEP_1) | instskip(NEXT) | instid1(VALU_DEP_1)
	v_mul_f32_e32 v5, v3, v4
	v_fma_f32 v6, -v3, v5, v3
	s_delay_alu instid0(VALU_DEP_1) | instskip(NEXT) | instid1(VALU_DEP_1)
	v_fmac_f32_e32 v5, v6, v4
	v_fma_f32 v3, -v3, v5, v3
	s_delay_alu instid0(VALU_DEP_1) | instskip(SKIP_2) | instid1(VALU_DEP_3)
	v_div_fmas_f32 v3, v3, v4, v5
	v_add_co_u32 v0, vcc_lo, v0, s0
	v_add_co_ci_u32_e32 v1, vcc_lo, s1, v1, vcc_lo
	v_div_fixup_f32 v3, v3, v2, v2
	v_cmp_neq_f32_e32 vcc_lo, 0, v2
	s_delay_alu instid0(VALU_DEP_2)
	v_cndmask_b32_e32 v2, 0x7fc00000, v3, vcc_lo
	global_store_b32 v[0:1], v2, off
.LBB485_10:
	s_nop 0
	s_sendmsg sendmsg(MSG_DEALLOC_VGPRS)
	s_endpgm
	.section	.rodata,"a",@progbits
	.p2align	6, 0x0
	.amdhsa_kernel _ZN12_GLOBAL__N_120softmax_warp_forwardIN3c108BFloat16EffLi0ELb0ELb0ELi32EEEvPT0_PKT_iiiPKbib
		.amdhsa_group_segment_fixed_size 0
		.amdhsa_private_segment_fixed_size 0
		.amdhsa_kernarg_size 304
		.amdhsa_user_sgpr_count 15
		.amdhsa_user_sgpr_dispatch_ptr 0
		.amdhsa_user_sgpr_queue_ptr 0
		.amdhsa_user_sgpr_kernarg_segment_ptr 1
		.amdhsa_user_sgpr_dispatch_id 0
		.amdhsa_user_sgpr_private_segment_size 0
		.amdhsa_wavefront_size32 1
		.amdhsa_uses_dynamic_stack 0
		.amdhsa_enable_private_segment 0
		.amdhsa_system_sgpr_workgroup_id_x 1
		.amdhsa_system_sgpr_workgroup_id_y 0
		.amdhsa_system_sgpr_workgroup_id_z 0
		.amdhsa_system_sgpr_workgroup_info 0
		.amdhsa_system_vgpr_workitem_id 1
		.amdhsa_next_free_vgpr 9
		.amdhsa_next_free_sgpr 16
		.amdhsa_reserve_vcc 1
		.amdhsa_float_round_mode_32 0
		.amdhsa_float_round_mode_16_64 0
		.amdhsa_float_denorm_mode_32 3
		.amdhsa_float_denorm_mode_16_64 3
		.amdhsa_dx10_clamp 1
		.amdhsa_ieee_mode 1
		.amdhsa_fp16_overflow 0
		.amdhsa_workgroup_processor_mode 1
		.amdhsa_memory_ordered 1
		.amdhsa_forward_progress 0
		.amdhsa_shared_vgpr_count 0
		.amdhsa_exception_fp_ieee_invalid_op 0
		.amdhsa_exception_fp_denorm_src 0
		.amdhsa_exception_fp_ieee_div_zero 0
		.amdhsa_exception_fp_ieee_overflow 0
		.amdhsa_exception_fp_ieee_underflow 0
		.amdhsa_exception_fp_ieee_inexact 0
		.amdhsa_exception_int_div_zero 0
	.end_amdhsa_kernel
	.section	.text._ZN12_GLOBAL__N_120softmax_warp_forwardIN3c108BFloat16EffLi0ELb0ELb0ELi32EEEvPT0_PKT_iiiPKbib,"axG",@progbits,_ZN12_GLOBAL__N_120softmax_warp_forwardIN3c108BFloat16EffLi0ELb0ELb0ELi32EEEvPT0_PKT_iiiPKbib,comdat
.Lfunc_end485:
	.size	_ZN12_GLOBAL__N_120softmax_warp_forwardIN3c108BFloat16EffLi0ELb0ELb0ELi32EEEvPT0_PKT_iiiPKbib, .Lfunc_end485-_ZN12_GLOBAL__N_120softmax_warp_forwardIN3c108BFloat16EffLi0ELb0ELb0ELi32EEEvPT0_PKT_iiiPKbib
                                        ; -- End function
	.section	.AMDGPU.csdata,"",@progbits
; Kernel info:
; codeLenInByte = 780
; NumSgprs: 18
; NumVgprs: 9
; ScratchSize: 0
; MemoryBound: 0
; FloatMode: 240
; IeeeMode: 1
; LDSByteSize: 0 bytes/workgroup (compile time only)
; SGPRBlocks: 2
; VGPRBlocks: 1
; NumSGPRsForWavesPerEU: 18
; NumVGPRsForWavesPerEU: 9
; Occupancy: 16
; WaveLimiterHint : 0
; COMPUTE_PGM_RSRC2:SCRATCH_EN: 0
; COMPUTE_PGM_RSRC2:USER_SGPR: 15
; COMPUTE_PGM_RSRC2:TRAP_HANDLER: 0
; COMPUTE_PGM_RSRC2:TGID_X_EN: 1
; COMPUTE_PGM_RSRC2:TGID_Y_EN: 0
; COMPUTE_PGM_RSRC2:TGID_Z_EN: 0
; COMPUTE_PGM_RSRC2:TIDIG_COMP_CNT: 1
	.section	.text._ZN12_GLOBAL__N_120softmax_warp_forwardIN3c108BFloat16EffLi1ELb0ELb0ELi64EEEvPT0_PKT_iiiPKbib,"axG",@progbits,_ZN12_GLOBAL__N_120softmax_warp_forwardIN3c108BFloat16EffLi1ELb0ELb0ELi64EEEvPT0_PKT_iiiPKbib,comdat
	.globl	_ZN12_GLOBAL__N_120softmax_warp_forwardIN3c108BFloat16EffLi1ELb0ELb0ELi64EEEvPT0_PKT_iiiPKbib ; -- Begin function _ZN12_GLOBAL__N_120softmax_warp_forwardIN3c108BFloat16EffLi1ELb0ELb0ELi64EEEvPT0_PKT_iiiPKbib
	.p2align	8
	.type	_ZN12_GLOBAL__N_120softmax_warp_forwardIN3c108BFloat16EffLi1ELb0ELb0ELi64EEEvPT0_PKT_iiiPKbib,@function
_ZN12_GLOBAL__N_120softmax_warp_forwardIN3c108BFloat16EffLi1ELb0ELb0ELi64EEEvPT0_PKT_iiiPKbib: ; @_ZN12_GLOBAL__N_120softmax_warp_forwardIN3c108BFloat16EffLi1ELb0ELb0ELi64EEEvPT0_PKT_iiiPKbib
; %bb.0:
	s_clause 0x1
	s_load_b32 s2, s[0:1], 0x3c
	s_load_b256 s[4:11], s[0:1], 0x0
	v_bfe_u32 v1, v0, 10, 10
	v_and_b32_e32 v2, 0x3ff, v0
	v_mov_b32_e32 v5, 0xff800000
	s_waitcnt lgkmcnt(0)
	s_lshr_b32 s0, s2, 16
	s_delay_alu instid0(SALU_CYCLE_1) | instskip(SKIP_2) | instid1(VALU_DEP_1)
	s_mul_i32 s15, s15, s0
	v_cmp_gt_i32_e64 s0, s10, v2
	v_add_lshl_u32 v3, s15, v1, 1
	v_mad_u64_u32 v[0:1], null, v3, s9, v[2:3]
	v_sub_nc_u32_e32 v4, s8, v3
	s_delay_alu instid0(VALU_DEP_1) | instskip(NEXT) | instid1(VALU_DEP_3)
	v_cmp_lt_i32_e32 vcc_lo, 0, v4
	v_ashrrev_i32_e32 v1, 31, v0
	s_and_b32 s2, s0, vcc_lo
	s_delay_alu instid0(VALU_DEP_1) | instskip(NEXT) | instid1(VALU_DEP_1)
	v_lshlrev_b64 v[6:7], 1, v[0:1]
	v_add_co_u32 v2, s1, s6, v6
	v_mov_b32_e32 v6, 0xff800000
	s_delay_alu instid0(VALU_DEP_3)
	v_add_co_ci_u32_e64 v3, s1, s7, v7, s1
	s_and_saveexec_b32 s1, s2
	s_cbranch_execz .LBB486_2
; %bb.1:
	global_load_u16 v6, v[2:3], off
	s_waitcnt vmcnt(0)
	v_lshlrev_b32_e32 v6, 16, v6
.LBB486_2:
	s_or_b32 exec_lo, exec_lo, s1
	v_cmp_lt_i32_e64 s1, 1, v4
	s_delay_alu instid0(VALU_DEP_1) | instskip(NEXT) | instid1(SALU_CYCLE_1)
	s_and_b32 s1, s0, s1
	s_and_saveexec_b32 s2, s1
	s_cbranch_execz .LBB486_4
; %bb.3:
	s_mov_b32 s11, 0
	s_delay_alu instid0(SALU_CYCLE_1) | instskip(NEXT) | instid1(SALU_CYCLE_1)
	s_lshl_b64 s[6:7], s[10:11], 1
	v_add_co_u32 v2, s1, v2, s6
	s_delay_alu instid0(VALU_DEP_1)
	v_add_co_ci_u32_e64 v3, s1, s7, v3, s1
	global_load_u16 v2, v[2:3], off
	s_waitcnt vmcnt(0)
	v_lshlrev_b32_e32 v5, 16, v2
.LBB486_4:
	s_or_b32 exec_lo, exec_lo, s2
	v_mbcnt_lo_u32_b32 v2, -1, 0
	s_delay_alu instid0(VALU_DEP_1) | instskip(SKIP_1) | instid1(VALU_DEP_2)
	v_and_b32_e32 v3, 30, v2
	v_xor_b32_e32 v7, 1, v2
	v_add_nc_u32_e32 v3, 2, v3
	s_delay_alu instid0(VALU_DEP_1) | instskip(NEXT) | instid1(VALU_DEP_1)
	v_cmp_lt_i32_e64 s1, v7, v3
	v_cndmask_b32_e64 v2, v2, v7, s1
	s_delay_alu instid0(VALU_DEP_1) | instskip(SKIP_4) | instid1(VALU_DEP_1)
	v_lshlrev_b32_e32 v3, 2, v2
	ds_bpermute_b32 v2, v3, v6
	ds_bpermute_b32 v7, v3, v5
	s_waitcnt lgkmcnt(1)
	v_cmp_lt_f32_e64 s1, v6, v2
	v_cndmask_b32_e64 v2, v6, v2, s1
	s_waitcnt lgkmcnt(0)
	v_cmp_lt_f32_e64 s1, v5, v7
	s_delay_alu instid0(VALU_DEP_2) | instskip(NEXT) | instid1(VALU_DEP_2)
	v_sub_f32_e32 v2, v6, v2
	v_cndmask_b32_e64 v7, v5, v7, s1
	s_delay_alu instid0(VALU_DEP_2) | instskip(NEXT) | instid1(VALU_DEP_2)
	v_cmp_ngt_f32_e64 s1, 0xc2ce8ed0, v2
	v_dual_sub_f32 v6, v5, v7 :: v_dual_mul_f32 v5, 0x3fb8aa3b, v2
	s_delay_alu instid0(VALU_DEP_1) | instskip(NEXT) | instid1(VALU_DEP_2)
	v_mul_f32_e32 v7, 0x3fb8aa3b, v6
	v_fma_f32 v8, 0x3fb8aa3b, v2, -v5
	v_rndne_f32_e32 v9, v5
	s_delay_alu instid0(VALU_DEP_3) | instskip(SKIP_1) | instid1(VALU_DEP_3)
	v_fma_f32 v10, 0x3fb8aa3b, v6, -v7
	v_rndne_f32_e32 v11, v7
	v_dual_fmac_f32 v8, 0x32a5705f, v2 :: v_dual_sub_f32 v5, v5, v9
	s_delay_alu instid0(VALU_DEP_2) | instskip(NEXT) | instid1(VALU_DEP_2)
	v_dual_fmac_f32 v10, 0x32a5705f, v6 :: v_dual_sub_f32 v7, v7, v11
	v_add_f32_e32 v5, v5, v8
	v_cvt_i32_f32_e32 v8, v9
	v_cvt_i32_f32_e32 v9, v11
	s_delay_alu instid0(VALU_DEP_4) | instskip(NEXT) | instid1(VALU_DEP_4)
	v_add_f32_e32 v7, v7, v10
	v_exp_f32_e32 v5, v5
	s_delay_alu instid0(VALU_DEP_1) | instskip(SKIP_3) | instid1(VALU_DEP_2)
	v_exp_f32_e32 v7, v7
	s_waitcnt_depctr 0xfff
	v_ldexp_f32 v5, v5, v8
	v_ldexp_f32 v7, v7, v9
	v_cndmask_b32_e64 v5, 0, v5, s1
	v_cmp_ngt_f32_e64 s1, 0xc2ce8ed0, v6
	s_delay_alu instid0(VALU_DEP_1) | instskip(SKIP_1) | instid1(VALU_DEP_1)
	v_cndmask_b32_e64 v7, 0, v7, s1
	v_cmp_nlt_f32_e64 s1, 0x42b17218, v2
	v_cndmask_b32_e64 v5, 0x7f800000, v5, s1
	v_cmp_nlt_f32_e64 s1, 0x42b17218, v6
	ds_bpermute_b32 v6, v3, v5
	v_cndmask_b32_e64 v2, 0x7f800000, v7, s1
	ds_bpermute_b32 v3, v3, v2
	s_and_saveexec_b32 s1, vcc_lo
	s_cbranch_execz .LBB486_10
; %bb.5:
	v_lshlrev_b64 v[0:1], 2, v[0:1]
	s_delay_alu instid0(VALU_DEP_1) | instskip(NEXT) | instid1(VALU_DEP_2)
	v_add_co_u32 v0, vcc_lo, s4, v0
	v_add_co_ci_u32_e32 v1, vcc_lo, s5, v1, vcc_lo
	s_and_saveexec_b32 s1, s0
	s_cbranch_execz .LBB486_7
; %bb.6:
	s_waitcnt lgkmcnt(1)
	v_add_f32_e32 v6, v5, v6
	s_delay_alu instid0(VALU_DEP_1) | instskip(NEXT) | instid1(VALU_DEP_1)
	v_div_scale_f32 v7, null, v6, v6, v5
	v_rcp_f32_e32 v8, v7
	s_waitcnt_depctr 0xfff
	v_fma_f32 v9, -v7, v8, 1.0
	s_delay_alu instid0(VALU_DEP_1) | instskip(SKIP_1) | instid1(VALU_DEP_1)
	v_fmac_f32_e32 v8, v9, v8
	v_div_scale_f32 v9, vcc_lo, v5, v6, v5
	v_mul_f32_e32 v10, v9, v8
	s_delay_alu instid0(VALU_DEP_1) | instskip(NEXT) | instid1(VALU_DEP_1)
	v_fma_f32 v11, -v7, v10, v9
	v_fmac_f32_e32 v10, v11, v8
	s_delay_alu instid0(VALU_DEP_1) | instskip(NEXT) | instid1(VALU_DEP_1)
	v_fma_f32 v7, -v7, v10, v9
	v_div_fmas_f32 v7, v7, v8, v10
	v_cmp_neq_f32_e32 vcc_lo, 0, v6
	s_delay_alu instid0(VALU_DEP_2) | instskip(NEXT) | instid1(VALU_DEP_1)
	v_div_fixup_f32 v5, v7, v6, v5
	v_cndmask_b32_e32 v5, 0x7fc00000, v5, vcc_lo
	global_store_b32 v[0:1], v5, off
.LBB486_7:
	s_or_b32 exec_lo, exec_lo, s1
	v_cmp_ne_u32_e32 vcc_lo, 1, v4
	s_and_b32 exec_lo, exec_lo, vcc_lo
	s_cbranch_execz .LBB486_10
; %bb.8:
	s_and_b32 exec_lo, exec_lo, s0
	s_cbranch_execz .LBB486_10
; %bb.9:
	s_waitcnt lgkmcnt(0)
	v_add_f32_e32 v3, v2, v3
	s_mov_b32 s11, 0
	s_delay_alu instid0(SALU_CYCLE_1) | instskip(NEXT) | instid1(VALU_DEP_1)
	s_lshl_b64 s[0:1], s[10:11], 2
	v_div_scale_f32 v4, null, v3, v3, v2
	v_div_scale_f32 v7, vcc_lo, v2, v3, v2
	s_delay_alu instid0(VALU_DEP_2) | instskip(SKIP_2) | instid1(VALU_DEP_1)
	v_rcp_f32_e32 v5, v4
	s_waitcnt_depctr 0xfff
	v_fma_f32 v6, -v4, v5, 1.0
	v_fmac_f32_e32 v5, v6, v5
	s_delay_alu instid0(VALU_DEP_1) | instskip(NEXT) | instid1(VALU_DEP_1)
	v_mul_f32_e32 v6, v7, v5
	v_fma_f32 v8, -v4, v6, v7
	s_delay_alu instid0(VALU_DEP_1) | instskip(NEXT) | instid1(VALU_DEP_1)
	v_fmac_f32_e32 v6, v8, v5
	v_fma_f32 v4, -v4, v6, v7
	s_delay_alu instid0(VALU_DEP_1) | instskip(SKIP_2) | instid1(VALU_DEP_3)
	v_div_fmas_f32 v4, v4, v5, v6
	v_add_co_u32 v0, vcc_lo, v0, s0
	v_add_co_ci_u32_e32 v1, vcc_lo, s1, v1, vcc_lo
	v_div_fixup_f32 v2, v4, v3, v2
	v_cmp_neq_f32_e32 vcc_lo, 0, v3
	s_delay_alu instid0(VALU_DEP_2)
	v_cndmask_b32_e32 v2, 0x7fc00000, v2, vcc_lo
	global_store_b32 v[0:1], v2, off
.LBB486_10:
	s_nop 0
	s_sendmsg sendmsg(MSG_DEALLOC_VGPRS)
	s_endpgm
	.section	.rodata,"a",@progbits
	.p2align	6, 0x0
	.amdhsa_kernel _ZN12_GLOBAL__N_120softmax_warp_forwardIN3c108BFloat16EffLi1ELb0ELb0ELi64EEEvPT0_PKT_iiiPKbib
		.amdhsa_group_segment_fixed_size 0
		.amdhsa_private_segment_fixed_size 0
		.amdhsa_kernarg_size 304
		.amdhsa_user_sgpr_count 15
		.amdhsa_user_sgpr_dispatch_ptr 0
		.amdhsa_user_sgpr_queue_ptr 0
		.amdhsa_user_sgpr_kernarg_segment_ptr 1
		.amdhsa_user_sgpr_dispatch_id 0
		.amdhsa_user_sgpr_private_segment_size 0
		.amdhsa_wavefront_size32 1
		.amdhsa_uses_dynamic_stack 0
		.amdhsa_enable_private_segment 0
		.amdhsa_system_sgpr_workgroup_id_x 1
		.amdhsa_system_sgpr_workgroup_id_y 0
		.amdhsa_system_sgpr_workgroup_id_z 0
		.amdhsa_system_sgpr_workgroup_info 0
		.amdhsa_system_vgpr_workitem_id 1
		.amdhsa_next_free_vgpr 12
		.amdhsa_next_free_sgpr 16
		.amdhsa_reserve_vcc 1
		.amdhsa_float_round_mode_32 0
		.amdhsa_float_round_mode_16_64 0
		.amdhsa_float_denorm_mode_32 3
		.amdhsa_float_denorm_mode_16_64 3
		.amdhsa_dx10_clamp 1
		.amdhsa_ieee_mode 1
		.amdhsa_fp16_overflow 0
		.amdhsa_workgroup_processor_mode 1
		.amdhsa_memory_ordered 1
		.amdhsa_forward_progress 0
		.amdhsa_shared_vgpr_count 0
		.amdhsa_exception_fp_ieee_invalid_op 0
		.amdhsa_exception_fp_denorm_src 0
		.amdhsa_exception_fp_ieee_div_zero 0
		.amdhsa_exception_fp_ieee_overflow 0
		.amdhsa_exception_fp_ieee_underflow 0
		.amdhsa_exception_fp_ieee_inexact 0
		.amdhsa_exception_int_div_zero 0
	.end_amdhsa_kernel
	.section	.text._ZN12_GLOBAL__N_120softmax_warp_forwardIN3c108BFloat16EffLi1ELb0ELb0ELi64EEEvPT0_PKT_iiiPKbib,"axG",@progbits,_ZN12_GLOBAL__N_120softmax_warp_forwardIN3c108BFloat16EffLi1ELb0ELb0ELi64EEEvPT0_PKT_iiiPKbib,comdat
.Lfunc_end486:
	.size	_ZN12_GLOBAL__N_120softmax_warp_forwardIN3c108BFloat16EffLi1ELb0ELb0ELi64EEEvPT0_PKT_iiiPKbib, .Lfunc_end486-_ZN12_GLOBAL__N_120softmax_warp_forwardIN3c108BFloat16EffLi1ELb0ELb0ELi64EEEvPT0_PKT_iiiPKbib
                                        ; -- End function
	.section	.AMDGPU.csdata,"",@progbits
; Kernel info:
; codeLenInByte = 964
; NumSgprs: 18
; NumVgprs: 12
; ScratchSize: 0
; MemoryBound: 0
; FloatMode: 240
; IeeeMode: 1
; LDSByteSize: 0 bytes/workgroup (compile time only)
; SGPRBlocks: 2
; VGPRBlocks: 1
; NumSGPRsForWavesPerEU: 18
; NumVGPRsForWavesPerEU: 12
; Occupancy: 16
; WaveLimiterHint : 0
; COMPUTE_PGM_RSRC2:SCRATCH_EN: 0
; COMPUTE_PGM_RSRC2:USER_SGPR: 15
; COMPUTE_PGM_RSRC2:TRAP_HANDLER: 0
; COMPUTE_PGM_RSRC2:TGID_X_EN: 1
; COMPUTE_PGM_RSRC2:TGID_Y_EN: 0
; COMPUTE_PGM_RSRC2:TGID_Z_EN: 0
; COMPUTE_PGM_RSRC2:TIDIG_COMP_CNT: 1
	.section	.text._ZN12_GLOBAL__N_120softmax_warp_forwardIN3c108BFloat16EffLi1ELb0ELb0ELi32EEEvPT0_PKT_iiiPKbib,"axG",@progbits,_ZN12_GLOBAL__N_120softmax_warp_forwardIN3c108BFloat16EffLi1ELb0ELb0ELi32EEEvPT0_PKT_iiiPKbib,comdat
	.globl	_ZN12_GLOBAL__N_120softmax_warp_forwardIN3c108BFloat16EffLi1ELb0ELb0ELi32EEEvPT0_PKT_iiiPKbib ; -- Begin function _ZN12_GLOBAL__N_120softmax_warp_forwardIN3c108BFloat16EffLi1ELb0ELb0ELi32EEEvPT0_PKT_iiiPKbib
	.p2align	8
	.type	_ZN12_GLOBAL__N_120softmax_warp_forwardIN3c108BFloat16EffLi1ELb0ELb0ELi32EEEvPT0_PKT_iiiPKbib,@function
_ZN12_GLOBAL__N_120softmax_warp_forwardIN3c108BFloat16EffLi1ELb0ELb0ELi32EEEvPT0_PKT_iiiPKbib: ; @_ZN12_GLOBAL__N_120softmax_warp_forwardIN3c108BFloat16EffLi1ELb0ELb0ELi32EEEvPT0_PKT_iiiPKbib
; %bb.0:
	s_clause 0x1
	s_load_b32 s2, s[0:1], 0x3c
	s_load_b256 s[4:11], s[0:1], 0x0
	v_bfe_u32 v1, v0, 10, 10
	v_and_b32_e32 v2, 0x3ff, v0
	v_mov_b32_e32 v5, 0xff800000
	s_waitcnt lgkmcnt(0)
	s_lshr_b32 s0, s2, 16
	s_delay_alu instid0(SALU_CYCLE_1) | instskip(SKIP_2) | instid1(VALU_DEP_1)
	s_mul_i32 s15, s15, s0
	v_cmp_gt_i32_e64 s0, s10, v2
	v_add_lshl_u32 v3, s15, v1, 1
	v_mad_u64_u32 v[0:1], null, v3, s9, v[2:3]
	v_sub_nc_u32_e32 v4, s8, v3
	s_delay_alu instid0(VALU_DEP_1) | instskip(NEXT) | instid1(VALU_DEP_3)
	v_cmp_lt_i32_e32 vcc_lo, 0, v4
	v_ashrrev_i32_e32 v1, 31, v0
	s_and_b32 s2, s0, vcc_lo
	s_delay_alu instid0(VALU_DEP_1) | instskip(NEXT) | instid1(VALU_DEP_1)
	v_lshlrev_b64 v[6:7], 1, v[0:1]
	v_add_co_u32 v2, s1, s6, v6
	v_mov_b32_e32 v6, 0xff800000
	s_delay_alu instid0(VALU_DEP_3)
	v_add_co_ci_u32_e64 v3, s1, s7, v7, s1
	s_and_saveexec_b32 s1, s2
	s_cbranch_execz .LBB487_2
; %bb.1:
	global_load_u16 v6, v[2:3], off
	s_waitcnt vmcnt(0)
	v_lshlrev_b32_e32 v6, 16, v6
.LBB487_2:
	s_or_b32 exec_lo, exec_lo, s1
	v_cmp_lt_i32_e64 s1, 1, v4
	s_delay_alu instid0(VALU_DEP_1) | instskip(NEXT) | instid1(SALU_CYCLE_1)
	s_and_b32 s1, s0, s1
	s_and_saveexec_b32 s2, s1
	s_cbranch_execz .LBB487_4
; %bb.3:
	s_mov_b32 s11, 0
	s_delay_alu instid0(SALU_CYCLE_1) | instskip(NEXT) | instid1(SALU_CYCLE_1)
	s_lshl_b64 s[6:7], s[10:11], 1
	v_add_co_u32 v2, s1, v2, s6
	s_delay_alu instid0(VALU_DEP_1)
	v_add_co_ci_u32_e64 v3, s1, s7, v3, s1
	global_load_u16 v2, v[2:3], off
	s_waitcnt vmcnt(0)
	v_lshlrev_b32_e32 v5, 16, v2
.LBB487_4:
	s_or_b32 exec_lo, exec_lo, s2
	v_mbcnt_lo_u32_b32 v2, -1, 0
	s_delay_alu instid0(VALU_DEP_1) | instskip(SKIP_1) | instid1(VALU_DEP_2)
	v_and_b32_e32 v3, 30, v2
	v_xor_b32_e32 v7, 1, v2
	v_add_nc_u32_e32 v3, 2, v3
	s_delay_alu instid0(VALU_DEP_1) | instskip(NEXT) | instid1(VALU_DEP_1)
	v_cmp_lt_i32_e64 s1, v7, v3
	v_cndmask_b32_e64 v2, v2, v7, s1
	s_delay_alu instid0(VALU_DEP_1) | instskip(SKIP_4) | instid1(VALU_DEP_1)
	v_lshlrev_b32_e32 v3, 2, v2
	ds_bpermute_b32 v2, v3, v6
	ds_bpermute_b32 v7, v3, v5
	s_waitcnt lgkmcnt(1)
	v_cmp_lt_f32_e64 s1, v6, v2
	v_cndmask_b32_e64 v2, v6, v2, s1
	s_waitcnt lgkmcnt(0)
	v_cmp_lt_f32_e64 s1, v5, v7
	s_delay_alu instid0(VALU_DEP_2) | instskip(NEXT) | instid1(VALU_DEP_2)
	v_sub_f32_e32 v2, v6, v2
	v_cndmask_b32_e64 v7, v5, v7, s1
	s_delay_alu instid0(VALU_DEP_2) | instskip(NEXT) | instid1(VALU_DEP_2)
	v_cmp_ngt_f32_e64 s1, 0xc2ce8ed0, v2
	v_dual_sub_f32 v6, v5, v7 :: v_dual_mul_f32 v5, 0x3fb8aa3b, v2
	s_delay_alu instid0(VALU_DEP_1) | instskip(NEXT) | instid1(VALU_DEP_2)
	v_mul_f32_e32 v7, 0x3fb8aa3b, v6
	v_fma_f32 v8, 0x3fb8aa3b, v2, -v5
	v_rndne_f32_e32 v9, v5
	s_delay_alu instid0(VALU_DEP_3) | instskip(SKIP_1) | instid1(VALU_DEP_3)
	v_fma_f32 v10, 0x3fb8aa3b, v6, -v7
	v_rndne_f32_e32 v11, v7
	v_dual_fmac_f32 v8, 0x32a5705f, v2 :: v_dual_sub_f32 v5, v5, v9
	s_delay_alu instid0(VALU_DEP_2) | instskip(NEXT) | instid1(VALU_DEP_2)
	v_dual_fmac_f32 v10, 0x32a5705f, v6 :: v_dual_sub_f32 v7, v7, v11
	v_add_f32_e32 v5, v5, v8
	v_cvt_i32_f32_e32 v8, v9
	v_cvt_i32_f32_e32 v9, v11
	s_delay_alu instid0(VALU_DEP_4) | instskip(NEXT) | instid1(VALU_DEP_4)
	v_add_f32_e32 v7, v7, v10
	v_exp_f32_e32 v5, v5
	s_delay_alu instid0(VALU_DEP_1) | instskip(SKIP_3) | instid1(VALU_DEP_2)
	v_exp_f32_e32 v7, v7
	s_waitcnt_depctr 0xfff
	v_ldexp_f32 v5, v5, v8
	v_ldexp_f32 v7, v7, v9
	v_cndmask_b32_e64 v5, 0, v5, s1
	v_cmp_ngt_f32_e64 s1, 0xc2ce8ed0, v6
	s_delay_alu instid0(VALU_DEP_1) | instskip(SKIP_1) | instid1(VALU_DEP_1)
	v_cndmask_b32_e64 v7, 0, v7, s1
	v_cmp_nlt_f32_e64 s1, 0x42b17218, v2
	v_cndmask_b32_e64 v5, 0x7f800000, v5, s1
	v_cmp_nlt_f32_e64 s1, 0x42b17218, v6
	ds_bpermute_b32 v6, v3, v5
	v_cndmask_b32_e64 v2, 0x7f800000, v7, s1
	ds_bpermute_b32 v3, v3, v2
	s_and_saveexec_b32 s1, vcc_lo
	s_cbranch_execz .LBB487_10
; %bb.5:
	v_lshlrev_b64 v[0:1], 2, v[0:1]
	s_delay_alu instid0(VALU_DEP_1) | instskip(NEXT) | instid1(VALU_DEP_2)
	v_add_co_u32 v0, vcc_lo, s4, v0
	v_add_co_ci_u32_e32 v1, vcc_lo, s5, v1, vcc_lo
	s_and_saveexec_b32 s1, s0
	s_cbranch_execz .LBB487_7
; %bb.6:
	s_waitcnt lgkmcnt(1)
	v_add_f32_e32 v6, v5, v6
	s_delay_alu instid0(VALU_DEP_1) | instskip(NEXT) | instid1(VALU_DEP_1)
	v_div_scale_f32 v7, null, v6, v6, v5
	v_rcp_f32_e32 v8, v7
	s_waitcnt_depctr 0xfff
	v_fma_f32 v9, -v7, v8, 1.0
	s_delay_alu instid0(VALU_DEP_1) | instskip(SKIP_1) | instid1(VALU_DEP_1)
	v_fmac_f32_e32 v8, v9, v8
	v_div_scale_f32 v9, vcc_lo, v5, v6, v5
	v_mul_f32_e32 v10, v9, v8
	s_delay_alu instid0(VALU_DEP_1) | instskip(NEXT) | instid1(VALU_DEP_1)
	v_fma_f32 v11, -v7, v10, v9
	v_fmac_f32_e32 v10, v11, v8
	s_delay_alu instid0(VALU_DEP_1) | instskip(NEXT) | instid1(VALU_DEP_1)
	v_fma_f32 v7, -v7, v10, v9
	v_div_fmas_f32 v7, v7, v8, v10
	v_cmp_neq_f32_e32 vcc_lo, 0, v6
	s_delay_alu instid0(VALU_DEP_2) | instskip(NEXT) | instid1(VALU_DEP_1)
	v_div_fixup_f32 v5, v7, v6, v5
	v_cndmask_b32_e32 v5, 0x7fc00000, v5, vcc_lo
	global_store_b32 v[0:1], v5, off
.LBB487_7:
	s_or_b32 exec_lo, exec_lo, s1
	v_cmp_ne_u32_e32 vcc_lo, 1, v4
	s_and_b32 exec_lo, exec_lo, vcc_lo
	s_cbranch_execz .LBB487_10
; %bb.8:
	s_and_b32 exec_lo, exec_lo, s0
	s_cbranch_execz .LBB487_10
; %bb.9:
	s_waitcnt lgkmcnt(0)
	v_add_f32_e32 v3, v2, v3
	s_mov_b32 s11, 0
	s_delay_alu instid0(SALU_CYCLE_1) | instskip(NEXT) | instid1(VALU_DEP_1)
	s_lshl_b64 s[0:1], s[10:11], 2
	v_div_scale_f32 v4, null, v3, v3, v2
	v_div_scale_f32 v7, vcc_lo, v2, v3, v2
	s_delay_alu instid0(VALU_DEP_2) | instskip(SKIP_2) | instid1(VALU_DEP_1)
	v_rcp_f32_e32 v5, v4
	s_waitcnt_depctr 0xfff
	v_fma_f32 v6, -v4, v5, 1.0
	v_fmac_f32_e32 v5, v6, v5
	s_delay_alu instid0(VALU_DEP_1) | instskip(NEXT) | instid1(VALU_DEP_1)
	v_mul_f32_e32 v6, v7, v5
	v_fma_f32 v8, -v4, v6, v7
	s_delay_alu instid0(VALU_DEP_1) | instskip(NEXT) | instid1(VALU_DEP_1)
	v_fmac_f32_e32 v6, v8, v5
	v_fma_f32 v4, -v4, v6, v7
	s_delay_alu instid0(VALU_DEP_1) | instskip(SKIP_2) | instid1(VALU_DEP_3)
	v_div_fmas_f32 v4, v4, v5, v6
	v_add_co_u32 v0, vcc_lo, v0, s0
	v_add_co_ci_u32_e32 v1, vcc_lo, s1, v1, vcc_lo
	v_div_fixup_f32 v2, v4, v3, v2
	v_cmp_neq_f32_e32 vcc_lo, 0, v3
	s_delay_alu instid0(VALU_DEP_2)
	v_cndmask_b32_e32 v2, 0x7fc00000, v2, vcc_lo
	global_store_b32 v[0:1], v2, off
.LBB487_10:
	s_nop 0
	s_sendmsg sendmsg(MSG_DEALLOC_VGPRS)
	s_endpgm
	.section	.rodata,"a",@progbits
	.p2align	6, 0x0
	.amdhsa_kernel _ZN12_GLOBAL__N_120softmax_warp_forwardIN3c108BFloat16EffLi1ELb0ELb0ELi32EEEvPT0_PKT_iiiPKbib
		.amdhsa_group_segment_fixed_size 0
		.amdhsa_private_segment_fixed_size 0
		.amdhsa_kernarg_size 304
		.amdhsa_user_sgpr_count 15
		.amdhsa_user_sgpr_dispatch_ptr 0
		.amdhsa_user_sgpr_queue_ptr 0
		.amdhsa_user_sgpr_kernarg_segment_ptr 1
		.amdhsa_user_sgpr_dispatch_id 0
		.amdhsa_user_sgpr_private_segment_size 0
		.amdhsa_wavefront_size32 1
		.amdhsa_uses_dynamic_stack 0
		.amdhsa_enable_private_segment 0
		.amdhsa_system_sgpr_workgroup_id_x 1
		.amdhsa_system_sgpr_workgroup_id_y 0
		.amdhsa_system_sgpr_workgroup_id_z 0
		.amdhsa_system_sgpr_workgroup_info 0
		.amdhsa_system_vgpr_workitem_id 1
		.amdhsa_next_free_vgpr 12
		.amdhsa_next_free_sgpr 16
		.amdhsa_reserve_vcc 1
		.amdhsa_float_round_mode_32 0
		.amdhsa_float_round_mode_16_64 0
		.amdhsa_float_denorm_mode_32 3
		.amdhsa_float_denorm_mode_16_64 3
		.amdhsa_dx10_clamp 1
		.amdhsa_ieee_mode 1
		.amdhsa_fp16_overflow 0
		.amdhsa_workgroup_processor_mode 1
		.amdhsa_memory_ordered 1
		.amdhsa_forward_progress 0
		.amdhsa_shared_vgpr_count 0
		.amdhsa_exception_fp_ieee_invalid_op 0
		.amdhsa_exception_fp_denorm_src 0
		.amdhsa_exception_fp_ieee_div_zero 0
		.amdhsa_exception_fp_ieee_overflow 0
		.amdhsa_exception_fp_ieee_underflow 0
		.amdhsa_exception_fp_ieee_inexact 0
		.amdhsa_exception_int_div_zero 0
	.end_amdhsa_kernel
	.section	.text._ZN12_GLOBAL__N_120softmax_warp_forwardIN3c108BFloat16EffLi1ELb0ELb0ELi32EEEvPT0_PKT_iiiPKbib,"axG",@progbits,_ZN12_GLOBAL__N_120softmax_warp_forwardIN3c108BFloat16EffLi1ELb0ELb0ELi32EEEvPT0_PKT_iiiPKbib,comdat
.Lfunc_end487:
	.size	_ZN12_GLOBAL__N_120softmax_warp_forwardIN3c108BFloat16EffLi1ELb0ELb0ELi32EEEvPT0_PKT_iiiPKbib, .Lfunc_end487-_ZN12_GLOBAL__N_120softmax_warp_forwardIN3c108BFloat16EffLi1ELb0ELb0ELi32EEEvPT0_PKT_iiiPKbib
                                        ; -- End function
	.section	.AMDGPU.csdata,"",@progbits
; Kernel info:
; codeLenInByte = 964
; NumSgprs: 18
; NumVgprs: 12
; ScratchSize: 0
; MemoryBound: 0
; FloatMode: 240
; IeeeMode: 1
; LDSByteSize: 0 bytes/workgroup (compile time only)
; SGPRBlocks: 2
; VGPRBlocks: 1
; NumSGPRsForWavesPerEU: 18
; NumVGPRsForWavesPerEU: 12
; Occupancy: 16
; WaveLimiterHint : 0
; COMPUTE_PGM_RSRC2:SCRATCH_EN: 0
; COMPUTE_PGM_RSRC2:USER_SGPR: 15
; COMPUTE_PGM_RSRC2:TRAP_HANDLER: 0
; COMPUTE_PGM_RSRC2:TGID_X_EN: 1
; COMPUTE_PGM_RSRC2:TGID_Y_EN: 0
; COMPUTE_PGM_RSRC2:TGID_Z_EN: 0
; COMPUTE_PGM_RSRC2:TIDIG_COMP_CNT: 1
	.section	.text._ZN12_GLOBAL__N_120softmax_warp_forwardIN3c108BFloat16EffLi2ELb0ELb0ELi64EEEvPT0_PKT_iiiPKbib,"axG",@progbits,_ZN12_GLOBAL__N_120softmax_warp_forwardIN3c108BFloat16EffLi2ELb0ELb0ELi64EEEvPT0_PKT_iiiPKbib,comdat
	.globl	_ZN12_GLOBAL__N_120softmax_warp_forwardIN3c108BFloat16EffLi2ELb0ELb0ELi64EEEvPT0_PKT_iiiPKbib ; -- Begin function _ZN12_GLOBAL__N_120softmax_warp_forwardIN3c108BFloat16EffLi2ELb0ELb0ELi64EEEvPT0_PKT_iiiPKbib
	.p2align	8
	.type	_ZN12_GLOBAL__N_120softmax_warp_forwardIN3c108BFloat16EffLi2ELb0ELb0ELi64EEEvPT0_PKT_iiiPKbib,@function
_ZN12_GLOBAL__N_120softmax_warp_forwardIN3c108BFloat16EffLi2ELb0ELb0ELi64EEEvPT0_PKT_iiiPKbib: ; @_ZN12_GLOBAL__N_120softmax_warp_forwardIN3c108BFloat16EffLi2ELb0ELb0ELi64EEEvPT0_PKT_iiiPKbib
; %bb.0:
	s_clause 0x1
	s_load_b32 s2, s[0:1], 0x3c
	s_load_b256 s[4:11], s[0:1], 0x0
	v_bfe_u32 v1, v0, 10, 10
	v_and_b32_e32 v2, 0x3ff, v0
	v_mov_b32_e32 v5, 0xff800000
	s_waitcnt lgkmcnt(0)
	s_lshr_b32 s0, s2, 16
	s_delay_alu instid0(SALU_CYCLE_1) | instskip(SKIP_2) | instid1(VALU_DEP_1)
	s_mul_i32 s15, s15, s0
	v_cmp_gt_i32_e64 s0, s10, v2
	v_add_lshl_u32 v3, s15, v1, 1
	v_mad_u64_u32 v[0:1], null, v3, s9, v[2:3]
	v_sub_nc_u32_e32 v4, s8, v3
	s_delay_alu instid0(VALU_DEP_1) | instskip(NEXT) | instid1(VALU_DEP_3)
	v_cmp_lt_i32_e32 vcc_lo, 0, v4
	v_ashrrev_i32_e32 v1, 31, v0
	s_and_b32 s2, s0, vcc_lo
	s_delay_alu instid0(VALU_DEP_1) | instskip(NEXT) | instid1(VALU_DEP_1)
	v_lshlrev_b64 v[6:7], 1, v[0:1]
	v_add_co_u32 v2, s1, s6, v6
	v_mov_b32_e32 v6, 0xff800000
	s_delay_alu instid0(VALU_DEP_3)
	v_add_co_ci_u32_e64 v3, s1, s7, v7, s1
	s_and_saveexec_b32 s1, s2
	s_cbranch_execz .LBB488_2
; %bb.1:
	global_load_u16 v6, v[2:3], off
	s_waitcnt vmcnt(0)
	v_lshlrev_b32_e32 v6, 16, v6
.LBB488_2:
	s_or_b32 exec_lo, exec_lo, s1
	v_cmp_lt_i32_e64 s1, 1, v4
	s_delay_alu instid0(VALU_DEP_1) | instskip(NEXT) | instid1(SALU_CYCLE_1)
	s_and_b32 s1, s0, s1
	s_and_saveexec_b32 s2, s1
	s_cbranch_execz .LBB488_4
; %bb.3:
	s_mov_b32 s11, 0
	s_delay_alu instid0(SALU_CYCLE_1) | instskip(NEXT) | instid1(SALU_CYCLE_1)
	s_lshl_b64 s[6:7], s[10:11], 1
	v_add_co_u32 v2, s1, v2, s6
	s_delay_alu instid0(VALU_DEP_1)
	v_add_co_ci_u32_e64 v3, s1, s7, v3, s1
	global_load_u16 v2, v[2:3], off
	s_waitcnt vmcnt(0)
	v_lshlrev_b32_e32 v5, 16, v2
.LBB488_4:
	s_or_b32 exec_lo, exec_lo, s2
	v_mbcnt_lo_u32_b32 v2, -1, 0
	s_delay_alu instid0(VALU_DEP_1) | instskip(SKIP_2) | instid1(VALU_DEP_3)
	v_and_b32_e32 v3, 28, v2
	v_xor_b32_e32 v7, 2, v2
	v_xor_b32_e32 v10, 1, v2
	v_add_nc_u32_e32 v3, 4, v3
	s_delay_alu instid0(VALU_DEP_1) | instskip(NEXT) | instid1(VALU_DEP_1)
	v_cmp_lt_i32_e64 s1, v7, v3
	v_cndmask_b32_e64 v7, v2, v7, s1
	s_delay_alu instid0(VALU_DEP_4) | instskip(NEXT) | instid1(VALU_DEP_2)
	v_cmp_lt_i32_e64 s1, v10, v3
	v_lshlrev_b32_e32 v7, 2, v7
	s_delay_alu instid0(VALU_DEP_2)
	v_cndmask_b32_e64 v2, v2, v10, s1
	ds_bpermute_b32 v8, v7, v6
	ds_bpermute_b32 v9, v7, v5
	v_lshlrev_b32_e32 v10, 2, v2
	s_waitcnt lgkmcnt(1)
	v_cmp_lt_f32_e64 s1, v6, v8
	s_delay_alu instid0(VALU_DEP_1)
	v_cndmask_b32_e64 v2, v6, v8, s1
	s_waitcnt lgkmcnt(0)
	v_cmp_lt_f32_e64 s1, v5, v9
	ds_bpermute_b32 v8, v10, v2
	v_cndmask_b32_e64 v3, v5, v9, s1
	ds_bpermute_b32 v9, v10, v3
	s_waitcnt lgkmcnt(1)
	v_cmp_lt_f32_e64 s1, v2, v8
	s_delay_alu instid0(VALU_DEP_1) | instskip(SKIP_2) | instid1(VALU_DEP_2)
	v_cndmask_b32_e64 v2, v2, v8, s1
	s_waitcnt lgkmcnt(0)
	v_cmp_lt_f32_e64 s1, v3, v9
	v_sub_f32_e32 v2, v6, v2
	s_delay_alu instid0(VALU_DEP_2) | instskip(NEXT) | instid1(VALU_DEP_2)
	v_cndmask_b32_e64 v3, v3, v9, s1
	v_cmp_ngt_f32_e64 s1, 0xc2ce8ed0, v2
	s_delay_alu instid0(VALU_DEP_2) | instskip(NEXT) | instid1(VALU_DEP_1)
	v_sub_f32_e32 v3, v5, v3
	v_dual_mul_f32 v5, 0x3fb8aa3b, v2 :: v_dual_mul_f32 v6, 0x3fb8aa3b, v3
	s_delay_alu instid0(VALU_DEP_1) | instskip(SKIP_1) | instid1(VALU_DEP_3)
	v_fma_f32 v8, 0x3fb8aa3b, v2, -v5
	v_rndne_f32_e32 v9, v5
	v_fma_f32 v11, 0x3fb8aa3b, v3, -v6
	v_rndne_f32_e32 v12, v6
	s_delay_alu instid0(VALU_DEP_2) | instskip(NEXT) | instid1(VALU_DEP_2)
	v_dual_fmac_f32 v8, 0x32a5705f, v2 :: v_dual_fmac_f32 v11, 0x32a5705f, v3
	v_dual_sub_f32 v6, v6, v12 :: v_dual_sub_f32 v5, v5, v9
	s_delay_alu instid0(VALU_DEP_1) | instskip(SKIP_2) | instid1(VALU_DEP_3)
	v_dual_add_f32 v6, v6, v11 :: v_dual_add_f32 v5, v5, v8
	v_cvt_i32_f32_e32 v8, v9
	v_cvt_i32_f32_e32 v9, v12
	v_exp_f32_e32 v6, v6
	s_delay_alu instid0(VALU_DEP_3) | instskip(SKIP_3) | instid1(VALU_DEP_1)
	v_exp_f32_e32 v5, v5
	s_waitcnt_depctr 0xfff
	v_ldexp_f32 v6, v6, v9
	v_ldexp_f32 v5, v5, v8
	v_cndmask_b32_e64 v5, 0, v5, s1
	v_cmp_ngt_f32_e64 s1, 0xc2ce8ed0, v3
	s_delay_alu instid0(VALU_DEP_1) | instskip(SKIP_1) | instid1(VALU_DEP_1)
	v_cndmask_b32_e64 v8, 0, v6, s1
	v_cmp_nlt_f32_e64 s1, 0x42b17218, v2
	v_cndmask_b32_e64 v6, 0x7f800000, v5, s1
	v_cmp_nlt_f32_e64 s1, 0x42b17218, v3
	ds_bpermute_b32 v3, v7, v6
	v_cndmask_b32_e64 v2, 0x7f800000, v8, s1
	ds_bpermute_b32 v5, v7, v2
	s_waitcnt lgkmcnt(1)
	v_add_f32_e32 v7, v6, v3
	ds_bpermute_b32 v8, v10, v7
	s_waitcnt lgkmcnt(1)
	v_add_f32_e32 v3, v2, v5
	ds_bpermute_b32 v5, v10, v3
	s_and_saveexec_b32 s1, vcc_lo
	s_cbranch_execz .LBB488_10
; %bb.5:
	v_lshlrev_b64 v[0:1], 2, v[0:1]
	s_delay_alu instid0(VALU_DEP_1) | instskip(NEXT) | instid1(VALU_DEP_2)
	v_add_co_u32 v0, vcc_lo, s4, v0
	v_add_co_ci_u32_e32 v1, vcc_lo, s5, v1, vcc_lo
	s_and_saveexec_b32 s1, s0
	s_cbranch_execz .LBB488_7
; %bb.6:
	s_waitcnt lgkmcnt(1)
	v_add_f32_e32 v7, v7, v8
	s_delay_alu instid0(VALU_DEP_1) | instskip(NEXT) | instid1(VALU_DEP_1)
	v_div_scale_f32 v8, null, v7, v7, v6
	v_rcp_f32_e32 v9, v8
	s_waitcnt_depctr 0xfff
	v_fma_f32 v10, -v8, v9, 1.0
	s_delay_alu instid0(VALU_DEP_1) | instskip(SKIP_1) | instid1(VALU_DEP_1)
	v_fmac_f32_e32 v9, v10, v9
	v_div_scale_f32 v10, vcc_lo, v6, v7, v6
	v_mul_f32_e32 v11, v10, v9
	s_delay_alu instid0(VALU_DEP_1) | instskip(NEXT) | instid1(VALU_DEP_1)
	v_fma_f32 v12, -v8, v11, v10
	v_fmac_f32_e32 v11, v12, v9
	s_delay_alu instid0(VALU_DEP_1) | instskip(NEXT) | instid1(VALU_DEP_1)
	v_fma_f32 v8, -v8, v11, v10
	v_div_fmas_f32 v8, v8, v9, v11
	v_cmp_neq_f32_e32 vcc_lo, 0, v7
	s_delay_alu instid0(VALU_DEP_2) | instskip(NEXT) | instid1(VALU_DEP_1)
	v_div_fixup_f32 v6, v8, v7, v6
	v_cndmask_b32_e32 v6, 0x7fc00000, v6, vcc_lo
	global_store_b32 v[0:1], v6, off
.LBB488_7:
	s_or_b32 exec_lo, exec_lo, s1
	v_cmp_ne_u32_e32 vcc_lo, 1, v4
	s_and_b32 exec_lo, exec_lo, vcc_lo
	s_cbranch_execz .LBB488_10
; %bb.8:
	s_and_b32 exec_lo, exec_lo, s0
	s_cbranch_execz .LBB488_10
; %bb.9:
	s_waitcnt lgkmcnt(0)
	v_add_f32_e32 v3, v3, v5
	s_mov_b32 s11, 0
	s_delay_alu instid0(SALU_CYCLE_1) | instskip(NEXT) | instid1(VALU_DEP_1)
	s_lshl_b64 s[0:1], s[10:11], 2
	v_div_scale_f32 v4, null, v3, v3, v2
	v_div_scale_f32 v7, vcc_lo, v2, v3, v2
	s_delay_alu instid0(VALU_DEP_2) | instskip(SKIP_2) | instid1(VALU_DEP_1)
	v_rcp_f32_e32 v5, v4
	s_waitcnt_depctr 0xfff
	v_fma_f32 v6, -v4, v5, 1.0
	v_fmac_f32_e32 v5, v6, v5
	s_delay_alu instid0(VALU_DEP_1) | instskip(NEXT) | instid1(VALU_DEP_1)
	v_mul_f32_e32 v6, v7, v5
	v_fma_f32 v8, -v4, v6, v7
	s_delay_alu instid0(VALU_DEP_1) | instskip(NEXT) | instid1(VALU_DEP_1)
	v_fmac_f32_e32 v6, v8, v5
	v_fma_f32 v4, -v4, v6, v7
	s_delay_alu instid0(VALU_DEP_1) | instskip(SKIP_2) | instid1(VALU_DEP_3)
	v_div_fmas_f32 v4, v4, v5, v6
	v_add_co_u32 v0, vcc_lo, v0, s0
	v_add_co_ci_u32_e32 v1, vcc_lo, s1, v1, vcc_lo
	v_div_fixup_f32 v2, v4, v3, v2
	v_cmp_neq_f32_e32 vcc_lo, 0, v3
	s_delay_alu instid0(VALU_DEP_2)
	v_cndmask_b32_e32 v2, 0x7fc00000, v2, vcc_lo
	global_store_b32 v[0:1], v2, off
.LBB488_10:
	s_nop 0
	s_sendmsg sendmsg(MSG_DEALLOC_VGPRS)
	s_endpgm
	.section	.rodata,"a",@progbits
	.p2align	6, 0x0
	.amdhsa_kernel _ZN12_GLOBAL__N_120softmax_warp_forwardIN3c108BFloat16EffLi2ELb0ELb0ELi64EEEvPT0_PKT_iiiPKbib
		.amdhsa_group_segment_fixed_size 0
		.amdhsa_private_segment_fixed_size 0
		.amdhsa_kernarg_size 304
		.amdhsa_user_sgpr_count 15
		.amdhsa_user_sgpr_dispatch_ptr 0
		.amdhsa_user_sgpr_queue_ptr 0
		.amdhsa_user_sgpr_kernarg_segment_ptr 1
		.amdhsa_user_sgpr_dispatch_id 0
		.amdhsa_user_sgpr_private_segment_size 0
		.amdhsa_wavefront_size32 1
		.amdhsa_uses_dynamic_stack 0
		.amdhsa_enable_private_segment 0
		.amdhsa_system_sgpr_workgroup_id_x 1
		.amdhsa_system_sgpr_workgroup_id_y 0
		.amdhsa_system_sgpr_workgroup_id_z 0
		.amdhsa_system_sgpr_workgroup_info 0
		.amdhsa_system_vgpr_workitem_id 1
		.amdhsa_next_free_vgpr 13
		.amdhsa_next_free_sgpr 16
		.amdhsa_reserve_vcc 1
		.amdhsa_float_round_mode_32 0
		.amdhsa_float_round_mode_16_64 0
		.amdhsa_float_denorm_mode_32 3
		.amdhsa_float_denorm_mode_16_64 3
		.amdhsa_dx10_clamp 1
		.amdhsa_ieee_mode 1
		.amdhsa_fp16_overflow 0
		.amdhsa_workgroup_processor_mode 1
		.amdhsa_memory_ordered 1
		.amdhsa_forward_progress 0
		.amdhsa_shared_vgpr_count 0
		.amdhsa_exception_fp_ieee_invalid_op 0
		.amdhsa_exception_fp_denorm_src 0
		.amdhsa_exception_fp_ieee_div_zero 0
		.amdhsa_exception_fp_ieee_overflow 0
		.amdhsa_exception_fp_ieee_underflow 0
		.amdhsa_exception_fp_ieee_inexact 0
		.amdhsa_exception_int_div_zero 0
	.end_amdhsa_kernel
	.section	.text._ZN12_GLOBAL__N_120softmax_warp_forwardIN3c108BFloat16EffLi2ELb0ELb0ELi64EEEvPT0_PKT_iiiPKbib,"axG",@progbits,_ZN12_GLOBAL__N_120softmax_warp_forwardIN3c108BFloat16EffLi2ELb0ELb0ELi64EEEvPT0_PKT_iiiPKbib,comdat
.Lfunc_end488:
	.size	_ZN12_GLOBAL__N_120softmax_warp_forwardIN3c108BFloat16EffLi2ELb0ELb0ELi64EEEvPT0_PKT_iiiPKbib, .Lfunc_end488-_ZN12_GLOBAL__N_120softmax_warp_forwardIN3c108BFloat16EffLi2ELb0ELb0ELi64EEEvPT0_PKT_iiiPKbib
                                        ; -- End function
	.section	.AMDGPU.csdata,"",@progbits
; Kernel info:
; codeLenInByte = 1076
; NumSgprs: 18
; NumVgprs: 13
; ScratchSize: 0
; MemoryBound: 0
; FloatMode: 240
; IeeeMode: 1
; LDSByteSize: 0 bytes/workgroup (compile time only)
; SGPRBlocks: 2
; VGPRBlocks: 1
; NumSGPRsForWavesPerEU: 18
; NumVGPRsForWavesPerEU: 13
; Occupancy: 16
; WaveLimiterHint : 0
; COMPUTE_PGM_RSRC2:SCRATCH_EN: 0
; COMPUTE_PGM_RSRC2:USER_SGPR: 15
; COMPUTE_PGM_RSRC2:TRAP_HANDLER: 0
; COMPUTE_PGM_RSRC2:TGID_X_EN: 1
; COMPUTE_PGM_RSRC2:TGID_Y_EN: 0
; COMPUTE_PGM_RSRC2:TGID_Z_EN: 0
; COMPUTE_PGM_RSRC2:TIDIG_COMP_CNT: 1
	.section	.text._ZN12_GLOBAL__N_120softmax_warp_forwardIN3c108BFloat16EffLi2ELb0ELb0ELi32EEEvPT0_PKT_iiiPKbib,"axG",@progbits,_ZN12_GLOBAL__N_120softmax_warp_forwardIN3c108BFloat16EffLi2ELb0ELb0ELi32EEEvPT0_PKT_iiiPKbib,comdat
	.globl	_ZN12_GLOBAL__N_120softmax_warp_forwardIN3c108BFloat16EffLi2ELb0ELb0ELi32EEEvPT0_PKT_iiiPKbib ; -- Begin function _ZN12_GLOBAL__N_120softmax_warp_forwardIN3c108BFloat16EffLi2ELb0ELb0ELi32EEEvPT0_PKT_iiiPKbib
	.p2align	8
	.type	_ZN12_GLOBAL__N_120softmax_warp_forwardIN3c108BFloat16EffLi2ELb0ELb0ELi32EEEvPT0_PKT_iiiPKbib,@function
_ZN12_GLOBAL__N_120softmax_warp_forwardIN3c108BFloat16EffLi2ELb0ELb0ELi32EEEvPT0_PKT_iiiPKbib: ; @_ZN12_GLOBAL__N_120softmax_warp_forwardIN3c108BFloat16EffLi2ELb0ELb0ELi32EEEvPT0_PKT_iiiPKbib
; %bb.0:
	s_clause 0x1
	s_load_b32 s2, s[0:1], 0x3c
	s_load_b256 s[4:11], s[0:1], 0x0
	v_bfe_u32 v1, v0, 10, 10
	v_and_b32_e32 v2, 0x3ff, v0
	v_mov_b32_e32 v5, 0xff800000
	s_waitcnt lgkmcnt(0)
	s_lshr_b32 s0, s2, 16
	s_delay_alu instid0(SALU_CYCLE_1) | instskip(SKIP_2) | instid1(VALU_DEP_1)
	s_mul_i32 s15, s15, s0
	v_cmp_gt_i32_e64 s0, s10, v2
	v_add_lshl_u32 v3, s15, v1, 1
	v_mad_u64_u32 v[0:1], null, v3, s9, v[2:3]
	v_sub_nc_u32_e32 v4, s8, v3
	s_delay_alu instid0(VALU_DEP_1) | instskip(NEXT) | instid1(VALU_DEP_3)
	v_cmp_lt_i32_e32 vcc_lo, 0, v4
	v_ashrrev_i32_e32 v1, 31, v0
	s_and_b32 s2, s0, vcc_lo
	s_delay_alu instid0(VALU_DEP_1) | instskip(NEXT) | instid1(VALU_DEP_1)
	v_lshlrev_b64 v[6:7], 1, v[0:1]
	v_add_co_u32 v2, s1, s6, v6
	v_mov_b32_e32 v6, 0xff800000
	s_delay_alu instid0(VALU_DEP_3)
	v_add_co_ci_u32_e64 v3, s1, s7, v7, s1
	s_and_saveexec_b32 s1, s2
	s_cbranch_execz .LBB489_2
; %bb.1:
	global_load_u16 v6, v[2:3], off
	s_waitcnt vmcnt(0)
	v_lshlrev_b32_e32 v6, 16, v6
.LBB489_2:
	s_or_b32 exec_lo, exec_lo, s1
	v_cmp_lt_i32_e64 s1, 1, v4
	s_delay_alu instid0(VALU_DEP_1) | instskip(NEXT) | instid1(SALU_CYCLE_1)
	s_and_b32 s1, s0, s1
	s_and_saveexec_b32 s2, s1
	s_cbranch_execz .LBB489_4
; %bb.3:
	s_mov_b32 s11, 0
	s_delay_alu instid0(SALU_CYCLE_1) | instskip(NEXT) | instid1(SALU_CYCLE_1)
	s_lshl_b64 s[6:7], s[10:11], 1
	v_add_co_u32 v2, s1, v2, s6
	s_delay_alu instid0(VALU_DEP_1)
	v_add_co_ci_u32_e64 v3, s1, s7, v3, s1
	global_load_u16 v2, v[2:3], off
	s_waitcnt vmcnt(0)
	v_lshlrev_b32_e32 v5, 16, v2
.LBB489_4:
	s_or_b32 exec_lo, exec_lo, s2
	v_mbcnt_lo_u32_b32 v2, -1, 0
	s_delay_alu instid0(VALU_DEP_1) | instskip(SKIP_2) | instid1(VALU_DEP_3)
	v_and_b32_e32 v3, 28, v2
	v_xor_b32_e32 v7, 2, v2
	v_xor_b32_e32 v10, 1, v2
	v_add_nc_u32_e32 v3, 4, v3
	s_delay_alu instid0(VALU_DEP_1) | instskip(NEXT) | instid1(VALU_DEP_1)
	v_cmp_lt_i32_e64 s1, v7, v3
	v_cndmask_b32_e64 v7, v2, v7, s1
	s_delay_alu instid0(VALU_DEP_4) | instskip(NEXT) | instid1(VALU_DEP_2)
	v_cmp_lt_i32_e64 s1, v10, v3
	v_lshlrev_b32_e32 v7, 2, v7
	s_delay_alu instid0(VALU_DEP_2)
	v_cndmask_b32_e64 v2, v2, v10, s1
	ds_bpermute_b32 v8, v7, v6
	ds_bpermute_b32 v9, v7, v5
	v_lshlrev_b32_e32 v10, 2, v2
	s_waitcnt lgkmcnt(1)
	v_cmp_lt_f32_e64 s1, v6, v8
	s_delay_alu instid0(VALU_DEP_1)
	v_cndmask_b32_e64 v2, v6, v8, s1
	s_waitcnt lgkmcnt(0)
	v_cmp_lt_f32_e64 s1, v5, v9
	ds_bpermute_b32 v8, v10, v2
	v_cndmask_b32_e64 v3, v5, v9, s1
	ds_bpermute_b32 v9, v10, v3
	s_waitcnt lgkmcnt(1)
	v_cmp_lt_f32_e64 s1, v2, v8
	s_delay_alu instid0(VALU_DEP_1) | instskip(SKIP_2) | instid1(VALU_DEP_2)
	v_cndmask_b32_e64 v2, v2, v8, s1
	s_waitcnt lgkmcnt(0)
	v_cmp_lt_f32_e64 s1, v3, v9
	v_sub_f32_e32 v2, v6, v2
	s_delay_alu instid0(VALU_DEP_2) | instskip(NEXT) | instid1(VALU_DEP_2)
	v_cndmask_b32_e64 v3, v3, v9, s1
	v_cmp_ngt_f32_e64 s1, 0xc2ce8ed0, v2
	s_delay_alu instid0(VALU_DEP_2) | instskip(NEXT) | instid1(VALU_DEP_1)
	v_sub_f32_e32 v3, v5, v3
	v_dual_mul_f32 v5, 0x3fb8aa3b, v2 :: v_dual_mul_f32 v6, 0x3fb8aa3b, v3
	s_delay_alu instid0(VALU_DEP_1) | instskip(SKIP_1) | instid1(VALU_DEP_3)
	v_fma_f32 v8, 0x3fb8aa3b, v2, -v5
	v_rndne_f32_e32 v9, v5
	v_fma_f32 v11, 0x3fb8aa3b, v3, -v6
	v_rndne_f32_e32 v12, v6
	s_delay_alu instid0(VALU_DEP_2) | instskip(NEXT) | instid1(VALU_DEP_2)
	v_dual_fmac_f32 v8, 0x32a5705f, v2 :: v_dual_fmac_f32 v11, 0x32a5705f, v3
	v_dual_sub_f32 v6, v6, v12 :: v_dual_sub_f32 v5, v5, v9
	s_delay_alu instid0(VALU_DEP_1) | instskip(SKIP_2) | instid1(VALU_DEP_3)
	v_dual_add_f32 v6, v6, v11 :: v_dual_add_f32 v5, v5, v8
	v_cvt_i32_f32_e32 v8, v9
	v_cvt_i32_f32_e32 v9, v12
	v_exp_f32_e32 v6, v6
	s_delay_alu instid0(VALU_DEP_3) | instskip(SKIP_3) | instid1(VALU_DEP_1)
	v_exp_f32_e32 v5, v5
	s_waitcnt_depctr 0xfff
	v_ldexp_f32 v6, v6, v9
	v_ldexp_f32 v5, v5, v8
	v_cndmask_b32_e64 v5, 0, v5, s1
	v_cmp_ngt_f32_e64 s1, 0xc2ce8ed0, v3
	s_delay_alu instid0(VALU_DEP_1) | instskip(SKIP_1) | instid1(VALU_DEP_1)
	v_cndmask_b32_e64 v8, 0, v6, s1
	v_cmp_nlt_f32_e64 s1, 0x42b17218, v2
	v_cndmask_b32_e64 v6, 0x7f800000, v5, s1
	v_cmp_nlt_f32_e64 s1, 0x42b17218, v3
	ds_bpermute_b32 v3, v7, v6
	v_cndmask_b32_e64 v2, 0x7f800000, v8, s1
	ds_bpermute_b32 v5, v7, v2
	s_waitcnt lgkmcnt(1)
	v_add_f32_e32 v7, v6, v3
	ds_bpermute_b32 v8, v10, v7
	s_waitcnt lgkmcnt(1)
	v_add_f32_e32 v3, v2, v5
	ds_bpermute_b32 v5, v10, v3
	s_and_saveexec_b32 s1, vcc_lo
	s_cbranch_execz .LBB489_10
; %bb.5:
	v_lshlrev_b64 v[0:1], 2, v[0:1]
	s_delay_alu instid0(VALU_DEP_1) | instskip(NEXT) | instid1(VALU_DEP_2)
	v_add_co_u32 v0, vcc_lo, s4, v0
	v_add_co_ci_u32_e32 v1, vcc_lo, s5, v1, vcc_lo
	s_and_saveexec_b32 s1, s0
	s_cbranch_execz .LBB489_7
; %bb.6:
	s_waitcnt lgkmcnt(1)
	v_add_f32_e32 v7, v7, v8
	s_delay_alu instid0(VALU_DEP_1) | instskip(NEXT) | instid1(VALU_DEP_1)
	v_div_scale_f32 v8, null, v7, v7, v6
	v_rcp_f32_e32 v9, v8
	s_waitcnt_depctr 0xfff
	v_fma_f32 v10, -v8, v9, 1.0
	s_delay_alu instid0(VALU_DEP_1) | instskip(SKIP_1) | instid1(VALU_DEP_1)
	v_fmac_f32_e32 v9, v10, v9
	v_div_scale_f32 v10, vcc_lo, v6, v7, v6
	v_mul_f32_e32 v11, v10, v9
	s_delay_alu instid0(VALU_DEP_1) | instskip(NEXT) | instid1(VALU_DEP_1)
	v_fma_f32 v12, -v8, v11, v10
	v_fmac_f32_e32 v11, v12, v9
	s_delay_alu instid0(VALU_DEP_1) | instskip(NEXT) | instid1(VALU_DEP_1)
	v_fma_f32 v8, -v8, v11, v10
	v_div_fmas_f32 v8, v8, v9, v11
	v_cmp_neq_f32_e32 vcc_lo, 0, v7
	s_delay_alu instid0(VALU_DEP_2) | instskip(NEXT) | instid1(VALU_DEP_1)
	v_div_fixup_f32 v6, v8, v7, v6
	v_cndmask_b32_e32 v6, 0x7fc00000, v6, vcc_lo
	global_store_b32 v[0:1], v6, off
.LBB489_7:
	s_or_b32 exec_lo, exec_lo, s1
	v_cmp_ne_u32_e32 vcc_lo, 1, v4
	s_and_b32 exec_lo, exec_lo, vcc_lo
	s_cbranch_execz .LBB489_10
; %bb.8:
	s_and_b32 exec_lo, exec_lo, s0
	s_cbranch_execz .LBB489_10
; %bb.9:
	s_waitcnt lgkmcnt(0)
	v_add_f32_e32 v3, v3, v5
	s_mov_b32 s11, 0
	s_delay_alu instid0(SALU_CYCLE_1) | instskip(NEXT) | instid1(VALU_DEP_1)
	s_lshl_b64 s[0:1], s[10:11], 2
	v_div_scale_f32 v4, null, v3, v3, v2
	v_div_scale_f32 v7, vcc_lo, v2, v3, v2
	s_delay_alu instid0(VALU_DEP_2) | instskip(SKIP_2) | instid1(VALU_DEP_1)
	v_rcp_f32_e32 v5, v4
	s_waitcnt_depctr 0xfff
	v_fma_f32 v6, -v4, v5, 1.0
	v_fmac_f32_e32 v5, v6, v5
	s_delay_alu instid0(VALU_DEP_1) | instskip(NEXT) | instid1(VALU_DEP_1)
	v_mul_f32_e32 v6, v7, v5
	v_fma_f32 v8, -v4, v6, v7
	s_delay_alu instid0(VALU_DEP_1) | instskip(NEXT) | instid1(VALU_DEP_1)
	v_fmac_f32_e32 v6, v8, v5
	v_fma_f32 v4, -v4, v6, v7
	s_delay_alu instid0(VALU_DEP_1) | instskip(SKIP_2) | instid1(VALU_DEP_3)
	v_div_fmas_f32 v4, v4, v5, v6
	v_add_co_u32 v0, vcc_lo, v0, s0
	v_add_co_ci_u32_e32 v1, vcc_lo, s1, v1, vcc_lo
	v_div_fixup_f32 v2, v4, v3, v2
	v_cmp_neq_f32_e32 vcc_lo, 0, v3
	s_delay_alu instid0(VALU_DEP_2)
	v_cndmask_b32_e32 v2, 0x7fc00000, v2, vcc_lo
	global_store_b32 v[0:1], v2, off
.LBB489_10:
	s_nop 0
	s_sendmsg sendmsg(MSG_DEALLOC_VGPRS)
	s_endpgm
	.section	.rodata,"a",@progbits
	.p2align	6, 0x0
	.amdhsa_kernel _ZN12_GLOBAL__N_120softmax_warp_forwardIN3c108BFloat16EffLi2ELb0ELb0ELi32EEEvPT0_PKT_iiiPKbib
		.amdhsa_group_segment_fixed_size 0
		.amdhsa_private_segment_fixed_size 0
		.amdhsa_kernarg_size 304
		.amdhsa_user_sgpr_count 15
		.amdhsa_user_sgpr_dispatch_ptr 0
		.amdhsa_user_sgpr_queue_ptr 0
		.amdhsa_user_sgpr_kernarg_segment_ptr 1
		.amdhsa_user_sgpr_dispatch_id 0
		.amdhsa_user_sgpr_private_segment_size 0
		.amdhsa_wavefront_size32 1
		.amdhsa_uses_dynamic_stack 0
		.amdhsa_enable_private_segment 0
		.amdhsa_system_sgpr_workgroup_id_x 1
		.amdhsa_system_sgpr_workgroup_id_y 0
		.amdhsa_system_sgpr_workgroup_id_z 0
		.amdhsa_system_sgpr_workgroup_info 0
		.amdhsa_system_vgpr_workitem_id 1
		.amdhsa_next_free_vgpr 13
		.amdhsa_next_free_sgpr 16
		.amdhsa_reserve_vcc 1
		.amdhsa_float_round_mode_32 0
		.amdhsa_float_round_mode_16_64 0
		.amdhsa_float_denorm_mode_32 3
		.amdhsa_float_denorm_mode_16_64 3
		.amdhsa_dx10_clamp 1
		.amdhsa_ieee_mode 1
		.amdhsa_fp16_overflow 0
		.amdhsa_workgroup_processor_mode 1
		.amdhsa_memory_ordered 1
		.amdhsa_forward_progress 0
		.amdhsa_shared_vgpr_count 0
		.amdhsa_exception_fp_ieee_invalid_op 0
		.amdhsa_exception_fp_denorm_src 0
		.amdhsa_exception_fp_ieee_div_zero 0
		.amdhsa_exception_fp_ieee_overflow 0
		.amdhsa_exception_fp_ieee_underflow 0
		.amdhsa_exception_fp_ieee_inexact 0
		.amdhsa_exception_int_div_zero 0
	.end_amdhsa_kernel
	.section	.text._ZN12_GLOBAL__N_120softmax_warp_forwardIN3c108BFloat16EffLi2ELb0ELb0ELi32EEEvPT0_PKT_iiiPKbib,"axG",@progbits,_ZN12_GLOBAL__N_120softmax_warp_forwardIN3c108BFloat16EffLi2ELb0ELb0ELi32EEEvPT0_PKT_iiiPKbib,comdat
.Lfunc_end489:
	.size	_ZN12_GLOBAL__N_120softmax_warp_forwardIN3c108BFloat16EffLi2ELb0ELb0ELi32EEEvPT0_PKT_iiiPKbib, .Lfunc_end489-_ZN12_GLOBAL__N_120softmax_warp_forwardIN3c108BFloat16EffLi2ELb0ELb0ELi32EEEvPT0_PKT_iiiPKbib
                                        ; -- End function
	.section	.AMDGPU.csdata,"",@progbits
; Kernel info:
; codeLenInByte = 1076
; NumSgprs: 18
; NumVgprs: 13
; ScratchSize: 0
; MemoryBound: 0
; FloatMode: 240
; IeeeMode: 1
; LDSByteSize: 0 bytes/workgroup (compile time only)
; SGPRBlocks: 2
; VGPRBlocks: 1
; NumSGPRsForWavesPerEU: 18
; NumVGPRsForWavesPerEU: 13
; Occupancy: 16
; WaveLimiterHint : 0
; COMPUTE_PGM_RSRC2:SCRATCH_EN: 0
; COMPUTE_PGM_RSRC2:USER_SGPR: 15
; COMPUTE_PGM_RSRC2:TRAP_HANDLER: 0
; COMPUTE_PGM_RSRC2:TGID_X_EN: 1
; COMPUTE_PGM_RSRC2:TGID_Y_EN: 0
; COMPUTE_PGM_RSRC2:TGID_Z_EN: 0
; COMPUTE_PGM_RSRC2:TIDIG_COMP_CNT: 1
	.section	.text._ZN12_GLOBAL__N_120softmax_warp_forwardIN3c108BFloat16EffLi3ELb0ELb0ELi64EEEvPT0_PKT_iiiPKbib,"axG",@progbits,_ZN12_GLOBAL__N_120softmax_warp_forwardIN3c108BFloat16EffLi3ELb0ELb0ELi64EEEvPT0_PKT_iiiPKbib,comdat
	.globl	_ZN12_GLOBAL__N_120softmax_warp_forwardIN3c108BFloat16EffLi3ELb0ELb0ELi64EEEvPT0_PKT_iiiPKbib ; -- Begin function _ZN12_GLOBAL__N_120softmax_warp_forwardIN3c108BFloat16EffLi3ELb0ELb0ELi64EEEvPT0_PKT_iiiPKbib
	.p2align	8
	.type	_ZN12_GLOBAL__N_120softmax_warp_forwardIN3c108BFloat16EffLi3ELb0ELb0ELi64EEEvPT0_PKT_iiiPKbib,@function
_ZN12_GLOBAL__N_120softmax_warp_forwardIN3c108BFloat16EffLi3ELb0ELb0ELi64EEEvPT0_PKT_iiiPKbib: ; @_ZN12_GLOBAL__N_120softmax_warp_forwardIN3c108BFloat16EffLi3ELb0ELb0ELi64EEEvPT0_PKT_iiiPKbib
; %bb.0:
	s_clause 0x1
	s_load_b32 s2, s[0:1], 0x3c
	s_load_b256 s[4:11], s[0:1], 0x0
	v_bfe_u32 v1, v0, 10, 10
	v_and_b32_e32 v2, 0x3ff, v0
	v_mov_b32_e32 v5, 0xff800000
	s_waitcnt lgkmcnt(0)
	s_lshr_b32 s0, s2, 16
	s_delay_alu instid0(SALU_CYCLE_1) | instskip(SKIP_2) | instid1(VALU_DEP_1)
	s_mul_i32 s15, s15, s0
	v_cmp_gt_i32_e64 s0, s10, v2
	v_add_lshl_u32 v3, s15, v1, 1
	v_mad_u64_u32 v[0:1], null, v3, s9, v[2:3]
	v_sub_nc_u32_e32 v4, s8, v3
	s_delay_alu instid0(VALU_DEP_1) | instskip(NEXT) | instid1(VALU_DEP_3)
	v_cmp_lt_i32_e32 vcc_lo, 0, v4
	v_ashrrev_i32_e32 v1, 31, v0
	s_and_b32 s2, s0, vcc_lo
	s_delay_alu instid0(VALU_DEP_1) | instskip(NEXT) | instid1(VALU_DEP_1)
	v_lshlrev_b64 v[6:7], 1, v[0:1]
	v_add_co_u32 v2, s1, s6, v6
	v_mov_b32_e32 v6, 0xff800000
	s_delay_alu instid0(VALU_DEP_3)
	v_add_co_ci_u32_e64 v3, s1, s7, v7, s1
	s_and_saveexec_b32 s1, s2
	s_cbranch_execz .LBB490_2
; %bb.1:
	global_load_u16 v6, v[2:3], off
	s_waitcnt vmcnt(0)
	v_lshlrev_b32_e32 v6, 16, v6
.LBB490_2:
	s_or_b32 exec_lo, exec_lo, s1
	v_cmp_lt_i32_e64 s1, 1, v4
	s_delay_alu instid0(VALU_DEP_1) | instskip(NEXT) | instid1(SALU_CYCLE_1)
	s_and_b32 s1, s0, s1
	s_and_saveexec_b32 s2, s1
	s_cbranch_execz .LBB490_4
; %bb.3:
	s_mov_b32 s11, 0
	s_delay_alu instid0(SALU_CYCLE_1) | instskip(NEXT) | instid1(SALU_CYCLE_1)
	s_lshl_b64 s[6:7], s[10:11], 1
	v_add_co_u32 v2, s1, v2, s6
	s_delay_alu instid0(VALU_DEP_1)
	v_add_co_ci_u32_e64 v3, s1, s7, v3, s1
	global_load_u16 v2, v[2:3], off
	s_waitcnt vmcnt(0)
	v_lshlrev_b32_e32 v5, 16, v2
.LBB490_4:
	s_or_b32 exec_lo, exec_lo, s2
	v_mbcnt_lo_u32_b32 v2, -1, 0
	s_delay_alu instid0(VALU_DEP_1) | instskip(SKIP_3) | instid1(VALU_DEP_4)
	v_and_b32_e32 v3, 24, v2
	v_xor_b32_e32 v7, 4, v2
	v_xor_b32_e32 v10, 2, v2
	;; [unrolled: 1-line block ×3, first 2 shown]
	v_add_nc_u32_e32 v3, 8, v3
	s_delay_alu instid0(VALU_DEP_1) | instskip(NEXT) | instid1(VALU_DEP_1)
	v_cmp_lt_i32_e64 s1, v7, v3
	v_cndmask_b32_e64 v7, v2, v7, s1
	v_cmp_lt_i32_e64 s1, v10, v3
	s_delay_alu instid0(VALU_DEP_2) | instskip(NEXT) | instid1(VALU_DEP_2)
	v_lshlrev_b32_e32 v7, 2, v7
	v_cndmask_b32_e64 v10, v2, v10, s1
	ds_bpermute_b32 v8, v7, v6
	ds_bpermute_b32 v9, v7, v5
	v_lshlrev_b32_e32 v10, 2, v10
	s_waitcnt lgkmcnt(1)
	v_cmp_lt_f32_e64 s1, v6, v8
	s_delay_alu instid0(VALU_DEP_1)
	v_cndmask_b32_e64 v8, v6, v8, s1
	s_waitcnt lgkmcnt(0)
	v_cmp_lt_f32_e64 s1, v5, v9
	ds_bpermute_b32 v11, v10, v8
	v_cndmask_b32_e64 v9, v5, v9, s1
	v_cmp_lt_i32_e64 s1, v13, v3
	ds_bpermute_b32 v12, v10, v9
	v_cndmask_b32_e64 v2, v2, v13, s1
	s_delay_alu instid0(VALU_DEP_1) | instskip(SKIP_2) | instid1(VALU_DEP_1)
	v_lshlrev_b32_e32 v13, 2, v2
	s_waitcnt lgkmcnt(1)
	v_cmp_lt_f32_e64 s1, v8, v11
	v_cndmask_b32_e64 v2, v8, v11, s1
	s_waitcnt lgkmcnt(0)
	v_cmp_lt_f32_e64 s1, v9, v12
	ds_bpermute_b32 v8, v13, v2
	v_cndmask_b32_e64 v3, v9, v12, s1
	ds_bpermute_b32 v9, v13, v3
	s_waitcnt lgkmcnt(1)
	v_cmp_lt_f32_e64 s1, v2, v8
	s_delay_alu instid0(VALU_DEP_1) | instskip(SKIP_2) | instid1(VALU_DEP_2)
	v_cndmask_b32_e64 v2, v2, v8, s1
	s_waitcnt lgkmcnt(0)
	v_cmp_lt_f32_e64 s1, v3, v9
	v_sub_f32_e32 v2, v6, v2
	s_delay_alu instid0(VALU_DEP_2) | instskip(NEXT) | instid1(VALU_DEP_2)
	v_cndmask_b32_e64 v3, v3, v9, s1
	v_cmp_ngt_f32_e64 s1, 0xc2ce8ed0, v2
	s_delay_alu instid0(VALU_DEP_2) | instskip(NEXT) | instid1(VALU_DEP_1)
	v_sub_f32_e32 v3, v5, v3
	v_mul_f32_e32 v6, 0x3fb8aa3b, v3
	s_delay_alu instid0(VALU_DEP_1) | instskip(SKIP_1) | instid1(VALU_DEP_1)
	v_fma_f32 v11, 0x3fb8aa3b, v3, -v6
	v_rndne_f32_e32 v12, v6
	v_dual_fmac_f32 v11, 0x32a5705f, v3 :: v_dual_sub_f32 v6, v6, v12
	s_delay_alu instid0(VALU_DEP_1) | instskip(NEXT) | instid1(VALU_DEP_1)
	v_dual_mul_f32 v5, 0x3fb8aa3b, v2 :: v_dual_add_f32 v6, v6, v11
	v_fma_f32 v8, 0x3fb8aa3b, v2, -v5
	v_rndne_f32_e32 v9, v5
	s_delay_alu instid0(VALU_DEP_3) | instskip(NEXT) | instid1(VALU_DEP_1)
	v_exp_f32_e32 v6, v6
	v_dual_fmac_f32 v8, 0x32a5705f, v2 :: v_dual_sub_f32 v5, v5, v9
	s_delay_alu instid0(VALU_DEP_1) | instskip(SKIP_2) | instid1(VALU_DEP_3)
	v_add_f32_e32 v5, v5, v8
	v_cvt_i32_f32_e32 v8, v9
	v_cvt_i32_f32_e32 v9, v12
	v_exp_f32_e32 v5, v5
	s_waitcnt_depctr 0xfff
	v_ldexp_f32 v6, v6, v9
	v_ldexp_f32 v5, v5, v8
	s_delay_alu instid0(VALU_DEP_1) | instskip(SKIP_1) | instid1(VALU_DEP_1)
	v_cndmask_b32_e64 v5, 0, v5, s1
	v_cmp_ngt_f32_e64 s1, 0xc2ce8ed0, v3
	v_cndmask_b32_e64 v8, 0, v6, s1
	v_cmp_nlt_f32_e64 s1, 0x42b17218, v2
	s_delay_alu instid0(VALU_DEP_1)
	v_cndmask_b32_e64 v6, 0x7f800000, v5, s1
	v_cmp_nlt_f32_e64 s1, 0x42b17218, v3
	ds_bpermute_b32 v3, v7, v6
	v_cndmask_b32_e64 v2, 0x7f800000, v8, s1
	ds_bpermute_b32 v5, v7, v2
	s_waitcnt lgkmcnt(1)
	v_add_f32_e32 v3, v6, v3
	ds_bpermute_b32 v7, v10, v3
	s_waitcnt lgkmcnt(1)
	v_add_f32_e32 v5, v2, v5
	;; [unrolled: 3-line block ×3, first 2 shown]
	s_waitcnt lgkmcnt(0)
	v_add_f32_e32 v3, v5, v8
	ds_bpermute_b32 v8, v13, v7
	ds_bpermute_b32 v5, v13, v3
	s_and_saveexec_b32 s1, vcc_lo
	s_cbranch_execz .LBB490_10
; %bb.5:
	v_lshlrev_b64 v[0:1], 2, v[0:1]
	s_delay_alu instid0(VALU_DEP_1) | instskip(NEXT) | instid1(VALU_DEP_2)
	v_add_co_u32 v0, vcc_lo, s4, v0
	v_add_co_ci_u32_e32 v1, vcc_lo, s5, v1, vcc_lo
	s_and_saveexec_b32 s1, s0
	s_cbranch_execz .LBB490_7
; %bb.6:
	s_waitcnt lgkmcnt(1)
	v_add_f32_e32 v7, v7, v8
	s_delay_alu instid0(VALU_DEP_1) | instskip(NEXT) | instid1(VALU_DEP_1)
	v_div_scale_f32 v8, null, v7, v7, v6
	v_rcp_f32_e32 v9, v8
	s_waitcnt_depctr 0xfff
	v_fma_f32 v10, -v8, v9, 1.0
	s_delay_alu instid0(VALU_DEP_1) | instskip(SKIP_1) | instid1(VALU_DEP_1)
	v_fmac_f32_e32 v9, v10, v9
	v_div_scale_f32 v10, vcc_lo, v6, v7, v6
	v_mul_f32_e32 v11, v10, v9
	s_delay_alu instid0(VALU_DEP_1) | instskip(NEXT) | instid1(VALU_DEP_1)
	v_fma_f32 v12, -v8, v11, v10
	v_fmac_f32_e32 v11, v12, v9
	s_delay_alu instid0(VALU_DEP_1) | instskip(NEXT) | instid1(VALU_DEP_1)
	v_fma_f32 v8, -v8, v11, v10
	v_div_fmas_f32 v8, v8, v9, v11
	v_cmp_neq_f32_e32 vcc_lo, 0, v7
	s_delay_alu instid0(VALU_DEP_2) | instskip(NEXT) | instid1(VALU_DEP_1)
	v_div_fixup_f32 v6, v8, v7, v6
	v_cndmask_b32_e32 v6, 0x7fc00000, v6, vcc_lo
	global_store_b32 v[0:1], v6, off
.LBB490_7:
	s_or_b32 exec_lo, exec_lo, s1
	v_cmp_ne_u32_e32 vcc_lo, 1, v4
	s_and_b32 exec_lo, exec_lo, vcc_lo
	s_cbranch_execz .LBB490_10
; %bb.8:
	s_and_b32 exec_lo, exec_lo, s0
	s_cbranch_execz .LBB490_10
; %bb.9:
	s_waitcnt lgkmcnt(0)
	v_add_f32_e32 v3, v3, v5
	s_mov_b32 s11, 0
	s_delay_alu instid0(SALU_CYCLE_1) | instskip(NEXT) | instid1(VALU_DEP_1)
	s_lshl_b64 s[0:1], s[10:11], 2
	v_div_scale_f32 v4, null, v3, v3, v2
	v_div_scale_f32 v7, vcc_lo, v2, v3, v2
	s_delay_alu instid0(VALU_DEP_2) | instskip(SKIP_2) | instid1(VALU_DEP_1)
	v_rcp_f32_e32 v5, v4
	s_waitcnt_depctr 0xfff
	v_fma_f32 v6, -v4, v5, 1.0
	v_fmac_f32_e32 v5, v6, v5
	s_delay_alu instid0(VALU_DEP_1) | instskip(NEXT) | instid1(VALU_DEP_1)
	v_mul_f32_e32 v6, v7, v5
	v_fma_f32 v8, -v4, v6, v7
	s_delay_alu instid0(VALU_DEP_1) | instskip(NEXT) | instid1(VALU_DEP_1)
	v_fmac_f32_e32 v6, v8, v5
	v_fma_f32 v4, -v4, v6, v7
	s_delay_alu instid0(VALU_DEP_1) | instskip(SKIP_2) | instid1(VALU_DEP_3)
	v_div_fmas_f32 v4, v4, v5, v6
	v_add_co_u32 v0, vcc_lo, v0, s0
	v_add_co_ci_u32_e32 v1, vcc_lo, s1, v1, vcc_lo
	v_div_fixup_f32 v2, v4, v3, v2
	v_cmp_neq_f32_e32 vcc_lo, 0, v3
	s_delay_alu instid0(VALU_DEP_2)
	v_cndmask_b32_e32 v2, 0x7fc00000, v2, vcc_lo
	global_store_b32 v[0:1], v2, off
.LBB490_10:
	s_nop 0
	s_sendmsg sendmsg(MSG_DEALLOC_VGPRS)
	s_endpgm
	.section	.rodata,"a",@progbits
	.p2align	6, 0x0
	.amdhsa_kernel _ZN12_GLOBAL__N_120softmax_warp_forwardIN3c108BFloat16EffLi3ELb0ELb0ELi64EEEvPT0_PKT_iiiPKbib
		.amdhsa_group_segment_fixed_size 0
		.amdhsa_private_segment_fixed_size 0
		.amdhsa_kernarg_size 304
		.amdhsa_user_sgpr_count 15
		.amdhsa_user_sgpr_dispatch_ptr 0
		.amdhsa_user_sgpr_queue_ptr 0
		.amdhsa_user_sgpr_kernarg_segment_ptr 1
		.amdhsa_user_sgpr_dispatch_id 0
		.amdhsa_user_sgpr_private_segment_size 0
		.amdhsa_wavefront_size32 1
		.amdhsa_uses_dynamic_stack 0
		.amdhsa_enable_private_segment 0
		.amdhsa_system_sgpr_workgroup_id_x 1
		.amdhsa_system_sgpr_workgroup_id_y 0
		.amdhsa_system_sgpr_workgroup_id_z 0
		.amdhsa_system_sgpr_workgroup_info 0
		.amdhsa_system_vgpr_workitem_id 1
		.amdhsa_next_free_vgpr 14
		.amdhsa_next_free_sgpr 16
		.amdhsa_reserve_vcc 1
		.amdhsa_float_round_mode_32 0
		.amdhsa_float_round_mode_16_64 0
		.amdhsa_float_denorm_mode_32 3
		.amdhsa_float_denorm_mode_16_64 3
		.amdhsa_dx10_clamp 1
		.amdhsa_ieee_mode 1
		.amdhsa_fp16_overflow 0
		.amdhsa_workgroup_processor_mode 1
		.amdhsa_memory_ordered 1
		.amdhsa_forward_progress 0
		.amdhsa_shared_vgpr_count 0
		.amdhsa_exception_fp_ieee_invalid_op 0
		.amdhsa_exception_fp_denorm_src 0
		.amdhsa_exception_fp_ieee_div_zero 0
		.amdhsa_exception_fp_ieee_overflow 0
		.amdhsa_exception_fp_ieee_underflow 0
		.amdhsa_exception_fp_ieee_inexact 0
		.amdhsa_exception_int_div_zero 0
	.end_amdhsa_kernel
	.section	.text._ZN12_GLOBAL__N_120softmax_warp_forwardIN3c108BFloat16EffLi3ELb0ELb0ELi64EEEvPT0_PKT_iiiPKbib,"axG",@progbits,_ZN12_GLOBAL__N_120softmax_warp_forwardIN3c108BFloat16EffLi3ELb0ELb0ELi64EEEvPT0_PKT_iiiPKbib,comdat
.Lfunc_end490:
	.size	_ZN12_GLOBAL__N_120softmax_warp_forwardIN3c108BFloat16EffLi3ELb0ELb0ELi64EEEvPT0_PKT_iiiPKbib, .Lfunc_end490-_ZN12_GLOBAL__N_120softmax_warp_forwardIN3c108BFloat16EffLi3ELb0ELb0ELi64EEEvPT0_PKT_iiiPKbib
                                        ; -- End function
	.section	.AMDGPU.csdata,"",@progbits
; Kernel info:
; codeLenInByte = 1200
; NumSgprs: 18
; NumVgprs: 14
; ScratchSize: 0
; MemoryBound: 0
; FloatMode: 240
; IeeeMode: 1
; LDSByteSize: 0 bytes/workgroup (compile time only)
; SGPRBlocks: 2
; VGPRBlocks: 1
; NumSGPRsForWavesPerEU: 18
; NumVGPRsForWavesPerEU: 14
; Occupancy: 16
; WaveLimiterHint : 0
; COMPUTE_PGM_RSRC2:SCRATCH_EN: 0
; COMPUTE_PGM_RSRC2:USER_SGPR: 15
; COMPUTE_PGM_RSRC2:TRAP_HANDLER: 0
; COMPUTE_PGM_RSRC2:TGID_X_EN: 1
; COMPUTE_PGM_RSRC2:TGID_Y_EN: 0
; COMPUTE_PGM_RSRC2:TGID_Z_EN: 0
; COMPUTE_PGM_RSRC2:TIDIG_COMP_CNT: 1
	.section	.text._ZN12_GLOBAL__N_120softmax_warp_forwardIN3c108BFloat16EffLi3ELb0ELb0ELi32EEEvPT0_PKT_iiiPKbib,"axG",@progbits,_ZN12_GLOBAL__N_120softmax_warp_forwardIN3c108BFloat16EffLi3ELb0ELb0ELi32EEEvPT0_PKT_iiiPKbib,comdat
	.globl	_ZN12_GLOBAL__N_120softmax_warp_forwardIN3c108BFloat16EffLi3ELb0ELb0ELi32EEEvPT0_PKT_iiiPKbib ; -- Begin function _ZN12_GLOBAL__N_120softmax_warp_forwardIN3c108BFloat16EffLi3ELb0ELb0ELi32EEEvPT0_PKT_iiiPKbib
	.p2align	8
	.type	_ZN12_GLOBAL__N_120softmax_warp_forwardIN3c108BFloat16EffLi3ELb0ELb0ELi32EEEvPT0_PKT_iiiPKbib,@function
_ZN12_GLOBAL__N_120softmax_warp_forwardIN3c108BFloat16EffLi3ELb0ELb0ELi32EEEvPT0_PKT_iiiPKbib: ; @_ZN12_GLOBAL__N_120softmax_warp_forwardIN3c108BFloat16EffLi3ELb0ELb0ELi32EEEvPT0_PKT_iiiPKbib
; %bb.0:
	s_clause 0x1
	s_load_b32 s2, s[0:1], 0x3c
	s_load_b256 s[4:11], s[0:1], 0x0
	v_bfe_u32 v1, v0, 10, 10
	v_and_b32_e32 v2, 0x3ff, v0
	v_mov_b32_e32 v5, 0xff800000
	s_waitcnt lgkmcnt(0)
	s_lshr_b32 s0, s2, 16
	s_delay_alu instid0(SALU_CYCLE_1) | instskip(SKIP_2) | instid1(VALU_DEP_1)
	s_mul_i32 s15, s15, s0
	v_cmp_gt_i32_e64 s0, s10, v2
	v_add_lshl_u32 v3, s15, v1, 1
	v_mad_u64_u32 v[0:1], null, v3, s9, v[2:3]
	v_sub_nc_u32_e32 v4, s8, v3
	s_delay_alu instid0(VALU_DEP_1) | instskip(NEXT) | instid1(VALU_DEP_3)
	v_cmp_lt_i32_e32 vcc_lo, 0, v4
	v_ashrrev_i32_e32 v1, 31, v0
	s_and_b32 s2, s0, vcc_lo
	s_delay_alu instid0(VALU_DEP_1) | instskip(NEXT) | instid1(VALU_DEP_1)
	v_lshlrev_b64 v[6:7], 1, v[0:1]
	v_add_co_u32 v2, s1, s6, v6
	v_mov_b32_e32 v6, 0xff800000
	s_delay_alu instid0(VALU_DEP_3)
	v_add_co_ci_u32_e64 v3, s1, s7, v7, s1
	s_and_saveexec_b32 s1, s2
	s_cbranch_execz .LBB491_2
; %bb.1:
	global_load_u16 v6, v[2:3], off
	s_waitcnt vmcnt(0)
	v_lshlrev_b32_e32 v6, 16, v6
.LBB491_2:
	s_or_b32 exec_lo, exec_lo, s1
	v_cmp_lt_i32_e64 s1, 1, v4
	s_delay_alu instid0(VALU_DEP_1) | instskip(NEXT) | instid1(SALU_CYCLE_1)
	s_and_b32 s1, s0, s1
	s_and_saveexec_b32 s2, s1
	s_cbranch_execz .LBB491_4
; %bb.3:
	s_mov_b32 s11, 0
	s_delay_alu instid0(SALU_CYCLE_1) | instskip(NEXT) | instid1(SALU_CYCLE_1)
	s_lshl_b64 s[6:7], s[10:11], 1
	v_add_co_u32 v2, s1, v2, s6
	s_delay_alu instid0(VALU_DEP_1)
	v_add_co_ci_u32_e64 v3, s1, s7, v3, s1
	global_load_u16 v2, v[2:3], off
	s_waitcnt vmcnt(0)
	v_lshlrev_b32_e32 v5, 16, v2
.LBB491_4:
	s_or_b32 exec_lo, exec_lo, s2
	v_mbcnt_lo_u32_b32 v2, -1, 0
	s_delay_alu instid0(VALU_DEP_1) | instskip(SKIP_3) | instid1(VALU_DEP_4)
	v_and_b32_e32 v3, 24, v2
	v_xor_b32_e32 v7, 4, v2
	v_xor_b32_e32 v10, 2, v2
	;; [unrolled: 1-line block ×3, first 2 shown]
	v_add_nc_u32_e32 v3, 8, v3
	s_delay_alu instid0(VALU_DEP_1) | instskip(NEXT) | instid1(VALU_DEP_1)
	v_cmp_lt_i32_e64 s1, v7, v3
	v_cndmask_b32_e64 v7, v2, v7, s1
	v_cmp_lt_i32_e64 s1, v10, v3
	s_delay_alu instid0(VALU_DEP_2) | instskip(NEXT) | instid1(VALU_DEP_2)
	v_lshlrev_b32_e32 v7, 2, v7
	v_cndmask_b32_e64 v10, v2, v10, s1
	ds_bpermute_b32 v8, v7, v6
	ds_bpermute_b32 v9, v7, v5
	v_lshlrev_b32_e32 v10, 2, v10
	s_waitcnt lgkmcnt(1)
	v_cmp_lt_f32_e64 s1, v6, v8
	s_delay_alu instid0(VALU_DEP_1)
	v_cndmask_b32_e64 v8, v6, v8, s1
	s_waitcnt lgkmcnt(0)
	v_cmp_lt_f32_e64 s1, v5, v9
	ds_bpermute_b32 v11, v10, v8
	v_cndmask_b32_e64 v9, v5, v9, s1
	v_cmp_lt_i32_e64 s1, v13, v3
	ds_bpermute_b32 v12, v10, v9
	v_cndmask_b32_e64 v2, v2, v13, s1
	s_delay_alu instid0(VALU_DEP_1) | instskip(SKIP_2) | instid1(VALU_DEP_1)
	v_lshlrev_b32_e32 v13, 2, v2
	s_waitcnt lgkmcnt(1)
	v_cmp_lt_f32_e64 s1, v8, v11
	v_cndmask_b32_e64 v2, v8, v11, s1
	s_waitcnt lgkmcnt(0)
	v_cmp_lt_f32_e64 s1, v9, v12
	ds_bpermute_b32 v8, v13, v2
	v_cndmask_b32_e64 v3, v9, v12, s1
	ds_bpermute_b32 v9, v13, v3
	s_waitcnt lgkmcnt(1)
	v_cmp_lt_f32_e64 s1, v2, v8
	s_delay_alu instid0(VALU_DEP_1) | instskip(SKIP_2) | instid1(VALU_DEP_2)
	v_cndmask_b32_e64 v2, v2, v8, s1
	s_waitcnt lgkmcnt(0)
	v_cmp_lt_f32_e64 s1, v3, v9
	v_sub_f32_e32 v2, v6, v2
	s_delay_alu instid0(VALU_DEP_2) | instskip(NEXT) | instid1(VALU_DEP_2)
	v_cndmask_b32_e64 v3, v3, v9, s1
	v_cmp_ngt_f32_e64 s1, 0xc2ce8ed0, v2
	s_delay_alu instid0(VALU_DEP_2) | instskip(NEXT) | instid1(VALU_DEP_1)
	v_sub_f32_e32 v3, v5, v3
	v_mul_f32_e32 v6, 0x3fb8aa3b, v3
	s_delay_alu instid0(VALU_DEP_1) | instskip(SKIP_1) | instid1(VALU_DEP_1)
	v_fma_f32 v11, 0x3fb8aa3b, v3, -v6
	v_rndne_f32_e32 v12, v6
	v_dual_fmac_f32 v11, 0x32a5705f, v3 :: v_dual_sub_f32 v6, v6, v12
	s_delay_alu instid0(VALU_DEP_1) | instskip(NEXT) | instid1(VALU_DEP_1)
	v_dual_mul_f32 v5, 0x3fb8aa3b, v2 :: v_dual_add_f32 v6, v6, v11
	v_fma_f32 v8, 0x3fb8aa3b, v2, -v5
	v_rndne_f32_e32 v9, v5
	s_delay_alu instid0(VALU_DEP_3) | instskip(NEXT) | instid1(VALU_DEP_1)
	v_exp_f32_e32 v6, v6
	v_dual_fmac_f32 v8, 0x32a5705f, v2 :: v_dual_sub_f32 v5, v5, v9
	s_delay_alu instid0(VALU_DEP_1) | instskip(SKIP_2) | instid1(VALU_DEP_3)
	v_add_f32_e32 v5, v5, v8
	v_cvt_i32_f32_e32 v8, v9
	v_cvt_i32_f32_e32 v9, v12
	v_exp_f32_e32 v5, v5
	s_waitcnt_depctr 0xfff
	v_ldexp_f32 v6, v6, v9
	v_ldexp_f32 v5, v5, v8
	s_delay_alu instid0(VALU_DEP_1) | instskip(SKIP_1) | instid1(VALU_DEP_1)
	v_cndmask_b32_e64 v5, 0, v5, s1
	v_cmp_ngt_f32_e64 s1, 0xc2ce8ed0, v3
	v_cndmask_b32_e64 v8, 0, v6, s1
	v_cmp_nlt_f32_e64 s1, 0x42b17218, v2
	s_delay_alu instid0(VALU_DEP_1)
	v_cndmask_b32_e64 v6, 0x7f800000, v5, s1
	v_cmp_nlt_f32_e64 s1, 0x42b17218, v3
	ds_bpermute_b32 v3, v7, v6
	v_cndmask_b32_e64 v2, 0x7f800000, v8, s1
	ds_bpermute_b32 v5, v7, v2
	s_waitcnt lgkmcnt(1)
	v_add_f32_e32 v3, v6, v3
	ds_bpermute_b32 v7, v10, v3
	s_waitcnt lgkmcnt(1)
	v_add_f32_e32 v5, v2, v5
	;; [unrolled: 3-line block ×3, first 2 shown]
	s_waitcnt lgkmcnt(0)
	v_add_f32_e32 v3, v5, v8
	ds_bpermute_b32 v8, v13, v7
	ds_bpermute_b32 v5, v13, v3
	s_and_saveexec_b32 s1, vcc_lo
	s_cbranch_execz .LBB491_10
; %bb.5:
	v_lshlrev_b64 v[0:1], 2, v[0:1]
	s_delay_alu instid0(VALU_DEP_1) | instskip(NEXT) | instid1(VALU_DEP_2)
	v_add_co_u32 v0, vcc_lo, s4, v0
	v_add_co_ci_u32_e32 v1, vcc_lo, s5, v1, vcc_lo
	s_and_saveexec_b32 s1, s0
	s_cbranch_execz .LBB491_7
; %bb.6:
	s_waitcnt lgkmcnt(1)
	v_add_f32_e32 v7, v7, v8
	s_delay_alu instid0(VALU_DEP_1) | instskip(NEXT) | instid1(VALU_DEP_1)
	v_div_scale_f32 v8, null, v7, v7, v6
	v_rcp_f32_e32 v9, v8
	s_waitcnt_depctr 0xfff
	v_fma_f32 v10, -v8, v9, 1.0
	s_delay_alu instid0(VALU_DEP_1) | instskip(SKIP_1) | instid1(VALU_DEP_1)
	v_fmac_f32_e32 v9, v10, v9
	v_div_scale_f32 v10, vcc_lo, v6, v7, v6
	v_mul_f32_e32 v11, v10, v9
	s_delay_alu instid0(VALU_DEP_1) | instskip(NEXT) | instid1(VALU_DEP_1)
	v_fma_f32 v12, -v8, v11, v10
	v_fmac_f32_e32 v11, v12, v9
	s_delay_alu instid0(VALU_DEP_1) | instskip(NEXT) | instid1(VALU_DEP_1)
	v_fma_f32 v8, -v8, v11, v10
	v_div_fmas_f32 v8, v8, v9, v11
	v_cmp_neq_f32_e32 vcc_lo, 0, v7
	s_delay_alu instid0(VALU_DEP_2) | instskip(NEXT) | instid1(VALU_DEP_1)
	v_div_fixup_f32 v6, v8, v7, v6
	v_cndmask_b32_e32 v6, 0x7fc00000, v6, vcc_lo
	global_store_b32 v[0:1], v6, off
.LBB491_7:
	s_or_b32 exec_lo, exec_lo, s1
	v_cmp_ne_u32_e32 vcc_lo, 1, v4
	s_and_b32 exec_lo, exec_lo, vcc_lo
	s_cbranch_execz .LBB491_10
; %bb.8:
	s_and_b32 exec_lo, exec_lo, s0
	s_cbranch_execz .LBB491_10
; %bb.9:
	s_waitcnt lgkmcnt(0)
	v_add_f32_e32 v3, v3, v5
	s_mov_b32 s11, 0
	s_delay_alu instid0(SALU_CYCLE_1) | instskip(NEXT) | instid1(VALU_DEP_1)
	s_lshl_b64 s[0:1], s[10:11], 2
	v_div_scale_f32 v4, null, v3, v3, v2
	v_div_scale_f32 v7, vcc_lo, v2, v3, v2
	s_delay_alu instid0(VALU_DEP_2) | instskip(SKIP_2) | instid1(VALU_DEP_1)
	v_rcp_f32_e32 v5, v4
	s_waitcnt_depctr 0xfff
	v_fma_f32 v6, -v4, v5, 1.0
	v_fmac_f32_e32 v5, v6, v5
	s_delay_alu instid0(VALU_DEP_1) | instskip(NEXT) | instid1(VALU_DEP_1)
	v_mul_f32_e32 v6, v7, v5
	v_fma_f32 v8, -v4, v6, v7
	s_delay_alu instid0(VALU_DEP_1) | instskip(NEXT) | instid1(VALU_DEP_1)
	v_fmac_f32_e32 v6, v8, v5
	v_fma_f32 v4, -v4, v6, v7
	s_delay_alu instid0(VALU_DEP_1) | instskip(SKIP_2) | instid1(VALU_DEP_3)
	v_div_fmas_f32 v4, v4, v5, v6
	v_add_co_u32 v0, vcc_lo, v0, s0
	v_add_co_ci_u32_e32 v1, vcc_lo, s1, v1, vcc_lo
	v_div_fixup_f32 v2, v4, v3, v2
	v_cmp_neq_f32_e32 vcc_lo, 0, v3
	s_delay_alu instid0(VALU_DEP_2)
	v_cndmask_b32_e32 v2, 0x7fc00000, v2, vcc_lo
	global_store_b32 v[0:1], v2, off
.LBB491_10:
	s_nop 0
	s_sendmsg sendmsg(MSG_DEALLOC_VGPRS)
	s_endpgm
	.section	.rodata,"a",@progbits
	.p2align	6, 0x0
	.amdhsa_kernel _ZN12_GLOBAL__N_120softmax_warp_forwardIN3c108BFloat16EffLi3ELb0ELb0ELi32EEEvPT0_PKT_iiiPKbib
		.amdhsa_group_segment_fixed_size 0
		.amdhsa_private_segment_fixed_size 0
		.amdhsa_kernarg_size 304
		.amdhsa_user_sgpr_count 15
		.amdhsa_user_sgpr_dispatch_ptr 0
		.amdhsa_user_sgpr_queue_ptr 0
		.amdhsa_user_sgpr_kernarg_segment_ptr 1
		.amdhsa_user_sgpr_dispatch_id 0
		.amdhsa_user_sgpr_private_segment_size 0
		.amdhsa_wavefront_size32 1
		.amdhsa_uses_dynamic_stack 0
		.amdhsa_enable_private_segment 0
		.amdhsa_system_sgpr_workgroup_id_x 1
		.amdhsa_system_sgpr_workgroup_id_y 0
		.amdhsa_system_sgpr_workgroup_id_z 0
		.amdhsa_system_sgpr_workgroup_info 0
		.amdhsa_system_vgpr_workitem_id 1
		.amdhsa_next_free_vgpr 14
		.amdhsa_next_free_sgpr 16
		.amdhsa_reserve_vcc 1
		.amdhsa_float_round_mode_32 0
		.amdhsa_float_round_mode_16_64 0
		.amdhsa_float_denorm_mode_32 3
		.amdhsa_float_denorm_mode_16_64 3
		.amdhsa_dx10_clamp 1
		.amdhsa_ieee_mode 1
		.amdhsa_fp16_overflow 0
		.amdhsa_workgroup_processor_mode 1
		.amdhsa_memory_ordered 1
		.amdhsa_forward_progress 0
		.amdhsa_shared_vgpr_count 0
		.amdhsa_exception_fp_ieee_invalid_op 0
		.amdhsa_exception_fp_denorm_src 0
		.amdhsa_exception_fp_ieee_div_zero 0
		.amdhsa_exception_fp_ieee_overflow 0
		.amdhsa_exception_fp_ieee_underflow 0
		.amdhsa_exception_fp_ieee_inexact 0
		.amdhsa_exception_int_div_zero 0
	.end_amdhsa_kernel
	.section	.text._ZN12_GLOBAL__N_120softmax_warp_forwardIN3c108BFloat16EffLi3ELb0ELb0ELi32EEEvPT0_PKT_iiiPKbib,"axG",@progbits,_ZN12_GLOBAL__N_120softmax_warp_forwardIN3c108BFloat16EffLi3ELb0ELb0ELi32EEEvPT0_PKT_iiiPKbib,comdat
.Lfunc_end491:
	.size	_ZN12_GLOBAL__N_120softmax_warp_forwardIN3c108BFloat16EffLi3ELb0ELb0ELi32EEEvPT0_PKT_iiiPKbib, .Lfunc_end491-_ZN12_GLOBAL__N_120softmax_warp_forwardIN3c108BFloat16EffLi3ELb0ELb0ELi32EEEvPT0_PKT_iiiPKbib
                                        ; -- End function
	.section	.AMDGPU.csdata,"",@progbits
; Kernel info:
; codeLenInByte = 1200
; NumSgprs: 18
; NumVgprs: 14
; ScratchSize: 0
; MemoryBound: 0
; FloatMode: 240
; IeeeMode: 1
; LDSByteSize: 0 bytes/workgroup (compile time only)
; SGPRBlocks: 2
; VGPRBlocks: 1
; NumSGPRsForWavesPerEU: 18
; NumVGPRsForWavesPerEU: 14
; Occupancy: 16
; WaveLimiterHint : 0
; COMPUTE_PGM_RSRC2:SCRATCH_EN: 0
; COMPUTE_PGM_RSRC2:USER_SGPR: 15
; COMPUTE_PGM_RSRC2:TRAP_HANDLER: 0
; COMPUTE_PGM_RSRC2:TGID_X_EN: 1
; COMPUTE_PGM_RSRC2:TGID_Y_EN: 0
; COMPUTE_PGM_RSRC2:TGID_Z_EN: 0
; COMPUTE_PGM_RSRC2:TIDIG_COMP_CNT: 1
	.section	.text._ZN12_GLOBAL__N_120softmax_warp_forwardIN3c108BFloat16EffLi4ELb0ELb0ELi64EEEvPT0_PKT_iiiPKbib,"axG",@progbits,_ZN12_GLOBAL__N_120softmax_warp_forwardIN3c108BFloat16EffLi4ELb0ELb0ELi64EEEvPT0_PKT_iiiPKbib,comdat
	.globl	_ZN12_GLOBAL__N_120softmax_warp_forwardIN3c108BFloat16EffLi4ELb0ELb0ELi64EEEvPT0_PKT_iiiPKbib ; -- Begin function _ZN12_GLOBAL__N_120softmax_warp_forwardIN3c108BFloat16EffLi4ELb0ELb0ELi64EEEvPT0_PKT_iiiPKbib
	.p2align	8
	.type	_ZN12_GLOBAL__N_120softmax_warp_forwardIN3c108BFloat16EffLi4ELb0ELb0ELi64EEEvPT0_PKT_iiiPKbib,@function
_ZN12_GLOBAL__N_120softmax_warp_forwardIN3c108BFloat16EffLi4ELb0ELb0ELi64EEEvPT0_PKT_iiiPKbib: ; @_ZN12_GLOBAL__N_120softmax_warp_forwardIN3c108BFloat16EffLi4ELb0ELb0ELi64EEEvPT0_PKT_iiiPKbib
; %bb.0:
	s_clause 0x1
	s_load_b32 s2, s[0:1], 0x3c
	s_load_b256 s[4:11], s[0:1], 0x0
	v_bfe_u32 v1, v0, 10, 10
	v_and_b32_e32 v2, 0x3ff, v0
	v_mov_b32_e32 v5, 0xff800000
	s_waitcnt lgkmcnt(0)
	s_lshr_b32 s0, s2, 16
	s_delay_alu instid0(SALU_CYCLE_1) | instskip(SKIP_2) | instid1(VALU_DEP_1)
	s_mul_i32 s15, s15, s0
	v_cmp_gt_i32_e64 s0, s10, v2
	v_add_lshl_u32 v3, s15, v1, 1
	v_mad_u64_u32 v[0:1], null, v3, s9, v[2:3]
	v_sub_nc_u32_e32 v4, s8, v3
	s_delay_alu instid0(VALU_DEP_1) | instskip(NEXT) | instid1(VALU_DEP_3)
	v_cmp_lt_i32_e32 vcc_lo, 0, v4
	v_ashrrev_i32_e32 v1, 31, v0
	s_and_b32 s2, s0, vcc_lo
	s_delay_alu instid0(VALU_DEP_1) | instskip(NEXT) | instid1(VALU_DEP_1)
	v_lshlrev_b64 v[6:7], 1, v[0:1]
	v_add_co_u32 v2, s1, s6, v6
	v_mov_b32_e32 v6, 0xff800000
	s_delay_alu instid0(VALU_DEP_3)
	v_add_co_ci_u32_e64 v3, s1, s7, v7, s1
	s_and_saveexec_b32 s1, s2
	s_cbranch_execz .LBB492_2
; %bb.1:
	global_load_u16 v6, v[2:3], off
	s_waitcnt vmcnt(0)
	v_lshlrev_b32_e32 v6, 16, v6
.LBB492_2:
	s_or_b32 exec_lo, exec_lo, s1
	v_cmp_lt_i32_e64 s1, 1, v4
	s_delay_alu instid0(VALU_DEP_1) | instskip(NEXT) | instid1(SALU_CYCLE_1)
	s_and_b32 s1, s0, s1
	s_and_saveexec_b32 s2, s1
	s_cbranch_execz .LBB492_4
; %bb.3:
	s_mov_b32 s11, 0
	s_delay_alu instid0(SALU_CYCLE_1) | instskip(NEXT) | instid1(SALU_CYCLE_1)
	s_lshl_b64 s[6:7], s[10:11], 1
	v_add_co_u32 v2, s1, v2, s6
	s_delay_alu instid0(VALU_DEP_1)
	v_add_co_ci_u32_e64 v3, s1, s7, v3, s1
	global_load_u16 v2, v[2:3], off
	s_waitcnt vmcnt(0)
	v_lshlrev_b32_e32 v5, 16, v2
.LBB492_4:
	s_or_b32 exec_lo, exec_lo, s2
	v_mbcnt_lo_u32_b32 v2, -1, 0
	s_delay_alu instid0(VALU_DEP_1)
	v_and_b32_e32 v3, 16, v2
	v_xor_b32_e32 v7, 8, v2
	v_xor_b32_e32 v10, 4, v2
	;; [unrolled: 1-line block ×4, first 2 shown]
	v_add_nc_u32_e32 v3, 16, v3
	s_delay_alu instid0(VALU_DEP_1) | instskip(NEXT) | instid1(VALU_DEP_1)
	v_cmp_lt_i32_e64 s1, v7, v3
	v_cndmask_b32_e64 v7, v2, v7, s1
	v_cmp_lt_i32_e64 s1, v10, v3
	s_delay_alu instid0(VALU_DEP_2) | instskip(NEXT) | instid1(VALU_DEP_2)
	v_lshlrev_b32_e32 v7, 2, v7
	v_cndmask_b32_e64 v10, v2, v10, s1
	ds_bpermute_b32 v8, v7, v6
	ds_bpermute_b32 v9, v7, v5
	v_lshlrev_b32_e32 v10, 2, v10
	s_waitcnt lgkmcnt(1)
	v_cmp_lt_f32_e64 s1, v6, v8
	s_delay_alu instid0(VALU_DEP_1)
	v_cndmask_b32_e64 v8, v6, v8, s1
	s_waitcnt lgkmcnt(0)
	v_cmp_lt_f32_e64 s1, v5, v9
	ds_bpermute_b32 v11, v10, v8
	v_cndmask_b32_e64 v9, v5, v9, s1
	v_cmp_lt_i32_e64 s1, v13, v3
	ds_bpermute_b32 v12, v10, v9
	v_cndmask_b32_e64 v13, v2, v13, s1
	s_delay_alu instid0(VALU_DEP_1) | instskip(SKIP_2) | instid1(VALU_DEP_1)
	v_lshlrev_b32_e32 v13, 2, v13
	s_waitcnt lgkmcnt(1)
	v_cmp_lt_f32_e64 s1, v8, v11
	v_cndmask_b32_e64 v8, v8, v11, s1
	s_waitcnt lgkmcnt(0)
	v_cmp_lt_f32_e64 s1, v9, v12
	ds_bpermute_b32 v11, v13, v8
	v_cndmask_b32_e64 v9, v9, v12, s1
	v_cmp_lt_i32_e64 s1, v14, v3
	ds_bpermute_b32 v12, v13, v9
	v_cndmask_b32_e64 v2, v2, v14, s1
	s_delay_alu instid0(VALU_DEP_1) | instskip(SKIP_2) | instid1(VALU_DEP_1)
	v_lshlrev_b32_e32 v14, 2, v2
	s_waitcnt lgkmcnt(1)
	v_cmp_lt_f32_e64 s1, v8, v11
	v_cndmask_b32_e64 v2, v8, v11, s1
	s_waitcnt lgkmcnt(0)
	v_cmp_lt_f32_e64 s1, v9, v12
	ds_bpermute_b32 v8, v14, v2
	v_cndmask_b32_e64 v3, v9, v12, s1
	ds_bpermute_b32 v9, v14, v3
	s_waitcnt lgkmcnt(1)
	v_cmp_lt_f32_e64 s1, v2, v8
	s_delay_alu instid0(VALU_DEP_1) | instskip(SKIP_2) | instid1(VALU_DEP_2)
	v_cndmask_b32_e64 v2, v2, v8, s1
	s_waitcnt lgkmcnt(0)
	v_cmp_lt_f32_e64 s1, v3, v9
	v_sub_f32_e32 v2, v6, v2
	s_delay_alu instid0(VALU_DEP_2) | instskip(NEXT) | instid1(VALU_DEP_2)
	v_cndmask_b32_e64 v3, v3, v9, s1
	v_cmp_ngt_f32_e64 s1, 0xc2ce8ed0, v2
	s_delay_alu instid0(VALU_DEP_2) | instskip(NEXT) | instid1(VALU_DEP_1)
	v_sub_f32_e32 v3, v5, v3
	v_mul_f32_e32 v6, 0x3fb8aa3b, v3
	s_delay_alu instid0(VALU_DEP_1) | instskip(SKIP_1) | instid1(VALU_DEP_1)
	v_fma_f32 v11, 0x3fb8aa3b, v3, -v6
	v_rndne_f32_e32 v12, v6
	v_dual_fmac_f32 v11, 0x32a5705f, v3 :: v_dual_sub_f32 v6, v6, v12
	s_delay_alu instid0(VALU_DEP_1) | instskip(NEXT) | instid1(VALU_DEP_1)
	v_dual_mul_f32 v5, 0x3fb8aa3b, v2 :: v_dual_add_f32 v6, v6, v11
	v_fma_f32 v8, 0x3fb8aa3b, v2, -v5
	v_rndne_f32_e32 v9, v5
	s_delay_alu instid0(VALU_DEP_3) | instskip(NEXT) | instid1(VALU_DEP_1)
	v_exp_f32_e32 v6, v6
	v_dual_fmac_f32 v8, 0x32a5705f, v2 :: v_dual_sub_f32 v5, v5, v9
	s_delay_alu instid0(VALU_DEP_1) | instskip(SKIP_2) | instid1(VALU_DEP_3)
	v_add_f32_e32 v5, v5, v8
	v_cvt_i32_f32_e32 v8, v9
	v_cvt_i32_f32_e32 v9, v12
	v_exp_f32_e32 v5, v5
	s_waitcnt_depctr 0xfff
	v_ldexp_f32 v6, v6, v9
	v_ldexp_f32 v5, v5, v8
	s_delay_alu instid0(VALU_DEP_1) | instskip(SKIP_1) | instid1(VALU_DEP_1)
	v_cndmask_b32_e64 v5, 0, v5, s1
	v_cmp_ngt_f32_e64 s1, 0xc2ce8ed0, v3
	v_cndmask_b32_e64 v8, 0, v6, s1
	v_cmp_nlt_f32_e64 s1, 0x42b17218, v2
	s_delay_alu instid0(VALU_DEP_1)
	v_cndmask_b32_e64 v6, 0x7f800000, v5, s1
	v_cmp_nlt_f32_e64 s1, 0x42b17218, v3
	ds_bpermute_b32 v3, v7, v6
	v_cndmask_b32_e64 v2, 0x7f800000, v8, s1
	ds_bpermute_b32 v5, v7, v2
	s_waitcnt lgkmcnt(1)
	v_add_f32_e32 v3, v6, v3
	ds_bpermute_b32 v7, v10, v3
	s_waitcnt lgkmcnt(1)
	v_add_f32_e32 v5, v2, v5
	;; [unrolled: 3-line block ×5, first 2 shown]
	s_waitcnt lgkmcnt(0)
	v_add_f32_e32 v3, v5, v8
	ds_bpermute_b32 v8, v14, v7
	ds_bpermute_b32 v5, v14, v3
	s_and_saveexec_b32 s1, vcc_lo
	s_cbranch_execz .LBB492_10
; %bb.5:
	v_lshlrev_b64 v[0:1], 2, v[0:1]
	s_delay_alu instid0(VALU_DEP_1) | instskip(NEXT) | instid1(VALU_DEP_2)
	v_add_co_u32 v0, vcc_lo, s4, v0
	v_add_co_ci_u32_e32 v1, vcc_lo, s5, v1, vcc_lo
	s_and_saveexec_b32 s1, s0
	s_cbranch_execz .LBB492_7
; %bb.6:
	s_waitcnt lgkmcnt(1)
	v_add_f32_e32 v7, v7, v8
	s_delay_alu instid0(VALU_DEP_1) | instskip(NEXT) | instid1(VALU_DEP_1)
	v_div_scale_f32 v8, null, v7, v7, v6
	v_rcp_f32_e32 v9, v8
	s_waitcnt_depctr 0xfff
	v_fma_f32 v10, -v8, v9, 1.0
	s_delay_alu instid0(VALU_DEP_1) | instskip(SKIP_1) | instid1(VALU_DEP_1)
	v_fmac_f32_e32 v9, v10, v9
	v_div_scale_f32 v10, vcc_lo, v6, v7, v6
	v_mul_f32_e32 v11, v10, v9
	s_delay_alu instid0(VALU_DEP_1) | instskip(NEXT) | instid1(VALU_DEP_1)
	v_fma_f32 v12, -v8, v11, v10
	v_fmac_f32_e32 v11, v12, v9
	s_delay_alu instid0(VALU_DEP_1) | instskip(NEXT) | instid1(VALU_DEP_1)
	v_fma_f32 v8, -v8, v11, v10
	v_div_fmas_f32 v8, v8, v9, v11
	v_cmp_neq_f32_e32 vcc_lo, 0, v7
	s_delay_alu instid0(VALU_DEP_2) | instskip(NEXT) | instid1(VALU_DEP_1)
	v_div_fixup_f32 v6, v8, v7, v6
	v_cndmask_b32_e32 v6, 0x7fc00000, v6, vcc_lo
	global_store_b32 v[0:1], v6, off
.LBB492_7:
	s_or_b32 exec_lo, exec_lo, s1
	v_cmp_ne_u32_e32 vcc_lo, 1, v4
	s_and_b32 exec_lo, exec_lo, vcc_lo
	s_cbranch_execz .LBB492_10
; %bb.8:
	s_and_b32 exec_lo, exec_lo, s0
	s_cbranch_execz .LBB492_10
; %bb.9:
	s_waitcnt lgkmcnt(0)
	v_add_f32_e32 v3, v3, v5
	s_mov_b32 s11, 0
	s_delay_alu instid0(SALU_CYCLE_1) | instskip(NEXT) | instid1(VALU_DEP_1)
	s_lshl_b64 s[0:1], s[10:11], 2
	v_div_scale_f32 v4, null, v3, v3, v2
	v_div_scale_f32 v7, vcc_lo, v2, v3, v2
	s_delay_alu instid0(VALU_DEP_2) | instskip(SKIP_2) | instid1(VALU_DEP_1)
	v_rcp_f32_e32 v5, v4
	s_waitcnt_depctr 0xfff
	v_fma_f32 v6, -v4, v5, 1.0
	v_fmac_f32_e32 v5, v6, v5
	s_delay_alu instid0(VALU_DEP_1) | instskip(NEXT) | instid1(VALU_DEP_1)
	v_mul_f32_e32 v6, v7, v5
	v_fma_f32 v8, -v4, v6, v7
	s_delay_alu instid0(VALU_DEP_1) | instskip(NEXT) | instid1(VALU_DEP_1)
	v_fmac_f32_e32 v6, v8, v5
	v_fma_f32 v4, -v4, v6, v7
	s_delay_alu instid0(VALU_DEP_1) | instskip(SKIP_2) | instid1(VALU_DEP_3)
	v_div_fmas_f32 v4, v4, v5, v6
	v_add_co_u32 v0, vcc_lo, v0, s0
	v_add_co_ci_u32_e32 v1, vcc_lo, s1, v1, vcc_lo
	v_div_fixup_f32 v2, v4, v3, v2
	v_cmp_neq_f32_e32 vcc_lo, 0, v3
	s_delay_alu instid0(VALU_DEP_2)
	v_cndmask_b32_e32 v2, 0x7fc00000, v2, vcc_lo
	global_store_b32 v[0:1], v2, off
.LBB492_10:
	s_nop 0
	s_sendmsg sendmsg(MSG_DEALLOC_VGPRS)
	s_endpgm
	.section	.rodata,"a",@progbits
	.p2align	6, 0x0
	.amdhsa_kernel _ZN12_GLOBAL__N_120softmax_warp_forwardIN3c108BFloat16EffLi4ELb0ELb0ELi64EEEvPT0_PKT_iiiPKbib
		.amdhsa_group_segment_fixed_size 0
		.amdhsa_private_segment_fixed_size 0
		.amdhsa_kernarg_size 304
		.amdhsa_user_sgpr_count 15
		.amdhsa_user_sgpr_dispatch_ptr 0
		.amdhsa_user_sgpr_queue_ptr 0
		.amdhsa_user_sgpr_kernarg_segment_ptr 1
		.amdhsa_user_sgpr_dispatch_id 0
		.amdhsa_user_sgpr_private_segment_size 0
		.amdhsa_wavefront_size32 1
		.amdhsa_uses_dynamic_stack 0
		.amdhsa_enable_private_segment 0
		.amdhsa_system_sgpr_workgroup_id_x 1
		.amdhsa_system_sgpr_workgroup_id_y 0
		.amdhsa_system_sgpr_workgroup_id_z 0
		.amdhsa_system_sgpr_workgroup_info 0
		.amdhsa_system_vgpr_workitem_id 1
		.amdhsa_next_free_vgpr 15
		.amdhsa_next_free_sgpr 16
		.amdhsa_reserve_vcc 1
		.amdhsa_float_round_mode_32 0
		.amdhsa_float_round_mode_16_64 0
		.amdhsa_float_denorm_mode_32 3
		.amdhsa_float_denorm_mode_16_64 3
		.amdhsa_dx10_clamp 1
		.amdhsa_ieee_mode 1
		.amdhsa_fp16_overflow 0
		.amdhsa_workgroup_processor_mode 1
		.amdhsa_memory_ordered 1
		.amdhsa_forward_progress 0
		.amdhsa_shared_vgpr_count 0
		.amdhsa_exception_fp_ieee_invalid_op 0
		.amdhsa_exception_fp_denorm_src 0
		.amdhsa_exception_fp_ieee_div_zero 0
		.amdhsa_exception_fp_ieee_overflow 0
		.amdhsa_exception_fp_ieee_underflow 0
		.amdhsa_exception_fp_ieee_inexact 0
		.amdhsa_exception_int_div_zero 0
	.end_amdhsa_kernel
	.section	.text._ZN12_GLOBAL__N_120softmax_warp_forwardIN3c108BFloat16EffLi4ELb0ELb0ELi64EEEvPT0_PKT_iiiPKbib,"axG",@progbits,_ZN12_GLOBAL__N_120softmax_warp_forwardIN3c108BFloat16EffLi4ELb0ELb0ELi64EEEvPT0_PKT_iiiPKbib,comdat
.Lfunc_end492:
	.size	_ZN12_GLOBAL__N_120softmax_warp_forwardIN3c108BFloat16EffLi4ELb0ELb0ELi64EEEvPT0_PKT_iiiPKbib, .Lfunc_end492-_ZN12_GLOBAL__N_120softmax_warp_forwardIN3c108BFloat16EffLi4ELb0ELb0ELi64EEEvPT0_PKT_iiiPKbib
                                        ; -- End function
	.section	.AMDGPU.csdata,"",@progbits
; Kernel info:
; codeLenInByte = 1316
; NumSgprs: 18
; NumVgprs: 15
; ScratchSize: 0
; MemoryBound: 0
; FloatMode: 240
; IeeeMode: 1
; LDSByteSize: 0 bytes/workgroup (compile time only)
; SGPRBlocks: 2
; VGPRBlocks: 1
; NumSGPRsForWavesPerEU: 18
; NumVGPRsForWavesPerEU: 15
; Occupancy: 16
; WaveLimiterHint : 0
; COMPUTE_PGM_RSRC2:SCRATCH_EN: 0
; COMPUTE_PGM_RSRC2:USER_SGPR: 15
; COMPUTE_PGM_RSRC2:TRAP_HANDLER: 0
; COMPUTE_PGM_RSRC2:TGID_X_EN: 1
; COMPUTE_PGM_RSRC2:TGID_Y_EN: 0
; COMPUTE_PGM_RSRC2:TGID_Z_EN: 0
; COMPUTE_PGM_RSRC2:TIDIG_COMP_CNT: 1
	.section	.text._ZN12_GLOBAL__N_120softmax_warp_forwardIN3c108BFloat16EffLi4ELb0ELb0ELi32EEEvPT0_PKT_iiiPKbib,"axG",@progbits,_ZN12_GLOBAL__N_120softmax_warp_forwardIN3c108BFloat16EffLi4ELb0ELb0ELi32EEEvPT0_PKT_iiiPKbib,comdat
	.globl	_ZN12_GLOBAL__N_120softmax_warp_forwardIN3c108BFloat16EffLi4ELb0ELb0ELi32EEEvPT0_PKT_iiiPKbib ; -- Begin function _ZN12_GLOBAL__N_120softmax_warp_forwardIN3c108BFloat16EffLi4ELb0ELb0ELi32EEEvPT0_PKT_iiiPKbib
	.p2align	8
	.type	_ZN12_GLOBAL__N_120softmax_warp_forwardIN3c108BFloat16EffLi4ELb0ELb0ELi32EEEvPT0_PKT_iiiPKbib,@function
_ZN12_GLOBAL__N_120softmax_warp_forwardIN3c108BFloat16EffLi4ELb0ELb0ELi32EEEvPT0_PKT_iiiPKbib: ; @_ZN12_GLOBAL__N_120softmax_warp_forwardIN3c108BFloat16EffLi4ELb0ELb0ELi32EEEvPT0_PKT_iiiPKbib
; %bb.0:
	s_clause 0x1
	s_load_b32 s2, s[0:1], 0x3c
	s_load_b256 s[4:11], s[0:1], 0x0
	v_bfe_u32 v1, v0, 10, 10
	v_and_b32_e32 v2, 0x3ff, v0
	v_mov_b32_e32 v5, 0xff800000
	s_waitcnt lgkmcnt(0)
	s_lshr_b32 s0, s2, 16
	s_delay_alu instid0(SALU_CYCLE_1) | instskip(SKIP_2) | instid1(VALU_DEP_1)
	s_mul_i32 s15, s15, s0
	v_cmp_gt_i32_e64 s0, s10, v2
	v_add_lshl_u32 v3, s15, v1, 1
	v_mad_u64_u32 v[0:1], null, v3, s9, v[2:3]
	v_sub_nc_u32_e32 v4, s8, v3
	s_delay_alu instid0(VALU_DEP_1) | instskip(NEXT) | instid1(VALU_DEP_3)
	v_cmp_lt_i32_e32 vcc_lo, 0, v4
	v_ashrrev_i32_e32 v1, 31, v0
	s_and_b32 s2, s0, vcc_lo
	s_delay_alu instid0(VALU_DEP_1) | instskip(NEXT) | instid1(VALU_DEP_1)
	v_lshlrev_b64 v[6:7], 1, v[0:1]
	v_add_co_u32 v2, s1, s6, v6
	v_mov_b32_e32 v6, 0xff800000
	s_delay_alu instid0(VALU_DEP_3)
	v_add_co_ci_u32_e64 v3, s1, s7, v7, s1
	s_and_saveexec_b32 s1, s2
	s_cbranch_execz .LBB493_2
; %bb.1:
	global_load_u16 v6, v[2:3], off
	s_waitcnt vmcnt(0)
	v_lshlrev_b32_e32 v6, 16, v6
.LBB493_2:
	s_or_b32 exec_lo, exec_lo, s1
	v_cmp_lt_i32_e64 s1, 1, v4
	s_delay_alu instid0(VALU_DEP_1) | instskip(NEXT) | instid1(SALU_CYCLE_1)
	s_and_b32 s1, s0, s1
	s_and_saveexec_b32 s2, s1
	s_cbranch_execz .LBB493_4
; %bb.3:
	s_mov_b32 s11, 0
	s_delay_alu instid0(SALU_CYCLE_1) | instskip(NEXT) | instid1(SALU_CYCLE_1)
	s_lshl_b64 s[6:7], s[10:11], 1
	v_add_co_u32 v2, s1, v2, s6
	s_delay_alu instid0(VALU_DEP_1)
	v_add_co_ci_u32_e64 v3, s1, s7, v3, s1
	global_load_u16 v2, v[2:3], off
	s_waitcnt vmcnt(0)
	v_lshlrev_b32_e32 v5, 16, v2
.LBB493_4:
	s_or_b32 exec_lo, exec_lo, s2
	v_mbcnt_lo_u32_b32 v2, -1, 0
	s_delay_alu instid0(VALU_DEP_1)
	v_and_b32_e32 v3, 16, v2
	v_xor_b32_e32 v7, 8, v2
	v_xor_b32_e32 v10, 4, v2
	;; [unrolled: 1-line block ×4, first 2 shown]
	v_add_nc_u32_e32 v3, 16, v3
	s_delay_alu instid0(VALU_DEP_1) | instskip(NEXT) | instid1(VALU_DEP_1)
	v_cmp_lt_i32_e64 s1, v7, v3
	v_cndmask_b32_e64 v7, v2, v7, s1
	v_cmp_lt_i32_e64 s1, v10, v3
	s_delay_alu instid0(VALU_DEP_2) | instskip(NEXT) | instid1(VALU_DEP_2)
	v_lshlrev_b32_e32 v7, 2, v7
	v_cndmask_b32_e64 v10, v2, v10, s1
	ds_bpermute_b32 v8, v7, v6
	ds_bpermute_b32 v9, v7, v5
	v_lshlrev_b32_e32 v10, 2, v10
	s_waitcnt lgkmcnt(1)
	v_cmp_lt_f32_e64 s1, v6, v8
	s_delay_alu instid0(VALU_DEP_1)
	v_cndmask_b32_e64 v8, v6, v8, s1
	s_waitcnt lgkmcnt(0)
	v_cmp_lt_f32_e64 s1, v5, v9
	ds_bpermute_b32 v11, v10, v8
	v_cndmask_b32_e64 v9, v5, v9, s1
	v_cmp_lt_i32_e64 s1, v13, v3
	ds_bpermute_b32 v12, v10, v9
	v_cndmask_b32_e64 v13, v2, v13, s1
	s_delay_alu instid0(VALU_DEP_1) | instskip(SKIP_2) | instid1(VALU_DEP_1)
	v_lshlrev_b32_e32 v13, 2, v13
	s_waitcnt lgkmcnt(1)
	v_cmp_lt_f32_e64 s1, v8, v11
	v_cndmask_b32_e64 v8, v8, v11, s1
	s_waitcnt lgkmcnt(0)
	v_cmp_lt_f32_e64 s1, v9, v12
	ds_bpermute_b32 v11, v13, v8
	v_cndmask_b32_e64 v9, v9, v12, s1
	v_cmp_lt_i32_e64 s1, v14, v3
	ds_bpermute_b32 v12, v13, v9
	v_cndmask_b32_e64 v2, v2, v14, s1
	s_delay_alu instid0(VALU_DEP_1) | instskip(SKIP_2) | instid1(VALU_DEP_1)
	v_lshlrev_b32_e32 v14, 2, v2
	s_waitcnt lgkmcnt(1)
	v_cmp_lt_f32_e64 s1, v8, v11
	v_cndmask_b32_e64 v2, v8, v11, s1
	s_waitcnt lgkmcnt(0)
	v_cmp_lt_f32_e64 s1, v9, v12
	ds_bpermute_b32 v8, v14, v2
	v_cndmask_b32_e64 v3, v9, v12, s1
	ds_bpermute_b32 v9, v14, v3
	s_waitcnt lgkmcnt(1)
	v_cmp_lt_f32_e64 s1, v2, v8
	s_delay_alu instid0(VALU_DEP_1) | instskip(SKIP_2) | instid1(VALU_DEP_2)
	v_cndmask_b32_e64 v2, v2, v8, s1
	s_waitcnt lgkmcnt(0)
	v_cmp_lt_f32_e64 s1, v3, v9
	v_sub_f32_e32 v2, v6, v2
	s_delay_alu instid0(VALU_DEP_2) | instskip(NEXT) | instid1(VALU_DEP_2)
	v_cndmask_b32_e64 v3, v3, v9, s1
	v_cmp_ngt_f32_e64 s1, 0xc2ce8ed0, v2
	s_delay_alu instid0(VALU_DEP_2) | instskip(NEXT) | instid1(VALU_DEP_1)
	v_sub_f32_e32 v3, v5, v3
	v_mul_f32_e32 v6, 0x3fb8aa3b, v3
	s_delay_alu instid0(VALU_DEP_1) | instskip(SKIP_1) | instid1(VALU_DEP_1)
	v_fma_f32 v11, 0x3fb8aa3b, v3, -v6
	v_rndne_f32_e32 v12, v6
	v_dual_fmac_f32 v11, 0x32a5705f, v3 :: v_dual_sub_f32 v6, v6, v12
	s_delay_alu instid0(VALU_DEP_1) | instskip(NEXT) | instid1(VALU_DEP_1)
	v_dual_mul_f32 v5, 0x3fb8aa3b, v2 :: v_dual_add_f32 v6, v6, v11
	v_fma_f32 v8, 0x3fb8aa3b, v2, -v5
	v_rndne_f32_e32 v9, v5
	s_delay_alu instid0(VALU_DEP_3) | instskip(NEXT) | instid1(VALU_DEP_1)
	v_exp_f32_e32 v6, v6
	v_dual_fmac_f32 v8, 0x32a5705f, v2 :: v_dual_sub_f32 v5, v5, v9
	s_delay_alu instid0(VALU_DEP_1) | instskip(SKIP_2) | instid1(VALU_DEP_3)
	v_add_f32_e32 v5, v5, v8
	v_cvt_i32_f32_e32 v8, v9
	v_cvt_i32_f32_e32 v9, v12
	v_exp_f32_e32 v5, v5
	s_waitcnt_depctr 0xfff
	v_ldexp_f32 v6, v6, v9
	v_ldexp_f32 v5, v5, v8
	s_delay_alu instid0(VALU_DEP_1) | instskip(SKIP_1) | instid1(VALU_DEP_1)
	v_cndmask_b32_e64 v5, 0, v5, s1
	v_cmp_ngt_f32_e64 s1, 0xc2ce8ed0, v3
	v_cndmask_b32_e64 v8, 0, v6, s1
	v_cmp_nlt_f32_e64 s1, 0x42b17218, v2
	s_delay_alu instid0(VALU_DEP_1)
	v_cndmask_b32_e64 v6, 0x7f800000, v5, s1
	v_cmp_nlt_f32_e64 s1, 0x42b17218, v3
	ds_bpermute_b32 v3, v7, v6
	v_cndmask_b32_e64 v2, 0x7f800000, v8, s1
	ds_bpermute_b32 v5, v7, v2
	s_waitcnt lgkmcnt(1)
	v_add_f32_e32 v3, v6, v3
	ds_bpermute_b32 v7, v10, v3
	s_waitcnt lgkmcnt(1)
	v_add_f32_e32 v5, v2, v5
	;; [unrolled: 3-line block ×5, first 2 shown]
	s_waitcnt lgkmcnt(0)
	v_add_f32_e32 v3, v5, v8
	ds_bpermute_b32 v8, v14, v7
	ds_bpermute_b32 v5, v14, v3
	s_and_saveexec_b32 s1, vcc_lo
	s_cbranch_execz .LBB493_10
; %bb.5:
	v_lshlrev_b64 v[0:1], 2, v[0:1]
	s_delay_alu instid0(VALU_DEP_1) | instskip(NEXT) | instid1(VALU_DEP_2)
	v_add_co_u32 v0, vcc_lo, s4, v0
	v_add_co_ci_u32_e32 v1, vcc_lo, s5, v1, vcc_lo
	s_and_saveexec_b32 s1, s0
	s_cbranch_execz .LBB493_7
; %bb.6:
	s_waitcnt lgkmcnt(1)
	v_add_f32_e32 v7, v7, v8
	s_delay_alu instid0(VALU_DEP_1) | instskip(NEXT) | instid1(VALU_DEP_1)
	v_div_scale_f32 v8, null, v7, v7, v6
	v_rcp_f32_e32 v9, v8
	s_waitcnt_depctr 0xfff
	v_fma_f32 v10, -v8, v9, 1.0
	s_delay_alu instid0(VALU_DEP_1) | instskip(SKIP_1) | instid1(VALU_DEP_1)
	v_fmac_f32_e32 v9, v10, v9
	v_div_scale_f32 v10, vcc_lo, v6, v7, v6
	v_mul_f32_e32 v11, v10, v9
	s_delay_alu instid0(VALU_DEP_1) | instskip(NEXT) | instid1(VALU_DEP_1)
	v_fma_f32 v12, -v8, v11, v10
	v_fmac_f32_e32 v11, v12, v9
	s_delay_alu instid0(VALU_DEP_1) | instskip(NEXT) | instid1(VALU_DEP_1)
	v_fma_f32 v8, -v8, v11, v10
	v_div_fmas_f32 v8, v8, v9, v11
	v_cmp_neq_f32_e32 vcc_lo, 0, v7
	s_delay_alu instid0(VALU_DEP_2) | instskip(NEXT) | instid1(VALU_DEP_1)
	v_div_fixup_f32 v6, v8, v7, v6
	v_cndmask_b32_e32 v6, 0x7fc00000, v6, vcc_lo
	global_store_b32 v[0:1], v6, off
.LBB493_7:
	s_or_b32 exec_lo, exec_lo, s1
	v_cmp_ne_u32_e32 vcc_lo, 1, v4
	s_and_b32 exec_lo, exec_lo, vcc_lo
	s_cbranch_execz .LBB493_10
; %bb.8:
	s_and_b32 exec_lo, exec_lo, s0
	s_cbranch_execz .LBB493_10
; %bb.9:
	s_waitcnt lgkmcnt(0)
	v_add_f32_e32 v3, v3, v5
	s_mov_b32 s11, 0
	s_delay_alu instid0(SALU_CYCLE_1) | instskip(NEXT) | instid1(VALU_DEP_1)
	s_lshl_b64 s[0:1], s[10:11], 2
	v_div_scale_f32 v4, null, v3, v3, v2
	v_div_scale_f32 v7, vcc_lo, v2, v3, v2
	s_delay_alu instid0(VALU_DEP_2) | instskip(SKIP_2) | instid1(VALU_DEP_1)
	v_rcp_f32_e32 v5, v4
	s_waitcnt_depctr 0xfff
	v_fma_f32 v6, -v4, v5, 1.0
	v_fmac_f32_e32 v5, v6, v5
	s_delay_alu instid0(VALU_DEP_1) | instskip(NEXT) | instid1(VALU_DEP_1)
	v_mul_f32_e32 v6, v7, v5
	v_fma_f32 v8, -v4, v6, v7
	s_delay_alu instid0(VALU_DEP_1) | instskip(NEXT) | instid1(VALU_DEP_1)
	v_fmac_f32_e32 v6, v8, v5
	v_fma_f32 v4, -v4, v6, v7
	s_delay_alu instid0(VALU_DEP_1) | instskip(SKIP_2) | instid1(VALU_DEP_3)
	v_div_fmas_f32 v4, v4, v5, v6
	v_add_co_u32 v0, vcc_lo, v0, s0
	v_add_co_ci_u32_e32 v1, vcc_lo, s1, v1, vcc_lo
	v_div_fixup_f32 v2, v4, v3, v2
	v_cmp_neq_f32_e32 vcc_lo, 0, v3
	s_delay_alu instid0(VALU_DEP_2)
	v_cndmask_b32_e32 v2, 0x7fc00000, v2, vcc_lo
	global_store_b32 v[0:1], v2, off
.LBB493_10:
	s_nop 0
	s_sendmsg sendmsg(MSG_DEALLOC_VGPRS)
	s_endpgm
	.section	.rodata,"a",@progbits
	.p2align	6, 0x0
	.amdhsa_kernel _ZN12_GLOBAL__N_120softmax_warp_forwardIN3c108BFloat16EffLi4ELb0ELb0ELi32EEEvPT0_PKT_iiiPKbib
		.amdhsa_group_segment_fixed_size 0
		.amdhsa_private_segment_fixed_size 0
		.amdhsa_kernarg_size 304
		.amdhsa_user_sgpr_count 15
		.amdhsa_user_sgpr_dispatch_ptr 0
		.amdhsa_user_sgpr_queue_ptr 0
		.amdhsa_user_sgpr_kernarg_segment_ptr 1
		.amdhsa_user_sgpr_dispatch_id 0
		.amdhsa_user_sgpr_private_segment_size 0
		.amdhsa_wavefront_size32 1
		.amdhsa_uses_dynamic_stack 0
		.amdhsa_enable_private_segment 0
		.amdhsa_system_sgpr_workgroup_id_x 1
		.amdhsa_system_sgpr_workgroup_id_y 0
		.amdhsa_system_sgpr_workgroup_id_z 0
		.amdhsa_system_sgpr_workgroup_info 0
		.amdhsa_system_vgpr_workitem_id 1
		.amdhsa_next_free_vgpr 15
		.amdhsa_next_free_sgpr 16
		.amdhsa_reserve_vcc 1
		.amdhsa_float_round_mode_32 0
		.amdhsa_float_round_mode_16_64 0
		.amdhsa_float_denorm_mode_32 3
		.amdhsa_float_denorm_mode_16_64 3
		.amdhsa_dx10_clamp 1
		.amdhsa_ieee_mode 1
		.amdhsa_fp16_overflow 0
		.amdhsa_workgroup_processor_mode 1
		.amdhsa_memory_ordered 1
		.amdhsa_forward_progress 0
		.amdhsa_shared_vgpr_count 0
		.amdhsa_exception_fp_ieee_invalid_op 0
		.amdhsa_exception_fp_denorm_src 0
		.amdhsa_exception_fp_ieee_div_zero 0
		.amdhsa_exception_fp_ieee_overflow 0
		.amdhsa_exception_fp_ieee_underflow 0
		.amdhsa_exception_fp_ieee_inexact 0
		.amdhsa_exception_int_div_zero 0
	.end_amdhsa_kernel
	.section	.text._ZN12_GLOBAL__N_120softmax_warp_forwardIN3c108BFloat16EffLi4ELb0ELb0ELi32EEEvPT0_PKT_iiiPKbib,"axG",@progbits,_ZN12_GLOBAL__N_120softmax_warp_forwardIN3c108BFloat16EffLi4ELb0ELb0ELi32EEEvPT0_PKT_iiiPKbib,comdat
.Lfunc_end493:
	.size	_ZN12_GLOBAL__N_120softmax_warp_forwardIN3c108BFloat16EffLi4ELb0ELb0ELi32EEEvPT0_PKT_iiiPKbib, .Lfunc_end493-_ZN12_GLOBAL__N_120softmax_warp_forwardIN3c108BFloat16EffLi4ELb0ELb0ELi32EEEvPT0_PKT_iiiPKbib
                                        ; -- End function
	.section	.AMDGPU.csdata,"",@progbits
; Kernel info:
; codeLenInByte = 1316
; NumSgprs: 18
; NumVgprs: 15
; ScratchSize: 0
; MemoryBound: 0
; FloatMode: 240
; IeeeMode: 1
; LDSByteSize: 0 bytes/workgroup (compile time only)
; SGPRBlocks: 2
; VGPRBlocks: 1
; NumSGPRsForWavesPerEU: 18
; NumVGPRsForWavesPerEU: 15
; Occupancy: 16
; WaveLimiterHint : 0
; COMPUTE_PGM_RSRC2:SCRATCH_EN: 0
; COMPUTE_PGM_RSRC2:USER_SGPR: 15
; COMPUTE_PGM_RSRC2:TRAP_HANDLER: 0
; COMPUTE_PGM_RSRC2:TGID_X_EN: 1
; COMPUTE_PGM_RSRC2:TGID_Y_EN: 0
; COMPUTE_PGM_RSRC2:TGID_Z_EN: 0
; COMPUTE_PGM_RSRC2:TIDIG_COMP_CNT: 1
	.section	.text._ZN12_GLOBAL__N_120softmax_warp_forwardIN3c108BFloat16EffLi5ELb0ELb0ELi64EEEvPT0_PKT_iiiPKbib,"axG",@progbits,_ZN12_GLOBAL__N_120softmax_warp_forwardIN3c108BFloat16EffLi5ELb0ELb0ELi64EEEvPT0_PKT_iiiPKbib,comdat
	.globl	_ZN12_GLOBAL__N_120softmax_warp_forwardIN3c108BFloat16EffLi5ELb0ELb0ELi64EEEvPT0_PKT_iiiPKbib ; -- Begin function _ZN12_GLOBAL__N_120softmax_warp_forwardIN3c108BFloat16EffLi5ELb0ELb0ELi64EEEvPT0_PKT_iiiPKbib
	.p2align	8
	.type	_ZN12_GLOBAL__N_120softmax_warp_forwardIN3c108BFloat16EffLi5ELb0ELb0ELi64EEEvPT0_PKT_iiiPKbib,@function
_ZN12_GLOBAL__N_120softmax_warp_forwardIN3c108BFloat16EffLi5ELb0ELb0ELi64EEEvPT0_PKT_iiiPKbib: ; @_ZN12_GLOBAL__N_120softmax_warp_forwardIN3c108BFloat16EffLi5ELb0ELb0ELi64EEEvPT0_PKT_iiiPKbib
; %bb.0:
	s_clause 0x1
	s_load_b32 s2, s[0:1], 0x3c
	s_load_b256 s[4:11], s[0:1], 0x0
	v_bfe_u32 v1, v0, 10, 10
	v_and_b32_e32 v2, 0x3ff, v0
	v_mov_b32_e32 v5, 0xff800000
	s_waitcnt lgkmcnt(0)
	s_lshr_b32 s0, s2, 16
	s_delay_alu instid0(SALU_CYCLE_1) | instskip(SKIP_2) | instid1(VALU_DEP_1)
	s_mul_i32 s15, s15, s0
	v_cmp_gt_i32_e64 s0, s10, v2
	v_add_lshl_u32 v3, s15, v1, 1
	v_mad_u64_u32 v[0:1], null, v3, s9, v[2:3]
	v_sub_nc_u32_e32 v4, s8, v3
	s_delay_alu instid0(VALU_DEP_1) | instskip(NEXT) | instid1(VALU_DEP_3)
	v_cmp_lt_i32_e32 vcc_lo, 0, v4
	v_ashrrev_i32_e32 v1, 31, v0
	s_and_b32 s2, s0, vcc_lo
	s_delay_alu instid0(VALU_DEP_1) | instskip(NEXT) | instid1(VALU_DEP_1)
	v_lshlrev_b64 v[6:7], 1, v[0:1]
	v_add_co_u32 v2, s1, s6, v6
	v_mov_b32_e32 v6, 0xff800000
	s_delay_alu instid0(VALU_DEP_3)
	v_add_co_ci_u32_e64 v3, s1, s7, v7, s1
	s_and_saveexec_b32 s1, s2
	s_cbranch_execz .LBB494_2
; %bb.1:
	global_load_u16 v6, v[2:3], off
	s_waitcnt vmcnt(0)
	v_lshlrev_b32_e32 v6, 16, v6
.LBB494_2:
	s_or_b32 exec_lo, exec_lo, s1
	v_cmp_lt_i32_e64 s1, 1, v4
	s_delay_alu instid0(VALU_DEP_1) | instskip(NEXT) | instid1(SALU_CYCLE_1)
	s_and_b32 s1, s0, s1
	s_and_saveexec_b32 s2, s1
	s_cbranch_execz .LBB494_4
; %bb.3:
	s_mov_b32 s11, 0
	s_delay_alu instid0(SALU_CYCLE_1) | instskip(NEXT) | instid1(SALU_CYCLE_1)
	s_lshl_b64 s[6:7], s[10:11], 1
	v_add_co_u32 v2, s1, v2, s6
	s_delay_alu instid0(VALU_DEP_1)
	v_add_co_ci_u32_e64 v3, s1, s7, v3, s1
	global_load_u16 v2, v[2:3], off
	s_waitcnt vmcnt(0)
	v_lshlrev_b32_e32 v5, 16, v2
.LBB494_4:
	s_or_b32 exec_lo, exec_lo, s2
	v_mbcnt_lo_u32_b32 v2, -1, 0
	s_delay_alu instid0(VALU_DEP_1)
	v_xor_b32_e32 v3, 16, v2
	v_xor_b32_e32 v9, 8, v2
	;; [unrolled: 1-line block ×5, first 2 shown]
	v_cmp_gt_i32_e64 s1, 32, v3
	s_delay_alu instid0(VALU_DEP_1) | instskip(SKIP_1) | instid1(VALU_DEP_2)
	v_cndmask_b32_e64 v3, v2, v3, s1
	v_cmp_gt_i32_e64 s1, 32, v9
	v_lshlrev_b32_e32 v7, 2, v3
	s_delay_alu instid0(VALU_DEP_2)
	v_cndmask_b32_e64 v9, v2, v9, s1
	ds_bpermute_b32 v3, v7, v6
	ds_bpermute_b32 v8, v7, v5
	v_lshlrev_b32_e32 v9, 2, v9
	s_waitcnt lgkmcnt(1)
	v_cmp_lt_f32_e64 s1, v6, v3
	s_delay_alu instid0(VALU_DEP_1)
	v_cndmask_b32_e64 v3, v6, v3, s1
	s_waitcnt lgkmcnt(0)
	v_cmp_lt_f32_e64 s1, v5, v8
	ds_bpermute_b32 v10, v9, v3
	v_cndmask_b32_e64 v8, v5, v8, s1
	v_cmp_gt_i32_e64 s1, 32, v12
	ds_bpermute_b32 v11, v9, v8
	v_cndmask_b32_e64 v12, v2, v12, s1
	s_delay_alu instid0(VALU_DEP_1) | instskip(SKIP_2) | instid1(VALU_DEP_1)
	v_lshlrev_b32_e32 v12, 2, v12
	s_waitcnt lgkmcnt(1)
	v_cmp_lt_f32_e64 s1, v3, v10
	v_cndmask_b32_e64 v3, v3, v10, s1
	s_waitcnt lgkmcnt(0)
	v_cmp_lt_f32_e64 s1, v8, v11
	ds_bpermute_b32 v10, v12, v3
	v_cndmask_b32_e64 v8, v8, v11, s1
	v_cmp_gt_i32_e64 s1, 32, v13
	ds_bpermute_b32 v11, v12, v8
	v_cndmask_b32_e64 v13, v2, v13, s1
	s_delay_alu instid0(VALU_DEP_1) | instskip(SKIP_2) | instid1(VALU_DEP_1)
	v_lshlrev_b32_e32 v13, 2, v13
	s_waitcnt lgkmcnt(1)
	v_cmp_lt_f32_e64 s1, v3, v10
	;; [unrolled: 12-line block ×3, first 2 shown]
	v_cndmask_b32_e64 v2, v3, v10, s1
	s_waitcnt lgkmcnt(0)
	v_cmp_lt_f32_e64 s1, v8, v11
	s_delay_alu instid0(VALU_DEP_1) | instskip(SKIP_4) | instid1(VALU_DEP_1)
	v_cndmask_b32_e64 v3, v8, v11, s1
	ds_bpermute_b32 v8, v14, v2
	ds_bpermute_b32 v10, v14, v3
	s_waitcnt lgkmcnt(1)
	v_cmp_lt_f32_e64 s1, v2, v8
	v_cndmask_b32_e64 v2, v2, v8, s1
	s_waitcnt lgkmcnt(0)
	v_cmp_lt_f32_e64 s1, v3, v10
	s_delay_alu instid0(VALU_DEP_2) | instskip(NEXT) | instid1(VALU_DEP_2)
	v_sub_f32_e32 v2, v6, v2
	v_cndmask_b32_e64 v3, v3, v10, s1
	s_delay_alu instid0(VALU_DEP_2) | instskip(NEXT) | instid1(VALU_DEP_2)
	v_cmp_ngt_f32_e64 s1, 0xc2ce8ed0, v2
	v_sub_f32_e32 v5, v5, v3
	s_delay_alu instid0(VALU_DEP_1) | instskip(NEXT) | instid1(VALU_DEP_1)
	v_dual_mul_f32 v3, 0x3fb8aa3b, v2 :: v_dual_mul_f32 v6, 0x3fb8aa3b, v5
	v_fma_f32 v8, 0x3fb8aa3b, v2, -v3
	v_rndne_f32_e32 v10, v3
	s_delay_alu instid0(VALU_DEP_3) | instskip(SKIP_1) | instid1(VALU_DEP_2)
	v_fma_f32 v11, 0x3fb8aa3b, v5, -v6
	v_rndne_f32_e32 v15, v6
	v_dual_fmac_f32 v8, 0x32a5705f, v2 :: v_dual_fmac_f32 v11, 0x32a5705f, v5
	s_delay_alu instid0(VALU_DEP_2) | instskip(NEXT) | instid1(VALU_DEP_1)
	v_dual_sub_f32 v6, v6, v15 :: v_dual_sub_f32 v3, v3, v10
	v_dual_add_f32 v6, v6, v11 :: v_dual_add_f32 v3, v3, v8
	v_cvt_i32_f32_e32 v8, v10
	v_cvt_i32_f32_e32 v10, v15
	s_delay_alu instid0(VALU_DEP_3) | instskip(NEXT) | instid1(VALU_DEP_3)
	v_exp_f32_e32 v6, v6
	v_exp_f32_e32 v3, v3
	s_waitcnt_depctr 0xfff
	v_ldexp_f32 v6, v6, v10
	v_ldexp_f32 v3, v3, v8
	s_delay_alu instid0(VALU_DEP_1) | instskip(SKIP_1) | instid1(VALU_DEP_1)
	v_cndmask_b32_e64 v3, 0, v3, s1
	v_cmp_ngt_f32_e64 s1, 0xc2ce8ed0, v5
	v_cndmask_b32_e64 v6, 0, v6, s1
	v_cmp_nlt_f32_e64 s1, 0x42b17218, v2
	s_delay_alu instid0(VALU_DEP_1)
	v_cndmask_b32_e64 v3, 0x7f800000, v3, s1
	v_cmp_nlt_f32_e64 s1, 0x42b17218, v5
	ds_bpermute_b32 v5, v7, v3
	v_cndmask_b32_e64 v2, 0x7f800000, v6, s1
	ds_bpermute_b32 v6, v7, v2
	s_waitcnt lgkmcnt(0)
	v_add_f32_e32 v6, v2, v6
	ds_bpermute_b32 v8, v9, v6
	s_waitcnt lgkmcnt(0)
	v_dual_add_f32 v5, v3, v5 :: v_dual_add_f32 v6, v6, v8
	ds_bpermute_b32 v7, v9, v5
	ds_bpermute_b32 v8, v12, v6
	s_waitcnt lgkmcnt(0)
	v_dual_add_f32 v5, v5, v7 :: v_dual_add_f32 v6, v6, v8
	ds_bpermute_b32 v7, v12, v5
	ds_bpermute_b32 v8, v13, v6
	s_waitcnt lgkmcnt(1)
	v_add_f32_e32 v5, v5, v7
	ds_bpermute_b32 v7, v13, v5
	s_waitcnt lgkmcnt(0)
	v_add_f32_e32 v7, v5, v7
	v_add_f32_e32 v5, v6, v8
	ds_bpermute_b32 v8, v14, v7
	ds_bpermute_b32 v6, v14, v5
	s_and_saveexec_b32 s1, vcc_lo
	s_cbranch_execz .LBB494_10
; %bb.5:
	v_lshlrev_b64 v[0:1], 2, v[0:1]
	s_delay_alu instid0(VALU_DEP_1) | instskip(NEXT) | instid1(VALU_DEP_2)
	v_add_co_u32 v0, vcc_lo, s4, v0
	v_add_co_ci_u32_e32 v1, vcc_lo, s5, v1, vcc_lo
	s_and_saveexec_b32 s1, s0
	s_cbranch_execz .LBB494_7
; %bb.6:
	s_waitcnt lgkmcnt(1)
	v_add_f32_e32 v7, v7, v8
	s_delay_alu instid0(VALU_DEP_1) | instskip(NEXT) | instid1(VALU_DEP_1)
	v_div_scale_f32 v8, null, v7, v7, v3
	v_rcp_f32_e32 v9, v8
	s_waitcnt_depctr 0xfff
	v_fma_f32 v10, -v8, v9, 1.0
	s_delay_alu instid0(VALU_DEP_1) | instskip(SKIP_1) | instid1(VALU_DEP_1)
	v_fmac_f32_e32 v9, v10, v9
	v_div_scale_f32 v10, vcc_lo, v3, v7, v3
	v_mul_f32_e32 v11, v10, v9
	s_delay_alu instid0(VALU_DEP_1) | instskip(NEXT) | instid1(VALU_DEP_1)
	v_fma_f32 v12, -v8, v11, v10
	v_fmac_f32_e32 v11, v12, v9
	s_delay_alu instid0(VALU_DEP_1) | instskip(NEXT) | instid1(VALU_DEP_1)
	v_fma_f32 v8, -v8, v11, v10
	v_div_fmas_f32 v8, v8, v9, v11
	v_cmp_neq_f32_e32 vcc_lo, 0, v7
	s_delay_alu instid0(VALU_DEP_2) | instskip(NEXT) | instid1(VALU_DEP_1)
	v_div_fixup_f32 v3, v8, v7, v3
	v_cndmask_b32_e32 v3, 0x7fc00000, v3, vcc_lo
	global_store_b32 v[0:1], v3, off
.LBB494_7:
	s_or_b32 exec_lo, exec_lo, s1
	v_cmp_ne_u32_e32 vcc_lo, 1, v4
	s_and_b32 exec_lo, exec_lo, vcc_lo
	s_cbranch_execz .LBB494_10
; %bb.8:
	s_and_b32 exec_lo, exec_lo, s0
	s_cbranch_execz .LBB494_10
; %bb.9:
	s_waitcnt lgkmcnt(0)
	v_add_f32_e32 v3, v5, v6
	s_mov_b32 s11, 0
	s_delay_alu instid0(SALU_CYCLE_1) | instskip(NEXT) | instid1(VALU_DEP_1)
	s_lshl_b64 s[0:1], s[10:11], 2
	v_div_scale_f32 v4, null, v3, v3, v2
	v_div_scale_f32 v7, vcc_lo, v2, v3, v2
	s_delay_alu instid0(VALU_DEP_2) | instskip(SKIP_2) | instid1(VALU_DEP_1)
	v_rcp_f32_e32 v5, v4
	s_waitcnt_depctr 0xfff
	v_fma_f32 v6, -v4, v5, 1.0
	v_fmac_f32_e32 v5, v6, v5
	s_delay_alu instid0(VALU_DEP_1) | instskip(NEXT) | instid1(VALU_DEP_1)
	v_mul_f32_e32 v6, v7, v5
	v_fma_f32 v8, -v4, v6, v7
	s_delay_alu instid0(VALU_DEP_1) | instskip(NEXT) | instid1(VALU_DEP_1)
	v_fmac_f32_e32 v6, v8, v5
	v_fma_f32 v4, -v4, v6, v7
	s_delay_alu instid0(VALU_DEP_1) | instskip(SKIP_2) | instid1(VALU_DEP_3)
	v_div_fmas_f32 v4, v4, v5, v6
	v_add_co_u32 v0, vcc_lo, v0, s0
	v_add_co_ci_u32_e32 v1, vcc_lo, s1, v1, vcc_lo
	v_div_fixup_f32 v2, v4, v3, v2
	v_cmp_neq_f32_e32 vcc_lo, 0, v3
	s_delay_alu instid0(VALU_DEP_2)
	v_cndmask_b32_e32 v2, 0x7fc00000, v2, vcc_lo
	global_store_b32 v[0:1], v2, off
.LBB494_10:
	s_nop 0
	s_sendmsg sendmsg(MSG_DEALLOC_VGPRS)
	s_endpgm
	.section	.rodata,"a",@progbits
	.p2align	6, 0x0
	.amdhsa_kernel _ZN12_GLOBAL__N_120softmax_warp_forwardIN3c108BFloat16EffLi5ELb0ELb0ELi64EEEvPT0_PKT_iiiPKbib
		.amdhsa_group_segment_fixed_size 0
		.amdhsa_private_segment_fixed_size 0
		.amdhsa_kernarg_size 304
		.amdhsa_user_sgpr_count 15
		.amdhsa_user_sgpr_dispatch_ptr 0
		.amdhsa_user_sgpr_queue_ptr 0
		.amdhsa_user_sgpr_kernarg_segment_ptr 1
		.amdhsa_user_sgpr_dispatch_id 0
		.amdhsa_user_sgpr_private_segment_size 0
		.amdhsa_wavefront_size32 1
		.amdhsa_uses_dynamic_stack 0
		.amdhsa_enable_private_segment 0
		.amdhsa_system_sgpr_workgroup_id_x 1
		.amdhsa_system_sgpr_workgroup_id_y 0
		.amdhsa_system_sgpr_workgroup_id_z 0
		.amdhsa_system_sgpr_workgroup_info 0
		.amdhsa_system_vgpr_workitem_id 1
		.amdhsa_next_free_vgpr 16
		.amdhsa_next_free_sgpr 16
		.amdhsa_reserve_vcc 1
		.amdhsa_float_round_mode_32 0
		.amdhsa_float_round_mode_16_64 0
		.amdhsa_float_denorm_mode_32 3
		.amdhsa_float_denorm_mode_16_64 3
		.amdhsa_dx10_clamp 1
		.amdhsa_ieee_mode 1
		.amdhsa_fp16_overflow 0
		.amdhsa_workgroup_processor_mode 1
		.amdhsa_memory_ordered 1
		.amdhsa_forward_progress 0
		.amdhsa_shared_vgpr_count 0
		.amdhsa_exception_fp_ieee_invalid_op 0
		.amdhsa_exception_fp_denorm_src 0
		.amdhsa_exception_fp_ieee_div_zero 0
		.amdhsa_exception_fp_ieee_overflow 0
		.amdhsa_exception_fp_ieee_underflow 0
		.amdhsa_exception_fp_ieee_inexact 0
		.amdhsa_exception_int_div_zero 0
	.end_amdhsa_kernel
	.section	.text._ZN12_GLOBAL__N_120softmax_warp_forwardIN3c108BFloat16EffLi5ELb0ELb0ELi64EEEvPT0_PKT_iiiPKbib,"axG",@progbits,_ZN12_GLOBAL__N_120softmax_warp_forwardIN3c108BFloat16EffLi5ELb0ELb0ELi64EEEvPT0_PKT_iiiPKbib,comdat
.Lfunc_end494:
	.size	_ZN12_GLOBAL__N_120softmax_warp_forwardIN3c108BFloat16EffLi5ELb0ELb0ELi64EEEvPT0_PKT_iiiPKbib, .Lfunc_end494-_ZN12_GLOBAL__N_120softmax_warp_forwardIN3c108BFloat16EffLi5ELb0ELb0ELi64EEEvPT0_PKT_iiiPKbib
                                        ; -- End function
	.section	.AMDGPU.csdata,"",@progbits
; Kernel info:
; codeLenInByte = 1404
; NumSgprs: 18
; NumVgprs: 16
; ScratchSize: 0
; MemoryBound: 0
; FloatMode: 240
; IeeeMode: 1
; LDSByteSize: 0 bytes/workgroup (compile time only)
; SGPRBlocks: 2
; VGPRBlocks: 1
; NumSGPRsForWavesPerEU: 18
; NumVGPRsForWavesPerEU: 16
; Occupancy: 16
; WaveLimiterHint : 0
; COMPUTE_PGM_RSRC2:SCRATCH_EN: 0
; COMPUTE_PGM_RSRC2:USER_SGPR: 15
; COMPUTE_PGM_RSRC2:TRAP_HANDLER: 0
; COMPUTE_PGM_RSRC2:TGID_X_EN: 1
; COMPUTE_PGM_RSRC2:TGID_Y_EN: 0
; COMPUTE_PGM_RSRC2:TGID_Z_EN: 0
; COMPUTE_PGM_RSRC2:TIDIG_COMP_CNT: 1
	.section	.text._ZN12_GLOBAL__N_120softmax_warp_forwardIN3c108BFloat16EffLi5ELb0ELb0ELi32EEEvPT0_PKT_iiiPKbib,"axG",@progbits,_ZN12_GLOBAL__N_120softmax_warp_forwardIN3c108BFloat16EffLi5ELb0ELb0ELi32EEEvPT0_PKT_iiiPKbib,comdat
	.globl	_ZN12_GLOBAL__N_120softmax_warp_forwardIN3c108BFloat16EffLi5ELb0ELb0ELi32EEEvPT0_PKT_iiiPKbib ; -- Begin function _ZN12_GLOBAL__N_120softmax_warp_forwardIN3c108BFloat16EffLi5ELb0ELb0ELi32EEEvPT0_PKT_iiiPKbib
	.p2align	8
	.type	_ZN12_GLOBAL__N_120softmax_warp_forwardIN3c108BFloat16EffLi5ELb0ELb0ELi32EEEvPT0_PKT_iiiPKbib,@function
_ZN12_GLOBAL__N_120softmax_warp_forwardIN3c108BFloat16EffLi5ELb0ELb0ELi32EEEvPT0_PKT_iiiPKbib: ; @_ZN12_GLOBAL__N_120softmax_warp_forwardIN3c108BFloat16EffLi5ELb0ELb0ELi32EEEvPT0_PKT_iiiPKbib
; %bb.0:
	s_clause 0x1
	s_load_b32 s2, s[0:1], 0x3c
	s_load_b256 s[4:11], s[0:1], 0x0
	v_bfe_u32 v1, v0, 10, 10
	v_and_b32_e32 v2, 0x3ff, v0
	v_mov_b32_e32 v5, 0xff800000
	s_waitcnt lgkmcnt(0)
	s_lshr_b32 s0, s2, 16
	s_delay_alu instid0(SALU_CYCLE_1) | instskip(SKIP_2) | instid1(VALU_DEP_1)
	s_mul_i32 s15, s15, s0
	v_cmp_gt_i32_e64 s0, s10, v2
	v_add_lshl_u32 v3, s15, v1, 1
	v_mad_u64_u32 v[0:1], null, v3, s9, v[2:3]
	v_sub_nc_u32_e32 v4, s8, v3
	s_delay_alu instid0(VALU_DEP_1) | instskip(NEXT) | instid1(VALU_DEP_3)
	v_cmp_lt_i32_e32 vcc_lo, 0, v4
	v_ashrrev_i32_e32 v1, 31, v0
	s_and_b32 s2, s0, vcc_lo
	s_delay_alu instid0(VALU_DEP_1) | instskip(NEXT) | instid1(VALU_DEP_1)
	v_lshlrev_b64 v[6:7], 1, v[0:1]
	v_add_co_u32 v2, s1, s6, v6
	v_mov_b32_e32 v6, 0xff800000
	s_delay_alu instid0(VALU_DEP_3)
	v_add_co_ci_u32_e64 v3, s1, s7, v7, s1
	s_and_saveexec_b32 s1, s2
	s_cbranch_execz .LBB495_2
; %bb.1:
	global_load_u16 v6, v[2:3], off
	s_waitcnt vmcnt(0)
	v_lshlrev_b32_e32 v6, 16, v6
.LBB495_2:
	s_or_b32 exec_lo, exec_lo, s1
	v_cmp_lt_i32_e64 s1, 1, v4
	s_delay_alu instid0(VALU_DEP_1) | instskip(NEXT) | instid1(SALU_CYCLE_1)
	s_and_b32 s1, s0, s1
	s_and_saveexec_b32 s2, s1
	s_cbranch_execz .LBB495_4
; %bb.3:
	s_mov_b32 s11, 0
	s_delay_alu instid0(SALU_CYCLE_1) | instskip(NEXT) | instid1(SALU_CYCLE_1)
	s_lshl_b64 s[6:7], s[10:11], 1
	v_add_co_u32 v2, s1, v2, s6
	s_delay_alu instid0(VALU_DEP_1)
	v_add_co_ci_u32_e64 v3, s1, s7, v3, s1
	global_load_u16 v2, v[2:3], off
	s_waitcnt vmcnt(0)
	v_lshlrev_b32_e32 v5, 16, v2
.LBB495_4:
	s_or_b32 exec_lo, exec_lo, s2
	v_mbcnt_lo_u32_b32 v2, -1, 0
	s_delay_alu instid0(VALU_DEP_1)
	v_xor_b32_e32 v3, 16, v2
	v_xor_b32_e32 v9, 8, v2
	v_xor_b32_e32 v12, 4, v2
	v_xor_b32_e32 v13, 2, v2
	v_xor_b32_e32 v14, 1, v2
	v_cmp_gt_i32_e64 s1, 32, v3
	s_delay_alu instid0(VALU_DEP_1) | instskip(SKIP_1) | instid1(VALU_DEP_2)
	v_cndmask_b32_e64 v3, v2, v3, s1
	v_cmp_gt_i32_e64 s1, 32, v9
	v_lshlrev_b32_e32 v7, 2, v3
	s_delay_alu instid0(VALU_DEP_2)
	v_cndmask_b32_e64 v9, v2, v9, s1
	ds_bpermute_b32 v3, v7, v6
	ds_bpermute_b32 v8, v7, v5
	v_lshlrev_b32_e32 v9, 2, v9
	s_waitcnt lgkmcnt(1)
	v_cmp_lt_f32_e64 s1, v6, v3
	s_delay_alu instid0(VALU_DEP_1)
	v_cndmask_b32_e64 v3, v6, v3, s1
	s_waitcnt lgkmcnt(0)
	v_cmp_lt_f32_e64 s1, v5, v8
	ds_bpermute_b32 v10, v9, v3
	v_cndmask_b32_e64 v8, v5, v8, s1
	v_cmp_gt_i32_e64 s1, 32, v12
	ds_bpermute_b32 v11, v9, v8
	v_cndmask_b32_e64 v12, v2, v12, s1
	s_delay_alu instid0(VALU_DEP_1) | instskip(SKIP_2) | instid1(VALU_DEP_1)
	v_lshlrev_b32_e32 v12, 2, v12
	s_waitcnt lgkmcnt(1)
	v_cmp_lt_f32_e64 s1, v3, v10
	v_cndmask_b32_e64 v3, v3, v10, s1
	s_waitcnt lgkmcnt(0)
	v_cmp_lt_f32_e64 s1, v8, v11
	ds_bpermute_b32 v10, v12, v3
	v_cndmask_b32_e64 v8, v8, v11, s1
	v_cmp_gt_i32_e64 s1, 32, v13
	ds_bpermute_b32 v11, v12, v8
	v_cndmask_b32_e64 v13, v2, v13, s1
	s_delay_alu instid0(VALU_DEP_1) | instskip(SKIP_2) | instid1(VALU_DEP_1)
	v_lshlrev_b32_e32 v13, 2, v13
	s_waitcnt lgkmcnt(1)
	v_cmp_lt_f32_e64 s1, v3, v10
	;; [unrolled: 12-line block ×3, first 2 shown]
	v_cndmask_b32_e64 v2, v3, v10, s1
	s_waitcnt lgkmcnt(0)
	v_cmp_lt_f32_e64 s1, v8, v11
	s_delay_alu instid0(VALU_DEP_1) | instskip(SKIP_4) | instid1(VALU_DEP_1)
	v_cndmask_b32_e64 v3, v8, v11, s1
	ds_bpermute_b32 v8, v14, v2
	ds_bpermute_b32 v10, v14, v3
	s_waitcnt lgkmcnt(1)
	v_cmp_lt_f32_e64 s1, v2, v8
	v_cndmask_b32_e64 v2, v2, v8, s1
	s_waitcnt lgkmcnt(0)
	v_cmp_lt_f32_e64 s1, v3, v10
	s_delay_alu instid0(VALU_DEP_2) | instskip(NEXT) | instid1(VALU_DEP_2)
	v_sub_f32_e32 v2, v6, v2
	v_cndmask_b32_e64 v3, v3, v10, s1
	s_delay_alu instid0(VALU_DEP_2) | instskip(NEXT) | instid1(VALU_DEP_2)
	v_cmp_ngt_f32_e64 s1, 0xc2ce8ed0, v2
	v_sub_f32_e32 v5, v5, v3
	s_delay_alu instid0(VALU_DEP_1) | instskip(NEXT) | instid1(VALU_DEP_1)
	v_dual_mul_f32 v3, 0x3fb8aa3b, v2 :: v_dual_mul_f32 v6, 0x3fb8aa3b, v5
	v_fma_f32 v8, 0x3fb8aa3b, v2, -v3
	v_rndne_f32_e32 v10, v3
	s_delay_alu instid0(VALU_DEP_3) | instskip(SKIP_1) | instid1(VALU_DEP_2)
	v_fma_f32 v11, 0x3fb8aa3b, v5, -v6
	v_rndne_f32_e32 v15, v6
	v_dual_fmac_f32 v8, 0x32a5705f, v2 :: v_dual_fmac_f32 v11, 0x32a5705f, v5
	s_delay_alu instid0(VALU_DEP_2) | instskip(NEXT) | instid1(VALU_DEP_1)
	v_dual_sub_f32 v6, v6, v15 :: v_dual_sub_f32 v3, v3, v10
	v_dual_add_f32 v6, v6, v11 :: v_dual_add_f32 v3, v3, v8
	v_cvt_i32_f32_e32 v8, v10
	v_cvt_i32_f32_e32 v10, v15
	s_delay_alu instid0(VALU_DEP_3) | instskip(NEXT) | instid1(VALU_DEP_3)
	v_exp_f32_e32 v6, v6
	v_exp_f32_e32 v3, v3
	s_waitcnt_depctr 0xfff
	v_ldexp_f32 v6, v6, v10
	v_ldexp_f32 v3, v3, v8
	s_delay_alu instid0(VALU_DEP_1) | instskip(SKIP_1) | instid1(VALU_DEP_1)
	v_cndmask_b32_e64 v3, 0, v3, s1
	v_cmp_ngt_f32_e64 s1, 0xc2ce8ed0, v5
	v_cndmask_b32_e64 v6, 0, v6, s1
	v_cmp_nlt_f32_e64 s1, 0x42b17218, v2
	s_delay_alu instid0(VALU_DEP_1)
	v_cndmask_b32_e64 v3, 0x7f800000, v3, s1
	v_cmp_nlt_f32_e64 s1, 0x42b17218, v5
	ds_bpermute_b32 v5, v7, v3
	v_cndmask_b32_e64 v2, 0x7f800000, v6, s1
	ds_bpermute_b32 v6, v7, v2
	s_waitcnt lgkmcnt(0)
	v_add_f32_e32 v6, v2, v6
	ds_bpermute_b32 v8, v9, v6
	s_waitcnt lgkmcnt(0)
	v_dual_add_f32 v5, v3, v5 :: v_dual_add_f32 v6, v6, v8
	ds_bpermute_b32 v7, v9, v5
	ds_bpermute_b32 v8, v12, v6
	s_waitcnt lgkmcnt(0)
	v_dual_add_f32 v5, v5, v7 :: v_dual_add_f32 v6, v6, v8
	ds_bpermute_b32 v7, v12, v5
	ds_bpermute_b32 v8, v13, v6
	s_waitcnt lgkmcnt(1)
	v_add_f32_e32 v5, v5, v7
	ds_bpermute_b32 v7, v13, v5
	s_waitcnt lgkmcnt(0)
	v_add_f32_e32 v7, v5, v7
	v_add_f32_e32 v5, v6, v8
	ds_bpermute_b32 v8, v14, v7
	ds_bpermute_b32 v6, v14, v5
	s_and_saveexec_b32 s1, vcc_lo
	s_cbranch_execz .LBB495_10
; %bb.5:
	v_lshlrev_b64 v[0:1], 2, v[0:1]
	s_delay_alu instid0(VALU_DEP_1) | instskip(NEXT) | instid1(VALU_DEP_2)
	v_add_co_u32 v0, vcc_lo, s4, v0
	v_add_co_ci_u32_e32 v1, vcc_lo, s5, v1, vcc_lo
	s_and_saveexec_b32 s1, s0
	s_cbranch_execz .LBB495_7
; %bb.6:
	s_waitcnt lgkmcnt(1)
	v_add_f32_e32 v7, v7, v8
	s_delay_alu instid0(VALU_DEP_1) | instskip(NEXT) | instid1(VALU_DEP_1)
	v_div_scale_f32 v8, null, v7, v7, v3
	v_rcp_f32_e32 v9, v8
	s_waitcnt_depctr 0xfff
	v_fma_f32 v10, -v8, v9, 1.0
	s_delay_alu instid0(VALU_DEP_1) | instskip(SKIP_1) | instid1(VALU_DEP_1)
	v_fmac_f32_e32 v9, v10, v9
	v_div_scale_f32 v10, vcc_lo, v3, v7, v3
	v_mul_f32_e32 v11, v10, v9
	s_delay_alu instid0(VALU_DEP_1) | instskip(NEXT) | instid1(VALU_DEP_1)
	v_fma_f32 v12, -v8, v11, v10
	v_fmac_f32_e32 v11, v12, v9
	s_delay_alu instid0(VALU_DEP_1) | instskip(NEXT) | instid1(VALU_DEP_1)
	v_fma_f32 v8, -v8, v11, v10
	v_div_fmas_f32 v8, v8, v9, v11
	v_cmp_neq_f32_e32 vcc_lo, 0, v7
	s_delay_alu instid0(VALU_DEP_2) | instskip(NEXT) | instid1(VALU_DEP_1)
	v_div_fixup_f32 v3, v8, v7, v3
	v_cndmask_b32_e32 v3, 0x7fc00000, v3, vcc_lo
	global_store_b32 v[0:1], v3, off
.LBB495_7:
	s_or_b32 exec_lo, exec_lo, s1
	v_cmp_ne_u32_e32 vcc_lo, 1, v4
	s_and_b32 exec_lo, exec_lo, vcc_lo
	s_cbranch_execz .LBB495_10
; %bb.8:
	s_and_b32 exec_lo, exec_lo, s0
	s_cbranch_execz .LBB495_10
; %bb.9:
	s_waitcnt lgkmcnt(0)
	v_add_f32_e32 v3, v5, v6
	s_mov_b32 s11, 0
	s_delay_alu instid0(SALU_CYCLE_1) | instskip(NEXT) | instid1(VALU_DEP_1)
	s_lshl_b64 s[0:1], s[10:11], 2
	v_div_scale_f32 v4, null, v3, v3, v2
	v_div_scale_f32 v7, vcc_lo, v2, v3, v2
	s_delay_alu instid0(VALU_DEP_2) | instskip(SKIP_2) | instid1(VALU_DEP_1)
	v_rcp_f32_e32 v5, v4
	s_waitcnt_depctr 0xfff
	v_fma_f32 v6, -v4, v5, 1.0
	v_fmac_f32_e32 v5, v6, v5
	s_delay_alu instid0(VALU_DEP_1) | instskip(NEXT) | instid1(VALU_DEP_1)
	v_mul_f32_e32 v6, v7, v5
	v_fma_f32 v8, -v4, v6, v7
	s_delay_alu instid0(VALU_DEP_1) | instskip(NEXT) | instid1(VALU_DEP_1)
	v_fmac_f32_e32 v6, v8, v5
	v_fma_f32 v4, -v4, v6, v7
	s_delay_alu instid0(VALU_DEP_1) | instskip(SKIP_2) | instid1(VALU_DEP_3)
	v_div_fmas_f32 v4, v4, v5, v6
	v_add_co_u32 v0, vcc_lo, v0, s0
	v_add_co_ci_u32_e32 v1, vcc_lo, s1, v1, vcc_lo
	v_div_fixup_f32 v2, v4, v3, v2
	v_cmp_neq_f32_e32 vcc_lo, 0, v3
	s_delay_alu instid0(VALU_DEP_2)
	v_cndmask_b32_e32 v2, 0x7fc00000, v2, vcc_lo
	global_store_b32 v[0:1], v2, off
.LBB495_10:
	s_nop 0
	s_sendmsg sendmsg(MSG_DEALLOC_VGPRS)
	s_endpgm
	.section	.rodata,"a",@progbits
	.p2align	6, 0x0
	.amdhsa_kernel _ZN12_GLOBAL__N_120softmax_warp_forwardIN3c108BFloat16EffLi5ELb0ELb0ELi32EEEvPT0_PKT_iiiPKbib
		.amdhsa_group_segment_fixed_size 0
		.amdhsa_private_segment_fixed_size 0
		.amdhsa_kernarg_size 304
		.amdhsa_user_sgpr_count 15
		.amdhsa_user_sgpr_dispatch_ptr 0
		.amdhsa_user_sgpr_queue_ptr 0
		.amdhsa_user_sgpr_kernarg_segment_ptr 1
		.amdhsa_user_sgpr_dispatch_id 0
		.amdhsa_user_sgpr_private_segment_size 0
		.amdhsa_wavefront_size32 1
		.amdhsa_uses_dynamic_stack 0
		.amdhsa_enable_private_segment 0
		.amdhsa_system_sgpr_workgroup_id_x 1
		.amdhsa_system_sgpr_workgroup_id_y 0
		.amdhsa_system_sgpr_workgroup_id_z 0
		.amdhsa_system_sgpr_workgroup_info 0
		.amdhsa_system_vgpr_workitem_id 1
		.amdhsa_next_free_vgpr 16
		.amdhsa_next_free_sgpr 16
		.amdhsa_reserve_vcc 1
		.amdhsa_float_round_mode_32 0
		.amdhsa_float_round_mode_16_64 0
		.amdhsa_float_denorm_mode_32 3
		.amdhsa_float_denorm_mode_16_64 3
		.amdhsa_dx10_clamp 1
		.amdhsa_ieee_mode 1
		.amdhsa_fp16_overflow 0
		.amdhsa_workgroup_processor_mode 1
		.amdhsa_memory_ordered 1
		.amdhsa_forward_progress 0
		.amdhsa_shared_vgpr_count 0
		.amdhsa_exception_fp_ieee_invalid_op 0
		.amdhsa_exception_fp_denorm_src 0
		.amdhsa_exception_fp_ieee_div_zero 0
		.amdhsa_exception_fp_ieee_overflow 0
		.amdhsa_exception_fp_ieee_underflow 0
		.amdhsa_exception_fp_ieee_inexact 0
		.amdhsa_exception_int_div_zero 0
	.end_amdhsa_kernel
	.section	.text._ZN12_GLOBAL__N_120softmax_warp_forwardIN3c108BFloat16EffLi5ELb0ELb0ELi32EEEvPT0_PKT_iiiPKbib,"axG",@progbits,_ZN12_GLOBAL__N_120softmax_warp_forwardIN3c108BFloat16EffLi5ELb0ELb0ELi32EEEvPT0_PKT_iiiPKbib,comdat
.Lfunc_end495:
	.size	_ZN12_GLOBAL__N_120softmax_warp_forwardIN3c108BFloat16EffLi5ELb0ELb0ELi32EEEvPT0_PKT_iiiPKbib, .Lfunc_end495-_ZN12_GLOBAL__N_120softmax_warp_forwardIN3c108BFloat16EffLi5ELb0ELb0ELi32EEEvPT0_PKT_iiiPKbib
                                        ; -- End function
	.section	.AMDGPU.csdata,"",@progbits
; Kernel info:
; codeLenInByte = 1404
; NumSgprs: 18
; NumVgprs: 16
; ScratchSize: 0
; MemoryBound: 0
; FloatMode: 240
; IeeeMode: 1
; LDSByteSize: 0 bytes/workgroup (compile time only)
; SGPRBlocks: 2
; VGPRBlocks: 1
; NumSGPRsForWavesPerEU: 18
; NumVGPRsForWavesPerEU: 16
; Occupancy: 16
; WaveLimiterHint : 0
; COMPUTE_PGM_RSRC2:SCRATCH_EN: 0
; COMPUTE_PGM_RSRC2:USER_SGPR: 15
; COMPUTE_PGM_RSRC2:TRAP_HANDLER: 0
; COMPUTE_PGM_RSRC2:TGID_X_EN: 1
; COMPUTE_PGM_RSRC2:TGID_Y_EN: 0
; COMPUTE_PGM_RSRC2:TGID_Z_EN: 0
; COMPUTE_PGM_RSRC2:TIDIG_COMP_CNT: 1
	.section	.text._ZN12_GLOBAL__N_120softmax_warp_forwardIN3c108BFloat16EffLi6ELb0ELb0ELi64EEEvPT0_PKT_iiiPKbib,"axG",@progbits,_ZN12_GLOBAL__N_120softmax_warp_forwardIN3c108BFloat16EffLi6ELb0ELb0ELi64EEEvPT0_PKT_iiiPKbib,comdat
	.globl	_ZN12_GLOBAL__N_120softmax_warp_forwardIN3c108BFloat16EffLi6ELb0ELb0ELi64EEEvPT0_PKT_iiiPKbib ; -- Begin function _ZN12_GLOBAL__N_120softmax_warp_forwardIN3c108BFloat16EffLi6ELb0ELb0ELi64EEEvPT0_PKT_iiiPKbib
	.p2align	8
	.type	_ZN12_GLOBAL__N_120softmax_warp_forwardIN3c108BFloat16EffLi6ELb0ELb0ELi64EEEvPT0_PKT_iiiPKbib,@function
_ZN12_GLOBAL__N_120softmax_warp_forwardIN3c108BFloat16EffLi6ELb0ELb0ELi64EEEvPT0_PKT_iiiPKbib: ; @_ZN12_GLOBAL__N_120softmax_warp_forwardIN3c108BFloat16EffLi6ELb0ELb0ELi64EEEvPT0_PKT_iiiPKbib
; %bb.0:
	s_clause 0x1
	s_load_b32 s2, s[0:1], 0x3c
	s_load_b256 s[4:11], s[0:1], 0x0
	v_bfe_u32 v1, v0, 10, 10
	v_and_b32_e32 v2, 0x3ff, v0
	v_mov_b32_e32 v5, 0xff800000
	s_waitcnt lgkmcnt(0)
	s_lshr_b32 s0, s2, 16
	s_delay_alu instid0(SALU_CYCLE_1) | instskip(SKIP_2) | instid1(VALU_DEP_1)
	s_mul_i32 s15, s15, s0
	v_cmp_gt_i32_e64 s0, s10, v2
	v_add_lshl_u32 v3, s15, v1, 1
	v_mad_u64_u32 v[0:1], null, v3, s9, v[2:3]
	v_sub_nc_u32_e32 v4, s8, v3
	s_delay_alu instid0(VALU_DEP_1) | instskip(NEXT) | instid1(VALU_DEP_3)
	v_cmp_lt_i32_e32 vcc_lo, 0, v4
	v_ashrrev_i32_e32 v1, 31, v0
	s_and_b32 s2, s0, vcc_lo
	s_delay_alu instid0(VALU_DEP_1) | instskip(NEXT) | instid1(VALU_DEP_1)
	v_lshlrev_b64 v[6:7], 1, v[0:1]
	v_add_co_u32 v2, s1, s6, v6
	v_mov_b32_e32 v6, 0xff800000
	s_delay_alu instid0(VALU_DEP_3)
	v_add_co_ci_u32_e64 v3, s1, s7, v7, s1
	s_and_saveexec_b32 s1, s2
	s_cbranch_execz .LBB496_2
; %bb.1:
	global_load_u16 v6, v[2:3], off
	s_waitcnt vmcnt(0)
	v_lshlrev_b32_e32 v6, 16, v6
.LBB496_2:
	s_or_b32 exec_lo, exec_lo, s1
	v_cmp_lt_i32_e64 s1, 1, v4
	s_delay_alu instid0(VALU_DEP_1) | instskip(NEXT) | instid1(SALU_CYCLE_1)
	s_and_b32 s1, s0, s1
	s_and_saveexec_b32 s2, s1
	s_cbranch_execz .LBB496_4
; %bb.3:
	s_mov_b32 s11, 0
	s_delay_alu instid0(SALU_CYCLE_1) | instskip(NEXT) | instid1(SALU_CYCLE_1)
	s_lshl_b64 s[6:7], s[10:11], 1
	v_add_co_u32 v2, s1, v2, s6
	s_delay_alu instid0(VALU_DEP_1)
	v_add_co_ci_u32_e64 v3, s1, s7, v3, s1
	global_load_u16 v2, v[2:3], off
	s_waitcnt vmcnt(0)
	v_lshlrev_b32_e32 v5, 16, v2
.LBB496_4:
	s_or_b32 exec_lo, exec_lo, s2
	v_mbcnt_lo_u32_b32 v2, -1, 0
	s_delay_alu instid0(VALU_DEP_1)
	v_or_b32_e32 v3, 32, v2
	v_xor_b32_e32 v9, 16, v2
	v_xor_b32_e32 v12, 8, v2
	v_xor_b32_e32 v13, 4, v2
	v_xor_b32_e32 v14, 2, v2
	v_cmp_gt_i32_e64 s1, 64, v3
	v_xor_b32_e32 v15, 1, v2
	s_delay_alu instid0(VALU_DEP_2) | instskip(SKIP_1) | instid1(VALU_DEP_2)
	v_cndmask_b32_e64 v3, v2, v3, s1
	v_cmp_gt_i32_e64 s1, 64, v9
	v_lshlrev_b32_e32 v7, 2, v3
	s_delay_alu instid0(VALU_DEP_2)
	v_cndmask_b32_e64 v9, v2, v9, s1
	ds_bpermute_b32 v3, v7, v6
	ds_bpermute_b32 v8, v7, v5
	v_lshlrev_b32_e32 v9, 2, v9
	s_waitcnt lgkmcnt(1)
	v_cmp_lt_f32_e64 s1, v6, v3
	s_delay_alu instid0(VALU_DEP_1)
	v_cndmask_b32_e64 v3, v6, v3, s1
	s_waitcnt lgkmcnt(0)
	v_cmp_lt_f32_e64 s1, v5, v8
	ds_bpermute_b32 v10, v9, v3
	v_cndmask_b32_e64 v8, v5, v8, s1
	v_cmp_gt_i32_e64 s1, 64, v12
	ds_bpermute_b32 v11, v9, v8
	v_cndmask_b32_e64 v12, v2, v12, s1
	s_delay_alu instid0(VALU_DEP_1) | instskip(SKIP_2) | instid1(VALU_DEP_1)
	v_lshlrev_b32_e32 v12, 2, v12
	s_waitcnt lgkmcnt(1)
	v_cmp_lt_f32_e64 s1, v3, v10
	v_cndmask_b32_e64 v3, v3, v10, s1
	s_waitcnt lgkmcnt(0)
	v_cmp_lt_f32_e64 s1, v8, v11
	ds_bpermute_b32 v10, v12, v3
	v_cndmask_b32_e64 v8, v8, v11, s1
	v_cmp_gt_i32_e64 s1, 64, v13
	ds_bpermute_b32 v11, v12, v8
	v_cndmask_b32_e64 v13, v2, v13, s1
	s_delay_alu instid0(VALU_DEP_1) | instskip(SKIP_2) | instid1(VALU_DEP_1)
	v_lshlrev_b32_e32 v13, 2, v13
	s_waitcnt lgkmcnt(1)
	v_cmp_lt_f32_e64 s1, v3, v10
	;; [unrolled: 12-line block ×4, first 2 shown]
	v_cndmask_b32_e64 v2, v3, v10, s1
	s_waitcnt lgkmcnt(0)
	v_cmp_lt_f32_e64 s1, v8, v11
	s_delay_alu instid0(VALU_DEP_1) | instskip(SKIP_4) | instid1(VALU_DEP_1)
	v_cndmask_b32_e64 v3, v8, v11, s1
	ds_bpermute_b32 v8, v15, v2
	ds_bpermute_b32 v10, v15, v3
	s_waitcnt lgkmcnt(1)
	v_cmp_lt_f32_e64 s1, v2, v8
	v_cndmask_b32_e64 v2, v2, v8, s1
	s_waitcnt lgkmcnt(0)
	v_cmp_lt_f32_e64 s1, v3, v10
	s_delay_alu instid0(VALU_DEP_2) | instskip(NEXT) | instid1(VALU_DEP_2)
	v_sub_f32_e32 v2, v6, v2
	v_cndmask_b32_e64 v3, v3, v10, s1
	s_delay_alu instid0(VALU_DEP_2) | instskip(NEXT) | instid1(VALU_DEP_2)
	v_cmp_ngt_f32_e64 s1, 0xc2ce8ed0, v2
	v_sub_f32_e32 v5, v5, v3
	s_delay_alu instid0(VALU_DEP_1) | instskip(NEXT) | instid1(VALU_DEP_1)
	v_mul_f32_e32 v6, 0x3fb8aa3b, v5
	v_fma_f32 v11, 0x3fb8aa3b, v5, -v6
	v_rndne_f32_e32 v16, v6
	s_delay_alu instid0(VALU_DEP_1) | instskip(NEXT) | instid1(VALU_DEP_1)
	v_dual_fmac_f32 v11, 0x32a5705f, v5 :: v_dual_sub_f32 v6, v6, v16
	v_dual_mul_f32 v3, 0x3fb8aa3b, v2 :: v_dual_add_f32 v6, v6, v11
	s_delay_alu instid0(VALU_DEP_1) | instskip(SKIP_1) | instid1(VALU_DEP_3)
	v_fma_f32 v8, 0x3fb8aa3b, v2, -v3
	v_rndne_f32_e32 v10, v3
	v_exp_f32_e32 v6, v6
	s_delay_alu instid0(VALU_DEP_2) | instskip(NEXT) | instid1(VALU_DEP_2)
	v_fmac_f32_e32 v8, 0x32a5705f, v2
	v_sub_f32_e32 v3, v3, v10
	s_delay_alu instid0(VALU_DEP_1) | instskip(SKIP_2) | instid1(VALU_DEP_3)
	v_add_f32_e32 v3, v3, v8
	v_cvt_i32_f32_e32 v8, v10
	v_cvt_i32_f32_e32 v10, v16
	v_exp_f32_e32 v3, v3
	s_delay_alu instid0(TRANS32_DEP_2) | instid1(VALU_DEP_1)
	v_ldexp_f32 v6, v6, v10
	s_waitcnt_depctr 0xfff
	v_ldexp_f32 v3, v3, v8
	s_delay_alu instid0(VALU_DEP_1) | instskip(SKIP_1) | instid1(VALU_DEP_1)
	v_cndmask_b32_e64 v3, 0, v3, s1
	v_cmp_ngt_f32_e64 s1, 0xc2ce8ed0, v5
	v_cndmask_b32_e64 v6, 0, v6, s1
	v_cmp_nlt_f32_e64 s1, 0x42b17218, v2
	s_delay_alu instid0(VALU_DEP_1)
	v_cndmask_b32_e64 v3, 0x7f800000, v3, s1
	v_cmp_nlt_f32_e64 s1, 0x42b17218, v5
	ds_bpermute_b32 v5, v7, v3
	v_cndmask_b32_e64 v2, 0x7f800000, v6, s1
	ds_bpermute_b32 v6, v7, v2
	s_waitcnt lgkmcnt(0)
	v_add_f32_e32 v6, v2, v6
	ds_bpermute_b32 v8, v9, v6
	s_waitcnt lgkmcnt(0)
	v_add_f32_e32 v6, v6, v8
	ds_bpermute_b32 v8, v12, v6
	s_waitcnt lgkmcnt(0)
	v_dual_add_f32 v5, v3, v5 :: v_dual_add_f32 v6, v6, v8
	ds_bpermute_b32 v7, v9, v5
	ds_bpermute_b32 v8, v13, v6
	s_waitcnt lgkmcnt(0)
	v_dual_add_f32 v5, v5, v7 :: v_dual_add_f32 v6, v6, v8
	ds_bpermute_b32 v7, v12, v5
	ds_bpermute_b32 v8, v14, v6
	s_waitcnt lgkmcnt(1)
	v_add_f32_e32 v5, v5, v7
	ds_bpermute_b32 v7, v13, v5
	s_waitcnt lgkmcnt(0)
	v_add_f32_e32 v5, v5, v7
	;; [unrolled: 3-line block ×3, first 2 shown]
	v_add_f32_e32 v5, v6, v8
	ds_bpermute_b32 v8, v15, v7
	ds_bpermute_b32 v6, v15, v5
	s_and_saveexec_b32 s1, vcc_lo
	s_cbranch_execz .LBB496_10
; %bb.5:
	v_lshlrev_b64 v[0:1], 2, v[0:1]
	s_delay_alu instid0(VALU_DEP_1) | instskip(NEXT) | instid1(VALU_DEP_2)
	v_add_co_u32 v0, vcc_lo, s4, v0
	v_add_co_ci_u32_e32 v1, vcc_lo, s5, v1, vcc_lo
	s_and_saveexec_b32 s1, s0
	s_cbranch_execz .LBB496_7
; %bb.6:
	s_waitcnt lgkmcnt(1)
	v_add_f32_e32 v7, v7, v8
	s_delay_alu instid0(VALU_DEP_1) | instskip(NEXT) | instid1(VALU_DEP_1)
	v_div_scale_f32 v8, null, v7, v7, v3
	v_rcp_f32_e32 v9, v8
	s_waitcnt_depctr 0xfff
	v_fma_f32 v10, -v8, v9, 1.0
	s_delay_alu instid0(VALU_DEP_1) | instskip(SKIP_1) | instid1(VALU_DEP_1)
	v_fmac_f32_e32 v9, v10, v9
	v_div_scale_f32 v10, vcc_lo, v3, v7, v3
	v_mul_f32_e32 v11, v10, v9
	s_delay_alu instid0(VALU_DEP_1) | instskip(NEXT) | instid1(VALU_DEP_1)
	v_fma_f32 v12, -v8, v11, v10
	v_fmac_f32_e32 v11, v12, v9
	s_delay_alu instid0(VALU_DEP_1) | instskip(NEXT) | instid1(VALU_DEP_1)
	v_fma_f32 v8, -v8, v11, v10
	v_div_fmas_f32 v8, v8, v9, v11
	v_cmp_neq_f32_e32 vcc_lo, 0, v7
	s_delay_alu instid0(VALU_DEP_2) | instskip(NEXT) | instid1(VALU_DEP_1)
	v_div_fixup_f32 v3, v8, v7, v3
	v_cndmask_b32_e32 v3, 0x7fc00000, v3, vcc_lo
	global_store_b32 v[0:1], v3, off
.LBB496_7:
	s_or_b32 exec_lo, exec_lo, s1
	v_cmp_ne_u32_e32 vcc_lo, 1, v4
	s_and_b32 exec_lo, exec_lo, vcc_lo
	s_cbranch_execz .LBB496_10
; %bb.8:
	s_and_b32 exec_lo, exec_lo, s0
	s_cbranch_execz .LBB496_10
; %bb.9:
	s_waitcnt lgkmcnt(0)
	v_add_f32_e32 v3, v5, v6
	s_mov_b32 s11, 0
	s_delay_alu instid0(SALU_CYCLE_1) | instskip(NEXT) | instid1(VALU_DEP_1)
	s_lshl_b64 s[0:1], s[10:11], 2
	v_div_scale_f32 v4, null, v3, v3, v2
	v_div_scale_f32 v7, vcc_lo, v2, v3, v2
	s_delay_alu instid0(VALU_DEP_2) | instskip(SKIP_2) | instid1(VALU_DEP_1)
	v_rcp_f32_e32 v5, v4
	s_waitcnt_depctr 0xfff
	v_fma_f32 v6, -v4, v5, 1.0
	v_fmac_f32_e32 v5, v6, v5
	s_delay_alu instid0(VALU_DEP_1) | instskip(NEXT) | instid1(VALU_DEP_1)
	v_mul_f32_e32 v6, v7, v5
	v_fma_f32 v8, -v4, v6, v7
	s_delay_alu instid0(VALU_DEP_1) | instskip(NEXT) | instid1(VALU_DEP_1)
	v_fmac_f32_e32 v6, v8, v5
	v_fma_f32 v4, -v4, v6, v7
	s_delay_alu instid0(VALU_DEP_1) | instskip(SKIP_2) | instid1(VALU_DEP_3)
	v_div_fmas_f32 v4, v4, v5, v6
	v_add_co_u32 v0, vcc_lo, v0, s0
	v_add_co_ci_u32_e32 v1, vcc_lo, s1, v1, vcc_lo
	v_div_fixup_f32 v2, v4, v3, v2
	v_cmp_neq_f32_e32 vcc_lo, 0, v3
	s_delay_alu instid0(VALU_DEP_2)
	v_cndmask_b32_e32 v2, 0x7fc00000, v2, vcc_lo
	global_store_b32 v[0:1], v2, off
.LBB496_10:
	s_nop 0
	s_sendmsg sendmsg(MSG_DEALLOC_VGPRS)
	s_endpgm
	.section	.rodata,"a",@progbits
	.p2align	6, 0x0
	.amdhsa_kernel _ZN12_GLOBAL__N_120softmax_warp_forwardIN3c108BFloat16EffLi6ELb0ELb0ELi64EEEvPT0_PKT_iiiPKbib
		.amdhsa_group_segment_fixed_size 0
		.amdhsa_private_segment_fixed_size 0
		.amdhsa_kernarg_size 304
		.amdhsa_user_sgpr_count 15
		.amdhsa_user_sgpr_dispatch_ptr 0
		.amdhsa_user_sgpr_queue_ptr 0
		.amdhsa_user_sgpr_kernarg_segment_ptr 1
		.amdhsa_user_sgpr_dispatch_id 0
		.amdhsa_user_sgpr_private_segment_size 0
		.amdhsa_wavefront_size32 1
		.amdhsa_uses_dynamic_stack 0
		.amdhsa_enable_private_segment 0
		.amdhsa_system_sgpr_workgroup_id_x 1
		.amdhsa_system_sgpr_workgroup_id_y 0
		.amdhsa_system_sgpr_workgroup_id_z 0
		.amdhsa_system_sgpr_workgroup_info 0
		.amdhsa_system_vgpr_workitem_id 1
		.amdhsa_next_free_vgpr 17
		.amdhsa_next_free_sgpr 16
		.amdhsa_reserve_vcc 1
		.amdhsa_float_round_mode_32 0
		.amdhsa_float_round_mode_16_64 0
		.amdhsa_float_denorm_mode_32 3
		.amdhsa_float_denorm_mode_16_64 3
		.amdhsa_dx10_clamp 1
		.amdhsa_ieee_mode 1
		.amdhsa_fp16_overflow 0
		.amdhsa_workgroup_processor_mode 1
		.amdhsa_memory_ordered 1
		.amdhsa_forward_progress 0
		.amdhsa_shared_vgpr_count 0
		.amdhsa_exception_fp_ieee_invalid_op 0
		.amdhsa_exception_fp_denorm_src 0
		.amdhsa_exception_fp_ieee_div_zero 0
		.amdhsa_exception_fp_ieee_overflow 0
		.amdhsa_exception_fp_ieee_underflow 0
		.amdhsa_exception_fp_ieee_inexact 0
		.amdhsa_exception_int_div_zero 0
	.end_amdhsa_kernel
	.section	.text._ZN12_GLOBAL__N_120softmax_warp_forwardIN3c108BFloat16EffLi6ELb0ELb0ELi64EEEvPT0_PKT_iiiPKbib,"axG",@progbits,_ZN12_GLOBAL__N_120softmax_warp_forwardIN3c108BFloat16EffLi6ELb0ELb0ELi64EEEvPT0_PKT_iiiPKbib,comdat
.Lfunc_end496:
	.size	_ZN12_GLOBAL__N_120softmax_warp_forwardIN3c108BFloat16EffLi6ELb0ELb0ELi64EEEvPT0_PKT_iiiPKbib, .Lfunc_end496-_ZN12_GLOBAL__N_120softmax_warp_forwardIN3c108BFloat16EffLi6ELb0ELb0ELi64EEEvPT0_PKT_iiiPKbib
                                        ; -- End function
	.section	.AMDGPU.csdata,"",@progbits
; Kernel info:
; codeLenInByte = 1536
; NumSgprs: 18
; NumVgprs: 17
; ScratchSize: 0
; MemoryBound: 0
; FloatMode: 240
; IeeeMode: 1
; LDSByteSize: 0 bytes/workgroup (compile time only)
; SGPRBlocks: 2
; VGPRBlocks: 2
; NumSGPRsForWavesPerEU: 18
; NumVGPRsForWavesPerEU: 17
; Occupancy: 16
; WaveLimiterHint : 0
; COMPUTE_PGM_RSRC2:SCRATCH_EN: 0
; COMPUTE_PGM_RSRC2:USER_SGPR: 15
; COMPUTE_PGM_RSRC2:TRAP_HANDLER: 0
; COMPUTE_PGM_RSRC2:TGID_X_EN: 1
; COMPUTE_PGM_RSRC2:TGID_Y_EN: 0
; COMPUTE_PGM_RSRC2:TGID_Z_EN: 0
; COMPUTE_PGM_RSRC2:TIDIG_COMP_CNT: 1
	.section	.text._ZN12_GLOBAL__N_120softmax_warp_forwardIN3c108BFloat16EffLi6ELb0ELb0ELi32EEEvPT0_PKT_iiiPKbib,"axG",@progbits,_ZN12_GLOBAL__N_120softmax_warp_forwardIN3c108BFloat16EffLi6ELb0ELb0ELi32EEEvPT0_PKT_iiiPKbib,comdat
	.globl	_ZN12_GLOBAL__N_120softmax_warp_forwardIN3c108BFloat16EffLi6ELb0ELb0ELi32EEEvPT0_PKT_iiiPKbib ; -- Begin function _ZN12_GLOBAL__N_120softmax_warp_forwardIN3c108BFloat16EffLi6ELb0ELb0ELi32EEEvPT0_PKT_iiiPKbib
	.p2align	8
	.type	_ZN12_GLOBAL__N_120softmax_warp_forwardIN3c108BFloat16EffLi6ELb0ELb0ELi32EEEvPT0_PKT_iiiPKbib,@function
_ZN12_GLOBAL__N_120softmax_warp_forwardIN3c108BFloat16EffLi6ELb0ELb0ELi32EEEvPT0_PKT_iiiPKbib: ; @_ZN12_GLOBAL__N_120softmax_warp_forwardIN3c108BFloat16EffLi6ELb0ELb0ELi32EEEvPT0_PKT_iiiPKbib
; %bb.0:
	s_clause 0x1
	s_load_b32 s2, s[0:1], 0x3c
	s_load_b256 s[4:11], s[0:1], 0x0
	v_bfe_u32 v1, v0, 10, 10
	v_and_b32_e32 v4, 0x3ff, v0
	v_dual_mov_b32 v6, 0xff800000 :: v_dual_mov_b32 v7, 0xff800000
	s_waitcnt lgkmcnt(0)
	s_lshr_b32 s0, s2, 16
	s_delay_alu instid0(VALU_DEP_2) | instskip(SKIP_1) | instid1(SALU_CYCLE_1)
	v_cmp_gt_i32_e64 s1, s10, v4
	s_mul_i32 s15, s15, s0
	v_add_lshl_u32 v2, s15, v1, 1
	s_delay_alu instid0(VALU_DEP_1) | instskip(SKIP_1) | instid1(VALU_DEP_1)
	v_mad_u64_u32 v[0:1], null, v2, s9, v[4:5]
	v_sub_nc_u32_e32 v5, s8, v2
	v_cmp_lt_i32_e32 vcc_lo, 0, v5
	s_delay_alu instid0(VALU_DEP_3) | instskip(SKIP_1) | instid1(VALU_DEP_1)
	v_ashrrev_i32_e32 v1, 31, v0
	s_and_b32 s2, vcc_lo, s1
	v_lshlrev_b64 v[2:3], 1, v[0:1]
	s_delay_alu instid0(VALU_DEP_1) | instskip(NEXT) | instid1(VALU_DEP_1)
	v_add_co_u32 v2, s0, s6, v2
	v_add_co_ci_u32_e64 v3, s0, s7, v3, s0
	s_and_saveexec_b32 s0, s2
	s_cbranch_execz .LBB497_2
; %bb.1:
	global_load_u16 v7, v[2:3], off
	s_waitcnt vmcnt(0)
	v_lshlrev_b32_e32 v7, 16, v7
.LBB497_2:
	s_or_b32 exec_lo, exec_lo, s0
	v_add_nc_u32_e32 v4, 32, v4
	s_delay_alu instid0(VALU_DEP_1) | instskip(NEXT) | instid1(VALU_DEP_1)
	v_cmp_gt_i32_e64 s0, s10, v4
	s_and_b32 s3, vcc_lo, s0
	s_delay_alu instid0(SALU_CYCLE_1)
	s_and_saveexec_b32 s2, s3
	s_cbranch_execz .LBB497_4
; %bb.3:
	global_load_u16 v4, v[2:3], off offset:64
	s_waitcnt vmcnt(0)
	v_lshlrev_b32_e32 v6, 16, v4
.LBB497_4:
	s_or_b32 exec_lo, exec_lo, s2
	v_cmp_lt_i32_e64 s2, 1, v5
	v_mov_b32_e32 v4, 0xff800000
	v_mov_b32_e32 v8, 0xff800000
	s_delay_alu instid0(VALU_DEP_3) | instskip(NEXT) | instid1(SALU_CYCLE_1)
	s_and_b32 s3, s2, s1
	s_and_saveexec_b32 s6, s3
	s_cbranch_execz .LBB497_6
; %bb.5:
	s_mov_b32 s11, 0
	s_delay_alu instid0(SALU_CYCLE_1) | instskip(NEXT) | instid1(SALU_CYCLE_1)
	s_lshl_b64 s[8:9], s[10:11], 1
	v_add_co_u32 v8, s3, v2, s8
	s_delay_alu instid0(VALU_DEP_1)
	v_add_co_ci_u32_e64 v9, s3, s9, v3, s3
	global_load_u16 v8, v[8:9], off
	s_waitcnt vmcnt(0)
	v_lshlrev_b32_e32 v8, 16, v8
.LBB497_6:
	s_or_b32 exec_lo, exec_lo, s6
	s_and_b32 s2, s2, s0
	s_delay_alu instid0(SALU_CYCLE_1)
	s_and_saveexec_b32 s3, s2
	s_cbranch_execz .LBB497_8
; %bb.7:
	s_mov_b32 s11, 0
	s_delay_alu instid0(SALU_CYCLE_1) | instskip(NEXT) | instid1(SALU_CYCLE_1)
	s_lshl_b64 s[6:7], s[10:11], 1
	v_add_co_u32 v2, s2, v2, s6
	s_delay_alu instid0(VALU_DEP_1)
	v_add_co_ci_u32_e64 v3, s2, s7, v3, s2
	global_load_u16 v2, v[2:3], off offset:64
	s_waitcnt vmcnt(0)
	v_lshlrev_b32_e32 v4, 16, v2
.LBB497_8:
	s_or_b32 exec_lo, exec_lo, s3
	v_mbcnt_lo_u32_b32 v2, -1, 0
	s_delay_alu instid0(VALU_DEP_1)
	v_xor_b32_e32 v3, 16, v2
	v_xor_b32_e32 v13, 8, v2
	;; [unrolled: 1-line block ×5, first 2 shown]
	v_cmp_gt_i32_e64 s2, 32, v3
	s_delay_alu instid0(VALU_DEP_1) | instskip(SKIP_1) | instid1(VALU_DEP_2)
	v_cndmask_b32_e64 v3, v2, v3, s2
	v_cmp_gt_f32_e64 s2, v7, v6
	v_lshlrev_b32_e32 v10, 2, v3
	s_delay_alu instid0(VALU_DEP_2)
	v_cndmask_b32_e64 v9, v6, v7, s2
	v_cmp_gt_f32_e64 s2, v8, v4
	ds_bpermute_b32 v11, v10, v9
	v_cndmask_b32_e64 v3, v4, v8, s2
	v_cmp_gt_i32_e64 s2, 32, v13
	ds_bpermute_b32 v12, v10, v3
	v_cndmask_b32_e64 v13, v2, v13, s2
	s_delay_alu instid0(VALU_DEP_1) | instskip(SKIP_2) | instid1(VALU_DEP_1)
	v_lshlrev_b32_e32 v13, 2, v13
	s_waitcnt lgkmcnt(1)
	v_cmp_lt_f32_e64 s2, v9, v11
	v_cndmask_b32_e64 v9, v9, v11, s2
	s_waitcnt lgkmcnt(0)
	v_cmp_lt_f32_e64 s2, v3, v12
	ds_bpermute_b32 v11, v13, v9
	v_cndmask_b32_e64 v3, v3, v12, s2
	v_cmp_gt_i32_e64 s2, 32, v14
	ds_bpermute_b32 v12, v13, v3
	v_cndmask_b32_e64 v14, v2, v14, s2
	s_delay_alu instid0(VALU_DEP_1) | instskip(SKIP_2) | instid1(VALU_DEP_1)
	v_lshlrev_b32_e32 v14, 2, v14
	s_waitcnt lgkmcnt(1)
	v_cmp_lt_f32_e64 s2, v9, v11
	v_cndmask_b32_e64 v9, v9, v11, s2
	s_waitcnt lgkmcnt(0)
	v_cmp_lt_f32_e64 s2, v3, v12
	;; [unrolled: 12-line block ×4, first 2 shown]
	ds_bpermute_b32 v9, v16, v2
	v_cndmask_b32_e64 v3, v3, v12, s2
	ds_bpermute_b32 v11, v16, v3
	s_waitcnt lgkmcnt(1)
	v_cmp_lt_f32_e64 s2, v2, v9
	s_delay_alu instid0(VALU_DEP_1) | instskip(SKIP_2) | instid1(VALU_DEP_2)
	v_cndmask_b32_e64 v2, v2, v9, s2
	s_waitcnt lgkmcnt(0)
	v_cmp_lt_f32_e64 s2, v3, v11
	v_sub_f32_e32 v7, v7, v2
	s_delay_alu instid0(VALU_DEP_2) | instskip(SKIP_1) | instid1(VALU_DEP_3)
	v_cndmask_b32_e64 v3, v3, v11, s2
	v_sub_f32_e32 v2, v6, v2
	v_cmp_ngt_f32_e64 s2, 0xc2ce8ed0, v7
	s_delay_alu instid0(VALU_DEP_3) | instskip(SKIP_1) | instid1(VALU_DEP_4)
	v_sub_f32_e32 v9, v4, v3
	v_sub_f32_e32 v6, v8, v3
	v_dual_mul_f32 v3, 0x3fb8aa3b, v7 :: v_dual_mul_f32 v4, 0x3fb8aa3b, v2
	s_delay_alu instid0(VALU_DEP_3) | instskip(NEXT) | instid1(VALU_DEP_2)
	v_mul_f32_e32 v11, 0x3fb8aa3b, v9
	v_fma_f32 v12, 0x3fb8aa3b, v7, -v3
	v_rndne_f32_e32 v17, v3
	s_delay_alu instid0(VALU_DEP_4) | instskip(NEXT) | instid1(VALU_DEP_4)
	v_fma_f32 v18, 0x3fb8aa3b, v2, -v4
	v_fma_f32 v22, 0x3fb8aa3b, v9, -v11
	v_rndne_f32_e32 v23, v11
	s_delay_alu instid0(VALU_DEP_4) | instskip(SKIP_1) | instid1(VALU_DEP_3)
	v_dual_mul_f32 v8, 0x3fb8aa3b, v6 :: v_dual_sub_f32 v3, v3, v17
	v_rndne_f32_e32 v19, v4
	v_dual_fmac_f32 v18, 0x32a5705f, v2 :: v_dual_sub_f32 v11, v11, v23
	v_fmac_f32_e32 v22, 0x32a5705f, v9
	v_fmac_f32_e32 v12, 0x32a5705f, v7
	v_fma_f32 v20, 0x3fb8aa3b, v6, -v8
	v_rndne_f32_e32 v21, v8
	s_delay_alu instid0(VALU_DEP_4) | instskip(NEXT) | instid1(VALU_DEP_3)
	v_dual_add_f32 v11, v11, v22 :: v_dual_sub_f32 v4, v4, v19
	v_dual_add_f32 v3, v3, v12 :: v_dual_fmac_f32 v20, 0x32a5705f, v6
	s_delay_alu instid0(VALU_DEP_3) | instskip(SKIP_1) | instid1(VALU_DEP_4)
	v_sub_f32_e32 v8, v8, v21
	v_cvt_i32_f32_e32 v12, v17
	v_add_f32_e32 v4, v4, v18
	s_delay_alu instid0(VALU_DEP_4)
	v_exp_f32_e32 v3, v3
	v_cvt_i32_f32_e32 v17, v19
	v_add_f32_e32 v8, v8, v20
	v_exp_f32_e32 v11, v11
	v_exp_f32_e32 v4, v4
	v_cvt_i32_f32_e32 v18, v21
	v_cvt_i32_f32_e32 v19, v23
	v_exp_f32_e32 v8, v8
	v_ldexp_f32 v3, v3, v12
	s_delay_alu instid0(TRANS32_DEP_3) | instid1(VALU_DEP_2)
	v_ldexp_f32 v11, v11, v19
	s_waitcnt_depctr 0xfff
	v_ldexp_f32 v4, v4, v17
	v_cndmask_b32_e64 v3, 0, v3, s2
	v_cmp_ngt_f32_e64 s2, 0xc2ce8ed0, v2
	v_ldexp_f32 v8, v8, v18
	s_delay_alu instid0(VALU_DEP_2) | instskip(SKIP_1) | instid1(VALU_DEP_1)
	v_cndmask_b32_e64 v4, 0, v4, s2
	v_cmp_ngt_f32_e64 s2, 0xc2ce8ed0, v6
	v_cndmask_b32_e64 v12, 0, v8, s2
	v_cmp_ngt_f32_e64 s2, 0xc2ce8ed0, v9
	s_delay_alu instid0(VALU_DEP_1) | instskip(SKIP_1) | instid1(VALU_DEP_1)
	v_cndmask_b32_e64 v11, 0, v11, s2
	v_cmp_nlt_f32_e64 s2, 0x42b17218, v7
	v_cndmask_b32_e64 v8, 0x7f800000, v3, s2
	v_cmp_nlt_f32_e64 s2, 0x42b17218, v2
	s_delay_alu instid0(VALU_DEP_1) | instskip(SKIP_1) | instid1(VALU_DEP_2)
	v_cndmask_b32_e64 v4, 0x7f800000, v4, s2
	v_cmp_nlt_f32_e64 s2, 0x42b17218, v6
	v_add_f32_e32 v6, v8, v4
	s_delay_alu instid0(VALU_DEP_2) | instskip(SKIP_3) | instid1(VALU_DEP_1)
	v_cndmask_b32_e64 v3, 0x7f800000, v12, s2
	v_cmp_nlt_f32_e64 s2, 0x42b17218, v9
	ds_bpermute_b32 v9, v10, v6
	v_cndmask_b32_e64 v2, 0x7f800000, v11, s2
	v_add_f32_e32 v7, v3, v2
	ds_bpermute_b32 v10, v10, v7
	s_waitcnt lgkmcnt(0)
	v_add_f32_e32 v7, v7, v10
	ds_bpermute_b32 v10, v13, v7
	s_waitcnt lgkmcnt(0)
	;; [unrolled: 3-line block ×3, first 2 shown]
	v_dual_add_f32 v7, v7, v10 :: v_dual_add_f32 v6, v6, v9
	ds_bpermute_b32 v10, v15, v7
	ds_bpermute_b32 v9, v13, v6
	s_waitcnt lgkmcnt(0)
	v_add_f32_e32 v6, v6, v9
	ds_bpermute_b32 v9, v14, v6
	s_waitcnt lgkmcnt(0)
	v_add_f32_e32 v6, v6, v9
	ds_bpermute_b32 v9, v15, v6
	s_waitcnt lgkmcnt(0)
	v_dual_add_f32 v9, v6, v9 :: v_dual_add_f32 v6, v7, v10
	ds_bpermute_b32 v10, v16, v9
	ds_bpermute_b32 v7, v16, v6
	s_and_saveexec_b32 s2, vcc_lo
	s_cbranch_execz .LBB497_16
; %bb.9:
	v_lshlrev_b64 v[0:1], 2, v[0:1]
	s_delay_alu instid0(VALU_DEP_1) | instskip(NEXT) | instid1(VALU_DEP_2)
	v_add_co_u32 v0, vcc_lo, s4, v0
	v_add_co_ci_u32_e32 v1, vcc_lo, s5, v1, vcc_lo
	s_and_saveexec_b32 s3, s1
	s_cbranch_execz .LBB497_12
; %bb.10:
	s_waitcnt lgkmcnt(1)
	v_add_f32_e32 v9, v9, v10
	s_delay_alu instid0(VALU_DEP_1) | instskip(SKIP_1) | instid1(VALU_DEP_2)
	v_div_scale_f32 v10, null, v9, v9, v8
	v_cmp_eq_f32_e64 s2, 0, v9
	v_rcp_f32_e32 v11, v10
	s_waitcnt_depctr 0xfff
	v_fma_f32 v12, -v10, v11, 1.0
	s_delay_alu instid0(VALU_DEP_1) | instskip(SKIP_1) | instid1(VALU_DEP_1)
	v_fmac_f32_e32 v11, v12, v11
	v_div_scale_f32 v12, vcc_lo, v8, v9, v8
	v_mul_f32_e32 v13, v12, v11
	s_delay_alu instid0(VALU_DEP_1) | instskip(NEXT) | instid1(VALU_DEP_1)
	v_fma_f32 v14, -v10, v13, v12
	v_fmac_f32_e32 v13, v14, v11
	s_delay_alu instid0(VALU_DEP_1) | instskip(NEXT) | instid1(VALU_DEP_1)
	v_fma_f32 v10, -v10, v13, v12
	v_div_fmas_f32 v10, v10, v11, v13
	s_delay_alu instid0(VALU_DEP_1) | instskip(NEXT) | instid1(VALU_DEP_1)
	v_div_fixup_f32 v8, v10, v9, v8
	v_cndmask_b32_e64 v8, v8, 0x7fc00000, s2
	global_store_b32 v[0:1], v8, off
	s_and_b32 exec_lo, exec_lo, s0
	s_cbranch_execz .LBB497_12
; %bb.11:
	v_div_scale_f32 v8, null, v9, v9, v4
	s_delay_alu instid0(VALU_DEP_1) | instskip(SKIP_2) | instid1(VALU_DEP_1)
	v_rcp_f32_e32 v10, v8
	s_waitcnt_depctr 0xfff
	v_fma_f32 v11, -v8, v10, 1.0
	v_fmac_f32_e32 v10, v11, v10
	v_div_scale_f32 v11, vcc_lo, v4, v9, v4
	s_delay_alu instid0(VALU_DEP_1) | instskip(NEXT) | instid1(VALU_DEP_1)
	v_mul_f32_e32 v12, v11, v10
	v_fma_f32 v13, -v8, v12, v11
	s_delay_alu instid0(VALU_DEP_1) | instskip(NEXT) | instid1(VALU_DEP_1)
	v_fmac_f32_e32 v12, v13, v10
	v_fma_f32 v8, -v8, v12, v11
	s_delay_alu instid0(VALU_DEP_1) | instskip(NEXT) | instid1(VALU_DEP_1)
	v_div_fmas_f32 v8, v8, v10, v12
	v_div_fixup_f32 v4, v8, v9, v4
	s_delay_alu instid0(VALU_DEP_1)
	v_cndmask_b32_e64 v4, v4, 0x7fc00000, s2
	global_store_b32 v[0:1], v4, off offset:128
.LBB497_12:
	s_or_b32 exec_lo, exec_lo, s3
	v_cmp_ne_u32_e32 vcc_lo, 1, v5
	s_and_b32 exec_lo, exec_lo, vcc_lo
	s_cbranch_execz .LBB497_16
; %bb.13:
	s_and_b32 exec_lo, exec_lo, s1
	s_cbranch_execz .LBB497_16
; %bb.14:
	s_waitcnt lgkmcnt(0)
	v_add_f32_e32 v4, v6, v7
	s_mov_b32 s11, 0
	s_delay_alu instid0(SALU_CYCLE_1) | instskip(NEXT) | instid1(VALU_DEP_1)
	s_lshl_b64 s[2:3], s[10:11], 2
	v_div_scale_f32 v5, null, v4, v4, v3
	v_div_scale_f32 v8, vcc_lo, v3, v4, v3
	s_delay_alu instid0(VALU_DEP_2) | instskip(SKIP_2) | instid1(VALU_DEP_1)
	v_rcp_f32_e32 v6, v5
	s_waitcnt_depctr 0xfff
	v_fma_f32 v7, -v5, v6, 1.0
	v_fmac_f32_e32 v6, v7, v6
	s_delay_alu instid0(VALU_DEP_1) | instskip(SKIP_1) | instid1(VALU_DEP_2)
	v_mul_f32_e32 v7, v8, v6
	v_cmp_eq_f32_e64 s1, 0, v4
	v_fma_f32 v9, -v5, v7, v8
	s_delay_alu instid0(VALU_DEP_1) | instskip(NEXT) | instid1(VALU_DEP_1)
	v_fmac_f32_e32 v7, v9, v6
	v_fma_f32 v5, -v5, v7, v8
	s_delay_alu instid0(VALU_DEP_1) | instskip(NEXT) | instid1(VALU_DEP_1)
	v_div_fmas_f32 v5, v5, v6, v7
	v_div_fixup_f32 v3, v5, v4, v3
	v_add_co_u32 v5, vcc_lo, v0, s2
	v_add_co_ci_u32_e32 v6, vcc_lo, s3, v1, vcc_lo
	s_delay_alu instid0(VALU_DEP_3)
	v_cndmask_b32_e64 v3, v3, 0x7fc00000, s1
	global_store_b32 v[5:6], v3, off
	s_and_b32 exec_lo, exec_lo, s0
	s_cbranch_execz .LBB497_16
; %bb.15:
	v_div_scale_f32 v3, null, v4, v4, v2
	v_div_scale_f32 v7, vcc_lo, v2, v4, v2
	s_ashr_i32 s11, s10, 31
	s_delay_alu instid0(VALU_DEP_2) | instskip(SKIP_3) | instid1(VALU_DEP_1)
	v_rcp_f32_e32 v5, v3
	s_lshl_b64 s[2:3], s[10:11], 2
	s_waitcnt_depctr 0xfff
	v_fma_f32 v6, -v3, v5, 1.0
	v_fmac_f32_e32 v5, v6, v5
	s_delay_alu instid0(VALU_DEP_1) | instskip(NEXT) | instid1(VALU_DEP_1)
	v_mul_f32_e32 v6, v7, v5
	v_fma_f32 v8, -v3, v6, v7
	s_delay_alu instid0(VALU_DEP_1) | instskip(NEXT) | instid1(VALU_DEP_1)
	v_fmac_f32_e32 v6, v8, v5
	v_fma_f32 v3, -v3, v6, v7
	s_delay_alu instid0(VALU_DEP_1) | instskip(SKIP_2) | instid1(VALU_DEP_3)
	v_div_fmas_f32 v3, v3, v5, v6
	v_add_co_u32 v0, vcc_lo, v0, s2
	v_add_co_ci_u32_e32 v1, vcc_lo, s3, v1, vcc_lo
	v_div_fixup_f32 v2, v3, v4, v2
	s_delay_alu instid0(VALU_DEP_1)
	v_cndmask_b32_e64 v2, v2, 0x7fc00000, s1
	global_store_b32 v[0:1], v2, off offset:128
.LBB497_16:
	s_nop 0
	s_sendmsg sendmsg(MSG_DEALLOC_VGPRS)
	s_endpgm
	.section	.rodata,"a",@progbits
	.p2align	6, 0x0
	.amdhsa_kernel _ZN12_GLOBAL__N_120softmax_warp_forwardIN3c108BFloat16EffLi6ELb0ELb0ELi32EEEvPT0_PKT_iiiPKbib
		.amdhsa_group_segment_fixed_size 0
		.amdhsa_private_segment_fixed_size 0
		.amdhsa_kernarg_size 304
		.amdhsa_user_sgpr_count 15
		.amdhsa_user_sgpr_dispatch_ptr 0
		.amdhsa_user_sgpr_queue_ptr 0
		.amdhsa_user_sgpr_kernarg_segment_ptr 1
		.amdhsa_user_sgpr_dispatch_id 0
		.amdhsa_user_sgpr_private_segment_size 0
		.amdhsa_wavefront_size32 1
		.amdhsa_uses_dynamic_stack 0
		.amdhsa_enable_private_segment 0
		.amdhsa_system_sgpr_workgroup_id_x 1
		.amdhsa_system_sgpr_workgroup_id_y 0
		.amdhsa_system_sgpr_workgroup_id_z 0
		.amdhsa_system_sgpr_workgroup_info 0
		.amdhsa_system_vgpr_workitem_id 1
		.amdhsa_next_free_vgpr 24
		.amdhsa_next_free_sgpr 16
		.amdhsa_reserve_vcc 1
		.amdhsa_float_round_mode_32 0
		.amdhsa_float_round_mode_16_64 0
		.amdhsa_float_denorm_mode_32 3
		.amdhsa_float_denorm_mode_16_64 3
		.amdhsa_dx10_clamp 1
		.amdhsa_ieee_mode 1
		.amdhsa_fp16_overflow 0
		.amdhsa_workgroup_processor_mode 1
		.amdhsa_memory_ordered 1
		.amdhsa_forward_progress 0
		.amdhsa_shared_vgpr_count 0
		.amdhsa_exception_fp_ieee_invalid_op 0
		.amdhsa_exception_fp_denorm_src 0
		.amdhsa_exception_fp_ieee_div_zero 0
		.amdhsa_exception_fp_ieee_overflow 0
		.amdhsa_exception_fp_ieee_underflow 0
		.amdhsa_exception_fp_ieee_inexact 0
		.amdhsa_exception_int_div_zero 0
	.end_amdhsa_kernel
	.section	.text._ZN12_GLOBAL__N_120softmax_warp_forwardIN3c108BFloat16EffLi6ELb0ELb0ELi32EEEvPT0_PKT_iiiPKbib,"axG",@progbits,_ZN12_GLOBAL__N_120softmax_warp_forwardIN3c108BFloat16EffLi6ELb0ELb0ELi32EEEvPT0_PKT_iiiPKbib,comdat
.Lfunc_end497:
	.size	_ZN12_GLOBAL__N_120softmax_warp_forwardIN3c108BFloat16EffLi6ELb0ELb0ELi32EEEvPT0_PKT_iiiPKbib, .Lfunc_end497-_ZN12_GLOBAL__N_120softmax_warp_forwardIN3c108BFloat16EffLi6ELb0ELb0ELi32EEEvPT0_PKT_iiiPKbib
                                        ; -- End function
	.section	.AMDGPU.csdata,"",@progbits
; Kernel info:
; codeLenInByte = 2096
; NumSgprs: 18
; NumVgprs: 24
; ScratchSize: 0
; MemoryBound: 0
; FloatMode: 240
; IeeeMode: 1
; LDSByteSize: 0 bytes/workgroup (compile time only)
; SGPRBlocks: 2
; VGPRBlocks: 2
; NumSGPRsForWavesPerEU: 18
; NumVGPRsForWavesPerEU: 24
; Occupancy: 16
; WaveLimiterHint : 0
; COMPUTE_PGM_RSRC2:SCRATCH_EN: 0
; COMPUTE_PGM_RSRC2:USER_SGPR: 15
; COMPUTE_PGM_RSRC2:TRAP_HANDLER: 0
; COMPUTE_PGM_RSRC2:TGID_X_EN: 1
; COMPUTE_PGM_RSRC2:TGID_Y_EN: 0
; COMPUTE_PGM_RSRC2:TGID_Z_EN: 0
; COMPUTE_PGM_RSRC2:TIDIG_COMP_CNT: 1
	.section	.text._ZN12_GLOBAL__N_120softmax_warp_forwardIN3c108BFloat16EffLi7ELb0ELb0ELi64EEEvPT0_PKT_iiiPKbib,"axG",@progbits,_ZN12_GLOBAL__N_120softmax_warp_forwardIN3c108BFloat16EffLi7ELb0ELb0ELi64EEEvPT0_PKT_iiiPKbib,comdat
	.globl	_ZN12_GLOBAL__N_120softmax_warp_forwardIN3c108BFloat16EffLi7ELb0ELb0ELi64EEEvPT0_PKT_iiiPKbib ; -- Begin function _ZN12_GLOBAL__N_120softmax_warp_forwardIN3c108BFloat16EffLi7ELb0ELb0ELi64EEEvPT0_PKT_iiiPKbib
	.p2align	8
	.type	_ZN12_GLOBAL__N_120softmax_warp_forwardIN3c108BFloat16EffLi7ELb0ELb0ELi64EEEvPT0_PKT_iiiPKbib,@function
_ZN12_GLOBAL__N_120softmax_warp_forwardIN3c108BFloat16EffLi7ELb0ELb0ELi64EEEvPT0_PKT_iiiPKbib: ; @_ZN12_GLOBAL__N_120softmax_warp_forwardIN3c108BFloat16EffLi7ELb0ELb0ELi64EEEvPT0_PKT_iiiPKbib
; %bb.0:
	s_clause 0x1
	s_load_b32 s2, s[0:1], 0x3c
	s_load_b256 s[4:11], s[0:1], 0x0
	v_bfe_u32 v1, v0, 10, 10
	v_and_b32_e32 v4, 0x3ff, v0
	v_dual_mov_b32 v6, 0xff800000 :: v_dual_mov_b32 v7, 0xff800000
	s_waitcnt lgkmcnt(0)
	s_lshr_b32 s0, s2, 16
	s_delay_alu instid0(VALU_DEP_2) | instskip(SKIP_1) | instid1(SALU_CYCLE_1)
	v_cmp_gt_i32_e64 s1, s10, v4
	s_mul_i32 s15, s15, s0
	v_add_lshl_u32 v2, s15, v1, 1
	s_delay_alu instid0(VALU_DEP_1) | instskip(SKIP_1) | instid1(VALU_DEP_1)
	v_mad_u64_u32 v[0:1], null, v2, s9, v[4:5]
	v_sub_nc_u32_e32 v5, s8, v2
	v_cmp_lt_i32_e32 vcc_lo, 0, v5
	s_delay_alu instid0(VALU_DEP_3) | instskip(SKIP_1) | instid1(VALU_DEP_1)
	v_ashrrev_i32_e32 v1, 31, v0
	s_and_b32 s2, vcc_lo, s1
	v_lshlrev_b64 v[2:3], 1, v[0:1]
	s_delay_alu instid0(VALU_DEP_1) | instskip(NEXT) | instid1(VALU_DEP_1)
	v_add_co_u32 v2, s0, s6, v2
	v_add_co_ci_u32_e64 v3, s0, s7, v3, s0
	s_and_saveexec_b32 s0, s2
	s_cbranch_execz .LBB498_2
; %bb.1:
	global_load_u16 v7, v[2:3], off
	s_waitcnt vmcnt(0)
	v_lshlrev_b32_e32 v7, 16, v7
.LBB498_2:
	s_or_b32 exec_lo, exec_lo, s0
	v_add_nc_u32_e32 v4, 64, v4
	s_delay_alu instid0(VALU_DEP_1) | instskip(NEXT) | instid1(VALU_DEP_1)
	v_cmp_gt_i32_e64 s0, s10, v4
	s_and_b32 s3, vcc_lo, s0
	s_delay_alu instid0(SALU_CYCLE_1)
	s_and_saveexec_b32 s2, s3
	s_cbranch_execz .LBB498_4
; %bb.3:
	global_load_u16 v4, v[2:3], off offset:128
	s_waitcnt vmcnt(0)
	v_lshlrev_b32_e32 v6, 16, v4
.LBB498_4:
	s_or_b32 exec_lo, exec_lo, s2
	v_cmp_lt_i32_e64 s2, 1, v5
	v_mov_b32_e32 v4, 0xff800000
	v_mov_b32_e32 v8, 0xff800000
	s_delay_alu instid0(VALU_DEP_3) | instskip(NEXT) | instid1(SALU_CYCLE_1)
	s_and_b32 s3, s2, s1
	s_and_saveexec_b32 s6, s3
	s_cbranch_execz .LBB498_6
; %bb.5:
	s_mov_b32 s11, 0
	s_delay_alu instid0(SALU_CYCLE_1) | instskip(NEXT) | instid1(SALU_CYCLE_1)
	s_lshl_b64 s[8:9], s[10:11], 1
	v_add_co_u32 v8, s3, v2, s8
	s_delay_alu instid0(VALU_DEP_1)
	v_add_co_ci_u32_e64 v9, s3, s9, v3, s3
	global_load_u16 v8, v[8:9], off
	s_waitcnt vmcnt(0)
	v_lshlrev_b32_e32 v8, 16, v8
.LBB498_6:
	s_or_b32 exec_lo, exec_lo, s6
	s_and_b32 s2, s2, s0
	s_delay_alu instid0(SALU_CYCLE_1)
	s_and_saveexec_b32 s3, s2
	s_cbranch_execz .LBB498_8
; %bb.7:
	s_mov_b32 s11, 0
	s_delay_alu instid0(SALU_CYCLE_1) | instskip(NEXT) | instid1(SALU_CYCLE_1)
	s_lshl_b64 s[6:7], s[10:11], 1
	v_add_co_u32 v2, s2, v2, s6
	s_delay_alu instid0(VALU_DEP_1)
	v_add_co_ci_u32_e64 v3, s2, s7, v3, s2
	global_load_u16 v2, v[2:3], off offset:128
	s_waitcnt vmcnt(0)
	v_lshlrev_b32_e32 v4, 16, v2
.LBB498_8:
	s_or_b32 exec_lo, exec_lo, s3
	v_mbcnt_lo_u32_b32 v2, -1, 0
	s_delay_alu instid0(VALU_DEP_1)
	v_or_b32_e32 v3, 32, v2
	v_xor_b32_e32 v13, 16, v2
	v_xor_b32_e32 v14, 8, v2
	;; [unrolled: 1-line block ×4, first 2 shown]
	v_cmp_gt_i32_e64 s2, 64, v3
	v_xor_b32_e32 v17, 1, v2
	s_delay_alu instid0(VALU_DEP_2) | instskip(SKIP_1) | instid1(VALU_DEP_2)
	v_cndmask_b32_e64 v3, v2, v3, s2
	v_cmp_gt_f32_e64 s2, v7, v6
	v_lshlrev_b32_e32 v10, 2, v3
	s_delay_alu instid0(VALU_DEP_2)
	v_cndmask_b32_e64 v9, v6, v7, s2
	v_cmp_gt_f32_e64 s2, v8, v4
	ds_bpermute_b32 v11, v10, v9
	v_cndmask_b32_e64 v3, v4, v8, s2
	v_cmp_gt_i32_e64 s2, 64, v13
	ds_bpermute_b32 v12, v10, v3
	v_cndmask_b32_e64 v13, v2, v13, s2
	s_delay_alu instid0(VALU_DEP_1) | instskip(SKIP_2) | instid1(VALU_DEP_1)
	v_lshlrev_b32_e32 v13, 2, v13
	s_waitcnt lgkmcnt(1)
	v_cmp_lt_f32_e64 s2, v9, v11
	v_cndmask_b32_e64 v9, v9, v11, s2
	s_waitcnt lgkmcnt(0)
	v_cmp_lt_f32_e64 s2, v3, v12
	ds_bpermute_b32 v11, v13, v9
	v_cndmask_b32_e64 v3, v3, v12, s2
	v_cmp_gt_i32_e64 s2, 64, v14
	ds_bpermute_b32 v12, v13, v3
	v_cndmask_b32_e64 v14, v2, v14, s2
	s_delay_alu instid0(VALU_DEP_1) | instskip(SKIP_2) | instid1(VALU_DEP_1)
	v_lshlrev_b32_e32 v14, 2, v14
	s_waitcnt lgkmcnt(1)
	v_cmp_lt_f32_e64 s2, v9, v11
	v_cndmask_b32_e64 v9, v9, v11, s2
	s_waitcnt lgkmcnt(0)
	v_cmp_lt_f32_e64 s2, v3, v12
	;; [unrolled: 12-line block ×5, first 2 shown]
	ds_bpermute_b32 v9, v17, v2
	v_cndmask_b32_e64 v3, v3, v12, s2
	ds_bpermute_b32 v11, v17, v3
	s_waitcnt lgkmcnt(1)
	v_cmp_lt_f32_e64 s2, v2, v9
	s_delay_alu instid0(VALU_DEP_1) | instskip(SKIP_2) | instid1(VALU_DEP_2)
	v_cndmask_b32_e64 v2, v2, v9, s2
	s_waitcnt lgkmcnt(0)
	v_cmp_lt_f32_e64 s2, v3, v11
	v_sub_f32_e32 v7, v7, v2
	s_delay_alu instid0(VALU_DEP_2) | instskip(SKIP_1) | instid1(VALU_DEP_3)
	v_cndmask_b32_e64 v3, v3, v11, s2
	v_sub_f32_e32 v2, v6, v2
	v_cmp_ngt_f32_e64 s2, 0xc2ce8ed0, v7
	s_delay_alu instid0(VALU_DEP_3) | instskip(SKIP_1) | instid1(VALU_DEP_4)
	v_sub_f32_e32 v6, v8, v3
	v_sub_f32_e32 v9, v4, v3
	v_dual_mul_f32 v3, 0x3fb8aa3b, v7 :: v_dual_mul_f32 v4, 0x3fb8aa3b, v2
	s_delay_alu instid0(VALU_DEP_2) | instskip(NEXT) | instid1(VALU_DEP_2)
	v_dual_mul_f32 v8, 0x3fb8aa3b, v6 :: v_dual_mul_f32 v11, 0x3fb8aa3b, v9
	v_fma_f32 v12, 0x3fb8aa3b, v7, -v3
	v_rndne_f32_e32 v18, v3
	s_delay_alu instid0(VALU_DEP_4) | instskip(SKIP_2) | instid1(VALU_DEP_4)
	v_fma_f32 v19, 0x3fb8aa3b, v2, -v4
	v_rndne_f32_e32 v20, v4
	v_fma_f32 v21, 0x3fb8aa3b, v6, -v8
	v_dual_fmac_f32 v12, 0x32a5705f, v7 :: v_dual_sub_f32 v3, v3, v18
	v_rndne_f32_e32 v22, v8
	s_delay_alu instid0(VALU_DEP_4) | instskip(SKIP_1) | instid1(VALU_DEP_4)
	v_dual_fmac_f32 v19, 0x32a5705f, v2 :: v_dual_sub_f32 v4, v4, v20
	v_fma_f32 v23, 0x3fb8aa3b, v9, -v11
	v_add_f32_e32 v3, v3, v12
	v_rndne_f32_e32 v24, v11
	s_delay_alu instid0(VALU_DEP_4) | instskip(NEXT) | instid1(VALU_DEP_4)
	v_dual_fmac_f32 v21, 0x32a5705f, v6 :: v_dual_add_f32 v4, v4, v19
	v_dual_sub_f32 v8, v8, v22 :: v_dual_fmac_f32 v23, 0x32a5705f, v9
	s_delay_alu instid0(VALU_DEP_4) | instskip(NEXT) | instid1(VALU_DEP_3)
	v_exp_f32_e32 v3, v3
	v_sub_f32_e32 v11, v11, v24
	s_delay_alu instid0(VALU_DEP_3) | instskip(NEXT) | instid1(VALU_DEP_2)
	v_exp_f32_e32 v4, v4
	v_add_f32_e32 v8, v8, v21
	v_cvt_i32_f32_e32 v12, v18
	v_cvt_i32_f32_e32 v18, v20
	v_add_f32_e32 v11, v11, v23
	v_cvt_i32_f32_e32 v19, v22
	v_exp_f32_e32 v8, v8
	v_cvt_i32_f32_e32 v20, v24
	v_ldexp_f32 v3, v3, v12
	v_exp_f32_e32 v11, v11
	v_ldexp_f32 v4, v4, v18
	s_delay_alu instid0(VALU_DEP_2) | instskip(SKIP_1) | instid1(TRANS32_DEP_2)
	v_cndmask_b32_e64 v3, 0, v3, s2
	v_cmp_ngt_f32_e64 s2, 0xc2ce8ed0, v2
	v_ldexp_f32 v8, v8, v19
	s_delay_alu instid0(VALU_DEP_2) | instskip(SKIP_1) | instid1(TRANS32_DEP_1)
	v_cndmask_b32_e64 v4, 0, v4, s2
	v_cmp_ngt_f32_e64 s2, 0xc2ce8ed0, v6
	v_ldexp_f32 v11, v11, v20
	s_delay_alu instid0(VALU_DEP_2) | instskip(SKIP_1) | instid1(VALU_DEP_1)
	v_cndmask_b32_e64 v12, 0, v8, s2
	v_cmp_ngt_f32_e64 s2, 0xc2ce8ed0, v9
	v_cndmask_b32_e64 v11, 0, v11, s2
	v_cmp_nlt_f32_e64 s2, 0x42b17218, v7
	s_delay_alu instid0(VALU_DEP_1) | instskip(SKIP_1) | instid1(VALU_DEP_1)
	v_cndmask_b32_e64 v8, 0x7f800000, v3, s2
	v_cmp_nlt_f32_e64 s2, 0x42b17218, v2
	v_cndmask_b32_e64 v4, 0x7f800000, v4, s2
	v_cmp_nlt_f32_e64 s2, 0x42b17218, v6
	s_delay_alu instid0(VALU_DEP_2) | instskip(NEXT) | instid1(VALU_DEP_2)
	v_add_f32_e32 v6, v8, v4
	v_cndmask_b32_e64 v3, 0x7f800000, v12, s2
	v_cmp_nlt_f32_e64 s2, 0x42b17218, v9
	ds_bpermute_b32 v9, v10, v6
	v_cndmask_b32_e64 v2, 0x7f800000, v11, s2
	s_waitcnt lgkmcnt(0)
	v_add_f32_e32 v6, v6, v9
	ds_bpermute_b32 v9, v13, v6
	s_waitcnt lgkmcnt(0)
	v_dual_add_f32 v7, v3, v2 :: v_dual_add_f32 v6, v6, v9
	ds_bpermute_b32 v10, v10, v7
	ds_bpermute_b32 v9, v14, v6
	s_waitcnt lgkmcnt(0)
	v_dual_add_f32 v7, v7, v10 :: v_dual_add_f32 v6, v6, v9
	ds_bpermute_b32 v10, v13, v7
	ds_bpermute_b32 v9, v15, v6
	s_waitcnt lgkmcnt(0)
	v_dual_add_f32 v7, v7, v10 :: v_dual_add_f32 v6, v6, v9
	ds_bpermute_b32 v10, v14, v7
	ds_bpermute_b32 v9, v16, v6
	s_waitcnt lgkmcnt(1)
	v_add_f32_e32 v7, v7, v10
	ds_bpermute_b32 v10, v15, v7
	s_waitcnt lgkmcnt(0)
	v_add_f32_e32 v7, v7, v10
	ds_bpermute_b32 v10, v16, v7
	s_waitcnt lgkmcnt(0)
	v_dual_add_f32 v9, v6, v9 :: v_dual_add_f32 v6, v7, v10
	ds_bpermute_b32 v10, v17, v9
	ds_bpermute_b32 v7, v17, v6
	s_and_saveexec_b32 s2, vcc_lo
	s_cbranch_execz .LBB498_16
; %bb.9:
	v_lshlrev_b64 v[0:1], 2, v[0:1]
	s_delay_alu instid0(VALU_DEP_1) | instskip(NEXT) | instid1(VALU_DEP_2)
	v_add_co_u32 v0, vcc_lo, s4, v0
	v_add_co_ci_u32_e32 v1, vcc_lo, s5, v1, vcc_lo
	s_and_saveexec_b32 s3, s1
	s_cbranch_execz .LBB498_12
; %bb.10:
	s_waitcnt lgkmcnt(1)
	v_add_f32_e32 v9, v9, v10
	s_delay_alu instid0(VALU_DEP_1) | instskip(SKIP_1) | instid1(VALU_DEP_2)
	v_div_scale_f32 v10, null, v9, v9, v8
	v_cmp_eq_f32_e64 s2, 0, v9
	v_rcp_f32_e32 v11, v10
	s_waitcnt_depctr 0xfff
	v_fma_f32 v12, -v10, v11, 1.0
	s_delay_alu instid0(VALU_DEP_1) | instskip(SKIP_1) | instid1(VALU_DEP_1)
	v_fmac_f32_e32 v11, v12, v11
	v_div_scale_f32 v12, vcc_lo, v8, v9, v8
	v_mul_f32_e32 v13, v12, v11
	s_delay_alu instid0(VALU_DEP_1) | instskip(NEXT) | instid1(VALU_DEP_1)
	v_fma_f32 v14, -v10, v13, v12
	v_fmac_f32_e32 v13, v14, v11
	s_delay_alu instid0(VALU_DEP_1) | instskip(NEXT) | instid1(VALU_DEP_1)
	v_fma_f32 v10, -v10, v13, v12
	v_div_fmas_f32 v10, v10, v11, v13
	s_delay_alu instid0(VALU_DEP_1) | instskip(NEXT) | instid1(VALU_DEP_1)
	v_div_fixup_f32 v8, v10, v9, v8
	v_cndmask_b32_e64 v8, v8, 0x7fc00000, s2
	global_store_b32 v[0:1], v8, off
	s_and_b32 exec_lo, exec_lo, s0
	s_cbranch_execz .LBB498_12
; %bb.11:
	v_div_scale_f32 v8, null, v9, v9, v4
	s_delay_alu instid0(VALU_DEP_1) | instskip(SKIP_2) | instid1(VALU_DEP_1)
	v_rcp_f32_e32 v10, v8
	s_waitcnt_depctr 0xfff
	v_fma_f32 v11, -v8, v10, 1.0
	v_fmac_f32_e32 v10, v11, v10
	v_div_scale_f32 v11, vcc_lo, v4, v9, v4
	s_delay_alu instid0(VALU_DEP_1) | instskip(NEXT) | instid1(VALU_DEP_1)
	v_mul_f32_e32 v12, v11, v10
	v_fma_f32 v13, -v8, v12, v11
	s_delay_alu instid0(VALU_DEP_1) | instskip(NEXT) | instid1(VALU_DEP_1)
	v_fmac_f32_e32 v12, v13, v10
	v_fma_f32 v8, -v8, v12, v11
	s_delay_alu instid0(VALU_DEP_1) | instskip(NEXT) | instid1(VALU_DEP_1)
	v_div_fmas_f32 v8, v8, v10, v12
	v_div_fixup_f32 v4, v8, v9, v4
	s_delay_alu instid0(VALU_DEP_1)
	v_cndmask_b32_e64 v4, v4, 0x7fc00000, s2
	global_store_b32 v[0:1], v4, off offset:256
.LBB498_12:
	s_or_b32 exec_lo, exec_lo, s3
	v_cmp_ne_u32_e32 vcc_lo, 1, v5
	s_and_b32 exec_lo, exec_lo, vcc_lo
	s_cbranch_execz .LBB498_16
; %bb.13:
	s_and_b32 exec_lo, exec_lo, s1
	s_cbranch_execz .LBB498_16
; %bb.14:
	s_waitcnt lgkmcnt(0)
	v_add_f32_e32 v4, v6, v7
	s_mov_b32 s11, 0
	s_delay_alu instid0(SALU_CYCLE_1) | instskip(NEXT) | instid1(VALU_DEP_1)
	s_lshl_b64 s[2:3], s[10:11], 2
	v_div_scale_f32 v5, null, v4, v4, v3
	v_div_scale_f32 v8, vcc_lo, v3, v4, v3
	s_delay_alu instid0(VALU_DEP_2) | instskip(SKIP_2) | instid1(VALU_DEP_1)
	v_rcp_f32_e32 v6, v5
	s_waitcnt_depctr 0xfff
	v_fma_f32 v7, -v5, v6, 1.0
	v_fmac_f32_e32 v6, v7, v6
	s_delay_alu instid0(VALU_DEP_1) | instskip(SKIP_1) | instid1(VALU_DEP_2)
	v_mul_f32_e32 v7, v8, v6
	v_cmp_eq_f32_e64 s1, 0, v4
	v_fma_f32 v9, -v5, v7, v8
	s_delay_alu instid0(VALU_DEP_1) | instskip(NEXT) | instid1(VALU_DEP_1)
	v_fmac_f32_e32 v7, v9, v6
	v_fma_f32 v5, -v5, v7, v8
	s_delay_alu instid0(VALU_DEP_1) | instskip(NEXT) | instid1(VALU_DEP_1)
	v_div_fmas_f32 v5, v5, v6, v7
	v_div_fixup_f32 v3, v5, v4, v3
	v_add_co_u32 v5, vcc_lo, v0, s2
	v_add_co_ci_u32_e32 v6, vcc_lo, s3, v1, vcc_lo
	s_delay_alu instid0(VALU_DEP_3)
	v_cndmask_b32_e64 v3, v3, 0x7fc00000, s1
	global_store_b32 v[5:6], v3, off
	s_and_b32 exec_lo, exec_lo, s0
	s_cbranch_execz .LBB498_16
; %bb.15:
	v_div_scale_f32 v3, null, v4, v4, v2
	v_div_scale_f32 v7, vcc_lo, v2, v4, v2
	s_ashr_i32 s11, s10, 31
	s_delay_alu instid0(VALU_DEP_2) | instskip(SKIP_3) | instid1(VALU_DEP_1)
	v_rcp_f32_e32 v5, v3
	s_lshl_b64 s[2:3], s[10:11], 2
	s_waitcnt_depctr 0xfff
	v_fma_f32 v6, -v3, v5, 1.0
	v_fmac_f32_e32 v5, v6, v5
	s_delay_alu instid0(VALU_DEP_1) | instskip(NEXT) | instid1(VALU_DEP_1)
	v_mul_f32_e32 v6, v7, v5
	v_fma_f32 v8, -v3, v6, v7
	s_delay_alu instid0(VALU_DEP_1) | instskip(NEXT) | instid1(VALU_DEP_1)
	v_fmac_f32_e32 v6, v8, v5
	v_fma_f32 v3, -v3, v6, v7
	s_delay_alu instid0(VALU_DEP_1) | instskip(SKIP_2) | instid1(VALU_DEP_3)
	v_div_fmas_f32 v3, v3, v5, v6
	v_add_co_u32 v0, vcc_lo, v0, s2
	v_add_co_ci_u32_e32 v1, vcc_lo, s3, v1, vcc_lo
	v_div_fixup_f32 v2, v3, v4, v2
	s_delay_alu instid0(VALU_DEP_1)
	v_cndmask_b32_e64 v2, v2, 0x7fc00000, s1
	global_store_b32 v[0:1], v2, off offset:256
.LBB498_16:
	s_nop 0
	s_sendmsg sendmsg(MSG_DEALLOC_VGPRS)
	s_endpgm
	.section	.rodata,"a",@progbits
	.p2align	6, 0x0
	.amdhsa_kernel _ZN12_GLOBAL__N_120softmax_warp_forwardIN3c108BFloat16EffLi7ELb0ELb0ELi64EEEvPT0_PKT_iiiPKbib
		.amdhsa_group_segment_fixed_size 0
		.amdhsa_private_segment_fixed_size 0
		.amdhsa_kernarg_size 304
		.amdhsa_user_sgpr_count 15
		.amdhsa_user_sgpr_dispatch_ptr 0
		.amdhsa_user_sgpr_queue_ptr 0
		.amdhsa_user_sgpr_kernarg_segment_ptr 1
		.amdhsa_user_sgpr_dispatch_id 0
		.amdhsa_user_sgpr_private_segment_size 0
		.amdhsa_wavefront_size32 1
		.amdhsa_uses_dynamic_stack 0
		.amdhsa_enable_private_segment 0
		.amdhsa_system_sgpr_workgroup_id_x 1
		.amdhsa_system_sgpr_workgroup_id_y 0
		.amdhsa_system_sgpr_workgroup_id_z 0
		.amdhsa_system_sgpr_workgroup_info 0
		.amdhsa_system_vgpr_workitem_id 1
		.amdhsa_next_free_vgpr 25
		.amdhsa_next_free_sgpr 16
		.amdhsa_reserve_vcc 1
		.amdhsa_float_round_mode_32 0
		.amdhsa_float_round_mode_16_64 0
		.amdhsa_float_denorm_mode_32 3
		.amdhsa_float_denorm_mode_16_64 3
		.amdhsa_dx10_clamp 1
		.amdhsa_ieee_mode 1
		.amdhsa_fp16_overflow 0
		.amdhsa_workgroup_processor_mode 1
		.amdhsa_memory_ordered 1
		.amdhsa_forward_progress 0
		.amdhsa_shared_vgpr_count 0
		.amdhsa_exception_fp_ieee_invalid_op 0
		.amdhsa_exception_fp_denorm_src 0
		.amdhsa_exception_fp_ieee_div_zero 0
		.amdhsa_exception_fp_ieee_overflow 0
		.amdhsa_exception_fp_ieee_underflow 0
		.amdhsa_exception_fp_ieee_inexact 0
		.amdhsa_exception_int_div_zero 0
	.end_amdhsa_kernel
	.section	.text._ZN12_GLOBAL__N_120softmax_warp_forwardIN3c108BFloat16EffLi7ELb0ELb0ELi64EEEvPT0_PKT_iiiPKbib,"axG",@progbits,_ZN12_GLOBAL__N_120softmax_warp_forwardIN3c108BFloat16EffLi7ELb0ELb0ELi64EEEvPT0_PKT_iiiPKbib,comdat
.Lfunc_end498:
	.size	_ZN12_GLOBAL__N_120softmax_warp_forwardIN3c108BFloat16EffLi7ELb0ELb0ELi64EEEvPT0_PKT_iiiPKbib, .Lfunc_end498-_ZN12_GLOBAL__N_120softmax_warp_forwardIN3c108BFloat16EffLi7ELb0ELb0ELi64EEEvPT0_PKT_iiiPKbib
                                        ; -- End function
	.section	.AMDGPU.csdata,"",@progbits
; Kernel info:
; codeLenInByte = 2200
; NumSgprs: 18
; NumVgprs: 25
; ScratchSize: 0
; MemoryBound: 0
; FloatMode: 240
; IeeeMode: 1
; LDSByteSize: 0 bytes/workgroup (compile time only)
; SGPRBlocks: 2
; VGPRBlocks: 3
; NumSGPRsForWavesPerEU: 18
; NumVGPRsForWavesPerEU: 25
; Occupancy: 16
; WaveLimiterHint : 0
; COMPUTE_PGM_RSRC2:SCRATCH_EN: 0
; COMPUTE_PGM_RSRC2:USER_SGPR: 15
; COMPUTE_PGM_RSRC2:TRAP_HANDLER: 0
; COMPUTE_PGM_RSRC2:TGID_X_EN: 1
; COMPUTE_PGM_RSRC2:TGID_Y_EN: 0
; COMPUTE_PGM_RSRC2:TGID_Z_EN: 0
; COMPUTE_PGM_RSRC2:TIDIG_COMP_CNT: 1
	.section	.text._ZN12_GLOBAL__N_120softmax_warp_forwardIN3c108BFloat16EffLi7ELb0ELb0ELi32EEEvPT0_PKT_iiiPKbib,"axG",@progbits,_ZN12_GLOBAL__N_120softmax_warp_forwardIN3c108BFloat16EffLi7ELb0ELb0ELi32EEEvPT0_PKT_iiiPKbib,comdat
	.globl	_ZN12_GLOBAL__N_120softmax_warp_forwardIN3c108BFloat16EffLi7ELb0ELb0ELi32EEEvPT0_PKT_iiiPKbib ; -- Begin function _ZN12_GLOBAL__N_120softmax_warp_forwardIN3c108BFloat16EffLi7ELb0ELb0ELi32EEEvPT0_PKT_iiiPKbib
	.p2align	8
	.type	_ZN12_GLOBAL__N_120softmax_warp_forwardIN3c108BFloat16EffLi7ELb0ELb0ELi32EEEvPT0_PKT_iiiPKbib,@function
_ZN12_GLOBAL__N_120softmax_warp_forwardIN3c108BFloat16EffLi7ELb0ELb0ELi32EEEvPT0_PKT_iiiPKbib: ; @_ZN12_GLOBAL__N_120softmax_warp_forwardIN3c108BFloat16EffLi7ELb0ELb0ELi32EEEvPT0_PKT_iiiPKbib
; %bb.0:
	s_clause 0x1
	s_load_b32 s2, s[0:1], 0x3c
	s_load_b256 s[16:23], s[0:1], 0x0
	v_bfe_u32 v1, v0, 10, 10
	v_and_b32_e32 v4, 0x3ff, v0
	v_mov_b32_e32 v6, 0xff800000
	v_mov_b32_e32 v8, 0xff800000
	s_waitcnt lgkmcnt(0)
	s_lshr_b32 s0, s2, 16
	v_cmp_gt_i32_e64 s3, s22, v4
	s_mul_i32 s15, s15, s0
	s_delay_alu instid0(SALU_CYCLE_1) | instskip(NEXT) | instid1(VALU_DEP_1)
	v_add_lshl_u32 v2, s15, v1, 1
	v_mad_u64_u32 v[0:1], null, v2, s21, v[4:5]
	v_sub_nc_u32_e32 v5, s20, v2
	s_delay_alu instid0(VALU_DEP_1) | instskip(NEXT) | instid1(VALU_DEP_3)
	v_cmp_lt_i32_e32 vcc_lo, 0, v5
	v_ashrrev_i32_e32 v1, 31, v0
	s_and_b32 s1, vcc_lo, s3
	s_delay_alu instid0(VALU_DEP_1) | instskip(NEXT) | instid1(VALU_DEP_1)
	v_lshlrev_b64 v[2:3], 1, v[0:1]
	v_add_co_u32 v2, s0, s18, v2
	s_delay_alu instid0(VALU_DEP_1)
	v_add_co_ci_u32_e64 v3, s0, s19, v3, s0
	s_and_saveexec_b32 s0, s1
	s_cbranch_execz .LBB499_2
; %bb.1:
	global_load_u16 v7, v[2:3], off
	s_waitcnt vmcnt(0)
	v_lshlrev_b32_e32 v8, 16, v7
.LBB499_2:
	s_or_b32 exec_lo, exec_lo, s0
	v_add_nc_u32_e32 v7, 32, v4
	s_delay_alu instid0(VALU_DEP_1) | instskip(NEXT) | instid1(VALU_DEP_1)
	v_cmp_gt_i32_e64 s2, s22, v7
	s_and_b32 s1, vcc_lo, s2
	s_delay_alu instid0(SALU_CYCLE_1)
	s_and_saveexec_b32 s0, s1
	s_cbranch_execz .LBB499_4
; %bb.3:
	global_load_u16 v6, v[2:3], off offset:64
	s_waitcnt vmcnt(0)
	v_lshlrev_b32_e32 v6, 16, v6
.LBB499_4:
	s_or_b32 exec_lo, exec_lo, s0
	v_add_nc_u32_e32 v7, 64, v4
	v_mov_b32_e32 v9, 0xff800000
	s_delay_alu instid0(VALU_DEP_2) | instskip(SKIP_1) | instid1(VALU_DEP_2)
	v_cmp_gt_i32_e64 s1, s22, v7
	v_mov_b32_e32 v7, 0xff800000
	s_and_b32 s4, vcc_lo, s1
	s_delay_alu instid0(SALU_CYCLE_1)
	s_and_saveexec_b32 s0, s4
	s_cbranch_execz .LBB499_6
; %bb.5:
	global_load_u16 v9, v[2:3], off offset:128
	s_waitcnt vmcnt(0)
	v_lshlrev_b32_e32 v9, 16, v9
.LBB499_6:
	s_or_b32 exec_lo, exec_lo, s0
	v_add_nc_u32_e32 v4, 0x60, v4
	s_delay_alu instid0(VALU_DEP_1) | instskip(NEXT) | instid1(VALU_DEP_1)
	v_cmp_gt_i32_e64 s0, s22, v4
	s_and_b32 s5, vcc_lo, s0
	s_delay_alu instid0(SALU_CYCLE_1)
	s_and_saveexec_b32 s4, s5
	s_cbranch_execz .LBB499_8
; %bb.7:
	global_load_u16 v4, v[2:3], off offset:192
	s_waitcnt vmcnt(0)
	v_lshlrev_b32_e32 v7, 16, v4
.LBB499_8:
	s_or_b32 exec_lo, exec_lo, s4
	v_cmp_lt_i32_e64 s4, 1, v5
	v_dual_mov_b32 v4, 0xff800000 :: v_dual_mov_b32 v11, 0xff800000
	s_delay_alu instid0(VALU_DEP_2) | instskip(NEXT) | instid1(SALU_CYCLE_1)
	s_and_b32 s5, s4, s3
	s_and_saveexec_b32 s6, s5
	s_cbranch_execz .LBB499_10
; %bb.9:
	s_mov_b32 s23, 0
	s_delay_alu instid0(SALU_CYCLE_1) | instskip(NEXT) | instid1(SALU_CYCLE_1)
	s_lshl_b64 s[8:9], s[22:23], 1
	v_add_co_u32 v10, s5, v2, s8
	s_delay_alu instid0(VALU_DEP_1)
	v_add_co_ci_u32_e64 v11, s5, s9, v3, s5
	global_load_u16 v10, v[10:11], off
	s_waitcnt vmcnt(0)
	v_lshlrev_b32_e32 v11, 16, v10
.LBB499_10:
	s_or_b32 exec_lo, exec_lo, s6
	s_and_b32 s5, s4, s2
	s_delay_alu instid0(SALU_CYCLE_1)
	s_and_saveexec_b32 s6, s5
	s_cbranch_execz .LBB499_12
; %bb.11:
	s_mov_b32 s23, 0
	s_delay_alu instid0(SALU_CYCLE_1) | instskip(NEXT) | instid1(SALU_CYCLE_1)
	s_lshl_b64 s[8:9], s[22:23], 1
	v_add_co_u32 v12, s5, v2, s8
	s_delay_alu instid0(VALU_DEP_1)
	v_add_co_ci_u32_e64 v13, s5, s9, v3, s5
	global_load_u16 v4, v[12:13], off offset:64
	s_waitcnt vmcnt(0)
	v_lshlrev_b32_e32 v4, 16, v4
.LBB499_12:
	s_or_b32 exec_lo, exec_lo, s6
	v_mov_b32_e32 v10, 0xff800000
	v_mov_b32_e32 v12, 0xff800000
	s_and_b32 s5, s4, s1
	s_delay_alu instid0(SALU_CYCLE_1)
	s_and_saveexec_b32 s6, s5
	s_cbranch_execz .LBB499_14
; %bb.13:
	s_mov_b32 s23, 0
	s_delay_alu instid0(SALU_CYCLE_1) | instskip(NEXT) | instid1(SALU_CYCLE_1)
	s_lshl_b64 s[8:9], s[22:23], 1
	v_add_co_u32 v12, s5, v2, s8
	s_delay_alu instid0(VALU_DEP_1)
	v_add_co_ci_u32_e64 v13, s5, s9, v3, s5
	global_load_u16 v12, v[12:13], off offset:128
	s_waitcnt vmcnt(0)
	v_lshlrev_b32_e32 v12, 16, v12
.LBB499_14:
	s_or_b32 exec_lo, exec_lo, s6
	s_and_b32 s4, s4, s0
	s_delay_alu instid0(SALU_CYCLE_1)
	s_and_saveexec_b32 s5, s4
	s_cbranch_execz .LBB499_16
; %bb.15:
	s_mov_b32 s23, 0
	s_delay_alu instid0(SALU_CYCLE_1) | instskip(NEXT) | instid1(SALU_CYCLE_1)
	s_lshl_b64 s[6:7], s[22:23], 1
	v_add_co_u32 v2, s4, v2, s6
	s_delay_alu instid0(VALU_DEP_1)
	v_add_co_ci_u32_e64 v3, s4, s7, v3, s4
	global_load_u16 v2, v[2:3], off offset:192
	s_waitcnt vmcnt(0)
	v_lshlrev_b32_e32 v10, 16, v2
.LBB499_16:
	s_or_b32 exec_lo, exec_lo, s5
	v_cmp_gt_f32_e64 s4, v8, v6
	v_mbcnt_lo_u32_b32 v2, -1, 0
	s_delay_alu instid0(VALU_DEP_2) | instskip(SKIP_1) | instid1(VALU_DEP_3)
	v_cndmask_b32_e64 v3, v6, v8, s4
	v_cmp_gt_f32_e64 s4, v11, v4
	v_xor_b32_e32 v13, 16, v2
	v_xor_b32_e32 v17, 8, v2
	v_xor_b32_e32 v18, 4, v2
	v_xor_b32_e32 v19, 2, v2
	v_cndmask_b32_e64 v14, v4, v11, s4
	v_cmp_gt_f32_e64 s4, v3, v9
	v_xor_b32_e32 v20, 1, v2
	s_delay_alu instid0(VALU_DEP_2) | instskip(SKIP_1) | instid1(VALU_DEP_1)
	v_cndmask_b32_e64 v3, v9, v3, s4
	v_cmp_gt_i32_e64 s4, 32, v13
	v_cndmask_b32_e64 v13, v2, v13, s4
	v_cmp_gt_f32_e64 s4, v14, v12
	s_delay_alu instid0(VALU_DEP_2) | instskip(NEXT) | instid1(VALU_DEP_2)
	v_lshlrev_b32_e32 v15, 2, v13
	v_cndmask_b32_e64 v14, v12, v14, s4
	v_cmp_gt_f32_e64 s4, v3, v7
	s_delay_alu instid0(VALU_DEP_1) | instskip(NEXT) | instid1(VALU_DEP_3)
	v_cndmask_b32_e64 v3, v7, v3, s4
	v_cmp_gt_f32_e64 s4, v14, v10
	s_delay_alu instid0(VALU_DEP_1) | instskip(SKIP_4) | instid1(VALU_DEP_1)
	v_cndmask_b32_e64 v13, v10, v14, s4
	ds_bpermute_b32 v14, v15, v3
	v_cmp_gt_i32_e64 s4, 32, v17
	ds_bpermute_b32 v16, v15, v13
	v_cndmask_b32_e64 v17, v2, v17, s4
	v_lshlrev_b32_e32 v17, 2, v17
	s_waitcnt lgkmcnt(1)
	v_cmp_lt_f32_e64 s4, v3, v14
	s_delay_alu instid0(VALU_DEP_1)
	v_cndmask_b32_e64 v3, v3, v14, s4
	s_waitcnt lgkmcnt(0)
	v_cmp_lt_f32_e64 s4, v13, v16
	ds_bpermute_b32 v14, v17, v3
	v_cndmask_b32_e64 v13, v13, v16, s4
	v_cmp_gt_i32_e64 s4, 32, v18
	ds_bpermute_b32 v16, v17, v13
	v_cndmask_b32_e64 v18, v2, v18, s4
	s_delay_alu instid0(VALU_DEP_1) | instskip(SKIP_2) | instid1(VALU_DEP_1)
	v_lshlrev_b32_e32 v18, 2, v18
	s_waitcnt lgkmcnt(1)
	v_cmp_lt_f32_e64 s4, v3, v14
	v_cndmask_b32_e64 v3, v3, v14, s4
	s_waitcnt lgkmcnt(0)
	v_cmp_lt_f32_e64 s4, v13, v16
	ds_bpermute_b32 v14, v18, v3
	v_cndmask_b32_e64 v13, v13, v16, s4
	v_cmp_gt_i32_e64 s4, 32, v19
	ds_bpermute_b32 v16, v18, v13
	v_cndmask_b32_e64 v19, v2, v19, s4
	s_delay_alu instid0(VALU_DEP_1) | instskip(SKIP_2) | instid1(VALU_DEP_1)
	v_lshlrev_b32_e32 v19, 2, v19
	s_waitcnt lgkmcnt(1)
	v_cmp_lt_f32_e64 s4, v3, v14
	;; [unrolled: 12-line block ×3, first 2 shown]
	v_cndmask_b32_e64 v2, v3, v14, s4
	s_waitcnt lgkmcnt(0)
	v_cmp_lt_f32_e64 s4, v13, v16
	s_delay_alu instid0(VALU_DEP_1) | instskip(SKIP_4) | instid1(VALU_DEP_1)
	v_cndmask_b32_e64 v3, v13, v16, s4
	ds_bpermute_b32 v13, v20, v2
	ds_bpermute_b32 v14, v20, v3
	s_waitcnt lgkmcnt(1)
	v_cmp_lt_f32_e64 s4, v2, v13
	v_cndmask_b32_e64 v2, v2, v13, s4
	s_waitcnt lgkmcnt(0)
	v_cmp_lt_f32_e64 s4, v3, v14
	s_delay_alu instid0(VALU_DEP_2) | instskip(NEXT) | instid1(VALU_DEP_2)
	v_sub_f32_e32 v8, v8, v2
	v_cndmask_b32_e64 v3, v3, v14, s4
	v_sub_f32_e32 v6, v6, v2
	v_sub_f32_e32 v9, v9, v2
	;; [unrolled: 1-line block ×3, first 2 shown]
	v_cmp_ngt_f32_e64 s4, 0xc2ce8ed0, v8
	v_sub_f32_e32 v4, v4, v3
	v_sub_f32_e32 v7, v11, v3
	v_dual_sub_f32 v12, v12, v3 :: v_dual_mul_f32 v11, 0x3fb8aa3b, v9
	v_dual_sub_f32 v14, v10, v3 :: v_dual_mul_f32 v13, 0x3fb8aa3b, v2
	v_dual_mul_f32 v3, 0x3fb8aa3b, v8 :: v_dual_mul_f32 v10, 0x3fb8aa3b, v6
	s_delay_alu instid0(VALU_DEP_4) | instskip(NEXT) | instid1(VALU_DEP_3)
	v_dual_mul_f32 v21, 0x3fb8aa3b, v4 :: v_dual_mul_f32 v16, 0x3fb8aa3b, v7
	v_mul_f32_e32 v23, 0x3fb8aa3b, v14
	s_delay_alu instid0(VALU_DEP_3)
	v_fma_f32 v24, 0x3fb8aa3b, v8, -v3
	v_rndne_f32_e32 v25, v3
	v_mul_f32_e32 v22, 0x3fb8aa3b, v12
	v_fma_f32 v26, 0x3fb8aa3b, v6, -v10
	v_rndne_f32_e32 v27, v10
	v_rndne_f32_e32 v29, v11
	v_dual_sub_f32 v3, v3, v25 :: v_dual_fmac_f32 v24, 0x32a5705f, v8
	v_fma_f32 v28, 0x3fb8aa3b, v9, -v11
	v_fma_f32 v30, 0x3fb8aa3b, v2, -v13
	s_delay_alu instid0(VALU_DEP_4)
	v_sub_f32_e32 v11, v11, v29
	v_rndne_f32_e32 v31, v13
	v_fma_f32 v38, 0x3fb8aa3b, v14, -v23
	v_rndne_f32_e32 v39, v23
	v_fmac_f32_e32 v26, 0x32a5705f, v6
	v_dual_sub_f32 v10, v10, v27 :: v_dual_add_f32 v3, v3, v24
	v_fma_f32 v32, 0x3fb8aa3b, v7, -v16
	v_fma_f32 v34, 0x3fb8aa3b, v4, -v21
	v_rndne_f32_e32 v35, v21
	v_fma_f32 v36, 0x3fb8aa3b, v12, -v22
	v_rndne_f32_e32 v37, v22
	v_fmac_f32_e32 v28, 0x32a5705f, v9
	v_dual_fmac_f32 v30, 0x32a5705f, v2 :: v_dual_sub_f32 v23, v23, v39
	v_dual_sub_f32 v13, v13, v31 :: v_dual_fmac_f32 v38, 0x32a5705f, v14
	v_add_f32_e32 v10, v10, v26
	v_exp_f32_e32 v3, v3
	v_rndne_f32_e32 v33, v16
	v_cvt_i32_f32_e32 v25, v25
	v_dual_fmac_f32 v34, 0x32a5705f, v4 :: v_dual_add_f32 v23, v23, v38
	v_sub_f32_e32 v21, v21, v35
	v_dual_fmac_f32 v32, 0x32a5705f, v7 :: v_dual_add_f32 v11, v11, v28
	v_fmac_f32_e32 v36, 0x32a5705f, v12
	v_sub_f32_e32 v22, v22, v37
	v_exp_f32_e32 v10, v10
	v_cvt_i32_f32_e32 v27, v27
	v_dual_sub_f32 v16, v16, v33 :: v_dual_add_f32 v13, v13, v30
	s_delay_alu instid0(VALU_DEP_3)
	v_dual_add_f32 v21, v21, v34 :: v_dual_add_f32 v22, v22, v36
	v_exp_f32_e32 v11, v11
	v_ldexp_f32 v3, v3, v25
	v_cvt_i32_f32_e32 v29, v29
	v_add_f32_e32 v16, v16, v32
	v_exp_f32_e32 v13, v13
	v_exp_f32_e32 v22, v22
	v_ldexp_f32 v10, v10, v27
	v_cndmask_b32_e64 v3, 0, v3, s4
	v_cmp_ngt_f32_e64 s4, 0xc2ce8ed0, v6
	v_cvt_i32_f32_e32 v31, v31
	v_exp_f32_e32 v16, v16
	v_cvt_i32_f32_e32 v24, v37
	v_ldexp_f32 v11, v11, v29
	v_cndmask_b32_e64 v10, 0, v10, s4
	v_cmp_ngt_f32_e64 s4, 0xc2ce8ed0, v9
	v_cvt_i32_f32_e32 v33, v33
	v_exp_f32_e32 v21, v21
	v_ldexp_f32 v13, v13, v31
	v_ldexp_f32 v22, v22, v24
	v_cndmask_b32_e64 v24, 0, v11, s4
	v_cmp_ngt_f32_e64 s4, 0xc2ce8ed0, v2
	v_cvt_i32_f32_e32 v35, v35
	v_ldexp_f32 v16, v16, v33
	v_exp_f32_e32 v23, v23
	v_cvt_i32_f32_e32 v26, v39
	v_cndmask_b32_e64 v25, 0, v13, s4
	v_cmp_ngt_f32_e64 s4, 0xc2ce8ed0, v7
	v_ldexp_f32 v21, v21, v35
	s_delay_alu instid0(VALU_DEP_2) | instskip(SKIP_1) | instid1(TRANS32_DEP_1)
	v_cndmask_b32_e64 v16, 0, v16, s4
	v_cmp_ngt_f32_e64 s4, 0xc2ce8ed0, v4
	v_ldexp_f32 v23, v23, v26
	s_delay_alu instid0(VALU_DEP_2) | instskip(SKIP_1) | instid1(VALU_DEP_1)
	v_cndmask_b32_e64 v21, 0, v21, s4
	v_cmp_ngt_f32_e64 s4, 0xc2ce8ed0, v12
	v_cndmask_b32_e64 v22, 0, v22, s4
	v_cmp_ngt_f32_e64 s4, 0xc2ce8ed0, v14
	s_delay_alu instid0(VALU_DEP_1) | instskip(SKIP_1) | instid1(VALU_DEP_1)
	v_cndmask_b32_e64 v23, 0, v23, s4
	v_cmp_nlt_f32_e64 s4, 0x42b17218, v8
	v_cndmask_b32_e64 v13, 0x7f800000, v3, s4
	v_cmp_nlt_f32_e64 s4, 0x42b17218, v6
	s_delay_alu instid0(VALU_DEP_1) | instskip(SKIP_1) | instid1(VALU_DEP_2)
	v_cndmask_b32_e64 v11, 0x7f800000, v10, s4
	v_cmp_nlt_f32_e64 s4, 0x42b17218, v7
	v_add_f32_e32 v8, v13, v11
	s_delay_alu instid0(VALU_DEP_2) | instskip(SKIP_1) | instid1(VALU_DEP_1)
	v_cndmask_b32_e64 v6, 0x7f800000, v16, s4
	v_cmp_nlt_f32_e64 s4, 0x42b17218, v4
	v_cndmask_b32_e64 v4, 0x7f800000, v21, s4
	v_cmp_nlt_f32_e64 s4, 0x42b17218, v9
	s_delay_alu instid0(VALU_DEP_2) | instskip(NEXT) | instid1(VALU_DEP_2)
	v_add_f32_e32 v9, v6, v4
	v_cndmask_b32_e64 v10, 0x7f800000, v24, s4
	v_cmp_nlt_f32_e64 s4, 0x42b17218, v12
	s_delay_alu instid0(VALU_DEP_2) | instskip(NEXT) | instid1(VALU_DEP_2)
	v_add_f32_e32 v8, v8, v10
	;; [unrolled: 4-line block ×3, first 2 shown]
	v_cndmask_b32_e64 v7, 0x7f800000, v25, s4
	v_cmp_nlt_f32_e64 s4, 0x42b17218, v14
	s_delay_alu instid0(VALU_DEP_1) | instskip(NEXT) | instid1(VALU_DEP_1)
	v_cndmask_b32_e64 v2, 0x7f800000, v23, s4
	v_add_f32_e32 v9, v9, v2
	ds_bpermute_b32 v14, v15, v9
	s_waitcnt lgkmcnt(0)
	v_add_f32_e32 v9, v9, v14
	ds_bpermute_b32 v14, v17, v9
	s_waitcnt lgkmcnt(0)
	v_dual_add_f32 v8, v8, v7 :: v_dual_add_f32 v9, v9, v14
	ds_bpermute_b32 v12, v15, v8
	ds_bpermute_b32 v14, v18, v9
	s_waitcnt lgkmcnt(0)
	v_dual_add_f32 v8, v8, v12 :: v_dual_add_f32 v9, v9, v14
	ds_bpermute_b32 v12, v17, v8
	ds_bpermute_b32 v14, v19, v9
	s_waitcnt lgkmcnt(1)
	v_add_f32_e32 v8, v8, v12
	ds_bpermute_b32 v12, v18, v8
	s_waitcnt lgkmcnt(0)
	v_add_f32_e32 v8, v8, v12
	;; [unrolled: 3-line block ×3, first 2 shown]
	v_add_f32_e32 v8, v9, v14
	ds_bpermute_b32 v14, v20, v12
	ds_bpermute_b32 v9, v20, v8
	s_and_saveexec_b32 s4, vcc_lo
	s_cbranch_execz .LBB499_28
; %bb.17:
	v_lshlrev_b64 v[0:1], 2, v[0:1]
	s_delay_alu instid0(VALU_DEP_1) | instskip(NEXT) | instid1(VALU_DEP_2)
	v_add_co_u32 v0, vcc_lo, s16, v0
	v_add_co_ci_u32_e32 v1, vcc_lo, s17, v1, vcc_lo
	s_and_saveexec_b32 s5, s3
	s_cbranch_execz .LBB499_22
; %bb.18:
	s_waitcnt lgkmcnt(1)
	v_add_f32_e32 v12, v12, v14
	s_delay_alu instid0(VALU_DEP_1) | instskip(NEXT) | instid1(VALU_DEP_1)
	v_div_scale_f32 v14, null, v12, v12, v13
	v_rcp_f32_e32 v15, v14
	s_waitcnt_depctr 0xfff
	v_fma_f32 v16, -v14, v15, 1.0
	s_delay_alu instid0(VALU_DEP_1) | instskip(SKIP_1) | instid1(VALU_DEP_1)
	v_fmac_f32_e32 v15, v16, v15
	v_div_scale_f32 v16, vcc_lo, v13, v12, v13
	v_mul_f32_e32 v17, v16, v15
	s_delay_alu instid0(VALU_DEP_1) | instskip(NEXT) | instid1(VALU_DEP_1)
	v_fma_f32 v18, -v14, v17, v16
	v_fmac_f32_e32 v17, v18, v15
	v_cmp_eq_f32_e64 s4, 0, v12
	s_delay_alu instid0(VALU_DEP_2) | instskip(NEXT) | instid1(VALU_DEP_1)
	v_fma_f32 v14, -v14, v17, v16
	v_div_fmas_f32 v14, v14, v15, v17
	s_delay_alu instid0(VALU_DEP_1) | instskip(NEXT) | instid1(VALU_DEP_1)
	v_div_fixup_f32 v13, v14, v12, v13
	v_cndmask_b32_e64 v13, v13, 0x7fc00000, s4
	global_store_b32 v[0:1], v13, off
	s_and_b32 exec_lo, exec_lo, s2
	s_cbranch_execz .LBB499_22
; %bb.19:
	v_div_scale_f32 v13, null, v12, v12, v11
	s_delay_alu instid0(VALU_DEP_1) | instskip(SKIP_2) | instid1(VALU_DEP_1)
	v_rcp_f32_e32 v14, v13
	s_waitcnt_depctr 0xfff
	v_fma_f32 v15, -v13, v14, 1.0
	v_fmac_f32_e32 v14, v15, v14
	v_div_scale_f32 v15, vcc_lo, v11, v12, v11
	s_delay_alu instid0(VALU_DEP_1) | instskip(NEXT) | instid1(VALU_DEP_1)
	v_mul_f32_e32 v16, v15, v14
	v_fma_f32 v17, -v13, v16, v15
	s_delay_alu instid0(VALU_DEP_1) | instskip(NEXT) | instid1(VALU_DEP_1)
	v_fmac_f32_e32 v16, v17, v14
	v_fma_f32 v13, -v13, v16, v15
	s_delay_alu instid0(VALU_DEP_1) | instskip(NEXT) | instid1(VALU_DEP_1)
	v_div_fmas_f32 v13, v13, v14, v16
	v_div_fixup_f32 v11, v13, v12, v11
	s_delay_alu instid0(VALU_DEP_1)
	v_cndmask_b32_e64 v11, v11, 0x7fc00000, s4
	global_store_b32 v[0:1], v11, off offset:128
	s_and_b32 exec_lo, exec_lo, s1
	s_cbranch_execz .LBB499_22
; %bb.20:
	v_div_scale_f32 v11, null, v12, v12, v10
	s_delay_alu instid0(VALU_DEP_1) | instskip(SKIP_2) | instid1(VALU_DEP_1)
	v_rcp_f32_e32 v13, v11
	s_waitcnt_depctr 0xfff
	v_fma_f32 v14, -v11, v13, 1.0
	v_fmac_f32_e32 v13, v14, v13
	v_div_scale_f32 v14, vcc_lo, v10, v12, v10
	s_delay_alu instid0(VALU_DEP_1) | instskip(NEXT) | instid1(VALU_DEP_1)
	v_mul_f32_e32 v15, v14, v13
	v_fma_f32 v16, -v11, v15, v14
	s_delay_alu instid0(VALU_DEP_1) | instskip(NEXT) | instid1(VALU_DEP_1)
	v_fmac_f32_e32 v15, v16, v13
	v_fma_f32 v11, -v11, v15, v14
	s_delay_alu instid0(VALU_DEP_1) | instskip(NEXT) | instid1(VALU_DEP_1)
	v_div_fmas_f32 v11, v11, v13, v15
	v_div_fixup_f32 v10, v11, v12, v10
	s_delay_alu instid0(VALU_DEP_1)
	v_cndmask_b32_e64 v10, v10, 0x7fc00000, s4
	global_store_b32 v[0:1], v10, off offset:256
	;; [unrolled: 22-line block ×3, first 2 shown]
.LBB499_22:
	s_or_b32 exec_lo, exec_lo, s5
	v_cmp_ne_u32_e32 vcc_lo, 1, v5
	s_and_b32 exec_lo, exec_lo, vcc_lo
	s_cbranch_execz .LBB499_28
; %bb.23:
	s_and_b32 exec_lo, exec_lo, s3
	s_cbranch_execz .LBB499_28
; %bb.24:
	s_waitcnt lgkmcnt(0)
	v_add_f32_e32 v5, v8, v9
	s_ashr_i32 s23, s22, 31
	s_delay_alu instid0(SALU_CYCLE_1) | instskip(NEXT) | instid1(VALU_DEP_1)
	s_lshl_b64 s[4:5], s[22:23], 2
	v_div_scale_f32 v7, null, v5, v5, v6
	s_delay_alu instid0(VALU_DEP_1) | instskip(SKIP_2) | instid1(VALU_DEP_1)
	v_rcp_f32_e32 v8, v7
	s_waitcnt_depctr 0xfff
	v_fma_f32 v9, -v7, v8, 1.0
	v_fmac_f32_e32 v8, v9, v8
	v_div_scale_f32 v10, vcc_lo, v6, v5, v6
	v_cmp_eq_f32_e64 s3, 0, v5
	s_delay_alu instid0(VALU_DEP_2) | instskip(NEXT) | instid1(VALU_DEP_1)
	v_mul_f32_e32 v9, v10, v8
	v_fma_f32 v11, -v7, v9, v10
	s_delay_alu instid0(VALU_DEP_1) | instskip(NEXT) | instid1(VALU_DEP_1)
	v_fmac_f32_e32 v9, v11, v8
	v_fma_f32 v7, -v7, v9, v10
	s_delay_alu instid0(VALU_DEP_1) | instskip(SKIP_2) | instid1(VALU_DEP_3)
	v_div_fmas_f32 v7, v7, v8, v9
	v_add_co_u32 v0, vcc_lo, v0, s4
	v_add_co_ci_u32_e32 v1, vcc_lo, s5, v1, vcc_lo
	v_div_fixup_f32 v6, v7, v5, v6
	s_delay_alu instid0(VALU_DEP_1)
	v_cndmask_b32_e64 v6, v6, 0x7fc00000, s3
	global_store_b32 v[0:1], v6, off
	s_and_b32 exec_lo, exec_lo, s2
	s_cbranch_execz .LBB499_28
; %bb.25:
	v_div_scale_f32 v6, null, v5, v5, v4
	s_delay_alu instid0(VALU_DEP_1) | instskip(SKIP_2) | instid1(VALU_DEP_1)
	v_rcp_f32_e32 v7, v6
	s_waitcnt_depctr 0xfff
	v_fma_f32 v8, -v6, v7, 1.0
	v_fmac_f32_e32 v7, v8, v7
	v_div_scale_f32 v8, vcc_lo, v4, v5, v4
	s_delay_alu instid0(VALU_DEP_1) | instskip(NEXT) | instid1(VALU_DEP_1)
	v_mul_f32_e32 v9, v8, v7
	v_fma_f32 v10, -v6, v9, v8
	s_delay_alu instid0(VALU_DEP_1) | instskip(NEXT) | instid1(VALU_DEP_1)
	v_fmac_f32_e32 v9, v10, v7
	v_fma_f32 v6, -v6, v9, v8
	s_delay_alu instid0(VALU_DEP_1) | instskip(NEXT) | instid1(VALU_DEP_1)
	v_div_fmas_f32 v6, v6, v7, v9
	v_div_fixup_f32 v4, v6, v5, v4
	s_delay_alu instid0(VALU_DEP_1)
	v_cndmask_b32_e64 v4, v4, 0x7fc00000, s3
	global_store_b32 v[0:1], v4, off offset:128
	s_and_b32 exec_lo, exec_lo, s1
	s_cbranch_execz .LBB499_28
; %bb.26:
	v_div_scale_f32 v4, null, v5, v5, v3
	s_delay_alu instid0(VALU_DEP_1) | instskip(SKIP_2) | instid1(VALU_DEP_1)
	v_rcp_f32_e32 v6, v4
	s_waitcnt_depctr 0xfff
	v_fma_f32 v7, -v4, v6, 1.0
	v_fmac_f32_e32 v6, v7, v6
	v_div_scale_f32 v7, vcc_lo, v3, v5, v3
	s_delay_alu instid0(VALU_DEP_1) | instskip(NEXT) | instid1(VALU_DEP_1)
	v_mul_f32_e32 v8, v7, v6
	v_fma_f32 v9, -v4, v8, v7
	s_delay_alu instid0(VALU_DEP_1) | instskip(NEXT) | instid1(VALU_DEP_1)
	v_fmac_f32_e32 v8, v9, v6
	v_fma_f32 v4, -v4, v8, v7
	s_delay_alu instid0(VALU_DEP_1) | instskip(NEXT) | instid1(VALU_DEP_1)
	v_div_fmas_f32 v4, v4, v6, v8
	v_div_fixup_f32 v3, v4, v5, v3
	s_delay_alu instid0(VALU_DEP_1)
	v_cndmask_b32_e64 v3, v3, 0x7fc00000, s3
	global_store_b32 v[0:1], v3, off offset:256
	;; [unrolled: 22-line block ×3, first 2 shown]
.LBB499_28:
	s_nop 0
	s_sendmsg sendmsg(MSG_DEALLOC_VGPRS)
	s_endpgm
	.section	.rodata,"a",@progbits
	.p2align	6, 0x0
	.amdhsa_kernel _ZN12_GLOBAL__N_120softmax_warp_forwardIN3c108BFloat16EffLi7ELb0ELb0ELi32EEEvPT0_PKT_iiiPKbib
		.amdhsa_group_segment_fixed_size 0
		.amdhsa_private_segment_fixed_size 0
		.amdhsa_kernarg_size 304
		.amdhsa_user_sgpr_count 15
		.amdhsa_user_sgpr_dispatch_ptr 0
		.amdhsa_user_sgpr_queue_ptr 0
		.amdhsa_user_sgpr_kernarg_segment_ptr 1
		.amdhsa_user_sgpr_dispatch_id 0
		.amdhsa_user_sgpr_private_segment_size 0
		.amdhsa_wavefront_size32 1
		.amdhsa_uses_dynamic_stack 0
		.amdhsa_enable_private_segment 0
		.amdhsa_system_sgpr_workgroup_id_x 1
		.amdhsa_system_sgpr_workgroup_id_y 0
		.amdhsa_system_sgpr_workgroup_id_z 0
		.amdhsa_system_sgpr_workgroup_info 0
		.amdhsa_system_vgpr_workitem_id 1
		.amdhsa_next_free_vgpr 40
		.amdhsa_next_free_sgpr 24
		.amdhsa_reserve_vcc 1
		.amdhsa_float_round_mode_32 0
		.amdhsa_float_round_mode_16_64 0
		.amdhsa_float_denorm_mode_32 3
		.amdhsa_float_denorm_mode_16_64 3
		.amdhsa_dx10_clamp 1
		.amdhsa_ieee_mode 1
		.amdhsa_fp16_overflow 0
		.amdhsa_workgroup_processor_mode 1
		.amdhsa_memory_ordered 1
		.amdhsa_forward_progress 0
		.amdhsa_shared_vgpr_count 0
		.amdhsa_exception_fp_ieee_invalid_op 0
		.amdhsa_exception_fp_denorm_src 0
		.amdhsa_exception_fp_ieee_div_zero 0
		.amdhsa_exception_fp_ieee_overflow 0
		.amdhsa_exception_fp_ieee_underflow 0
		.amdhsa_exception_fp_ieee_inexact 0
		.amdhsa_exception_int_div_zero 0
	.end_amdhsa_kernel
	.section	.text._ZN12_GLOBAL__N_120softmax_warp_forwardIN3c108BFloat16EffLi7ELb0ELb0ELi32EEEvPT0_PKT_iiiPKbib,"axG",@progbits,_ZN12_GLOBAL__N_120softmax_warp_forwardIN3c108BFloat16EffLi7ELb0ELb0ELi32EEEvPT0_PKT_iiiPKbib,comdat
.Lfunc_end499:
	.size	_ZN12_GLOBAL__N_120softmax_warp_forwardIN3c108BFloat16EffLi7ELb0ELb0ELi32EEEvPT0_PKT_iiiPKbib, .Lfunc_end499-_ZN12_GLOBAL__N_120softmax_warp_forwardIN3c108BFloat16EffLi7ELb0ELb0ELi32EEEvPT0_PKT_iiiPKbib
                                        ; -- End function
	.section	.AMDGPU.csdata,"",@progbits
; Kernel info:
; codeLenInByte = 3348
; NumSgprs: 26
; NumVgprs: 40
; ScratchSize: 0
; MemoryBound: 0
; FloatMode: 240
; IeeeMode: 1
; LDSByteSize: 0 bytes/workgroup (compile time only)
; SGPRBlocks: 3
; VGPRBlocks: 4
; NumSGPRsForWavesPerEU: 26
; NumVGPRsForWavesPerEU: 40
; Occupancy: 16
; WaveLimiterHint : 0
; COMPUTE_PGM_RSRC2:SCRATCH_EN: 0
; COMPUTE_PGM_RSRC2:USER_SGPR: 15
; COMPUTE_PGM_RSRC2:TRAP_HANDLER: 0
; COMPUTE_PGM_RSRC2:TGID_X_EN: 1
; COMPUTE_PGM_RSRC2:TGID_Y_EN: 0
; COMPUTE_PGM_RSRC2:TGID_Z_EN: 0
; COMPUTE_PGM_RSRC2:TIDIG_COMP_CNT: 1
	.section	.text._ZN12_GLOBAL__N_120softmax_warp_forwardIN3c108BFloat16EffLi8ELb0ELb0ELi64EEEvPT0_PKT_iiiPKbib,"axG",@progbits,_ZN12_GLOBAL__N_120softmax_warp_forwardIN3c108BFloat16EffLi8ELb0ELb0ELi64EEEvPT0_PKT_iiiPKbib,comdat
	.globl	_ZN12_GLOBAL__N_120softmax_warp_forwardIN3c108BFloat16EffLi8ELb0ELb0ELi64EEEvPT0_PKT_iiiPKbib ; -- Begin function _ZN12_GLOBAL__N_120softmax_warp_forwardIN3c108BFloat16EffLi8ELb0ELb0ELi64EEEvPT0_PKT_iiiPKbib
	.p2align	8
	.type	_ZN12_GLOBAL__N_120softmax_warp_forwardIN3c108BFloat16EffLi8ELb0ELb0ELi64EEEvPT0_PKT_iiiPKbib,@function
_ZN12_GLOBAL__N_120softmax_warp_forwardIN3c108BFloat16EffLi8ELb0ELb0ELi64EEEvPT0_PKT_iiiPKbib: ; @_ZN12_GLOBAL__N_120softmax_warp_forwardIN3c108BFloat16EffLi8ELb0ELb0ELi64EEEvPT0_PKT_iiiPKbib
; %bb.0:
	s_clause 0x1
	s_load_b32 s2, s[0:1], 0x3c
	s_load_b256 s[4:11], s[0:1], 0x0
	v_bfe_u32 v1, v0, 10, 10
	v_mov_b32_e32 v6, 0xff800000
	v_mov_b32_e32 v8, 0xff800000
	s_waitcnt lgkmcnt(0)
	s_lshr_b32 s0, s2, 16
	s_delay_alu instid0(SALU_CYCLE_1) | instskip(SKIP_1) | instid1(VALU_DEP_1)
	v_mad_u64_u32 v[3:4], null, s15, s0, v[1:2]
	v_and_b32_e32 v2, 0x3ff, v0
	v_cmp_gt_i32_e32 vcc_lo, s10, v2
	s_delay_alu instid0(VALU_DEP_3) | instskip(SKIP_1) | instid1(VALU_DEP_1)
	v_mad_u64_u32 v[0:1], null, v3, s9, v[2:3]
	v_sub_nc_u32_e32 v5, s8, v3
	v_cmp_lt_i32_e64 s3, 0, v5
	s_delay_alu instid0(VALU_DEP_3) | instskip(NEXT) | instid1(VALU_DEP_2)
	v_ashrrev_i32_e32 v1, 31, v0
	s_and_b32 s1, s3, vcc_lo
	s_delay_alu instid0(VALU_DEP_1) | instskip(NEXT) | instid1(VALU_DEP_1)
	v_lshlrev_b64 v[3:4], 1, v[0:1]
	v_add_co_u32 v3, s0, s6, v3
	s_delay_alu instid0(VALU_DEP_1)
	v_add_co_ci_u32_e64 v4, s0, s7, v4, s0
	s_and_saveexec_b32 s0, s1
	s_cbranch_execz .LBB500_2
; %bb.1:
	global_load_u16 v7, v[3:4], off
	s_waitcnt vmcnt(0)
	v_lshlrev_b32_e32 v8, 16, v7
.LBB500_2:
	s_or_b32 exec_lo, exec_lo, s0
	v_add_nc_u32_e32 v7, 64, v2
	s_delay_alu instid0(VALU_DEP_1) | instskip(NEXT) | instid1(VALU_DEP_1)
	v_cmp_gt_i32_e64 s2, s10, v7
	s_and_b32 s1, s3, s2
	s_delay_alu instid0(SALU_CYCLE_1)
	s_and_saveexec_b32 s0, s1
	s_cbranch_execz .LBB500_4
; %bb.3:
	global_load_u16 v6, v[3:4], off offset:128
	s_waitcnt vmcnt(0)
	v_lshlrev_b32_e32 v6, 16, v6
.LBB500_4:
	s_or_b32 exec_lo, exec_lo, s0
	v_add_nc_u32_e32 v7, 0x80, v2
	v_mov_b32_e32 v9, 0xff800000
	s_delay_alu instid0(VALU_DEP_2) | instskip(SKIP_1) | instid1(VALU_DEP_2)
	v_cmp_gt_i32_e64 s1, s10, v7
	v_mov_b32_e32 v7, 0xff800000
	s_and_b32 s6, s3, s1
	s_delay_alu instid0(SALU_CYCLE_1)
	s_and_saveexec_b32 s0, s6
	s_cbranch_execz .LBB500_6
; %bb.5:
	global_load_u16 v9, v[3:4], off offset:256
	s_waitcnt vmcnt(0)
	v_lshlrev_b32_e32 v9, 16, v9
.LBB500_6:
	s_or_b32 exec_lo, exec_lo, s0
	v_add_nc_u32_e32 v2, 0xc0, v2
	s_delay_alu instid0(VALU_DEP_1) | instskip(NEXT) | instid1(VALU_DEP_1)
	v_cmp_gt_i32_e64 s0, s10, v2
	s_and_b32 s6, s3, s0
	s_delay_alu instid0(SALU_CYCLE_1)
	s_and_saveexec_b32 s3, s6
	s_cbranch_execz .LBB500_8
; %bb.7:
	global_load_u16 v2, v[3:4], off offset:384
	s_waitcnt vmcnt(0)
	v_lshlrev_b32_e32 v7, 16, v2
.LBB500_8:
	s_or_b32 exec_lo, exec_lo, s3
	v_cmp_gt_f32_e64 s3, v8, v6
	v_mbcnt_lo_u32_b32 v2, -1, 0
	s_mov_b32 s6, exec_lo
	s_delay_alu instid0(VALU_DEP_2) | instskip(NEXT) | instid1(VALU_DEP_2)
	v_cndmask_b32_e64 v3, v6, v8, s3
	v_or_b32_e32 v4, 32, v2
	v_xor_b32_e32 v11, 16, v2
	v_xor_b32_e32 v12, 8, v2
	;; [unrolled: 1-line block ×3, first 2 shown]
	v_cmp_gt_f32_e64 s3, v3, v9
	v_xor_b32_e32 v14, 2, v2
	v_xor_b32_e32 v15, 1, v2
	s_delay_alu instid0(VALU_DEP_3) | instskip(SKIP_1) | instid1(VALU_DEP_1)
	v_cndmask_b32_e64 v3, v9, v3, s3
	v_cmp_gt_i32_e64 s3, 64, v4
	v_cndmask_b32_e64 v4, v2, v4, s3
	s_delay_alu instid0(VALU_DEP_3) | instskip(NEXT) | instid1(VALU_DEP_2)
	v_cmp_gt_f32_e64 s3, v3, v7
	v_lshlrev_b32_e32 v4, 2, v4
	s_delay_alu instid0(VALU_DEP_2) | instskip(SKIP_3) | instid1(VALU_DEP_1)
	v_cndmask_b32_e64 v3, v7, v3, s3
	v_cmp_gt_i32_e64 s3, 64, v11
	ds_bpermute_b32 v10, v4, v3
	v_cndmask_b32_e64 v11, v2, v11, s3
	v_lshlrev_b32_e32 v11, 2, v11
	s_waitcnt lgkmcnt(0)
	v_cmp_lt_f32_e64 s3, v3, v10
	s_delay_alu instid0(VALU_DEP_1) | instskip(SKIP_3) | instid1(VALU_DEP_1)
	v_cndmask_b32_e64 v3, v3, v10, s3
	v_cmp_gt_i32_e64 s3, 64, v12
	ds_bpermute_b32 v10, v11, v3
	v_cndmask_b32_e64 v12, v2, v12, s3
	v_lshlrev_b32_e32 v12, 2, v12
	s_waitcnt lgkmcnt(0)
	v_cmp_lt_f32_e64 s3, v3, v10
	s_delay_alu instid0(VALU_DEP_1) | instskip(SKIP_3) | instid1(VALU_DEP_1)
	;; [unrolled: 8-line block ×5, first 2 shown]
	v_cndmask_b32_e64 v2, v3, v10, s3
	ds_bpermute_b32 v3, v15, v2
	s_waitcnt lgkmcnt(0)
	v_cmp_lt_f32_e64 s3, v2, v3
	v_cndmask_b32_e64 v2, v2, v3, s3
	s_delay_alu instid0(VALU_DEP_1) | instskip(SKIP_2) | instid1(VALU_DEP_3)
	v_sub_f32_e32 v3, v8, v2
	v_sub_f32_e32 v8, v9, v2
	;; [unrolled: 1-line block ×3, first 2 shown]
	v_cmp_ngt_f32_e64 s3, 0xc2ce8ed0, v3
	s_delay_alu instid0(VALU_DEP_3) | instskip(NEXT) | instid1(VALU_DEP_1)
	v_mul_f32_e32 v10, 0x3fb8aa3b, v8
	v_fma_f32 v21, 0x3fb8aa3b, v8, -v10
	v_rndne_f32_e32 v22, v10
	s_delay_alu instid0(VALU_DEP_1) | instskip(NEXT) | instid1(VALU_DEP_1)
	v_dual_fmac_f32 v21, 0x32a5705f, v8 :: v_dual_sub_f32 v10, v10, v22
	v_dual_mul_f32 v9, 0x3fb8aa3b, v6 :: v_dual_add_f32 v10, v10, v21
	s_delay_alu instid0(VALU_DEP_1) | instskip(SKIP_2) | instid1(VALU_DEP_4)
	v_rndne_f32_e32 v20, v9
	v_dual_sub_f32 v2, v7, v2 :: v_dual_mul_f32 v7, 0x3fb8aa3b, v3
	v_fma_f32 v19, 0x3fb8aa3b, v6, -v9
	v_exp_f32_e32 v10, v10
	s_delay_alu instid0(VALU_DEP_3) | instskip(NEXT) | instid1(VALU_DEP_3)
	v_sub_f32_e32 v9, v9, v20
	v_fma_f32 v17, 0x3fb8aa3b, v3, -v7
	v_rndne_f32_e32 v18, v7
	s_delay_alu instid0(VALU_DEP_2) | instskip(NEXT) | instid1(VALU_DEP_2)
	v_fmac_f32_e32 v17, 0x32a5705f, v3
	v_sub_f32_e32 v7, v7, v18
	v_mul_f32_e32 v16, 0x3fb8aa3b, v2
	v_cvt_i32_f32_e32 v18, v18
	s_delay_alu instid0(VALU_DEP_3) | instskip(NEXT) | instid1(VALU_DEP_3)
	v_add_f32_e32 v7, v7, v17
	v_fma_f32 v23, 0x3fb8aa3b, v2, -v16
	v_rndne_f32_e32 v17, v16
	s_delay_alu instid0(VALU_DEP_3) | instskip(NEXT) | instid1(VALU_DEP_1)
	v_exp_f32_e32 v7, v7
	v_dual_fmac_f32 v23, 0x32a5705f, v2 :: v_dual_sub_f32 v16, v16, v17
	v_fmac_f32_e32 v19, 0x32a5705f, v6
	v_cvt_i32_f32_e32 v17, v17
	s_delay_alu instid0(VALU_DEP_3) | instskip(NEXT) | instid1(VALU_DEP_3)
	v_add_f32_e32 v16, v16, v23
	v_add_f32_e32 v9, v9, v19
	v_cvt_i32_f32_e32 v19, v20
	s_delay_alu instid0(TRANS32_DEP_1) | instskip(SKIP_3) | instid1(VALU_DEP_2)
	v_ldexp_f32 v7, v7, v18
	v_cvt_i32_f32_e32 v20, v22
	v_exp_f32_e32 v16, v16
	v_exp_f32_e32 v9, v9
	v_cndmask_b32_e64 v7, 0, v7, s3
	v_cmp_ngt_f32_e64 s3, 0xc2ce8ed0, v6
	v_ldexp_f32 v10, v10, v20
	s_waitcnt_depctr 0xfff
	v_ldexp_f32 v9, v9, v19
	s_delay_alu instid0(VALU_DEP_1) | instskip(SKIP_1) | instid1(VALU_DEP_1)
	v_cndmask_b32_e64 v9, 0, v9, s3
	v_cmp_ngt_f32_e64 s3, 0xc2ce8ed0, v8
	v_cndmask_b32_e64 v10, 0, v10, s3
	v_cmp_nlt_f32_e64 s3, 0x42b17218, v3
	s_delay_alu instid0(VALU_DEP_1) | instskip(SKIP_1) | instid1(VALU_DEP_1)
	v_cndmask_b32_e64 v7, 0x7f800000, v7, s3
	v_cmp_nlt_f32_e64 s3, 0x42b17218, v6
	v_cndmask_b32_e64 v6, 0x7f800000, v9, s3
	v_cmp_nlt_f32_e64 s3, 0x42b17218, v8
	v_ldexp_f32 v9, v16, v17
	s_delay_alu instid0(VALU_DEP_3) | instskip(NEXT) | instid1(VALU_DEP_3)
	v_add_f32_e32 v8, v7, v6
	v_cndmask_b32_e64 v3, 0x7f800000, v10, s3
	v_cmp_ngt_f32_e64 s3, 0xc2ce8ed0, v2
	s_delay_alu instid0(VALU_DEP_2) | instskip(NEXT) | instid1(VALU_DEP_2)
	v_add_f32_e32 v8, v8, v3
	v_cndmask_b32_e64 v9, 0, v9, s3
	v_cmp_nlt_f32_e64 s3, 0x42b17218, v2
	s_delay_alu instid0(VALU_DEP_1) | instskip(NEXT) | instid1(VALU_DEP_1)
	v_cndmask_b32_e64 v2, 0x7f800000, v9, s3
	v_add_f32_e32 v8, v8, v2
	ds_bpermute_b32 v4, v4, v8
	s_waitcnt lgkmcnt(0)
	v_add_f32_e32 v4, v8, v4
	ds_bpermute_b32 v8, v11, v4
	s_waitcnt lgkmcnt(0)
	;; [unrolled: 3-line block ×5, first 2 shown]
	v_add_f32_e32 v4, v4, v8
	ds_bpermute_b32 v8, v15, v4
	v_cmpx_lt_i32_e32 0, v5
	s_cbranch_execz .LBB500_14
; %bb.9:
	s_and_b32 exec_lo, exec_lo, vcc_lo
	s_cbranch_execz .LBB500_14
; %bb.10:
	s_waitcnt lgkmcnt(0)
	v_add_f32_e32 v4, v4, v8
	v_lshlrev_b64 v[0:1], 2, v[0:1]
	s_delay_alu instid0(VALU_DEP_2) | instskip(SKIP_2) | instid1(VALU_DEP_3)
	v_div_scale_f32 v5, null, v4, v4, v7
	v_div_scale_f32 v10, vcc_lo, v7, v4, v7
	v_cmp_eq_f32_e64 s3, 0, v4
	v_rcp_f32_e32 v8, v5
	s_waitcnt_depctr 0xfff
	v_fma_f32 v9, -v5, v8, 1.0
	s_delay_alu instid0(VALU_DEP_1) | instskip(NEXT) | instid1(VALU_DEP_1)
	v_fmac_f32_e32 v8, v9, v8
	v_mul_f32_e32 v9, v10, v8
	s_delay_alu instid0(VALU_DEP_1) | instskip(NEXT) | instid1(VALU_DEP_1)
	v_fma_f32 v11, -v5, v9, v10
	v_fmac_f32_e32 v9, v11, v8
	s_delay_alu instid0(VALU_DEP_1) | instskip(NEXT) | instid1(VALU_DEP_1)
	v_fma_f32 v5, -v5, v9, v10
	v_div_fmas_f32 v5, v5, v8, v9
	v_add_co_u32 v0, vcc_lo, s4, v0
	v_add_co_ci_u32_e32 v1, vcc_lo, s5, v1, vcc_lo
	s_delay_alu instid0(VALU_DEP_3) | instskip(NEXT) | instid1(VALU_DEP_1)
	v_div_fixup_f32 v5, v5, v4, v7
	v_cndmask_b32_e64 v5, v5, 0x7fc00000, s3
	global_store_b32 v[0:1], v5, off
	s_and_b32 exec_lo, exec_lo, s2
	s_cbranch_execz .LBB500_14
; %bb.11:
	v_div_scale_f32 v5, null, v4, v4, v6
	s_delay_alu instid0(VALU_DEP_1) | instskip(SKIP_2) | instid1(VALU_DEP_1)
	v_rcp_f32_e32 v7, v5
	s_waitcnt_depctr 0xfff
	v_fma_f32 v8, -v5, v7, 1.0
	v_fmac_f32_e32 v7, v8, v7
	v_div_scale_f32 v8, vcc_lo, v6, v4, v6
	s_delay_alu instid0(VALU_DEP_1) | instskip(NEXT) | instid1(VALU_DEP_1)
	v_mul_f32_e32 v9, v8, v7
	v_fma_f32 v10, -v5, v9, v8
	s_delay_alu instid0(VALU_DEP_1) | instskip(NEXT) | instid1(VALU_DEP_1)
	v_fmac_f32_e32 v9, v10, v7
	v_fma_f32 v5, -v5, v9, v8
	s_delay_alu instid0(VALU_DEP_1) | instskip(NEXT) | instid1(VALU_DEP_1)
	v_div_fmas_f32 v5, v5, v7, v9
	v_div_fixup_f32 v5, v5, v4, v6
	s_delay_alu instid0(VALU_DEP_1)
	v_cndmask_b32_e64 v5, v5, 0x7fc00000, s3
	global_store_b32 v[0:1], v5, off offset:256
	s_and_b32 exec_lo, exec_lo, s1
	s_cbranch_execz .LBB500_14
; %bb.12:
	v_div_scale_f32 v5, null, v4, v4, v3
	s_delay_alu instid0(VALU_DEP_1) | instskip(SKIP_2) | instid1(VALU_DEP_1)
	v_rcp_f32_e32 v6, v5
	s_waitcnt_depctr 0xfff
	v_fma_f32 v7, -v5, v6, 1.0
	v_fmac_f32_e32 v6, v7, v6
	v_div_scale_f32 v7, vcc_lo, v3, v4, v3
	s_delay_alu instid0(VALU_DEP_1) | instskip(NEXT) | instid1(VALU_DEP_1)
	v_mul_f32_e32 v8, v7, v6
	v_fma_f32 v9, -v5, v8, v7
	s_delay_alu instid0(VALU_DEP_1) | instskip(NEXT) | instid1(VALU_DEP_1)
	v_fmac_f32_e32 v8, v9, v6
	v_fma_f32 v5, -v5, v8, v7
	s_delay_alu instid0(VALU_DEP_1) | instskip(NEXT) | instid1(VALU_DEP_1)
	v_div_fmas_f32 v5, v5, v6, v8
	v_div_fixup_f32 v3, v5, v4, v3
	s_delay_alu instid0(VALU_DEP_1)
	v_cndmask_b32_e64 v3, v3, 0x7fc00000, s3
	global_store_b32 v[0:1], v3, off offset:512
	;; [unrolled: 22-line block ×3, first 2 shown]
.LBB500_14:
	s_nop 0
	s_sendmsg sendmsg(MSG_DEALLOC_VGPRS)
	s_endpgm
	.section	.rodata,"a",@progbits
	.p2align	6, 0x0
	.amdhsa_kernel _ZN12_GLOBAL__N_120softmax_warp_forwardIN3c108BFloat16EffLi8ELb0ELb0ELi64EEEvPT0_PKT_iiiPKbib
		.amdhsa_group_segment_fixed_size 0
		.amdhsa_private_segment_fixed_size 0
		.amdhsa_kernarg_size 304
		.amdhsa_user_sgpr_count 15
		.amdhsa_user_sgpr_dispatch_ptr 0
		.amdhsa_user_sgpr_queue_ptr 0
		.amdhsa_user_sgpr_kernarg_segment_ptr 1
		.amdhsa_user_sgpr_dispatch_id 0
		.amdhsa_user_sgpr_private_segment_size 0
		.amdhsa_wavefront_size32 1
		.amdhsa_uses_dynamic_stack 0
		.amdhsa_enable_private_segment 0
		.amdhsa_system_sgpr_workgroup_id_x 1
		.amdhsa_system_sgpr_workgroup_id_y 0
		.amdhsa_system_sgpr_workgroup_id_z 0
		.amdhsa_system_sgpr_workgroup_info 0
		.amdhsa_system_vgpr_workitem_id 1
		.amdhsa_next_free_vgpr 24
		.amdhsa_next_free_sgpr 16
		.amdhsa_reserve_vcc 1
		.amdhsa_float_round_mode_32 0
		.amdhsa_float_round_mode_16_64 0
		.amdhsa_float_denorm_mode_32 3
		.amdhsa_float_denorm_mode_16_64 3
		.amdhsa_dx10_clamp 1
		.amdhsa_ieee_mode 1
		.amdhsa_fp16_overflow 0
		.amdhsa_workgroup_processor_mode 1
		.amdhsa_memory_ordered 1
		.amdhsa_forward_progress 0
		.amdhsa_shared_vgpr_count 0
		.amdhsa_exception_fp_ieee_invalid_op 0
		.amdhsa_exception_fp_denorm_src 0
		.amdhsa_exception_fp_ieee_div_zero 0
		.amdhsa_exception_fp_ieee_overflow 0
		.amdhsa_exception_fp_ieee_underflow 0
		.amdhsa_exception_fp_ieee_inexact 0
		.amdhsa_exception_int_div_zero 0
	.end_amdhsa_kernel
	.section	.text._ZN12_GLOBAL__N_120softmax_warp_forwardIN3c108BFloat16EffLi8ELb0ELb0ELi64EEEvPT0_PKT_iiiPKbib,"axG",@progbits,_ZN12_GLOBAL__N_120softmax_warp_forwardIN3c108BFloat16EffLi8ELb0ELb0ELi64EEEvPT0_PKT_iiiPKbib,comdat
.Lfunc_end500:
	.size	_ZN12_GLOBAL__N_120softmax_warp_forwardIN3c108BFloat16EffLi8ELb0ELb0ELi64EEEvPT0_PKT_iiiPKbib, .Lfunc_end500-_ZN12_GLOBAL__N_120softmax_warp_forwardIN3c108BFloat16EffLi8ELb0ELb0ELi64EEEvPT0_PKT_iiiPKbib
                                        ; -- End function
	.section	.AMDGPU.csdata,"",@progbits
; Kernel info:
; codeLenInByte = 1892
; NumSgprs: 18
; NumVgprs: 24
; ScratchSize: 0
; MemoryBound: 0
; FloatMode: 240
; IeeeMode: 1
; LDSByteSize: 0 bytes/workgroup (compile time only)
; SGPRBlocks: 2
; VGPRBlocks: 2
; NumSGPRsForWavesPerEU: 18
; NumVGPRsForWavesPerEU: 24
; Occupancy: 16
; WaveLimiterHint : 0
; COMPUTE_PGM_RSRC2:SCRATCH_EN: 0
; COMPUTE_PGM_RSRC2:USER_SGPR: 15
; COMPUTE_PGM_RSRC2:TRAP_HANDLER: 0
; COMPUTE_PGM_RSRC2:TGID_X_EN: 1
; COMPUTE_PGM_RSRC2:TGID_Y_EN: 0
; COMPUTE_PGM_RSRC2:TGID_Z_EN: 0
; COMPUTE_PGM_RSRC2:TIDIG_COMP_CNT: 1
	.section	.text._ZN12_GLOBAL__N_120softmax_warp_forwardIN3c108BFloat16EffLi8ELb0ELb0ELi32EEEvPT0_PKT_iiiPKbib,"axG",@progbits,_ZN12_GLOBAL__N_120softmax_warp_forwardIN3c108BFloat16EffLi8ELb0ELb0ELi32EEEvPT0_PKT_iiiPKbib,comdat
	.globl	_ZN12_GLOBAL__N_120softmax_warp_forwardIN3c108BFloat16EffLi8ELb0ELb0ELi32EEEvPT0_PKT_iiiPKbib ; -- Begin function _ZN12_GLOBAL__N_120softmax_warp_forwardIN3c108BFloat16EffLi8ELb0ELb0ELi32EEEvPT0_PKT_iiiPKbib
	.p2align	8
	.type	_ZN12_GLOBAL__N_120softmax_warp_forwardIN3c108BFloat16EffLi8ELb0ELb0ELi32EEEvPT0_PKT_iiiPKbib,@function
_ZN12_GLOBAL__N_120softmax_warp_forwardIN3c108BFloat16EffLi8ELb0ELb0ELi32EEEvPT0_PKT_iiiPKbib: ; @_ZN12_GLOBAL__N_120softmax_warp_forwardIN3c108BFloat16EffLi8ELb0ELb0ELi32EEEvPT0_PKT_iiiPKbib
; %bb.0:
	s_clause 0x1
	s_load_b32 s2, s[0:1], 0x3c
	s_load_b256 s[16:23], s[0:1], 0x0
	v_bfe_u32 v1, v0, 10, 10
	v_mov_b32_e32 v6, 0xff800000
	v_mov_b32_e32 v10, 0xff800000
	s_waitcnt lgkmcnt(0)
	s_lshr_b32 s0, s2, 16
	s_delay_alu instid0(SALU_CYCLE_1) | instskip(SKIP_1) | instid1(VALU_DEP_1)
	v_mad_u64_u32 v[3:4], null, s15, s0, v[1:2]
	v_and_b32_e32 v2, 0x3ff, v0
	v_cmp_gt_i32_e32 vcc_lo, s22, v2
	s_delay_alu instid0(VALU_DEP_3) | instskip(SKIP_1) | instid1(VALU_DEP_1)
	v_mad_u64_u32 v[0:1], null, v3, s21, v[2:3]
	v_sub_nc_u32_e32 v5, s20, v3
	v_cmp_lt_i32_e64 s7, 0, v5
	s_delay_alu instid0(VALU_DEP_3) | instskip(NEXT) | instid1(VALU_DEP_2)
	v_ashrrev_i32_e32 v1, 31, v0
	s_and_b32 s1, s7, vcc_lo
	s_delay_alu instid0(VALU_DEP_1) | instskip(NEXT) | instid1(VALU_DEP_1)
	v_lshlrev_b64 v[3:4], 1, v[0:1]
	v_add_co_u32 v3, s0, s18, v3
	s_delay_alu instid0(VALU_DEP_1)
	v_add_co_ci_u32_e64 v4, s0, s19, v4, s0
	s_and_saveexec_b32 s0, s1
	s_cbranch_execz .LBB501_2
; %bb.1:
	global_load_u16 v7, v[3:4], off
	s_waitcnt vmcnt(0)
	v_lshlrev_b32_e32 v10, 16, v7
.LBB501_2:
	s_or_b32 exec_lo, exec_lo, s0
	v_add_nc_u32_e32 v7, 32, v2
	s_delay_alu instid0(VALU_DEP_1) | instskip(NEXT) | instid1(VALU_DEP_1)
	v_cmp_gt_i32_e64 s6, s22, v7
	s_and_b32 s1, s7, s6
	s_delay_alu instid0(SALU_CYCLE_1)
	s_and_saveexec_b32 s0, s1
	s_cbranch_execz .LBB501_4
; %bb.3:
	global_load_u16 v6, v[3:4], off offset:64
	s_waitcnt vmcnt(0)
	v_lshlrev_b32_e32 v6, 16, v6
.LBB501_4:
	s_or_b32 exec_lo, exec_lo, s0
	v_add_nc_u32_e32 v7, 64, v2
	v_mov_b32_e32 v11, 0xff800000
	s_delay_alu instid0(VALU_DEP_2) | instskip(SKIP_1) | instid1(VALU_DEP_2)
	v_cmp_gt_i32_e64 s5, s22, v7
	v_mov_b32_e32 v7, 0xff800000
	s_and_b32 s1, s7, s5
	s_delay_alu instid0(SALU_CYCLE_1)
	s_and_saveexec_b32 s0, s1
	s_cbranch_execz .LBB501_6
; %bb.5:
	global_load_u16 v8, v[3:4], off offset:128
	s_waitcnt vmcnt(0)
	v_lshlrev_b32_e32 v11, 16, v8
.LBB501_6:
	s_or_b32 exec_lo, exec_lo, s0
	v_add_nc_u32_e32 v8, 0x60, v2
	s_delay_alu instid0(VALU_DEP_1) | instskip(NEXT) | instid1(VALU_DEP_1)
	v_cmp_gt_i32_e64 s4, s22, v8
	s_and_b32 s1, s7, s4
	s_delay_alu instid0(SALU_CYCLE_1)
	s_and_saveexec_b32 s0, s1
	s_cbranch_execz .LBB501_8
; %bb.7:
	global_load_u16 v7, v[3:4], off offset:192
	s_waitcnt vmcnt(0)
	v_lshlrev_b32_e32 v7, 16, v7
.LBB501_8:
	s_or_b32 exec_lo, exec_lo, s0
	v_add_nc_u32_e32 v8, 0x80, v2
	v_mov_b32_e32 v12, 0xff800000
	s_delay_alu instid0(VALU_DEP_2) | instskip(SKIP_1) | instid1(VALU_DEP_2)
	v_cmp_gt_i32_e64 s3, s22, v8
	v_mov_b32_e32 v8, 0xff800000
	s_and_b32 s1, s7, s3
	s_delay_alu instid0(SALU_CYCLE_1)
	s_and_saveexec_b32 s0, s1
	s_cbranch_execz .LBB501_10
; %bb.9:
	global_load_u16 v9, v[3:4], off offset:256
	s_waitcnt vmcnt(0)
	v_lshlrev_b32_e32 v12, 16, v9
.LBB501_10:
	;; [unrolled: 28-line block ×3, first 2 shown]
	s_or_b32 exec_lo, exec_lo, s0
	v_add_nc_u32_e32 v2, 0xe0, v2
	s_delay_alu instid0(VALU_DEP_1) | instskip(NEXT) | instid1(VALU_DEP_1)
	v_cmp_gt_i32_e64 s0, s22, v2
	s_and_b32 s8, s7, s0
	s_delay_alu instid0(SALU_CYCLE_1)
	s_and_saveexec_b32 s7, s8
	s_cbranch_execz .LBB501_16
; %bb.15:
	global_load_u16 v2, v[3:4], off offset:448
	s_waitcnt vmcnt(0)
	v_lshlrev_b32_e32 v9, 16, v2
.LBB501_16:
	s_or_b32 exec_lo, exec_lo, s7
	v_cmp_gt_f32_e64 s7, v10, v6
	v_mbcnt_lo_u32_b32 v3, -1, 0
	s_mov_b32 s8, exec_lo
	s_delay_alu instid0(VALU_DEP_2) | instskip(NEXT) | instid1(VALU_DEP_2)
	v_cndmask_b32_e64 v2, v6, v10, s7
	v_xor_b32_e32 v4, 16, v3
	v_xor_b32_e32 v15, 8, v3
	;; [unrolled: 1-line block ×4, first 2 shown]
	v_cmp_gt_f32_e64 s7, v2, v11
	v_xor_b32_e32 v18, 1, v3
	s_delay_alu instid0(VALU_DEP_2) | instskip(NEXT) | instid1(VALU_DEP_1)
	v_cndmask_b32_e64 v2, v11, v2, s7
	v_cmp_gt_f32_e64 s7, v2, v7
	s_delay_alu instid0(VALU_DEP_1) | instskip(NEXT) | instid1(VALU_DEP_1)
	v_cndmask_b32_e64 v2, v7, v2, s7
	v_cmp_gt_f32_e64 s7, v2, v12
	s_delay_alu instid0(VALU_DEP_1) | instskip(NEXT) | instid1(VALU_DEP_1)
	v_cndmask_b32_e64 v2, v12, v2, s7
	v_cmp_gt_f32_e64 s7, v2, v8
	s_delay_alu instid0(VALU_DEP_1) | instskip(SKIP_1) | instid1(VALU_DEP_1)
	v_cndmask_b32_e64 v2, v8, v2, s7
	v_cmp_gt_i32_e64 s7, 32, v4
	v_cndmask_b32_e64 v4, v3, v4, s7
	s_delay_alu instid0(VALU_DEP_3) | instskip(NEXT) | instid1(VALU_DEP_2)
	v_cmp_gt_f32_e64 s7, v2, v13
	v_lshlrev_b32_e32 v4, 2, v4
	s_delay_alu instid0(VALU_DEP_2) | instskip(NEXT) | instid1(VALU_DEP_1)
	v_cndmask_b32_e64 v2, v13, v2, s7
	v_cmp_gt_f32_e64 s7, v2, v9
	s_delay_alu instid0(VALU_DEP_1) | instskip(SKIP_3) | instid1(VALU_DEP_1)
	v_cndmask_b32_e64 v2, v9, v2, s7
	v_cmp_gt_i32_e64 s7, 32, v15
	ds_bpermute_b32 v14, v4, v2
	v_cndmask_b32_e64 v15, v3, v15, s7
	v_lshlrev_b32_e32 v15, 2, v15
	s_waitcnt lgkmcnt(0)
	v_cmp_lt_f32_e64 s7, v2, v14
	s_delay_alu instid0(VALU_DEP_1) | instskip(SKIP_3) | instid1(VALU_DEP_1)
	v_cndmask_b32_e64 v2, v2, v14, s7
	v_cmp_gt_i32_e64 s7, 32, v16
	ds_bpermute_b32 v14, v15, v2
	v_cndmask_b32_e64 v16, v3, v16, s7
	v_lshlrev_b32_e32 v16, 2, v16
	s_waitcnt lgkmcnt(0)
	v_cmp_lt_f32_e64 s7, v2, v14
	;; [unrolled: 8-line block ×4, first 2 shown]
	s_delay_alu instid0(VALU_DEP_1) | instskip(SKIP_3) | instid1(VALU_DEP_1)
	v_cndmask_b32_e64 v2, v2, v14, s7
	ds_bpermute_b32 v3, v18, v2
	s_waitcnt lgkmcnt(0)
	v_cmp_lt_f32_e64 s7, v2, v3
	v_cndmask_b32_e64 v2, v2, v3, s7
	s_delay_alu instid0(VALU_DEP_1)
	v_sub_f32_e32 v19, v8, v2
	v_sub_f32_e32 v3, v10, v2
	;; [unrolled: 1-line block ×6, first 2 shown]
	v_dual_sub_f32 v13, v13, v2 :: v_dual_mul_f32 v8, 0x3fb8aa3b, v3
	v_dual_sub_f32 v2, v9, v2 :: v_dual_mul_f32 v21, 0x3fb8aa3b, v19
	v_mul_f32_e32 v11, 0x3fb8aa3b, v7
	s_delay_alu instid0(VALU_DEP_4) | instskip(NEXT) | instid1(VALU_DEP_4)
	v_dual_mul_f32 v9, 0x3fb8aa3b, v6 :: v_dual_mul_f32 v20, 0x3fb8aa3b, v12
	v_fma_f32 v24, 0x3fb8aa3b, v3, -v8
	v_rndne_f32_e32 v25, v8
	v_rndne_f32_e32 v35, v21
	s_delay_alu instid0(VALU_DEP_4)
	v_fma_f32 v26, 0x3fb8aa3b, v6, -v9
	v_rndne_f32_e32 v27, v9
	v_mul_f32_e32 v10, 0x3fb8aa3b, v14
	v_rndne_f32_e32 v31, v11
	v_fma_f32 v34, 0x3fb8aa3b, v19, -v21
	v_sub_f32_e32 v8, v8, v25
	v_dual_fmac_f32 v26, 0x32a5705f, v6 :: v_dual_sub_f32 v21, v21, v35
	v_sub_f32_e32 v9, v9, v27
	v_fmac_f32_e32 v24, 0x32a5705f, v3
	v_dual_mul_f32 v22, 0x3fb8aa3b, v13 :: v_dual_mul_f32 v23, 0x3fb8aa3b, v2
	v_fma_f32 v28, 0x3fb8aa3b, v14, -v10
	v_rndne_f32_e32 v29, v10
	v_fma_f32 v30, 0x3fb8aa3b, v7, -v11
	v_sub_f32_e32 v11, v11, v31
	v_dual_fmac_f32 v34, 0x32a5705f, v19 :: v_dual_add_f32 v9, v9, v26
	v_add_f32_e32 v8, v8, v24
	v_fma_f32 v36, 0x3fb8aa3b, v13, -v22
	v_rndne_f32_e32 v37, v22
	v_rndne_f32_e32 v39, v23
	v_fmac_f32_e32 v28, 0x32a5705f, v14
	v_dual_fmac_f32 v30, 0x32a5705f, v7 :: v_dual_add_f32 v21, v21, v34
	v_sub_f32_e32 v10, v10, v29
	v_exp_f32_e32 v8, v8
	v_fma_f32 v38, 0x3fb8aa3b, v2, -v23
	s_delay_alu instid0(VALU_DEP_3)
	v_add_f32_e32 v11, v11, v30
	v_cvt_i32_f32_e32 v25, v25
	v_fmac_f32_e32 v36, 0x32a5705f, v13
	v_dual_sub_f32 v22, v22, v37 :: v_dual_sub_f32 v23, v23, v39
	v_add_f32_e32 v10, v10, v28
	v_exp_f32_e32 v9, v9
	v_cvt_i32_f32_e32 v27, v27
	s_delay_alu instid0(VALU_DEP_3)
	v_add_f32_e32 v22, v22, v36
	v_ldexp_f32 v8, v8, v25
	v_exp_f32_e32 v10, v10
	v_cmp_ngt_f32_e64 s7, 0xc2ce8ed0, v3
	v_cvt_i32_f32_e32 v29, v29
	v_exp_f32_e32 v22, v22
	v_fma_f32 v32, 0x3fb8aa3b, v12, -v20
	v_rndne_f32_e32 v33, v20
	v_ldexp_f32 v9, v9, v27
	v_cndmask_b32_e64 v8, 0, v8, s7
	v_cmp_ngt_f32_e64 s7, 0xc2ce8ed0, v6
	v_exp_f32_e32 v11, v11
	v_cvt_i32_f32_e32 v24, v37
	v_ldexp_f32 v10, v10, v29
	v_cvt_i32_f32_e32 v31, v31
	v_cndmask_b32_e64 v9, 0, v9, s7
	v_cmp_ngt_f32_e64 s7, 0xc2ce8ed0, v14
	v_sub_f32_e32 v20, v20, v33
	v_fmac_f32_e32 v38, 0x32a5705f, v2
	v_fmac_f32_e32 v32, 0x32a5705f, v12
	v_ldexp_f32 v22, v22, v24
	v_cndmask_b32_e64 v24, 0, v10, s7
	v_cmp_nlt_f32_e64 s7, 0x42b17218, v3
	s_delay_alu instid0(VALU_DEP_4) | instskip(SKIP_2) | instid1(VALU_DEP_4)
	v_dual_add_f32 v23, v23, v38 :: v_dual_add_f32 v20, v20, v32
	v_ldexp_f32 v25, v11, v31
	v_cvt_i32_f32_e32 v33, v33
	v_cndmask_b32_e64 v11, 0x7f800000, v8, s7
	v_cmp_nlt_f32_e64 s7, 0x42b17218, v6
	v_exp_f32_e32 v20, v20
	v_exp_f32_e32 v21, v21
	v_cvt_i32_f32_e32 v35, v35
	v_exp_f32_e32 v23, v23
	v_cndmask_b32_e64 v10, 0x7f800000, v9, s7
	v_cmp_ngt_f32_e64 s7, 0xc2ce8ed0, v7
	v_cvt_i32_f32_e32 v26, v39
	s_delay_alu instid0(VALU_DEP_3) | instskip(NEXT) | instid1(VALU_DEP_3)
	v_add_f32_e32 v6, v11, v10
	v_cndmask_b32_e64 v3, 0, v25, s7
	v_cmp_nlt_f32_e64 s7, 0x42b17218, v14
	v_ldexp_f32 v20, v20, v33
	v_ldexp_f32 v21, v21, v35
	s_delay_alu instid0(VALU_DEP_3) | instskip(SKIP_1) | instid1(VALU_DEP_1)
	v_cndmask_b32_e64 v9, 0x7f800000, v24, s7
	v_cmp_ngt_f32_e64 s7, 0xc2ce8ed0, v12
	v_cndmask_b32_e64 v14, 0, v20, s7
	v_cmp_nlt_f32_e64 s7, 0x42b17218, v7
	s_delay_alu instid0(VALU_DEP_1) | instskip(SKIP_2) | instid1(VALU_DEP_2)
	v_cndmask_b32_e64 v8, 0x7f800000, v3, s7
	v_cmp_ngt_f32_e64 s7, 0xc2ce8ed0, v19
	v_add_f32_e32 v3, v6, v9
	v_cndmask_b32_e64 v6, 0, v21, s7
	v_cmp_nlt_f32_e64 s7, 0x42b17218, v12
	s_delay_alu instid0(VALU_DEP_3) | instskip(NEXT) | instid1(VALU_DEP_2)
	v_add_f32_e32 v3, v3, v8
	v_cndmask_b32_e64 v7, 0x7f800000, v14, s7
	v_cmp_ngt_f32_e64 s7, 0xc2ce8ed0, v13
	s_delay_alu instid0(VALU_DEP_2) | instskip(NEXT) | instid1(VALU_DEP_2)
	v_add_f32_e32 v14, v3, v7
	v_cndmask_b32_e64 v12, 0, v22, s7
	v_cmp_nlt_f32_e64 s7, 0x42b17218, v19
	v_ldexp_f32 v19, v23, v26
	s_delay_alu instid0(VALU_DEP_2) | instskip(SKIP_1) | instid1(VALU_DEP_1)
	v_cndmask_b32_e64 v6, 0x7f800000, v6, s7
	v_cmp_nlt_f32_e64 s7, 0x42b17218, v13
	v_cndmask_b32_e64 v3, 0x7f800000, v12, s7
	v_cmp_ngt_f32_e64 s7, 0xc2ce8ed0, v2
	s_delay_alu instid0(VALU_DEP_4) | instskip(NEXT) | instid1(VALU_DEP_2)
	v_add_f32_e32 v12, v14, v6
	v_cndmask_b32_e64 v13, 0, v19, s7
	v_cmp_nlt_f32_e64 s7, 0x42b17218, v2
	s_delay_alu instid0(VALU_DEP_3) | instskip(NEXT) | instid1(VALU_DEP_2)
	v_add_f32_e32 v12, v12, v3
	v_cndmask_b32_e64 v2, 0x7f800000, v13, s7
	s_delay_alu instid0(VALU_DEP_1)
	v_add_f32_e32 v12, v12, v2
	ds_bpermute_b32 v4, v4, v12
	s_waitcnt lgkmcnt(0)
	v_add_f32_e32 v4, v12, v4
	ds_bpermute_b32 v12, v15, v4
	s_waitcnt lgkmcnt(0)
	;; [unrolled: 3-line block ×4, first 2 shown]
	v_add_f32_e32 v4, v4, v12
	ds_bpermute_b32 v12, v18, v4
	v_cmpx_lt_i32_e32 0, v5
	s_cbranch_execz .LBB501_26
; %bb.17:
	s_and_b32 exec_lo, exec_lo, vcc_lo
	s_cbranch_execz .LBB501_26
; %bb.18:
	s_waitcnt lgkmcnt(0)
	v_add_f32_e32 v4, v4, v12
	v_lshlrev_b64 v[0:1], 2, v[0:1]
	s_delay_alu instid0(VALU_DEP_2) | instskip(SKIP_2) | instid1(VALU_DEP_3)
	v_div_scale_f32 v5, null, v4, v4, v11
	v_div_scale_f32 v14, vcc_lo, v11, v4, v11
	v_cmp_eq_f32_e64 s7, 0, v4
	v_rcp_f32_e32 v12, v5
	s_waitcnt_depctr 0xfff
	v_fma_f32 v13, -v5, v12, 1.0
	s_delay_alu instid0(VALU_DEP_1) | instskip(NEXT) | instid1(VALU_DEP_1)
	v_fmac_f32_e32 v12, v13, v12
	v_mul_f32_e32 v13, v14, v12
	s_delay_alu instid0(VALU_DEP_1) | instskip(NEXT) | instid1(VALU_DEP_1)
	v_fma_f32 v15, -v5, v13, v14
	v_fmac_f32_e32 v13, v15, v12
	s_delay_alu instid0(VALU_DEP_1) | instskip(NEXT) | instid1(VALU_DEP_1)
	v_fma_f32 v5, -v5, v13, v14
	v_div_fmas_f32 v5, v5, v12, v13
	v_add_co_u32 v0, vcc_lo, s16, v0
	v_add_co_ci_u32_e32 v1, vcc_lo, s17, v1, vcc_lo
	s_delay_alu instid0(VALU_DEP_3) | instskip(NEXT) | instid1(VALU_DEP_1)
	v_div_fixup_f32 v5, v5, v4, v11
	v_cndmask_b32_e64 v5, v5, 0x7fc00000, s7
	global_store_b32 v[0:1], v5, off
	s_and_b32 exec_lo, exec_lo, s6
	s_cbranch_execz .LBB501_26
; %bb.19:
	v_div_scale_f32 v5, null, v4, v4, v10
	s_delay_alu instid0(VALU_DEP_1) | instskip(SKIP_2) | instid1(VALU_DEP_1)
	v_rcp_f32_e32 v11, v5
	s_waitcnt_depctr 0xfff
	v_fma_f32 v12, -v5, v11, 1.0
	v_fmac_f32_e32 v11, v12, v11
	v_div_scale_f32 v12, vcc_lo, v10, v4, v10
	s_delay_alu instid0(VALU_DEP_1) | instskip(NEXT) | instid1(VALU_DEP_1)
	v_mul_f32_e32 v13, v12, v11
	v_fma_f32 v14, -v5, v13, v12
	s_delay_alu instid0(VALU_DEP_1) | instskip(NEXT) | instid1(VALU_DEP_1)
	v_fmac_f32_e32 v13, v14, v11
	v_fma_f32 v5, -v5, v13, v12
	s_delay_alu instid0(VALU_DEP_1) | instskip(NEXT) | instid1(VALU_DEP_1)
	v_div_fmas_f32 v5, v5, v11, v13
	v_div_fixup_f32 v5, v5, v4, v10
	s_delay_alu instid0(VALU_DEP_1)
	v_cndmask_b32_e64 v5, v5, 0x7fc00000, s7
	global_store_b32 v[0:1], v5, off offset:128
	s_and_b32 exec_lo, exec_lo, s5
	s_cbranch_execz .LBB501_26
; %bb.20:
	v_div_scale_f32 v5, null, v4, v4, v9
	s_delay_alu instid0(VALU_DEP_1) | instskip(SKIP_2) | instid1(VALU_DEP_1)
	v_rcp_f32_e32 v10, v5
	s_waitcnt_depctr 0xfff
	v_fma_f32 v11, -v5, v10, 1.0
	v_fmac_f32_e32 v10, v11, v10
	v_div_scale_f32 v11, vcc_lo, v9, v4, v9
	s_delay_alu instid0(VALU_DEP_1) | instskip(NEXT) | instid1(VALU_DEP_1)
	v_mul_f32_e32 v12, v11, v10
	v_fma_f32 v13, -v5, v12, v11
	s_delay_alu instid0(VALU_DEP_1) | instskip(NEXT) | instid1(VALU_DEP_1)
	v_fmac_f32_e32 v12, v13, v10
	v_fma_f32 v5, -v5, v12, v11
	s_delay_alu instid0(VALU_DEP_1) | instskip(NEXT) | instid1(VALU_DEP_1)
	v_div_fmas_f32 v5, v5, v10, v12
	v_div_fixup_f32 v5, v5, v4, v9
	s_delay_alu instid0(VALU_DEP_1)
	v_cndmask_b32_e64 v5, v5, 0x7fc00000, s7
	global_store_b32 v[0:1], v5, off offset:256
	;; [unrolled: 22-line block ×7, first 2 shown]
.LBB501_26:
	s_nop 0
	s_sendmsg sendmsg(MSG_DEALLOC_VGPRS)
	s_endpgm
	.section	.rodata,"a",@progbits
	.p2align	6, 0x0
	.amdhsa_kernel _ZN12_GLOBAL__N_120softmax_warp_forwardIN3c108BFloat16EffLi8ELb0ELb0ELi32EEEvPT0_PKT_iiiPKbib
		.amdhsa_group_segment_fixed_size 0
		.amdhsa_private_segment_fixed_size 0
		.amdhsa_kernarg_size 304
		.amdhsa_user_sgpr_count 15
		.amdhsa_user_sgpr_dispatch_ptr 0
		.amdhsa_user_sgpr_queue_ptr 0
		.amdhsa_user_sgpr_kernarg_segment_ptr 1
		.amdhsa_user_sgpr_dispatch_id 0
		.amdhsa_user_sgpr_private_segment_size 0
		.amdhsa_wavefront_size32 1
		.amdhsa_uses_dynamic_stack 0
		.amdhsa_enable_private_segment 0
		.amdhsa_system_sgpr_workgroup_id_x 1
		.amdhsa_system_sgpr_workgroup_id_y 0
		.amdhsa_system_sgpr_workgroup_id_z 0
		.amdhsa_system_sgpr_workgroup_info 0
		.amdhsa_system_vgpr_workitem_id 1
		.amdhsa_next_free_vgpr 40
		.amdhsa_next_free_sgpr 24
		.amdhsa_reserve_vcc 1
		.amdhsa_float_round_mode_32 0
		.amdhsa_float_round_mode_16_64 0
		.amdhsa_float_denorm_mode_32 3
		.amdhsa_float_denorm_mode_16_64 3
		.amdhsa_dx10_clamp 1
		.amdhsa_ieee_mode 1
		.amdhsa_fp16_overflow 0
		.amdhsa_workgroup_processor_mode 1
		.amdhsa_memory_ordered 1
		.amdhsa_forward_progress 0
		.amdhsa_shared_vgpr_count 0
		.amdhsa_exception_fp_ieee_invalid_op 0
		.amdhsa_exception_fp_denorm_src 0
		.amdhsa_exception_fp_ieee_div_zero 0
		.amdhsa_exception_fp_ieee_overflow 0
		.amdhsa_exception_fp_ieee_underflow 0
		.amdhsa_exception_fp_ieee_inexact 0
		.amdhsa_exception_int_div_zero 0
	.end_amdhsa_kernel
	.section	.text._ZN12_GLOBAL__N_120softmax_warp_forwardIN3c108BFloat16EffLi8ELb0ELb0ELi32EEEvPT0_PKT_iiiPKbib,"axG",@progbits,_ZN12_GLOBAL__N_120softmax_warp_forwardIN3c108BFloat16EffLi8ELb0ELb0ELi32EEEvPT0_PKT_iiiPKbib,comdat
.Lfunc_end501:
	.size	_ZN12_GLOBAL__N_120softmax_warp_forwardIN3c108BFloat16EffLi8ELb0ELb0ELi32EEEvPT0_PKT_iiiPKbib, .Lfunc_end501-_ZN12_GLOBAL__N_120softmax_warp_forwardIN3c108BFloat16EffLi8ELb0ELb0ELi32EEEvPT0_PKT_iiiPKbib
                                        ; -- End function
	.section	.AMDGPU.csdata,"",@progbits
; Kernel info:
; codeLenInByte = 3068
; NumSgprs: 26
; NumVgprs: 40
; ScratchSize: 0
; MemoryBound: 0
; FloatMode: 240
; IeeeMode: 1
; LDSByteSize: 0 bytes/workgroup (compile time only)
; SGPRBlocks: 3
; VGPRBlocks: 4
; NumSGPRsForWavesPerEU: 26
; NumVGPRsForWavesPerEU: 40
; Occupancy: 16
; WaveLimiterHint : 0
; COMPUTE_PGM_RSRC2:SCRATCH_EN: 0
; COMPUTE_PGM_RSRC2:USER_SGPR: 15
; COMPUTE_PGM_RSRC2:TRAP_HANDLER: 0
; COMPUTE_PGM_RSRC2:TGID_X_EN: 1
; COMPUTE_PGM_RSRC2:TGID_Y_EN: 0
; COMPUTE_PGM_RSRC2:TGID_Z_EN: 0
; COMPUTE_PGM_RSRC2:TIDIG_COMP_CNT: 1
	.section	.text._ZN12_GLOBAL__N_120softmax_warp_forwardIN3c108BFloat16EffLi9ELb0ELb0ELi64EEEvPT0_PKT_iiiPKbib,"axG",@progbits,_ZN12_GLOBAL__N_120softmax_warp_forwardIN3c108BFloat16EffLi9ELb0ELb0ELi64EEEvPT0_PKT_iiiPKbib,comdat
	.globl	_ZN12_GLOBAL__N_120softmax_warp_forwardIN3c108BFloat16EffLi9ELb0ELb0ELi64EEEvPT0_PKT_iiiPKbib ; -- Begin function _ZN12_GLOBAL__N_120softmax_warp_forwardIN3c108BFloat16EffLi9ELb0ELb0ELi64EEEvPT0_PKT_iiiPKbib
	.p2align	8
	.type	_ZN12_GLOBAL__N_120softmax_warp_forwardIN3c108BFloat16EffLi9ELb0ELb0ELi64EEEvPT0_PKT_iiiPKbib,@function
_ZN12_GLOBAL__N_120softmax_warp_forwardIN3c108BFloat16EffLi9ELb0ELb0ELi64EEEvPT0_PKT_iiiPKbib: ; @_ZN12_GLOBAL__N_120softmax_warp_forwardIN3c108BFloat16EffLi9ELb0ELb0ELi64EEEvPT0_PKT_iiiPKbib
; %bb.0:
	s_clause 0x1
	s_load_b32 s2, s[0:1], 0x3c
	s_load_b256 s[16:23], s[0:1], 0x0
	v_bfe_u32 v1, v0, 10, 10
	v_mov_b32_e32 v6, 0xff800000
	v_mov_b32_e32 v10, 0xff800000
	s_waitcnt lgkmcnt(0)
	s_lshr_b32 s0, s2, 16
	s_delay_alu instid0(SALU_CYCLE_1) | instskip(SKIP_1) | instid1(VALU_DEP_1)
	v_mad_u64_u32 v[3:4], null, s15, s0, v[1:2]
	v_and_b32_e32 v2, 0x3ff, v0
	v_cmp_gt_i32_e32 vcc_lo, s22, v2
	s_delay_alu instid0(VALU_DEP_3) | instskip(SKIP_1) | instid1(VALU_DEP_1)
	v_mad_u64_u32 v[0:1], null, v3, s21, v[2:3]
	v_sub_nc_u32_e32 v5, s20, v3
	v_cmp_lt_i32_e64 s7, 0, v5
	s_delay_alu instid0(VALU_DEP_3) | instskip(NEXT) | instid1(VALU_DEP_2)
	v_ashrrev_i32_e32 v1, 31, v0
	s_and_b32 s1, s7, vcc_lo
	s_delay_alu instid0(VALU_DEP_1) | instskip(NEXT) | instid1(VALU_DEP_1)
	v_lshlrev_b64 v[3:4], 1, v[0:1]
	v_add_co_u32 v3, s0, s18, v3
	s_delay_alu instid0(VALU_DEP_1)
	v_add_co_ci_u32_e64 v4, s0, s19, v4, s0
	s_and_saveexec_b32 s0, s1
	s_cbranch_execz .LBB502_2
; %bb.1:
	global_load_u16 v7, v[3:4], off
	s_waitcnt vmcnt(0)
	v_lshlrev_b32_e32 v10, 16, v7
.LBB502_2:
	s_or_b32 exec_lo, exec_lo, s0
	v_add_nc_u32_e32 v7, 64, v2
	s_delay_alu instid0(VALU_DEP_1) | instskip(NEXT) | instid1(VALU_DEP_1)
	v_cmp_gt_i32_e64 s6, s22, v7
	s_and_b32 s1, s7, s6
	s_delay_alu instid0(SALU_CYCLE_1)
	s_and_saveexec_b32 s0, s1
	s_cbranch_execz .LBB502_4
; %bb.3:
	global_load_u16 v6, v[3:4], off offset:128
	s_waitcnt vmcnt(0)
	v_lshlrev_b32_e32 v6, 16, v6
.LBB502_4:
	s_or_b32 exec_lo, exec_lo, s0
	v_add_nc_u32_e32 v7, 0x80, v2
	v_mov_b32_e32 v11, 0xff800000
	s_delay_alu instid0(VALU_DEP_2) | instskip(SKIP_1) | instid1(VALU_DEP_2)
	v_cmp_gt_i32_e64 s5, s22, v7
	v_mov_b32_e32 v7, 0xff800000
	s_and_b32 s1, s7, s5
	s_delay_alu instid0(SALU_CYCLE_1)
	s_and_saveexec_b32 s0, s1
	s_cbranch_execz .LBB502_6
; %bb.5:
	global_load_u16 v8, v[3:4], off offset:256
	s_waitcnt vmcnt(0)
	v_lshlrev_b32_e32 v11, 16, v8
.LBB502_6:
	s_or_b32 exec_lo, exec_lo, s0
	v_add_nc_u32_e32 v8, 0xc0, v2
	s_delay_alu instid0(VALU_DEP_1) | instskip(NEXT) | instid1(VALU_DEP_1)
	v_cmp_gt_i32_e64 s4, s22, v8
	s_and_b32 s1, s7, s4
	s_delay_alu instid0(SALU_CYCLE_1)
	s_and_saveexec_b32 s0, s1
	s_cbranch_execz .LBB502_8
; %bb.7:
	global_load_u16 v7, v[3:4], off offset:384
	s_waitcnt vmcnt(0)
	v_lshlrev_b32_e32 v7, 16, v7
.LBB502_8:
	s_or_b32 exec_lo, exec_lo, s0
	v_add_nc_u32_e32 v8, 0x100, v2
	v_mov_b32_e32 v12, 0xff800000
	s_delay_alu instid0(VALU_DEP_2) | instskip(SKIP_1) | instid1(VALU_DEP_2)
	v_cmp_gt_i32_e64 s3, s22, v8
	v_mov_b32_e32 v8, 0xff800000
	s_and_b32 s1, s7, s3
	s_delay_alu instid0(SALU_CYCLE_1)
	s_and_saveexec_b32 s0, s1
	s_cbranch_execz .LBB502_10
; %bb.9:
	global_load_u16 v9, v[3:4], off offset:512
	s_waitcnt vmcnt(0)
	v_lshlrev_b32_e32 v12, 16, v9
.LBB502_10:
	;; [unrolled: 28-line block ×3, first 2 shown]
	s_or_b32 exec_lo, exec_lo, s0
	v_add_nc_u32_e32 v2, 0x1c0, v2
	s_delay_alu instid0(VALU_DEP_1) | instskip(NEXT) | instid1(VALU_DEP_1)
	v_cmp_gt_i32_e64 s0, s22, v2
	s_and_b32 s8, s7, s0
	s_delay_alu instid0(SALU_CYCLE_1)
	s_and_saveexec_b32 s7, s8
	s_cbranch_execz .LBB502_16
; %bb.15:
	global_load_u16 v2, v[3:4], off offset:896
	s_waitcnt vmcnt(0)
	v_lshlrev_b32_e32 v9, 16, v2
.LBB502_16:
	s_or_b32 exec_lo, exec_lo, s7
	v_cmp_gt_f32_e64 s7, v10, v6
	v_mbcnt_lo_u32_b32 v3, -1, 0
	s_mov_b32 s8, exec_lo
	s_delay_alu instid0(VALU_DEP_2) | instskip(NEXT) | instid1(VALU_DEP_2)
	v_cndmask_b32_e64 v2, v6, v10, s7
	v_or_b32_e32 v4, 32, v3
	v_xor_b32_e32 v15, 16, v3
	v_xor_b32_e32 v16, 8, v3
	;; [unrolled: 1-line block ×3, first 2 shown]
	v_cmp_gt_f32_e64 s7, v2, v11
	v_xor_b32_e32 v18, 2, v3
	v_xor_b32_e32 v19, 1, v3
	s_delay_alu instid0(VALU_DEP_3) | instskip(NEXT) | instid1(VALU_DEP_1)
	v_cndmask_b32_e64 v2, v11, v2, s7
	v_cmp_gt_f32_e64 s7, v2, v7
	s_delay_alu instid0(VALU_DEP_1) | instskip(NEXT) | instid1(VALU_DEP_1)
	v_cndmask_b32_e64 v2, v7, v2, s7
	v_cmp_gt_f32_e64 s7, v2, v12
	s_delay_alu instid0(VALU_DEP_1) | instskip(NEXT) | instid1(VALU_DEP_1)
	v_cndmask_b32_e64 v2, v12, v2, s7
	v_cmp_gt_f32_e64 s7, v2, v8
	s_delay_alu instid0(VALU_DEP_1) | instskip(SKIP_1) | instid1(VALU_DEP_1)
	v_cndmask_b32_e64 v2, v8, v2, s7
	v_cmp_gt_i32_e64 s7, 64, v4
	v_cndmask_b32_e64 v4, v3, v4, s7
	s_delay_alu instid0(VALU_DEP_3) | instskip(NEXT) | instid1(VALU_DEP_2)
	v_cmp_gt_f32_e64 s7, v2, v13
	v_lshlrev_b32_e32 v4, 2, v4
	s_delay_alu instid0(VALU_DEP_2) | instskip(NEXT) | instid1(VALU_DEP_1)
	v_cndmask_b32_e64 v2, v13, v2, s7
	v_cmp_gt_f32_e64 s7, v2, v9
	s_delay_alu instid0(VALU_DEP_1) | instskip(SKIP_3) | instid1(VALU_DEP_1)
	v_cndmask_b32_e64 v2, v9, v2, s7
	v_cmp_gt_i32_e64 s7, 64, v15
	ds_bpermute_b32 v14, v4, v2
	v_cndmask_b32_e64 v15, v3, v15, s7
	v_lshlrev_b32_e32 v15, 2, v15
	s_waitcnt lgkmcnt(0)
	v_cmp_lt_f32_e64 s7, v2, v14
	s_delay_alu instid0(VALU_DEP_1) | instskip(SKIP_3) | instid1(VALU_DEP_1)
	v_cndmask_b32_e64 v2, v2, v14, s7
	v_cmp_gt_i32_e64 s7, 64, v16
	ds_bpermute_b32 v14, v15, v2
	v_cndmask_b32_e64 v16, v3, v16, s7
	v_lshlrev_b32_e32 v16, 2, v16
	s_waitcnt lgkmcnt(0)
	v_cmp_lt_f32_e64 s7, v2, v14
	;; [unrolled: 8-line block ×5, first 2 shown]
	s_delay_alu instid0(VALU_DEP_1) | instskip(SKIP_3) | instid1(VALU_DEP_1)
	v_cndmask_b32_e64 v2, v2, v14, s7
	ds_bpermute_b32 v3, v19, v2
	s_waitcnt lgkmcnt(0)
	v_cmp_lt_f32_e64 s7, v2, v3
	v_cndmask_b32_e64 v2, v2, v3, s7
	s_delay_alu instid0(VALU_DEP_1) | instskip(SKIP_3) | instid1(VALU_DEP_4)
	v_sub_f32_e32 v12, v12, v2
	v_sub_f32_e32 v3, v10, v2
	;; [unrolled: 1-line block ×4, first 2 shown]
	v_dual_sub_f32 v20, v8, v2 :: v_dual_mul_f32 v21, 0x3fb8aa3b, v12
	s_delay_alu instid0(VALU_DEP_4) | instskip(SKIP_2) | instid1(VALU_DEP_4)
	v_dual_sub_f32 v13, v13, v2 :: v_dual_mul_f32 v8, 0x3fb8aa3b, v3
	v_sub_f32_e32 v14, v11, v2
	v_sub_f32_e32 v2, v9, v2
	v_dual_mul_f32 v9, 0x3fb8aa3b, v6 :: v_dual_mul_f32 v22, 0x3fb8aa3b, v20
	v_mul_f32_e32 v11, 0x3fb8aa3b, v7
	v_fma_f32 v25, 0x3fb8aa3b, v3, -v8
	v_rndne_f32_e32 v26, v8
	v_mul_f32_e32 v23, 0x3fb8aa3b, v13
	v_fma_f32 v27, 0x3fb8aa3b, v6, -v9
	v_rndne_f32_e32 v28, v9
	v_mul_f32_e32 v10, 0x3fb8aa3b, v14
	v_rndne_f32_e32 v32, v11
	v_mul_f32_e32 v24, 0x3fb8aa3b, v2
	v_fma_f32 v33, 0x3fb8aa3b, v12, -v21
	v_dual_fmac_f32 v25, 0x32a5705f, v3 :: v_dual_sub_f32 v8, v8, v26
	v_fma_f32 v31, 0x3fb8aa3b, v7, -v11
	v_rndne_f32_e32 v36, v22
	v_fmac_f32_e32 v27, 0x32a5705f, v6
	v_sub_f32_e32 v9, v9, v28
	v_fma_f32 v29, 0x3fb8aa3b, v14, -v10
	v_rndne_f32_e32 v30, v10
	v_sub_f32_e32 v11, v11, v32
	v_fma_f32 v39, 0x3fb8aa3b, v2, -v24
	v_rndne_f32_e32 v40, v24
	v_dual_fmac_f32 v33, 0x32a5705f, v12 :: v_dual_add_f32 v8, v8, v25
	v_rndne_f32_e32 v34, v21
	v_fma_f32 v35, 0x3fb8aa3b, v20, -v22
	v_fma_f32 v37, 0x3fb8aa3b, v13, -v23
	v_rndne_f32_e32 v38, v23
	v_dual_fmac_f32 v29, 0x32a5705f, v14 :: v_dual_sub_f32 v24, v24, v40
	v_dual_sub_f32 v10, v10, v30 :: v_dual_fmac_f32 v31, 0x32a5705f, v7
	v_dual_sub_f32 v22, v22, v36 :: v_dual_fmac_f32 v39, 0x32a5705f, v2
	v_add_f32_e32 v9, v9, v27
	v_exp_f32_e32 v8, v8
	v_cvt_i32_f32_e32 v26, v26
	v_dual_sub_f32 v21, v21, v34 :: v_dual_add_f32 v10, v10, v29
	v_dual_fmac_f32 v35, 0x32a5705f, v20 :: v_dual_add_f32 v24, v24, v39
	v_fmac_f32_e32 v37, 0x32a5705f, v13
	v_sub_f32_e32 v23, v23, v38
	v_exp_f32_e32 v9, v9
	v_cvt_i32_f32_e32 v28, v28
	v_add_f32_e32 v22, v22, v35
	v_exp_f32_e32 v10, v10
	v_add_f32_e32 v23, v23, v37
	v_ldexp_f32 v8, v8, v26
	v_cmp_ngt_f32_e64 s7, 0xc2ce8ed0, v3
	v_cvt_i32_f32_e32 v30, v30
	v_add_f32_e32 v11, v11, v31
	v_exp_f32_e32 v23, v23
	v_ldexp_f32 v9, v9, v28
	v_cndmask_b32_e64 v8, 0, v8, s7
	v_cmp_ngt_f32_e64 s7, 0xc2ce8ed0, v6
	v_exp_f32_e32 v11, v11
	v_cvt_i32_f32_e32 v25, v38
	v_ldexp_f32 v10, v10, v30
	v_cvt_i32_f32_e32 v32, v32
	v_cndmask_b32_e64 v9, 0, v9, s7
	v_cmp_ngt_f32_e64 s7, 0xc2ce8ed0, v14
	v_ldexp_f32 v23, v23, v25
	v_add_f32_e32 v21, v21, v33
	v_cvt_i32_f32_e32 v34, v34
	v_exp_f32_e32 v22, v22
	v_cndmask_b32_e64 v25, 0, v10, s7
	v_cmp_nlt_f32_e64 s7, 0x42b17218, v3
	v_ldexp_f32 v26, v11, v32
	v_exp_f32_e32 v21, v21
	v_cvt_i32_f32_e32 v36, v36
	v_exp_f32_e32 v24, v24
	v_cndmask_b32_e64 v11, 0x7f800000, v8, s7
	v_cmp_nlt_f32_e64 s7, 0x42b17218, v6
	v_cvt_i32_f32_e32 v27, v40
	v_ldexp_f32 v22, v22, v36
	s_delay_alu instid0(VALU_DEP_3) | instskip(SKIP_1) | instid1(TRANS32_DEP_2)
	v_cndmask_b32_e64 v10, 0x7f800000, v9, s7
	v_cmp_ngt_f32_e64 s7, 0xc2ce8ed0, v7
	v_ldexp_f32 v21, v21, v34
	s_delay_alu instid0(VALU_DEP_3) | instskip(NEXT) | instid1(VALU_DEP_3)
	v_add_f32_e32 v6, v11, v10
	v_cndmask_b32_e64 v3, 0, v26, s7
	v_cmp_nlt_f32_e64 s7, 0x42b17218, v14
	s_delay_alu instid0(VALU_DEP_1) | instskip(SKIP_1) | instid1(VALU_DEP_1)
	v_cndmask_b32_e64 v9, 0x7f800000, v25, s7
	v_cmp_ngt_f32_e64 s7, 0xc2ce8ed0, v12
	v_cndmask_b32_e64 v14, 0, v21, s7
	v_cmp_nlt_f32_e64 s7, 0x42b17218, v7
	s_delay_alu instid0(VALU_DEP_1) | instskip(SKIP_2) | instid1(VALU_DEP_2)
	v_cndmask_b32_e64 v8, 0x7f800000, v3, s7
	v_cmp_ngt_f32_e64 s7, 0xc2ce8ed0, v20
	v_add_f32_e32 v3, v6, v9
	v_cndmask_b32_e64 v6, 0, v22, s7
	v_cmp_nlt_f32_e64 s7, 0x42b17218, v12
	s_delay_alu instid0(VALU_DEP_3) | instskip(NEXT) | instid1(VALU_DEP_2)
	v_add_f32_e32 v3, v3, v8
	v_cndmask_b32_e64 v7, 0x7f800000, v14, s7
	v_cmp_ngt_f32_e64 s7, 0xc2ce8ed0, v13
	s_delay_alu instid0(VALU_DEP_2) | instskip(NEXT) | instid1(VALU_DEP_2)
	v_add_f32_e32 v14, v3, v7
	v_cndmask_b32_e64 v12, 0, v23, s7
	v_cmp_nlt_f32_e64 s7, 0x42b17218, v20
	v_ldexp_f32 v20, v24, v27
	s_delay_alu instid0(VALU_DEP_2) | instskip(SKIP_1) | instid1(VALU_DEP_1)
	v_cndmask_b32_e64 v6, 0x7f800000, v6, s7
	v_cmp_nlt_f32_e64 s7, 0x42b17218, v13
	v_cndmask_b32_e64 v3, 0x7f800000, v12, s7
	v_cmp_ngt_f32_e64 s7, 0xc2ce8ed0, v2
	s_delay_alu instid0(VALU_DEP_4) | instskip(NEXT) | instid1(VALU_DEP_2)
	v_add_f32_e32 v12, v14, v6
	v_cndmask_b32_e64 v13, 0, v20, s7
	v_cmp_nlt_f32_e64 s7, 0x42b17218, v2
	s_delay_alu instid0(VALU_DEP_3) | instskip(NEXT) | instid1(VALU_DEP_2)
	v_add_f32_e32 v12, v12, v3
	v_cndmask_b32_e64 v2, 0x7f800000, v13, s7
	s_delay_alu instid0(VALU_DEP_1)
	v_add_f32_e32 v12, v12, v2
	ds_bpermute_b32 v4, v4, v12
	s_waitcnt lgkmcnt(0)
	v_add_f32_e32 v4, v12, v4
	ds_bpermute_b32 v12, v15, v4
	s_waitcnt lgkmcnt(0)
	;; [unrolled: 3-line block ×5, first 2 shown]
	v_add_f32_e32 v4, v4, v12
	ds_bpermute_b32 v12, v19, v4
	v_cmpx_lt_i32_e32 0, v5
	s_cbranch_execz .LBB502_26
; %bb.17:
	s_and_b32 exec_lo, exec_lo, vcc_lo
	s_cbranch_execz .LBB502_26
; %bb.18:
	s_waitcnt lgkmcnt(0)
	v_add_f32_e32 v4, v4, v12
	v_lshlrev_b64 v[0:1], 2, v[0:1]
	s_delay_alu instid0(VALU_DEP_2) | instskip(SKIP_2) | instid1(VALU_DEP_3)
	v_div_scale_f32 v5, null, v4, v4, v11
	v_div_scale_f32 v14, vcc_lo, v11, v4, v11
	v_cmp_eq_f32_e64 s7, 0, v4
	v_rcp_f32_e32 v12, v5
	s_waitcnt_depctr 0xfff
	v_fma_f32 v13, -v5, v12, 1.0
	s_delay_alu instid0(VALU_DEP_1) | instskip(NEXT) | instid1(VALU_DEP_1)
	v_fmac_f32_e32 v12, v13, v12
	v_mul_f32_e32 v13, v14, v12
	s_delay_alu instid0(VALU_DEP_1) | instskip(NEXT) | instid1(VALU_DEP_1)
	v_fma_f32 v15, -v5, v13, v14
	v_fmac_f32_e32 v13, v15, v12
	s_delay_alu instid0(VALU_DEP_1) | instskip(NEXT) | instid1(VALU_DEP_1)
	v_fma_f32 v5, -v5, v13, v14
	v_div_fmas_f32 v5, v5, v12, v13
	v_add_co_u32 v0, vcc_lo, s16, v0
	v_add_co_ci_u32_e32 v1, vcc_lo, s17, v1, vcc_lo
	s_delay_alu instid0(VALU_DEP_3) | instskip(NEXT) | instid1(VALU_DEP_1)
	v_div_fixup_f32 v5, v5, v4, v11
	v_cndmask_b32_e64 v5, v5, 0x7fc00000, s7
	global_store_b32 v[0:1], v5, off
	s_and_b32 exec_lo, exec_lo, s6
	s_cbranch_execz .LBB502_26
; %bb.19:
	v_div_scale_f32 v5, null, v4, v4, v10
	s_delay_alu instid0(VALU_DEP_1) | instskip(SKIP_2) | instid1(VALU_DEP_1)
	v_rcp_f32_e32 v11, v5
	s_waitcnt_depctr 0xfff
	v_fma_f32 v12, -v5, v11, 1.0
	v_fmac_f32_e32 v11, v12, v11
	v_div_scale_f32 v12, vcc_lo, v10, v4, v10
	s_delay_alu instid0(VALU_DEP_1) | instskip(NEXT) | instid1(VALU_DEP_1)
	v_mul_f32_e32 v13, v12, v11
	v_fma_f32 v14, -v5, v13, v12
	s_delay_alu instid0(VALU_DEP_1) | instskip(NEXT) | instid1(VALU_DEP_1)
	v_fmac_f32_e32 v13, v14, v11
	v_fma_f32 v5, -v5, v13, v12
	s_delay_alu instid0(VALU_DEP_1) | instskip(NEXT) | instid1(VALU_DEP_1)
	v_div_fmas_f32 v5, v5, v11, v13
	v_div_fixup_f32 v5, v5, v4, v10
	s_delay_alu instid0(VALU_DEP_1)
	v_cndmask_b32_e64 v5, v5, 0x7fc00000, s7
	global_store_b32 v[0:1], v5, off offset:256
	s_and_b32 exec_lo, exec_lo, s5
	s_cbranch_execz .LBB502_26
; %bb.20:
	v_div_scale_f32 v5, null, v4, v4, v9
	s_delay_alu instid0(VALU_DEP_1) | instskip(SKIP_2) | instid1(VALU_DEP_1)
	v_rcp_f32_e32 v10, v5
	s_waitcnt_depctr 0xfff
	v_fma_f32 v11, -v5, v10, 1.0
	v_fmac_f32_e32 v10, v11, v10
	v_div_scale_f32 v11, vcc_lo, v9, v4, v9
	s_delay_alu instid0(VALU_DEP_1) | instskip(NEXT) | instid1(VALU_DEP_1)
	v_mul_f32_e32 v12, v11, v10
	v_fma_f32 v13, -v5, v12, v11
	s_delay_alu instid0(VALU_DEP_1) | instskip(NEXT) | instid1(VALU_DEP_1)
	v_fmac_f32_e32 v12, v13, v10
	v_fma_f32 v5, -v5, v12, v11
	s_delay_alu instid0(VALU_DEP_1) | instskip(NEXT) | instid1(VALU_DEP_1)
	v_div_fmas_f32 v5, v5, v10, v12
	v_div_fixup_f32 v5, v5, v4, v9
	s_delay_alu instid0(VALU_DEP_1)
	v_cndmask_b32_e64 v5, v5, 0x7fc00000, s7
	global_store_b32 v[0:1], v5, off offset:512
	;; [unrolled: 22-line block ×7, first 2 shown]
.LBB502_26:
	s_nop 0
	s_sendmsg sendmsg(MSG_DEALLOC_VGPRS)
	s_endpgm
	.section	.rodata,"a",@progbits
	.p2align	6, 0x0
	.amdhsa_kernel _ZN12_GLOBAL__N_120softmax_warp_forwardIN3c108BFloat16EffLi9ELb0ELb0ELi64EEEvPT0_PKT_iiiPKbib
		.amdhsa_group_segment_fixed_size 0
		.amdhsa_private_segment_fixed_size 0
		.amdhsa_kernarg_size 304
		.amdhsa_user_sgpr_count 15
		.amdhsa_user_sgpr_dispatch_ptr 0
		.amdhsa_user_sgpr_queue_ptr 0
		.amdhsa_user_sgpr_kernarg_segment_ptr 1
		.amdhsa_user_sgpr_dispatch_id 0
		.amdhsa_user_sgpr_private_segment_size 0
		.amdhsa_wavefront_size32 1
		.amdhsa_uses_dynamic_stack 0
		.amdhsa_enable_private_segment 0
		.amdhsa_system_sgpr_workgroup_id_x 1
		.amdhsa_system_sgpr_workgroup_id_y 0
		.amdhsa_system_sgpr_workgroup_id_z 0
		.amdhsa_system_sgpr_workgroup_info 0
		.amdhsa_system_vgpr_workitem_id 1
		.amdhsa_next_free_vgpr 41
		.amdhsa_next_free_sgpr 24
		.amdhsa_reserve_vcc 1
		.amdhsa_float_round_mode_32 0
		.amdhsa_float_round_mode_16_64 0
		.amdhsa_float_denorm_mode_32 3
		.amdhsa_float_denorm_mode_16_64 3
		.amdhsa_dx10_clamp 1
		.amdhsa_ieee_mode 1
		.amdhsa_fp16_overflow 0
		.amdhsa_workgroup_processor_mode 1
		.amdhsa_memory_ordered 1
		.amdhsa_forward_progress 0
		.amdhsa_shared_vgpr_count 0
		.amdhsa_exception_fp_ieee_invalid_op 0
		.amdhsa_exception_fp_denorm_src 0
		.amdhsa_exception_fp_ieee_div_zero 0
		.amdhsa_exception_fp_ieee_overflow 0
		.amdhsa_exception_fp_ieee_underflow 0
		.amdhsa_exception_fp_ieee_inexact 0
		.amdhsa_exception_int_div_zero 0
	.end_amdhsa_kernel
	.section	.text._ZN12_GLOBAL__N_120softmax_warp_forwardIN3c108BFloat16EffLi9ELb0ELb0ELi64EEEvPT0_PKT_iiiPKbib,"axG",@progbits,_ZN12_GLOBAL__N_120softmax_warp_forwardIN3c108BFloat16EffLi9ELb0ELb0ELi64EEEvPT0_PKT_iiiPKbib,comdat
.Lfunc_end502:
	.size	_ZN12_GLOBAL__N_120softmax_warp_forwardIN3c108BFloat16EffLi9ELb0ELb0ELi64EEEvPT0_PKT_iiiPKbib, .Lfunc_end502-_ZN12_GLOBAL__N_120softmax_warp_forwardIN3c108BFloat16EffLi9ELb0ELb0ELi64EEEvPT0_PKT_iiiPKbib
                                        ; -- End function
	.section	.AMDGPU.csdata,"",@progbits
; Kernel info:
; codeLenInByte = 3136
; NumSgprs: 26
; NumVgprs: 41
; ScratchSize: 0
; MemoryBound: 0
; FloatMode: 240
; IeeeMode: 1
; LDSByteSize: 0 bytes/workgroup (compile time only)
; SGPRBlocks: 3
; VGPRBlocks: 5
; NumSGPRsForWavesPerEU: 26
; NumVGPRsForWavesPerEU: 41
; Occupancy: 16
; WaveLimiterHint : 0
; COMPUTE_PGM_RSRC2:SCRATCH_EN: 0
; COMPUTE_PGM_RSRC2:USER_SGPR: 15
; COMPUTE_PGM_RSRC2:TRAP_HANDLER: 0
; COMPUTE_PGM_RSRC2:TGID_X_EN: 1
; COMPUTE_PGM_RSRC2:TGID_Y_EN: 0
; COMPUTE_PGM_RSRC2:TGID_Z_EN: 0
; COMPUTE_PGM_RSRC2:TIDIG_COMP_CNT: 1
	.section	.text._ZN12_GLOBAL__N_120softmax_warp_forwardIN3c108BFloat16EffLi9ELb0ELb0ELi32EEEvPT0_PKT_iiiPKbib,"axG",@progbits,_ZN12_GLOBAL__N_120softmax_warp_forwardIN3c108BFloat16EffLi9ELb0ELb0ELi32EEEvPT0_PKT_iiiPKbib,comdat
	.globl	_ZN12_GLOBAL__N_120softmax_warp_forwardIN3c108BFloat16EffLi9ELb0ELb0ELi32EEEvPT0_PKT_iiiPKbib ; -- Begin function _ZN12_GLOBAL__N_120softmax_warp_forwardIN3c108BFloat16EffLi9ELb0ELb0ELi32EEEvPT0_PKT_iiiPKbib
	.p2align	8
	.type	_ZN12_GLOBAL__N_120softmax_warp_forwardIN3c108BFloat16EffLi9ELb0ELb0ELi32EEEvPT0_PKT_iiiPKbib,@function
_ZN12_GLOBAL__N_120softmax_warp_forwardIN3c108BFloat16EffLi9ELb0ELb0ELi32EEEvPT0_PKT_iiiPKbib: ; @_ZN12_GLOBAL__N_120softmax_warp_forwardIN3c108BFloat16EffLi9ELb0ELb0ELi32EEEvPT0_PKT_iiiPKbib
; %bb.0:
	s_clause 0x1
	s_load_b32 s2, s[0:1], 0x3c
	s_load_b256 s[16:23], s[0:1], 0x0
	v_bfe_u32 v1, v0, 10, 10
	v_dual_mov_b32 v9, 0xff800000 :: v_dual_mov_b32 v8, 0xff800000
	s_waitcnt lgkmcnt(0)
	s_lshr_b32 s0, s2, 16
	s_delay_alu instid0(VALU_DEP_2) | instid1(SALU_CYCLE_1)
	v_mad_u64_u32 v[3:4], null, s15, s0, v[1:2]
	v_and_b32_e32 v2, 0x3ff, v0
	s_delay_alu instid0(VALU_DEP_1) | instskip(NEXT) | instid1(VALU_DEP_3)
	v_cmp_gt_i32_e32 vcc_lo, s22, v2
	v_mad_u64_u32 v[0:1], null, v3, s21, v[2:3]
	v_sub_nc_u32_e32 v5, s20, v3
	s_delay_alu instid0(VALU_DEP_1) | instskip(NEXT) | instid1(VALU_DEP_3)
	v_cmp_lt_i32_e64 s15, 0, v5
	v_ashrrev_i32_e32 v1, 31, v0
	s_delay_alu instid0(VALU_DEP_2) | instskip(NEXT) | instid1(VALU_DEP_1)
	s_and_b32 s1, s15, vcc_lo
	v_lshlrev_b64 v[3:4], 1, v[0:1]
	s_delay_alu instid0(VALU_DEP_1) | instskip(NEXT) | instid1(VALU_DEP_1)
	v_add_co_u32 v3, s0, s18, v3
	v_add_co_ci_u32_e64 v4, s0, s19, v4, s0
	s_and_saveexec_b32 s0, s1
	s_cbranch_execz .LBB503_2
; %bb.1:
	global_load_u16 v6, v[3:4], off
	s_waitcnt vmcnt(0)
	v_lshlrev_b32_e32 v8, 16, v6
.LBB503_2:
	s_or_b32 exec_lo, exec_lo, s0
	v_add_nc_u32_e32 v6, 32, v2
	s_delay_alu instid0(VALU_DEP_1) | instskip(NEXT) | instid1(VALU_DEP_1)
	v_cmp_gt_i32_e64 s14, s22, v6
	s_and_b32 s1, s15, s14
	s_delay_alu instid0(SALU_CYCLE_1)
	s_and_saveexec_b32 s0, s1
	s_cbranch_execz .LBB503_4
; %bb.3:
	global_load_u16 v6, v[3:4], off offset:64
	s_waitcnt vmcnt(0)
	v_lshlrev_b32_e32 v9, 16, v6
.LBB503_4:
	s_or_b32 exec_lo, exec_lo, s0
	v_dual_mov_b32 v17, 0xff800000 :: v_dual_add_nc_u32 v6, 64, v2
	v_mov_b32_e32 v10, 0xff800000
	s_delay_alu instid0(VALU_DEP_2) | instskip(NEXT) | instid1(VALU_DEP_1)
	v_cmp_gt_i32_e64 s13, s22, v6
	s_and_b32 s1, s15, s13
	s_delay_alu instid0(SALU_CYCLE_1)
	s_and_saveexec_b32 s0, s1
	s_cbranch_execz .LBB503_6
; %bb.5:
	global_load_u16 v6, v[3:4], off offset:128
	s_waitcnt vmcnt(0)
	v_lshlrev_b32_e32 v17, 16, v6
.LBB503_6:
	s_or_b32 exec_lo, exec_lo, s0
	v_add_nc_u32_e32 v6, 0x60, v2
	s_delay_alu instid0(VALU_DEP_1) | instskip(NEXT) | instid1(VALU_DEP_1)
	v_cmp_gt_i32_e64 s12, s22, v6
	s_and_b32 s1, s15, s12
	s_delay_alu instid0(SALU_CYCLE_1)
	s_and_saveexec_b32 s0, s1
	s_cbranch_execz .LBB503_8
; %bb.7:
	global_load_u16 v6, v[3:4], off offset:192
	s_waitcnt vmcnt(0)
	v_lshlrev_b32_e32 v10, 16, v6
.LBB503_8:
	s_or_b32 exec_lo, exec_lo, s0
	v_add_nc_u32_e32 v6, 0x80, v2
	v_dual_mov_b32 v11, 0xff800000 :: v_dual_mov_b32 v18, 0xff800000
	s_delay_alu instid0(VALU_DEP_2) | instskip(NEXT) | instid1(VALU_DEP_1)
	v_cmp_gt_i32_e64 s11, s22, v6
	s_and_b32 s1, s15, s11
	s_delay_alu instid0(SALU_CYCLE_1)
	s_and_saveexec_b32 s0, s1
	s_cbranch_execz .LBB503_10
; %bb.9:
	global_load_u16 v6, v[3:4], off offset:256
	s_waitcnt vmcnt(0)
	v_lshlrev_b32_e32 v18, 16, v6
.LBB503_10:
	s_or_b32 exec_lo, exec_lo, s0
	v_add_nc_u32_e32 v6, 0xa0, v2
	s_delay_alu instid0(VALU_DEP_1) | instskip(NEXT) | instid1(VALU_DEP_1)
	v_cmp_gt_i32_e64 s10, s22, v6
	s_and_b32 s1, s15, s10
	s_delay_alu instid0(SALU_CYCLE_1)
	s_and_saveexec_b32 s0, s1
	s_cbranch_execz .LBB503_12
; %bb.11:
	global_load_u16 v6, v[3:4], off offset:320
	s_waitcnt vmcnt(0)
	v_lshlrev_b32_e32 v11, 16, v6
.LBB503_12:
	s_or_b32 exec_lo, exec_lo, s0
	v_add_nc_u32_e32 v6, 0xc0, v2
	v_dual_mov_b32 v12, 0xff800000 :: v_dual_mov_b32 v19, 0xff800000
	;; [unrolled: 27-line block ×6, first 2 shown]
	s_delay_alu instid0(VALU_DEP_2) | instskip(NEXT) | instid1(VALU_DEP_1)
	v_cmp_gt_i32_e64 s1, s22, v6
	s_and_b32 s18, s15, s1
	s_delay_alu instid0(SALU_CYCLE_1)
	s_and_saveexec_b32 s0, s18
	s_cbranch_execz .LBB503_30
; %bb.29:
	global_load_u16 v6, v[3:4], off offset:896
	s_waitcnt vmcnt(0)
	v_lshlrev_b32_e32 v23, 16, v6
.LBB503_30:
	s_or_b32 exec_lo, exec_lo, s0
	v_add_nc_u32_e32 v2, 0x1e0, v2
	s_delay_alu instid0(VALU_DEP_1) | instskip(NEXT) | instid1(VALU_DEP_1)
	v_cmp_gt_i32_e64 s0, s22, v2
	s_and_b32 s18, s15, s0
	s_delay_alu instid0(SALU_CYCLE_1)
	s_and_saveexec_b32 s15, s18
	s_cbranch_execz .LBB503_32
; %bb.31:
	global_load_u16 v2, v[3:4], off offset:960
	s_waitcnt vmcnt(0)
	v_lshlrev_b32_e32 v16, 16, v2
.LBB503_32:
	s_or_b32 exec_lo, exec_lo, s15
	v_cmp_gt_f32_e64 s15, v8, v9
	v_mbcnt_lo_u32_b32 v7, -1, 0
	s_mov_b32 s18, exec_lo
	s_delay_alu instid0(VALU_DEP_2) | instskip(NEXT) | instid1(VALU_DEP_2)
	v_cndmask_b32_e64 v2, v9, v8, s15
	v_xor_b32_e32 v3, 16, v7
	v_xor_b32_e32 v26, 1, v7
	s_delay_alu instid0(VALU_DEP_3) | instskip(NEXT) | instid1(VALU_DEP_1)
	v_cmp_gt_f32_e64 s15, v2, v17
	v_cndmask_b32_e64 v2, v17, v2, s15
	s_delay_alu instid0(VALU_DEP_1) | instskip(NEXT) | instid1(VALU_DEP_1)
	v_cmp_gt_f32_e64 s15, v2, v10
	v_cndmask_b32_e64 v2, v10, v2, s15
	s_delay_alu instid0(VALU_DEP_1) | instskip(NEXT) | instid1(VALU_DEP_1)
	;; [unrolled: 3-line block ×11, first 2 shown]
	v_cmp_gt_f32_e64 s15, v2, v15
	v_cndmask_b32_e64 v2, v15, v2, s15
	v_cmp_gt_i32_e64 s15, 32, v3
	s_delay_alu instid0(VALU_DEP_1) | instskip(NEXT) | instid1(VALU_DEP_3)
	v_cndmask_b32_e64 v3, v7, v3, s15
	v_cmp_gt_f32_e64 s15, v2, v23
	s_delay_alu instid0(VALU_DEP_1) | instskip(NEXT) | instid1(VALU_DEP_3)
	v_cndmask_b32_e64 v4, v23, v2, s15
	v_lshlrev_b32_e32 v2, 2, v3
	v_xor_b32_e32 v3, 8, v7
	s_delay_alu instid0(VALU_DEP_3) | instskip(NEXT) | instid1(VALU_DEP_1)
	v_cmp_gt_f32_e64 s15, v4, v16
	v_cndmask_b32_e64 v4, v16, v4, s15
	s_delay_alu instid0(VALU_DEP_3) | instskip(SKIP_2) | instid1(VALU_DEP_1)
	v_cmp_gt_i32_e64 s15, 32, v3
	ds_bpermute_b32 v6, v2, v4
	v_cndmask_b32_e64 v3, v7, v3, s15
	v_lshlrev_b32_e32 v3, 2, v3
	s_waitcnt lgkmcnt(0)
	v_cmp_lt_f32_e64 s15, v4, v6
	s_delay_alu instid0(VALU_DEP_1) | instskip(SKIP_3) | instid1(VALU_DEP_1)
	v_cndmask_b32_e64 v6, v4, v6, s15
	v_xor_b32_e32 v4, 4, v7
	ds_bpermute_b32 v24, v3, v6
	v_cmp_gt_i32_e64 s15, 32, v4
	v_cndmask_b32_e64 v4, v7, v4, s15
	s_delay_alu instid0(VALU_DEP_1) | instskip(SKIP_2) | instid1(VALU_DEP_1)
	v_lshlrev_b32_e32 v4, 2, v4
	s_waitcnt lgkmcnt(0)
	v_cmp_lt_f32_e64 s15, v6, v24
	v_cndmask_b32_e64 v24, v6, v24, s15
	v_xor_b32_e32 v6, 2, v7
	ds_bpermute_b32 v25, v4, v24
	v_cmp_gt_i32_e64 s15, 32, v6
	s_delay_alu instid0(VALU_DEP_1) | instskip(NEXT) | instid1(VALU_DEP_1)
	v_cndmask_b32_e64 v6, v7, v6, s15
	v_lshlrev_b32_e32 v6, 2, v6
	s_waitcnt lgkmcnt(0)
	v_cmp_lt_f32_e64 s15, v24, v25
	s_delay_alu instid0(VALU_DEP_1) | instskip(SKIP_3) | instid1(VALU_DEP_1)
	v_cndmask_b32_e64 v24, v24, v25, s15
	v_cmp_gt_i32_e64 s15, 32, v26
	ds_bpermute_b32 v25, v6, v24
	v_cndmask_b32_e64 v7, v7, v26, s15
	v_lshlrev_b32_e32 v7, 2, v7
	s_waitcnt lgkmcnt(0)
	v_cmp_lt_f32_e64 s15, v24, v25
	s_delay_alu instid0(VALU_DEP_1) | instskip(SKIP_3) | instid1(VALU_DEP_1)
	v_cndmask_b32_e64 v24, v24, v25, s15
	ds_bpermute_b32 v25, v7, v24
	s_waitcnt lgkmcnt(0)
	v_cmp_lt_f32_e64 s15, v24, v25
	v_cndmask_b32_e64 v24, v24, v25, s15
	s_delay_alu instid0(VALU_DEP_1)
	v_sub_f32_e32 v10, v10, v24
	v_sub_f32_e32 v9, v9, v24
	;; [unrolled: 1-line block ×10, first 2 shown]
	v_dual_sub_f32 v30, v15, v24 :: v_dual_mul_f32 v15, 0x3fb8aa3b, v9
	v_mul_f32_e32 v19, 0x3fb8aa3b, v10
	v_mul_f32_e32 v20, 0x3fb8aa3b, v18
	;; [unrolled: 1-line block ×4, first 2 shown]
	v_dual_sub_f32 v27, v21, v24 :: v_dual_mul_f32 v32, 0x3fb8aa3b, v26
	v_sub_f32_e32 v12, v12, v24
	v_sub_f32_e32 v28, v14, v24
	v_rndne_f32_e32 v43, v15
	s_delay_alu instid0(VALU_DEP_4)
	v_dual_mul_f32 v34, 0x3fb8aa3b, v27 :: v_dual_sub_f32 v31, v23, v24
	v_mul_f32_e32 v36, 0x3fb8aa3b, v29
	v_sub_f32_e32 v24, v16, v24
	v_dual_mul_f32 v16, 0x3fb8aa3b, v17 :: v_dual_mul_f32 v21, 0x3fb8aa3b, v11
	v_rndne_f32_e32 v47, v19
	v_mul_f32_e32 v14, 0x3fb8aa3b, v8
	v_dual_mul_f32 v23, 0x3fb8aa3b, v12 :: v_dual_mul_f32 v38, 0x3fb8aa3b, v31
	v_fma_f32 v46, 0x3fb8aa3b, v10, -v19
	v_rndne_f32_e32 v51, v21
	v_sub_f32_e32 v19, v19, v47
	v_fma_f32 v40, 0x3fb8aa3b, v8, -v14
	v_rndne_f32_e32 v41, v14
	v_fma_f32 v42, 0x3fb8aa3b, v9, -v15
	v_fma_f32 v50, 0x3fb8aa3b, v11, -v21
	v_rndne_f32_e32 v55, v23
	v_fmac_f32_e32 v40, 0x32a5705f, v8
	v_dual_sub_f32 v14, v14, v41 :: v_dual_sub_f32 v21, v21, v51
	v_mul_f32_e32 v37, 0x3fb8aa3b, v30
	v_mul_f32_e32 v35, 0x3fb8aa3b, v28
	v_fma_f32 v44, 0x3fb8aa3b, v17, -v16
	v_rndne_f32_e32 v45, v16
	v_rndne_f32_e32 v49, v20
	v_fma_f32 v54, 0x3fb8aa3b, v12, -v23
	v_rndne_f32_e32 v59, v33
	v_dual_fmac_f32 v42, 0x32a5705f, v9 :: v_dual_sub_f32 v15, v15, v43
	v_dual_sub_f32 v23, v23, v55 :: v_dual_add_f32 v14, v14, v40
	v_dual_mul_f32 v39, 0x3fb8aa3b, v24 :: v_dual_sub_f32 v16, v16, v45
	v_fma_f32 v48, 0x3fb8aa3b, v18, -v20
	v_fma_f32 v58, 0x3fb8aa3b, v13, -v33
	v_rndne_f32_e32 v63, v35
	v_fma_f32 v66, 0x3fb8aa3b, v30, -v37
	v_rndne_f32_e32 v67, v37
	v_dual_fmac_f32 v44, 0x32a5705f, v17 :: v_dual_sub_f32 v33, v33, v59
	v_dual_sub_f32 v20, v20, v49 :: v_dual_add_f32 v15, v15, v42
	v_exp_f32_e32 v14, v14
	v_fma_f32 v62, 0x3fb8aa3b, v28, -v35
	v_cvt_i32_f32_e32 v41, v41
	v_dual_fmac_f32 v46, 0x32a5705f, v10 :: v_dual_sub_f32 v37, v37, v67
	v_dual_sub_f32 v35, v35, v63 :: v_dual_fmac_f32 v66, 0x32a5705f, v30
	v_add_f32_e32 v16, v16, v44
	v_exp_f32_e32 v15, v15
	v_fma_f32 v52, 0x3fb8aa3b, v25, -v22
	v_rndne_f32_e32 v53, v22
	v_cvt_i32_f32_e32 v43, v43
	v_dual_fmac_f32 v58, 0x32a5705f, v13 :: v_dual_add_f32 v37, v37, v66
	v_fmac_f32_e32 v54, 0x32a5705f, v12
	v_exp_f32_e32 v16, v16
	v_ldexp_f32 v14, v14, v41
	s_delay_alu instid0(VALU_DEP_3)
	v_add_f32_e32 v33, v33, v58
	v_cmp_ngt_f32_e64 s15, 0xc2ce8ed0, v8
	v_cvt_i32_f32_e32 v45, v45
	v_dual_fmac_f32 v50, 0x32a5705f, v11 :: v_dual_add_f32 v19, v19, v46
	v_fmac_f32_e32 v52, 0x32a5705f, v25
	v_dual_sub_f32 v22, v22, v53 :: v_dual_add_f32 v23, v23, v54
	v_ldexp_f32 v15, v15, v43
	v_cndmask_b32_e64 v14, 0, v14, s15
	v_cmp_ngt_f32_e64 s15, 0xc2ce8ed0, v9
	s_delay_alu instid0(VALU_DEP_4) | instskip(SKIP_2) | instid1(VALU_DEP_3)
	v_dual_add_f32 v21, v21, v50 :: v_dual_add_f32 v22, v22, v52
	v_exp_f32_e32 v23, v23
	v_ldexp_f32 v16, v16, v45
	v_cndmask_b32_e64 v15, 0, v15, s15
	v_cmp_ngt_f32_e64 s15, 0xc2ce8ed0, v17
	v_rndne_f32_e32 v71, v39
	v_fmac_f32_e32 v48, 0x32a5705f, v18
	v_cvt_i32_f32_e32 v55, v55
	v_exp_f32_e32 v19, v19
	v_exp_f32_e32 v22, v22
	v_cndmask_b32_e64 v16, 0, v16, s15
	v_cmp_nlt_f32_e64 s15, 0x42b17218, v8
	v_fma_f32 v70, 0x3fb8aa3b, v24, -v39
	v_sub_f32_e32 v39, v39, v71
	v_cvt_i32_f32_e32 v47, v47
	v_cvt_i32_f32_e32 v53, v53
	v_add_f32_e32 v20, v20, v48
	v_ldexp_f32 v42, v23, v55
	v_cndmask_b32_e64 v23, 0x7f800000, v14, s15
	v_cmp_nlt_f32_e64 s15, 0x42b17218, v9
	v_exp_f32_e32 v21, v21
	v_exp_f32_e32 v20, v20
	v_ldexp_f32 v19, v19, v47
	v_ldexp_f32 v41, v22, v53
	v_cndmask_b32_e64 v22, 0x7f800000, v15, s15
	v_cmp_ngt_f32_e64 s15, 0xc2ce8ed0, v10
	v_cvt_i32_f32_e32 v49, v49
	v_cvt_i32_f32_e32 v51, v51
	v_rndne_f32_e32 v61, v34
	v_fma_f32 v60, 0x3fb8aa3b, v27, -v34
	v_cndmask_b32_e64 v8, 0, v19, s15
	v_cmp_nlt_f32_e64 s15, 0x42b17218, v17
	v_ldexp_f32 v20, v20, v49
	v_ldexp_f32 v40, v21, v51
	v_dual_sub_f32 v34, v34, v61 :: v_dual_add_f32 v9, v23, v22
	s_delay_alu instid0(VALU_DEP_4)
	v_cndmask_b32_e64 v21, 0x7f800000, v16, s15
	v_cmp_ngt_f32_e64 s15, 0xc2ce8ed0, v18
	v_fma_f32 v56, 0x3fb8aa3b, v26, -v32
	v_rndne_f32_e32 v57, v32
	v_fmac_f32_e32 v62, 0x32a5705f, v28
	v_fmac_f32_e32 v70, 0x32a5705f, v24
	v_cndmask_b32_e64 v14, 0, v20, s15
	v_cmp_nlt_f32_e64 s15, 0x42b17218, v10
	v_fmac_f32_e32 v56, 0x32a5705f, v26
	v_dual_sub_f32 v32, v32, v57 :: v_dual_add_f32 v35, v35, v62
	v_cvt_i32_f32_e32 v57, v57
	s_delay_alu instid0(VALU_DEP_4) | instskip(SKIP_4) | instid1(VALU_DEP_4)
	v_cndmask_b32_e64 v20, 0x7f800000, v8, s15
	v_cmp_ngt_f32_e64 s15, 0xc2ce8ed0, v11
	v_add_f32_e32 v8, v9, v21
	v_add_f32_e32 v32, v32, v56
	v_dual_fmac_f32 v60, 0x32a5705f, v27 :: v_dual_add_f32 v39, v39, v70
	v_cndmask_b32_e64 v9, 0, v40, s15
	v_cmp_nlt_f32_e64 s15, 0x42b17218, v18
	s_delay_alu instid0(VALU_DEP_4)
	v_exp_f32_e32 v32, v32
	v_exp_f32_e32 v33, v33
	v_cvt_i32_f32_e32 v59, v59
	v_add_f32_e32 v34, v34, v60
	v_cndmask_b32_e64 v19, 0x7f800000, v14, s15
	v_cmp_ngt_f32_e64 s15, 0xc2ce8ed0, v25
	v_fma_f32 v64, 0x3fb8aa3b, v29, -v36
	v_rndne_f32_e32 v65, v36
	v_exp_f32_e32 v34, v34
	v_cvt_i32_f32_e32 v61, v61
	v_cndmask_b32_e64 v10, 0, v41, s15
	v_cmp_nlt_f32_e64 s15, 0x42b17218, v11
	v_ldexp_f32 v32, v32, v57
	v_ldexp_f32 v33, v33, v59
	v_fmac_f32_e32 v64, 0x32a5705f, v29
	v_sub_f32_e32 v36, v36, v65
	v_cndmask_b32_e64 v18, 0x7f800000, v9, s15
	v_cmp_ngt_f32_e64 s15, 0xc2ce8ed0, v12
	v_exp_f32_e32 v35, v35
	v_ldexp_f32 v34, v34, v61
	v_cvt_i32_f32_e32 v63, v63
	v_add_f32_e32 v36, v36, v64
	v_cndmask_b32_e64 v9, 0, v42, s15
	v_cmp_nlt_f32_e64 s15, 0x42b17218, v25
	v_add_f32_e32 v8, v8, v20
	v_fma_f32 v68, 0x3fb8aa3b, v31, -v38
	v_exp_f32_e32 v36, v36
	v_rndne_f32_e32 v69, v38
	v_cndmask_b32_e64 v17, 0x7f800000, v10, s15
	v_cmp_ngt_f32_e64 s15, 0xc2ce8ed0, v26
	v_ldexp_f32 v35, v35, v63
	v_cvt_i32_f32_e32 v65, v65
	v_add_f32_e32 v8, v8, v19
	v_fmac_f32_e32 v68, 0x32a5705f, v31
	v_cndmask_b32_e64 v10, 0, v32, s15
	v_cmp_nlt_f32_e64 s15, 0x42b17218, v12
	v_sub_f32_e32 v38, v38, v69
	v_exp_f32_e32 v37, v37
	v_ldexp_f32 v36, v36, v65
	v_add_f32_e32 v8, v8, v18
	v_cndmask_b32_e64 v16, 0x7f800000, v9, s15
	v_cmp_ngt_f32_e64 s15, 0xc2ce8ed0, v13
	v_cvt_i32_f32_e32 v67, v67
	v_add_f32_e32 v38, v38, v68
	v_add_f32_e32 v8, v8, v17
	v_cvt_i32_f32_e32 v69, v69
	v_cndmask_b32_e64 v9, 0, v33, s15
	v_cmp_nlt_f32_e64 s15, 0x42b17218, v26
	v_exp_f32_e32 v38, v38
	v_ldexp_f32 v37, v37, v67
	v_add_f32_e32 v8, v8, v16
	v_exp_f32_e32 v39, v39
	v_cndmask_b32_e64 v15, 0x7f800000, v10, s15
	v_cmp_ngt_f32_e64 s15, 0xc2ce8ed0, v27
	v_cvt_i32_f32_e32 v71, v71
	s_delay_alu instid0(VALU_DEP_3) | instskip(NEXT) | instid1(VALU_DEP_3)
	v_add_f32_e32 v8, v8, v15
	v_cndmask_b32_e64 v10, 0, v34, s15
	v_cmp_nlt_f32_e64 s15, 0x42b17218, v13
	v_ldexp_f32 v38, v38, v69
	s_delay_alu instid0(TRANS32_DEP_1) | instskip(NEXT) | instid1(VALU_DEP_3)
	v_ldexp_f32 v26, v39, v71
	v_cndmask_b32_e64 v14, 0x7f800000, v9, s15
	v_cmp_ngt_f32_e64 s15, 0xc2ce8ed0, v28
	s_delay_alu instid0(VALU_DEP_2) | instskip(NEXT) | instid1(VALU_DEP_2)
	v_add_f32_e32 v8, v8, v14
	v_cndmask_b32_e64 v9, 0, v35, s15
	v_cmp_nlt_f32_e64 s15, 0x42b17218, v27
	s_delay_alu instid0(VALU_DEP_1) | instskip(SKIP_1) | instid1(VALU_DEP_2)
	v_cndmask_b32_e64 v13, 0x7f800000, v10, s15
	v_cmp_ngt_f32_e64 s15, 0xc2ce8ed0, v29
	v_add_f32_e32 v8, v8, v13
	s_delay_alu instid0(VALU_DEP_2) | instskip(SKIP_1) | instid1(VALU_DEP_1)
	v_cndmask_b32_e64 v10, 0, v36, s15
	v_cmp_nlt_f32_e64 s15, 0x42b17218, v28
	v_cndmask_b32_e64 v12, 0x7f800000, v9, s15
	v_cmp_ngt_f32_e64 s15, 0xc2ce8ed0, v30
	s_delay_alu instid0(VALU_DEP_2) | instskip(NEXT) | instid1(VALU_DEP_2)
	v_add_f32_e32 v8, v8, v12
	v_cndmask_b32_e64 v9, 0, v37, s15
	v_cmp_nlt_f32_e64 s15, 0x42b17218, v29
	s_delay_alu instid0(VALU_DEP_1) | instskip(SKIP_1) | instid1(VALU_DEP_2)
	v_cndmask_b32_e64 v11, 0x7f800000, v10, s15
	v_cmp_ngt_f32_e64 s15, 0xc2ce8ed0, v31
	v_add_f32_e32 v8, v8, v11
	s_delay_alu instid0(VALU_DEP_2) | instskip(SKIP_1) | instid1(VALU_DEP_1)
	v_cndmask_b32_e64 v25, 0, v38, s15
	v_cmp_nlt_f32_e64 s15, 0x42b17218, v30
	v_cndmask_b32_e64 v10, 0x7f800000, v9, s15
	v_cmp_nlt_f32_e64 s15, 0x42b17218, v31
	s_delay_alu instid0(VALU_DEP_2) | instskip(NEXT) | instid1(VALU_DEP_2)
	v_add_f32_e32 v8, v8, v10
	v_cndmask_b32_e64 v9, 0x7f800000, v25, s15
	v_cmp_ngt_f32_e64 s15, 0xc2ce8ed0, v24
	s_delay_alu instid0(VALU_DEP_1) | instskip(SKIP_1) | instid1(VALU_DEP_4)
	v_cndmask_b32_e64 v25, 0, v26, s15
	v_cmp_nlt_f32_e64 s15, 0x42b17218, v24
	v_add_f32_e32 v26, v8, v9
	s_delay_alu instid0(VALU_DEP_2) | instskip(NEXT) | instid1(VALU_DEP_1)
	v_cndmask_b32_e64 v8, 0x7f800000, v25, s15
	v_add_f32_e32 v24, v26, v8
	ds_bpermute_b32 v2, v2, v24
	s_waitcnt lgkmcnt(0)
	v_add_f32_e32 v2, v24, v2
	ds_bpermute_b32 v3, v3, v2
	s_waitcnt lgkmcnt(0)
	v_add_f32_e32 v2, v2, v3
	ds_bpermute_b32 v3, v4, v2
	s_waitcnt lgkmcnt(0)
	v_add_f32_e32 v2, v2, v3
	ds_bpermute_b32 v3, v6, v2
	s_waitcnt lgkmcnt(0)
	v_add_f32_e32 v2, v2, v3
	ds_bpermute_b32 v3, v7, v2
	v_cmpx_lt_i32_e32 0, v5
	s_cbranch_execz .LBB503_50
; %bb.33:
	s_and_b32 exec_lo, exec_lo, vcc_lo
	s_cbranch_execz .LBB503_50
; %bb.34:
	s_waitcnt lgkmcnt(0)
	v_add_f32_e32 v2, v2, v3
	v_lshlrev_b64 v[0:1], 2, v[0:1]
	s_delay_alu instid0(VALU_DEP_2) | instskip(SKIP_1) | instid1(VALU_DEP_2)
	v_div_scale_f32 v3, null, v2, v2, v23
	v_div_scale_f32 v6, vcc_lo, v23, v2, v23
	v_rcp_f32_e32 v4, v3
	s_waitcnt_depctr 0xfff
	v_fma_f32 v5, -v3, v4, 1.0
	s_delay_alu instid0(VALU_DEP_1) | instskip(NEXT) | instid1(VALU_DEP_1)
	v_fmac_f32_e32 v4, v5, v4
	v_mul_f32_e32 v5, v6, v4
	s_delay_alu instid0(VALU_DEP_1) | instskip(NEXT) | instid1(VALU_DEP_1)
	v_fma_f32 v7, -v3, v5, v6
	v_fmac_f32_e32 v5, v7, v4
	v_cmp_eq_f32_e64 s15, 0, v2
	s_delay_alu instid0(VALU_DEP_2) | instskip(NEXT) | instid1(VALU_DEP_1)
	v_fma_f32 v3, -v3, v5, v6
	v_div_fmas_f32 v3, v3, v4, v5
	v_add_co_u32 v0, vcc_lo, s16, v0
	v_add_co_ci_u32_e32 v1, vcc_lo, s17, v1, vcc_lo
	s_delay_alu instid0(VALU_DEP_3) | instskip(NEXT) | instid1(VALU_DEP_1)
	v_div_fixup_f32 v3, v3, v2, v23
	v_cndmask_b32_e64 v3, v3, 0x7fc00000, s15
	global_store_b32 v[0:1], v3, off
	s_and_b32 exec_lo, exec_lo, s14
	s_cbranch_execz .LBB503_50
; %bb.35:
	v_div_scale_f32 v3, null, v2, v2, v22
	s_delay_alu instid0(VALU_DEP_1) | instskip(SKIP_2) | instid1(VALU_DEP_1)
	v_rcp_f32_e32 v4, v3
	s_waitcnt_depctr 0xfff
	v_fma_f32 v5, -v3, v4, 1.0
	v_fmac_f32_e32 v4, v5, v4
	v_div_scale_f32 v5, vcc_lo, v22, v2, v22
	s_delay_alu instid0(VALU_DEP_1) | instskip(NEXT) | instid1(VALU_DEP_1)
	v_mul_f32_e32 v6, v5, v4
	v_fma_f32 v7, -v3, v6, v5
	s_delay_alu instid0(VALU_DEP_1) | instskip(NEXT) | instid1(VALU_DEP_1)
	v_fmac_f32_e32 v6, v7, v4
	v_fma_f32 v3, -v3, v6, v5
	s_delay_alu instid0(VALU_DEP_1) | instskip(NEXT) | instid1(VALU_DEP_1)
	v_div_fmas_f32 v3, v3, v4, v6
	v_div_fixup_f32 v3, v3, v2, v22
	s_delay_alu instid0(VALU_DEP_1)
	v_cndmask_b32_e64 v3, v3, 0x7fc00000, s15
	global_store_b32 v[0:1], v3, off offset:128
	s_and_b32 exec_lo, exec_lo, s13
	s_cbranch_execz .LBB503_50
; %bb.36:
	v_div_scale_f32 v3, null, v2, v2, v21
	s_delay_alu instid0(VALU_DEP_1) | instskip(SKIP_2) | instid1(VALU_DEP_1)
	v_rcp_f32_e32 v4, v3
	s_waitcnt_depctr 0xfff
	v_fma_f32 v5, -v3, v4, 1.0
	v_fmac_f32_e32 v4, v5, v4
	v_div_scale_f32 v5, vcc_lo, v21, v2, v21
	s_delay_alu instid0(VALU_DEP_1) | instskip(NEXT) | instid1(VALU_DEP_1)
	v_mul_f32_e32 v6, v5, v4
	v_fma_f32 v7, -v3, v6, v5
	s_delay_alu instid0(VALU_DEP_1) | instskip(NEXT) | instid1(VALU_DEP_1)
	v_fmac_f32_e32 v6, v7, v4
	v_fma_f32 v3, -v3, v6, v5
	s_delay_alu instid0(VALU_DEP_1) | instskip(NEXT) | instid1(VALU_DEP_1)
	v_div_fmas_f32 v3, v3, v4, v6
	v_div_fixup_f32 v3, v3, v2, v21
	s_delay_alu instid0(VALU_DEP_1)
	v_cndmask_b32_e64 v3, v3, 0x7fc00000, s15
	global_store_b32 v[0:1], v3, off offset:256
	;; [unrolled: 22-line block ×15, first 2 shown]
.LBB503_50:
	s_nop 0
	s_sendmsg sendmsg(MSG_DEALLOC_VGPRS)
	s_endpgm
	.section	.rodata,"a",@progbits
	.p2align	6, 0x0
	.amdhsa_kernel _ZN12_GLOBAL__N_120softmax_warp_forwardIN3c108BFloat16EffLi9ELb0ELb0ELi32EEEvPT0_PKT_iiiPKbib
		.amdhsa_group_segment_fixed_size 0
		.amdhsa_private_segment_fixed_size 0
		.amdhsa_kernarg_size 304
		.amdhsa_user_sgpr_count 15
		.amdhsa_user_sgpr_dispatch_ptr 0
		.amdhsa_user_sgpr_queue_ptr 0
		.amdhsa_user_sgpr_kernarg_segment_ptr 1
		.amdhsa_user_sgpr_dispatch_id 0
		.amdhsa_user_sgpr_private_segment_size 0
		.amdhsa_wavefront_size32 1
		.amdhsa_uses_dynamic_stack 0
		.amdhsa_enable_private_segment 0
		.amdhsa_system_sgpr_workgroup_id_x 1
		.amdhsa_system_sgpr_workgroup_id_y 0
		.amdhsa_system_sgpr_workgroup_id_z 0
		.amdhsa_system_sgpr_workgroup_info 0
		.amdhsa_system_vgpr_workitem_id 1
		.amdhsa_next_free_vgpr 72
		.amdhsa_next_free_sgpr 24
		.amdhsa_reserve_vcc 1
		.amdhsa_float_round_mode_32 0
		.amdhsa_float_round_mode_16_64 0
		.amdhsa_float_denorm_mode_32 3
		.amdhsa_float_denorm_mode_16_64 3
		.amdhsa_dx10_clamp 1
		.amdhsa_ieee_mode 1
		.amdhsa_fp16_overflow 0
		.amdhsa_workgroup_processor_mode 1
		.amdhsa_memory_ordered 1
		.amdhsa_forward_progress 0
		.amdhsa_shared_vgpr_count 0
		.amdhsa_exception_fp_ieee_invalid_op 0
		.amdhsa_exception_fp_denorm_src 0
		.amdhsa_exception_fp_ieee_div_zero 0
		.amdhsa_exception_fp_ieee_overflow 0
		.amdhsa_exception_fp_ieee_underflow 0
		.amdhsa_exception_fp_ieee_inexact 0
		.amdhsa_exception_int_div_zero 0
	.end_amdhsa_kernel
	.section	.text._ZN12_GLOBAL__N_120softmax_warp_forwardIN3c108BFloat16EffLi9ELb0ELb0ELi32EEEvPT0_PKT_iiiPKbib,"axG",@progbits,_ZN12_GLOBAL__N_120softmax_warp_forwardIN3c108BFloat16EffLi9ELb0ELb0ELi32EEEvPT0_PKT_iiiPKbib,comdat
.Lfunc_end503:
	.size	_ZN12_GLOBAL__N_120softmax_warp_forwardIN3c108BFloat16EffLi9ELb0ELb0ELi32EEEvPT0_PKT_iiiPKbib, .Lfunc_end503-_ZN12_GLOBAL__N_120softmax_warp_forwardIN3c108BFloat16EffLi9ELb0ELb0ELi32EEEvPT0_PKT_iiiPKbib
                                        ; -- End function
	.section	.AMDGPU.csdata,"",@progbits
; Kernel info:
; codeLenInByte = 5588
; NumSgprs: 26
; NumVgprs: 72
; ScratchSize: 0
; MemoryBound: 0
; FloatMode: 240
; IeeeMode: 1
; LDSByteSize: 0 bytes/workgroup (compile time only)
; SGPRBlocks: 3
; VGPRBlocks: 8
; NumSGPRsForWavesPerEU: 26
; NumVGPRsForWavesPerEU: 72
; Occupancy: 16
; WaveLimiterHint : 0
; COMPUTE_PGM_RSRC2:SCRATCH_EN: 0
; COMPUTE_PGM_RSRC2:USER_SGPR: 15
; COMPUTE_PGM_RSRC2:TRAP_HANDLER: 0
; COMPUTE_PGM_RSRC2:TGID_X_EN: 1
; COMPUTE_PGM_RSRC2:TGID_Y_EN: 0
; COMPUTE_PGM_RSRC2:TGID_Z_EN: 0
; COMPUTE_PGM_RSRC2:TIDIG_COMP_CNT: 1
	.section	.text._ZN12_GLOBAL__N_120softmax_warp_forwardIN3c108BFloat16EffLi10ELb0ELb0ELi64EEEvPT0_PKT_iiiPKbib,"axG",@progbits,_ZN12_GLOBAL__N_120softmax_warp_forwardIN3c108BFloat16EffLi10ELb0ELb0ELi64EEEvPT0_PKT_iiiPKbib,comdat
	.globl	_ZN12_GLOBAL__N_120softmax_warp_forwardIN3c108BFloat16EffLi10ELb0ELb0ELi64EEEvPT0_PKT_iiiPKbib ; -- Begin function _ZN12_GLOBAL__N_120softmax_warp_forwardIN3c108BFloat16EffLi10ELb0ELb0ELi64EEEvPT0_PKT_iiiPKbib
	.p2align	8
	.type	_ZN12_GLOBAL__N_120softmax_warp_forwardIN3c108BFloat16EffLi10ELb0ELb0ELi64EEEvPT0_PKT_iiiPKbib,@function
_ZN12_GLOBAL__N_120softmax_warp_forwardIN3c108BFloat16EffLi10ELb0ELb0ELi64EEEvPT0_PKT_iiiPKbib: ; @_ZN12_GLOBAL__N_120softmax_warp_forwardIN3c108BFloat16EffLi10ELb0ELb0ELi64EEEvPT0_PKT_iiiPKbib
; %bb.0:
	s_clause 0x1
	s_load_b32 s2, s[0:1], 0x3c
	s_load_b256 s[16:23], s[0:1], 0x0
	v_bfe_u32 v1, v0, 10, 10
	v_dual_mov_b32 v10, 0xff800000 :: v_dual_mov_b32 v9, 0xff800000
	s_waitcnt lgkmcnt(0)
	s_lshr_b32 s0, s2, 16
	s_delay_alu instid0(VALU_DEP_2) | instid1(SALU_CYCLE_1)
	v_mad_u64_u32 v[3:4], null, s15, s0, v[1:2]
	v_and_b32_e32 v2, 0x3ff, v0
	s_delay_alu instid0(VALU_DEP_1) | instskip(NEXT) | instid1(VALU_DEP_3)
	v_cmp_gt_i32_e32 vcc_lo, s22, v2
	v_mad_u64_u32 v[0:1], null, v3, s21, v[2:3]
	v_sub_nc_u32_e32 v5, s20, v3
	s_delay_alu instid0(VALU_DEP_1) | instskip(NEXT) | instid1(VALU_DEP_3)
	v_cmp_lt_i32_e64 s15, 0, v5
	v_ashrrev_i32_e32 v1, 31, v0
	s_delay_alu instid0(VALU_DEP_2) | instskip(NEXT) | instid1(VALU_DEP_1)
	s_and_b32 s1, s15, vcc_lo
	v_lshlrev_b64 v[3:4], 1, v[0:1]
	s_delay_alu instid0(VALU_DEP_1) | instskip(NEXT) | instid1(VALU_DEP_1)
	v_add_co_u32 v3, s0, s18, v3
	v_add_co_ci_u32_e64 v4, s0, s19, v4, s0
	s_and_saveexec_b32 s0, s1
	s_cbranch_execz .LBB504_2
; %bb.1:
	global_load_u16 v6, v[3:4], off
	s_waitcnt vmcnt(0)
	v_lshlrev_b32_e32 v9, 16, v6
.LBB504_2:
	s_or_b32 exec_lo, exec_lo, s0
	v_add_nc_u32_e32 v6, 64, v2
	s_delay_alu instid0(VALU_DEP_1) | instskip(NEXT) | instid1(VALU_DEP_1)
	v_cmp_gt_i32_e64 s14, s22, v6
	s_and_b32 s1, s15, s14
	s_delay_alu instid0(SALU_CYCLE_1)
	s_and_saveexec_b32 s0, s1
	s_cbranch_execz .LBB504_4
; %bb.3:
	global_load_u16 v6, v[3:4], off offset:128
	s_waitcnt vmcnt(0)
	v_lshlrev_b32_e32 v10, 16, v6
.LBB504_4:
	s_or_b32 exec_lo, exec_lo, s0
	v_add_nc_u32_e32 v6, 0x80, v2
	v_dual_mov_b32 v11, 0xff800000 :: v_dual_mov_b32 v18, 0xff800000
	s_delay_alu instid0(VALU_DEP_2) | instskip(NEXT) | instid1(VALU_DEP_1)
	v_cmp_gt_i32_e64 s13, s22, v6
	s_and_b32 s1, s15, s13
	s_delay_alu instid0(SALU_CYCLE_1)
	s_and_saveexec_b32 s0, s1
	s_cbranch_execz .LBB504_6
; %bb.5:
	global_load_u16 v6, v[3:4], off offset:256
	s_waitcnt vmcnt(0)
	v_lshlrev_b32_e32 v18, 16, v6
.LBB504_6:
	s_or_b32 exec_lo, exec_lo, s0
	v_add_nc_u32_e32 v6, 0xc0, v2
	s_delay_alu instid0(VALU_DEP_1) | instskip(NEXT) | instid1(VALU_DEP_1)
	v_cmp_gt_i32_e64 s12, s22, v6
	s_and_b32 s1, s15, s12
	s_delay_alu instid0(SALU_CYCLE_1)
	s_and_saveexec_b32 s0, s1
	s_cbranch_execz .LBB504_8
; %bb.7:
	global_load_u16 v6, v[3:4], off offset:384
	s_waitcnt vmcnt(0)
	v_lshlrev_b32_e32 v11, 16, v6
.LBB504_8:
	s_or_b32 exec_lo, exec_lo, s0
	v_add_nc_u32_e32 v6, 0x100, v2
	v_dual_mov_b32 v12, 0xff800000 :: v_dual_mov_b32 v19, 0xff800000
	s_delay_alu instid0(VALU_DEP_2) | instskip(NEXT) | instid1(VALU_DEP_1)
	v_cmp_gt_i32_e64 s11, s22, v6
	s_and_b32 s1, s15, s11
	s_delay_alu instid0(SALU_CYCLE_1)
	s_and_saveexec_b32 s0, s1
	s_cbranch_execz .LBB504_10
; %bb.9:
	global_load_u16 v6, v[3:4], off offset:512
	s_waitcnt vmcnt(0)
	v_lshlrev_b32_e32 v19, 16, v6
.LBB504_10:
	;; [unrolled: 27-line block ×7, first 2 shown]
	s_or_b32 exec_lo, exec_lo, s0
	v_add_nc_u32_e32 v2, 0x3c0, v2
	s_delay_alu instid0(VALU_DEP_1) | instskip(NEXT) | instid1(VALU_DEP_1)
	v_cmp_gt_i32_e64 s0, s22, v2
	s_and_b32 s18, s15, s0
	s_delay_alu instid0(SALU_CYCLE_1)
	s_and_saveexec_b32 s15, s18
	s_cbranch_execz .LBB504_32
; %bb.31:
	global_load_u16 v2, v[3:4], off offset:1920
	s_waitcnt vmcnt(0)
	v_lshlrev_b32_e32 v17, 16, v2
.LBB504_32:
	s_or_b32 exec_lo, exec_lo, s15
	v_cmp_gt_f32_e64 s15, v9, v10
	v_mbcnt_lo_u32_b32 v8, -1, 0
	s_mov_b32 s18, exec_lo
	s_delay_alu instid0(VALU_DEP_2) | instskip(NEXT) | instid1(VALU_DEP_2)
	v_cndmask_b32_e64 v2, v10, v9, s15
	v_or_b32_e32 v3, 32, v8
	v_xor_b32_e32 v27, 1, v8
	s_delay_alu instid0(VALU_DEP_3) | instskip(NEXT) | instid1(VALU_DEP_1)
	v_cmp_gt_f32_e64 s15, v2, v18
	v_cndmask_b32_e64 v2, v18, v2, s15
	s_delay_alu instid0(VALU_DEP_1) | instskip(NEXT) | instid1(VALU_DEP_1)
	v_cmp_gt_f32_e64 s15, v2, v11
	v_cndmask_b32_e64 v2, v11, v2, s15
	s_delay_alu instid0(VALU_DEP_1) | instskip(NEXT) | instid1(VALU_DEP_1)
	;; [unrolled: 3-line block ×11, first 2 shown]
	v_cmp_gt_f32_e64 s15, v2, v16
	v_cndmask_b32_e64 v2, v16, v2, s15
	v_cmp_gt_i32_e64 s15, 64, v3
	s_delay_alu instid0(VALU_DEP_1) | instskip(NEXT) | instid1(VALU_DEP_3)
	v_cndmask_b32_e64 v3, v8, v3, s15
	v_cmp_gt_f32_e64 s15, v2, v24
	s_delay_alu instid0(VALU_DEP_1) | instskip(NEXT) | instid1(VALU_DEP_3)
	v_cndmask_b32_e64 v4, v24, v2, s15
	v_lshlrev_b32_e32 v2, 2, v3
	v_xor_b32_e32 v3, 16, v8
	s_delay_alu instid0(VALU_DEP_3) | instskip(NEXT) | instid1(VALU_DEP_1)
	v_cmp_gt_f32_e64 s15, v4, v17
	v_cndmask_b32_e64 v4, v17, v4, s15
	s_delay_alu instid0(VALU_DEP_3) | instskip(SKIP_2) | instid1(VALU_DEP_1)
	v_cmp_gt_i32_e64 s15, 64, v3
	ds_bpermute_b32 v6, v2, v4
	v_cndmask_b32_e64 v3, v8, v3, s15
	v_lshlrev_b32_e32 v3, 2, v3
	s_waitcnt lgkmcnt(0)
	v_cmp_lt_f32_e64 s15, v4, v6
	s_delay_alu instid0(VALU_DEP_1) | instskip(SKIP_3) | instid1(VALU_DEP_1)
	v_cndmask_b32_e64 v6, v4, v6, s15
	v_xor_b32_e32 v4, 8, v8
	ds_bpermute_b32 v7, v3, v6
	v_cmp_gt_i32_e64 s15, 64, v4
	v_cndmask_b32_e64 v4, v8, v4, s15
	s_delay_alu instid0(VALU_DEP_1) | instskip(SKIP_2) | instid1(VALU_DEP_1)
	v_lshlrev_b32_e32 v4, 2, v4
	s_waitcnt lgkmcnt(0)
	v_cmp_lt_f32_e64 s15, v6, v7
	v_cndmask_b32_e64 v7, v6, v7, s15
	v_xor_b32_e32 v6, 4, v8
	ds_bpermute_b32 v25, v4, v7
	v_cmp_gt_i32_e64 s15, 64, v6
	s_delay_alu instid0(VALU_DEP_1) | instskip(NEXT) | instid1(VALU_DEP_1)
	v_cndmask_b32_e64 v6, v8, v6, s15
	v_lshlrev_b32_e32 v6, 2, v6
	s_waitcnt lgkmcnt(0)
	v_cmp_lt_f32_e64 s15, v7, v25
	s_delay_alu instid0(VALU_DEP_1) | instskip(SKIP_3) | instid1(VALU_DEP_1)
	v_cndmask_b32_e64 v25, v7, v25, s15
	v_xor_b32_e32 v7, 2, v8
	ds_bpermute_b32 v26, v6, v25
	v_cmp_gt_i32_e64 s15, 64, v7
	v_cndmask_b32_e64 v7, v8, v7, s15
	s_delay_alu instid0(VALU_DEP_1) | instskip(SKIP_2) | instid1(VALU_DEP_1)
	v_lshlrev_b32_e32 v7, 2, v7
	s_waitcnt lgkmcnt(0)
	v_cmp_lt_f32_e64 s15, v25, v26
	v_cndmask_b32_e64 v25, v25, v26, s15
	v_cmp_gt_i32_e64 s15, 64, v27
	ds_bpermute_b32 v26, v7, v25
	v_cndmask_b32_e64 v8, v8, v27, s15
	s_delay_alu instid0(VALU_DEP_1) | instskip(SKIP_2) | instid1(VALU_DEP_1)
	v_lshlrev_b32_e32 v8, 2, v8
	s_waitcnt lgkmcnt(0)
	v_cmp_lt_f32_e64 s15, v25, v26
	v_cndmask_b32_e64 v25, v25, v26, s15
	ds_bpermute_b32 v26, v8, v25
	s_waitcnt lgkmcnt(0)
	v_cmp_lt_f32_e64 s15, v25, v26
	s_delay_alu instid0(VALU_DEP_1) | instskip(NEXT) | instid1(VALU_DEP_1)
	v_cndmask_b32_e64 v25, v25, v26, s15
	v_sub_f32_e32 v13, v13, v25
	v_sub_f32_e32 v10, v10, v25
	v_sub_f32_e32 v9, v9, v25
	v_sub_f32_e32 v18, v18, v25
	v_sub_f32_e32 v19, v19, v25
	v_sub_f32_e32 v12, v12, v25
	v_sub_f32_e32 v26, v20, v25
	v_sub_f32_e32 v27, v21, v25
	v_dual_sub_f32 v31, v16, v25 :: v_dual_mul_f32 v16, 0x3fb8aa3b, v10
	v_sub_f32_e32 v28, v22, v25
	v_sub_f32_e32 v11, v11, v25
	s_delay_alu instid0(VALU_DEP_4) | instskip(SKIP_1) | instid1(VALU_DEP_4)
	v_mul_f32_e32 v33, 0x3fb8aa3b, v27
	v_sub_f32_e32 v29, v15, v25
	v_dual_sub_f32 v30, v23, v25 :: v_dual_mul_f32 v35, 0x3fb8aa3b, v28
	v_dual_sub_f32 v32, v24, v25 :: v_dual_mul_f32 v21, 0x3fb8aa3b, v19
	;; [unrolled: 1-line block ×3, first 2 shown]
	v_sub_f32_e32 v25, v17, v25
	v_dual_mul_f32 v17, 0x3fb8aa3b, v18 :: v_dual_mul_f32 v22, 0x3fb8aa3b, v12
	s_delay_alu instid0(VALU_DEP_3)
	v_dual_mul_f32 v34, 0x3fb8aa3b, v14 :: v_dual_mul_f32 v15, 0x3fb8aa3b, v9
	v_mul_f32_e32 v38, 0x3fb8aa3b, v31
	v_mul_f32_e32 v20, 0x3fb8aa3b, v11
	v_fma_f32 v43, 0x3fb8aa3b, v10, -v16
	v_rndne_f32_e32 v44, v16
	v_fma_f32 v41, 0x3fb8aa3b, v9, -v15
	v_rndne_f32_e32 v42, v15
	v_mul_f32_e32 v36, 0x3fb8aa3b, v29
	v_fma_f32 v45, 0x3fb8aa3b, v18, -v17
	v_rndne_f32_e32 v46, v17
	v_dual_fmac_f32 v41, 0x32a5705f, v9 :: v_dual_sub_f32 v16, v16, v44
	v_sub_f32_e32 v15, v15, v42
	v_rndne_f32_e32 v48, v20
	v_fma_f32 v51, 0x3fb8aa3b, v12, -v22
	v_fmac_f32_e32 v43, 0x32a5705f, v10
	v_mul_f32_e32 v37, 0x3fb8aa3b, v30
	v_add_f32_e32 v15, v15, v41
	v_dual_mul_f32 v24, 0x3fb8aa3b, v13 :: v_dual_mul_f32 v39, 0x3fb8aa3b, v32
	v_dual_mul_f32 v40, 0x3fb8aa3b, v25 :: v_dual_sub_f32 v17, v17, v46
	v_fma_f32 v47, 0x3fb8aa3b, v11, -v20
	v_rndne_f32_e32 v52, v22
	v_dual_fmac_f32 v45, 0x32a5705f, v18 :: v_dual_sub_f32 v20, v20, v48
	v_dual_fmac_f32 v51, 0x32a5705f, v12 :: v_dual_add_f32 v16, v16, v43
	v_exp_f32_e32 v15, v15
	v_fma_f32 v55, 0x3fb8aa3b, v13, -v24
	v_rndne_f32_e32 v56, v24
	v_cvt_i32_f32_e32 v42, v42
	v_dual_sub_f32 v22, v22, v52 :: v_dual_add_f32 v17, v17, v45
	v_exp_f32_e32 v16, v16
	v_fma_f32 v53, 0x3fb8aa3b, v26, -v23
	v_rndne_f32_e32 v54, v23
	v_fma_f32 v59, 0x3fb8aa3b, v14, -v34
	v_cvt_i32_f32_e32 v44, v44
	v_dual_fmac_f32 v47, 0x32a5705f, v11 :: v_dual_sub_f32 v24, v24, v56
	v_fmac_f32_e32 v55, 0x32a5705f, v13
	v_exp_f32_e32 v17, v17
	v_ldexp_f32 v15, v15, v42
	s_delay_alu instid0(VALU_DEP_3)
	v_add_f32_e32 v20, v20, v47
	v_cmp_ngt_f32_e64 s15, 0xc2ce8ed0, v9
	v_rndne_f32_e32 v68, v38
	v_rndne_f32_e32 v72, v40
	v_cvt_i32_f32_e32 v46, v46
	v_fmac_f32_e32 v53, 0x32a5705f, v26
	v_sub_f32_e32 v23, v23, v54
	v_dual_fmac_f32 v59, 0x32a5705f, v14 :: v_dual_add_f32 v24, v24, v55
	v_ldexp_f32 v16, v16, v44
	v_cndmask_b32_e64 v15, 0, v15, s15
	v_cmp_ngt_f32_e64 s15, 0xc2ce8ed0, v10
	v_fma_f32 v49, 0x3fb8aa3b, v19, -v21
	v_rndne_f32_e32 v50, v21
	v_fma_f32 v67, 0x3fb8aa3b, v31, -v38
	v_fma_f32 v71, 0x3fb8aa3b, v25, -v40
	v_sub_f32_e32 v38, v38, v68
	v_dual_sub_f32 v40, v40, v72 :: v_dual_add_f32 v23, v23, v53
	v_exp_f32_e32 v24, v24
	v_ldexp_f32 v17, v17, v46
	v_cndmask_b32_e64 v16, 0, v16, s15
	v_cmp_ngt_f32_e64 s15, 0xc2ce8ed0, v18
	v_rndne_f32_e32 v58, v33
	v_rndne_f32_e32 v60, v34
	;; [unrolled: 1-line block ×3, first 2 shown]
	v_fmac_f32_e32 v49, 0x32a5705f, v19
	v_sub_f32_e32 v21, v21, v50
	v_cvt_i32_f32_e32 v56, v56
	v_exp_f32_e32 v20, v20
	v_exp_f32_e32 v23, v23
	v_cndmask_b32_e64 v17, 0, v17, s15
	v_cmp_nlt_f32_e64 s15, 0x42b17218, v9
	v_fma_f32 v57, 0x3fb8aa3b, v27, -v33
	v_fma_f32 v63, 0x3fb8aa3b, v29, -v36
	v_sub_f32_e32 v36, v36, v64
	v_cvt_i32_f32_e32 v48, v48
	v_cvt_i32_f32_e32 v54, v54
	v_dual_sub_f32 v33, v33, v58 :: v_dual_add_f32 v22, v22, v51
	v_dual_sub_f32 v34, v34, v60 :: v_dual_add_f32 v21, v21, v49
	v_ldexp_f32 v43, v24, v56
	v_cndmask_b32_e64 v24, 0x7f800000, v15, s15
	v_cmp_nlt_f32_e64 s15, 0x42b17218, v10
	v_exp_f32_e32 v22, v22
	v_exp_f32_e32 v21, v21
	v_ldexp_f32 v20, v20, v48
	v_ldexp_f32 v42, v23, v54
	v_cndmask_b32_e64 v23, 0x7f800000, v16, s15
	v_cmp_ngt_f32_e64 s15, 0xc2ce8ed0, v11
	v_cvt_i32_f32_e32 v50, v50
	v_cvt_i32_f32_e32 v52, v52
	v_rndne_f32_e32 v66, v37
	v_fma_f32 v65, 0x3fb8aa3b, v30, -v37
	v_cndmask_b32_e64 v9, 0, v20, s15
	v_cmp_nlt_f32_e64 s15, 0x42b17218, v18
	v_ldexp_f32 v21, v21, v50
	v_ldexp_f32 v41, v22, v52
	v_dual_sub_f32 v37, v37, v66 :: v_dual_add_f32 v10, v24, v23
	s_delay_alu instid0(VALU_DEP_4)
	v_cndmask_b32_e64 v22, 0x7f800000, v17, s15
	v_cmp_ngt_f32_e64 s15, 0xc2ce8ed0, v19
	v_fmac_f32_e32 v57, 0x32a5705f, v27
	v_fma_f32 v61, 0x3fb8aa3b, v28, -v35
	v_rndne_f32_e32 v62, v35
	v_cvt_i32_f32_e32 v58, v58
	v_cndmask_b32_e64 v15, 0, v21, s15
	v_cmp_nlt_f32_e64 s15, 0x42b17218, v11
	v_add_f32_e32 v33, v33, v57
	v_dual_fmac_f32 v61, 0x32a5705f, v28 :: v_dual_add_f32 v34, v34, v59
	v_fmac_f32_e32 v67, 0x32a5705f, v31
	s_delay_alu instid0(VALU_DEP_4) | instskip(SKIP_4) | instid1(VALU_DEP_3)
	v_cndmask_b32_e64 v21, 0x7f800000, v9, s15
	v_cmp_ngt_f32_e64 s15, 0xc2ce8ed0, v12
	v_add_f32_e32 v9, v10, v22
	v_exp_f32_e32 v33, v33
	v_dual_fmac_f32 v63, 0x32a5705f, v29 :: v_dual_add_f32 v38, v38, v67
	v_cndmask_b32_e64 v10, 0, v41, s15
	v_cmp_nlt_f32_e64 s15, 0x42b17218, v19
	s_delay_alu instid0(VALU_DEP_3) | instskip(SKIP_2) | instid1(VALU_DEP_3)
	v_dual_sub_f32 v35, v35, v62 :: v_dual_add_f32 v36, v36, v63
	v_exp_f32_e32 v34, v34
	v_cvt_i32_f32_e32 v60, v60
	v_cndmask_b32_e64 v20, 0x7f800000, v15, s15
	v_cmp_ngt_f32_e64 s15, 0xc2ce8ed0, v26
	s_delay_alu instid0(TRANS32_DEP_2)
	v_ldexp_f32 v33, v33, v58
	v_add_f32_e32 v35, v35, v61
	v_cvt_i32_f32_e32 v62, v62
	v_fmac_f32_e32 v71, 0x32a5705f, v25
	v_cndmask_b32_e64 v11, 0, v42, s15
	v_cmp_nlt_f32_e64 s15, 0x42b17218, v12
	v_exp_f32_e32 v35, v35
	v_ldexp_f32 v34, v34, v60
	v_dual_fmac_f32 v65, 0x32a5705f, v30 :: v_dual_add_f32 v40, v40, v71
	s_delay_alu instid0(VALU_DEP_3)
	v_cndmask_b32_e64 v19, 0x7f800000, v10, s15
	v_cmp_ngt_f32_e64 s15, 0xc2ce8ed0, v13
	v_exp_f32_e32 v36, v36
	v_cvt_i32_f32_e32 v64, v64
	v_add_f32_e32 v37, v37, v65
	v_add_f32_e32 v9, v9, v21
	v_cndmask_b32_e64 v10, 0, v43, s15
	v_cmp_nlt_f32_e64 s15, 0x42b17218, v26
	v_ldexp_f32 v35, v35, v62
	v_exp_f32_e32 v37, v37
	v_fma_f32 v69, 0x3fb8aa3b, v32, -v39
	v_rndne_f32_e32 v70, v39
	v_cndmask_b32_e64 v18, 0x7f800000, v11, s15
	v_cmp_ngt_f32_e64 s15, 0xc2ce8ed0, v27
	v_ldexp_f32 v36, v36, v64
	v_cvt_i32_f32_e32 v66, v66
	v_add_f32_e32 v9, v9, v20
	v_fmac_f32_e32 v69, 0x32a5705f, v32
	v_cndmask_b32_e64 v11, 0, v33, s15
	v_cmp_nlt_f32_e64 s15, 0x42b17218, v13
	v_sub_f32_e32 v39, v39, v70
	v_exp_f32_e32 v38, v38
	v_ldexp_f32 v37, v37, v66
	v_add_f32_e32 v9, v9, v19
	v_cndmask_b32_e64 v17, 0x7f800000, v10, s15
	v_cmp_ngt_f32_e64 s15, 0xc2ce8ed0, v14
	v_cvt_i32_f32_e32 v68, v68
	v_add_f32_e32 v39, v39, v69
	v_add_f32_e32 v9, v9, v18
	v_cvt_i32_f32_e32 v70, v70
	v_cndmask_b32_e64 v10, 0, v34, s15
	v_cmp_nlt_f32_e64 s15, 0x42b17218, v27
	v_exp_f32_e32 v39, v39
	v_ldexp_f32 v38, v38, v68
	v_add_f32_e32 v9, v9, v17
	v_exp_f32_e32 v40, v40
	v_cndmask_b32_e64 v16, 0x7f800000, v11, s15
	v_cmp_ngt_f32_e64 s15, 0xc2ce8ed0, v28
	v_cvt_i32_f32_e32 v72, v72
	s_delay_alu instid0(VALU_DEP_3) | instskip(NEXT) | instid1(VALU_DEP_3)
	v_add_f32_e32 v9, v9, v16
	v_cndmask_b32_e64 v11, 0, v35, s15
	v_cmp_nlt_f32_e64 s15, 0x42b17218, v14
	v_ldexp_f32 v39, v39, v70
	s_delay_alu instid0(TRANS32_DEP_1) | instskip(NEXT) | instid1(VALU_DEP_3)
	v_ldexp_f32 v27, v40, v72
	v_cndmask_b32_e64 v15, 0x7f800000, v10, s15
	v_cmp_ngt_f32_e64 s15, 0xc2ce8ed0, v29
	s_delay_alu instid0(VALU_DEP_2) | instskip(NEXT) | instid1(VALU_DEP_2)
	v_add_f32_e32 v9, v9, v15
	v_cndmask_b32_e64 v10, 0, v36, s15
	v_cmp_nlt_f32_e64 s15, 0x42b17218, v28
	s_delay_alu instid0(VALU_DEP_1) | instskip(SKIP_1) | instid1(VALU_DEP_2)
	v_cndmask_b32_e64 v14, 0x7f800000, v11, s15
	v_cmp_ngt_f32_e64 s15, 0xc2ce8ed0, v30
	v_add_f32_e32 v9, v9, v14
	s_delay_alu instid0(VALU_DEP_2) | instskip(SKIP_1) | instid1(VALU_DEP_1)
	v_cndmask_b32_e64 v11, 0, v37, s15
	v_cmp_nlt_f32_e64 s15, 0x42b17218, v29
	v_cndmask_b32_e64 v13, 0x7f800000, v10, s15
	v_cmp_ngt_f32_e64 s15, 0xc2ce8ed0, v31
	s_delay_alu instid0(VALU_DEP_2) | instskip(NEXT) | instid1(VALU_DEP_2)
	v_add_f32_e32 v9, v9, v13
	v_cndmask_b32_e64 v10, 0, v38, s15
	v_cmp_nlt_f32_e64 s15, 0x42b17218, v30
	s_delay_alu instid0(VALU_DEP_1) | instskip(SKIP_1) | instid1(VALU_DEP_2)
	v_cndmask_b32_e64 v12, 0x7f800000, v11, s15
	v_cmp_ngt_f32_e64 s15, 0xc2ce8ed0, v32
	v_add_f32_e32 v9, v9, v12
	s_delay_alu instid0(VALU_DEP_2) | instskip(SKIP_1) | instid1(VALU_DEP_1)
	v_cndmask_b32_e64 v26, 0, v39, s15
	v_cmp_nlt_f32_e64 s15, 0x42b17218, v31
	v_cndmask_b32_e64 v11, 0x7f800000, v10, s15
	v_cmp_nlt_f32_e64 s15, 0x42b17218, v32
	s_delay_alu instid0(VALU_DEP_2) | instskip(NEXT) | instid1(VALU_DEP_2)
	v_add_f32_e32 v9, v9, v11
	v_cndmask_b32_e64 v10, 0x7f800000, v26, s15
	v_cmp_ngt_f32_e64 s15, 0xc2ce8ed0, v25
	s_delay_alu instid0(VALU_DEP_1) | instskip(SKIP_1) | instid1(VALU_DEP_4)
	v_cndmask_b32_e64 v26, 0, v27, s15
	v_cmp_nlt_f32_e64 s15, 0x42b17218, v25
	v_add_f32_e32 v27, v9, v10
	s_delay_alu instid0(VALU_DEP_2) | instskip(NEXT) | instid1(VALU_DEP_1)
	v_cndmask_b32_e64 v9, 0x7f800000, v26, s15
	v_add_f32_e32 v25, v27, v9
	ds_bpermute_b32 v2, v2, v25
	s_waitcnt lgkmcnt(0)
	v_add_f32_e32 v2, v25, v2
	ds_bpermute_b32 v3, v3, v2
	s_waitcnt lgkmcnt(0)
	;; [unrolled: 3-line block ×5, first 2 shown]
	v_add_f32_e32 v2, v2, v3
	ds_bpermute_b32 v3, v8, v2
	v_cmpx_lt_i32_e32 0, v5
	s_cbranch_execz .LBB504_50
; %bb.33:
	s_and_b32 exec_lo, exec_lo, vcc_lo
	s_cbranch_execz .LBB504_50
; %bb.34:
	s_waitcnt lgkmcnt(0)
	v_add_f32_e32 v2, v2, v3
	v_lshlrev_b64 v[0:1], 2, v[0:1]
	s_delay_alu instid0(VALU_DEP_2) | instskip(SKIP_1) | instid1(VALU_DEP_2)
	v_div_scale_f32 v3, null, v2, v2, v24
	v_div_scale_f32 v6, vcc_lo, v24, v2, v24
	v_rcp_f32_e32 v4, v3
	s_waitcnt_depctr 0xfff
	v_fma_f32 v5, -v3, v4, 1.0
	s_delay_alu instid0(VALU_DEP_1) | instskip(NEXT) | instid1(VALU_DEP_1)
	v_fmac_f32_e32 v4, v5, v4
	v_mul_f32_e32 v5, v6, v4
	s_delay_alu instid0(VALU_DEP_1) | instskip(NEXT) | instid1(VALU_DEP_1)
	v_fma_f32 v7, -v3, v5, v6
	v_fmac_f32_e32 v5, v7, v4
	v_cmp_eq_f32_e64 s15, 0, v2
	s_delay_alu instid0(VALU_DEP_2) | instskip(NEXT) | instid1(VALU_DEP_1)
	v_fma_f32 v3, -v3, v5, v6
	v_div_fmas_f32 v3, v3, v4, v5
	v_add_co_u32 v0, vcc_lo, s16, v0
	v_add_co_ci_u32_e32 v1, vcc_lo, s17, v1, vcc_lo
	s_delay_alu instid0(VALU_DEP_3) | instskip(NEXT) | instid1(VALU_DEP_1)
	v_div_fixup_f32 v3, v3, v2, v24
	v_cndmask_b32_e64 v3, v3, 0x7fc00000, s15
	global_store_b32 v[0:1], v3, off
	s_and_b32 exec_lo, exec_lo, s14
	s_cbranch_execz .LBB504_50
; %bb.35:
	v_div_scale_f32 v3, null, v2, v2, v23
	s_delay_alu instid0(VALU_DEP_1) | instskip(SKIP_2) | instid1(VALU_DEP_1)
	v_rcp_f32_e32 v4, v3
	s_waitcnt_depctr 0xfff
	v_fma_f32 v5, -v3, v4, 1.0
	v_fmac_f32_e32 v4, v5, v4
	v_div_scale_f32 v5, vcc_lo, v23, v2, v23
	s_delay_alu instid0(VALU_DEP_1) | instskip(NEXT) | instid1(VALU_DEP_1)
	v_mul_f32_e32 v6, v5, v4
	v_fma_f32 v7, -v3, v6, v5
	s_delay_alu instid0(VALU_DEP_1) | instskip(NEXT) | instid1(VALU_DEP_1)
	v_fmac_f32_e32 v6, v7, v4
	v_fma_f32 v3, -v3, v6, v5
	s_delay_alu instid0(VALU_DEP_1) | instskip(NEXT) | instid1(VALU_DEP_1)
	v_div_fmas_f32 v3, v3, v4, v6
	v_div_fixup_f32 v3, v3, v2, v23
	s_delay_alu instid0(VALU_DEP_1)
	v_cndmask_b32_e64 v3, v3, 0x7fc00000, s15
	global_store_b32 v[0:1], v3, off offset:256
	s_and_b32 exec_lo, exec_lo, s13
	s_cbranch_execz .LBB504_50
; %bb.36:
	v_div_scale_f32 v3, null, v2, v2, v22
	s_delay_alu instid0(VALU_DEP_1) | instskip(SKIP_2) | instid1(VALU_DEP_1)
	v_rcp_f32_e32 v4, v3
	s_waitcnt_depctr 0xfff
	v_fma_f32 v5, -v3, v4, 1.0
	v_fmac_f32_e32 v4, v5, v4
	v_div_scale_f32 v5, vcc_lo, v22, v2, v22
	s_delay_alu instid0(VALU_DEP_1) | instskip(NEXT) | instid1(VALU_DEP_1)
	v_mul_f32_e32 v6, v5, v4
	v_fma_f32 v7, -v3, v6, v5
	s_delay_alu instid0(VALU_DEP_1) | instskip(NEXT) | instid1(VALU_DEP_1)
	v_fmac_f32_e32 v6, v7, v4
	v_fma_f32 v3, -v3, v6, v5
	s_delay_alu instid0(VALU_DEP_1) | instskip(NEXT) | instid1(VALU_DEP_1)
	v_div_fmas_f32 v3, v3, v4, v6
	v_div_fixup_f32 v3, v3, v2, v22
	s_delay_alu instid0(VALU_DEP_1)
	v_cndmask_b32_e64 v3, v3, 0x7fc00000, s15
	global_store_b32 v[0:1], v3, off offset:512
	s_and_b32 exec_lo, exec_lo, s12
	s_cbranch_execz .LBB504_50
; %bb.37:
	v_div_scale_f32 v3, null, v2, v2, v21
	s_delay_alu instid0(VALU_DEP_1) | instskip(SKIP_2) | instid1(VALU_DEP_1)
	v_rcp_f32_e32 v4, v3
	s_waitcnt_depctr 0xfff
	v_fma_f32 v5, -v3, v4, 1.0
	v_fmac_f32_e32 v4, v5, v4
	v_div_scale_f32 v5, vcc_lo, v21, v2, v21
	s_delay_alu instid0(VALU_DEP_1) | instskip(NEXT) | instid1(VALU_DEP_1)
	v_mul_f32_e32 v6, v5, v4
	v_fma_f32 v7, -v3, v6, v5
	s_delay_alu instid0(VALU_DEP_1) | instskip(NEXT) | instid1(VALU_DEP_1)
	v_fmac_f32_e32 v6, v7, v4
	v_fma_f32 v3, -v3, v6, v5
	s_delay_alu instid0(VALU_DEP_1) | instskip(NEXT) | instid1(VALU_DEP_1)
	v_div_fmas_f32 v3, v3, v4, v6
	v_div_fixup_f32 v3, v3, v2, v21
	s_delay_alu instid0(VALU_DEP_1)
	v_cndmask_b32_e64 v3, v3, 0x7fc00000, s15
	global_store_b32 v[0:1], v3, off offset:768
	s_and_b32 exec_lo, exec_lo, s11
	s_cbranch_execz .LBB504_50
; %bb.38:
	v_div_scale_f32 v3, null, v2, v2, v20
	s_delay_alu instid0(VALU_DEP_1) | instskip(SKIP_2) | instid1(VALU_DEP_1)
	v_rcp_f32_e32 v4, v3
	s_waitcnt_depctr 0xfff
	v_fma_f32 v5, -v3, v4, 1.0
	v_fmac_f32_e32 v4, v5, v4
	v_div_scale_f32 v5, vcc_lo, v20, v2, v20
	s_delay_alu instid0(VALU_DEP_1) | instskip(NEXT) | instid1(VALU_DEP_1)
	v_mul_f32_e32 v6, v5, v4
	v_fma_f32 v7, -v3, v6, v5
	s_delay_alu instid0(VALU_DEP_1) | instskip(NEXT) | instid1(VALU_DEP_1)
	v_fmac_f32_e32 v6, v7, v4
	v_fma_f32 v3, -v3, v6, v5
	s_delay_alu instid0(VALU_DEP_1) | instskip(NEXT) | instid1(VALU_DEP_1)
	v_div_fmas_f32 v3, v3, v4, v6
	v_div_fixup_f32 v3, v3, v2, v20
	s_delay_alu instid0(VALU_DEP_1)
	v_cndmask_b32_e64 v3, v3, 0x7fc00000, s15
	global_store_b32 v[0:1], v3, off offset:1024
	s_and_b32 exec_lo, exec_lo, s10
	s_cbranch_execz .LBB504_50
; %bb.39:
	v_div_scale_f32 v3, null, v2, v2, v19
	s_delay_alu instid0(VALU_DEP_1) | instskip(SKIP_2) | instid1(VALU_DEP_1)
	v_rcp_f32_e32 v4, v3
	s_waitcnt_depctr 0xfff
	v_fma_f32 v5, -v3, v4, 1.0
	v_fmac_f32_e32 v4, v5, v4
	v_div_scale_f32 v5, vcc_lo, v19, v2, v19
	s_delay_alu instid0(VALU_DEP_1) | instskip(NEXT) | instid1(VALU_DEP_1)
	v_mul_f32_e32 v6, v5, v4
	v_fma_f32 v7, -v3, v6, v5
	s_delay_alu instid0(VALU_DEP_1) | instskip(NEXT) | instid1(VALU_DEP_1)
	v_fmac_f32_e32 v6, v7, v4
	v_fma_f32 v3, -v3, v6, v5
	s_delay_alu instid0(VALU_DEP_1) | instskip(NEXT) | instid1(VALU_DEP_1)
	v_div_fmas_f32 v3, v3, v4, v6
	v_div_fixup_f32 v3, v3, v2, v19
	s_delay_alu instid0(VALU_DEP_1)
	v_cndmask_b32_e64 v3, v3, 0x7fc00000, s15
	global_store_b32 v[0:1], v3, off offset:1280
	s_and_b32 exec_lo, exec_lo, s9
	s_cbranch_execz .LBB504_50
; %bb.40:
	v_div_scale_f32 v3, null, v2, v2, v18
	s_delay_alu instid0(VALU_DEP_1) | instskip(SKIP_2) | instid1(VALU_DEP_1)
	v_rcp_f32_e32 v4, v3
	s_waitcnt_depctr 0xfff
	v_fma_f32 v5, -v3, v4, 1.0
	v_fmac_f32_e32 v4, v5, v4
	v_div_scale_f32 v5, vcc_lo, v18, v2, v18
	s_delay_alu instid0(VALU_DEP_1) | instskip(NEXT) | instid1(VALU_DEP_1)
	v_mul_f32_e32 v6, v5, v4
	v_fma_f32 v7, -v3, v6, v5
	s_delay_alu instid0(VALU_DEP_1) | instskip(NEXT) | instid1(VALU_DEP_1)
	v_fmac_f32_e32 v6, v7, v4
	v_fma_f32 v3, -v3, v6, v5
	s_delay_alu instid0(VALU_DEP_1) | instskip(NEXT) | instid1(VALU_DEP_1)
	v_div_fmas_f32 v3, v3, v4, v6
	v_div_fixup_f32 v3, v3, v2, v18
	s_delay_alu instid0(VALU_DEP_1)
	v_cndmask_b32_e64 v3, v3, 0x7fc00000, s15
	global_store_b32 v[0:1], v3, off offset:1536
	s_and_b32 exec_lo, exec_lo, s8
	s_cbranch_execz .LBB504_50
; %bb.41:
	v_div_scale_f32 v3, null, v2, v2, v17
	s_delay_alu instid0(VALU_DEP_1) | instskip(SKIP_2) | instid1(VALU_DEP_1)
	v_rcp_f32_e32 v4, v3
	s_waitcnt_depctr 0xfff
	v_fma_f32 v5, -v3, v4, 1.0
	v_fmac_f32_e32 v4, v5, v4
	v_div_scale_f32 v5, vcc_lo, v17, v2, v17
	s_delay_alu instid0(VALU_DEP_1) | instskip(NEXT) | instid1(VALU_DEP_1)
	v_mul_f32_e32 v6, v5, v4
	v_fma_f32 v7, -v3, v6, v5
	s_delay_alu instid0(VALU_DEP_1) | instskip(NEXT) | instid1(VALU_DEP_1)
	v_fmac_f32_e32 v6, v7, v4
	v_fma_f32 v3, -v3, v6, v5
	s_delay_alu instid0(VALU_DEP_1) | instskip(NEXT) | instid1(VALU_DEP_1)
	v_div_fmas_f32 v3, v3, v4, v6
	v_div_fixup_f32 v3, v3, v2, v17
	s_delay_alu instid0(VALU_DEP_1)
	v_cndmask_b32_e64 v3, v3, 0x7fc00000, s15
	global_store_b32 v[0:1], v3, off offset:1792
	s_and_b32 exec_lo, exec_lo, s7
	s_cbranch_execz .LBB504_50
; %bb.42:
	v_div_scale_f32 v3, null, v2, v2, v16
	s_delay_alu instid0(VALU_DEP_1) | instskip(SKIP_2) | instid1(VALU_DEP_1)
	v_rcp_f32_e32 v4, v3
	s_waitcnt_depctr 0xfff
	v_fma_f32 v5, -v3, v4, 1.0
	v_fmac_f32_e32 v4, v5, v4
	v_div_scale_f32 v5, vcc_lo, v16, v2, v16
	s_delay_alu instid0(VALU_DEP_1) | instskip(NEXT) | instid1(VALU_DEP_1)
	v_mul_f32_e32 v6, v5, v4
	v_fma_f32 v7, -v3, v6, v5
	s_delay_alu instid0(VALU_DEP_1) | instskip(NEXT) | instid1(VALU_DEP_1)
	v_fmac_f32_e32 v6, v7, v4
	v_fma_f32 v3, -v3, v6, v5
	s_delay_alu instid0(VALU_DEP_1) | instskip(NEXT) | instid1(VALU_DEP_1)
	v_div_fmas_f32 v3, v3, v4, v6
	v_div_fixup_f32 v3, v3, v2, v16
	s_delay_alu instid0(VALU_DEP_1)
	v_cndmask_b32_e64 v3, v3, 0x7fc00000, s15
	global_store_b32 v[0:1], v3, off offset:2048
	s_and_b32 exec_lo, exec_lo, s6
	s_cbranch_execz .LBB504_50
; %bb.43:
	v_div_scale_f32 v3, null, v2, v2, v15
	s_delay_alu instid0(VALU_DEP_1) | instskip(SKIP_2) | instid1(VALU_DEP_1)
	v_rcp_f32_e32 v4, v3
	s_waitcnt_depctr 0xfff
	v_fma_f32 v5, -v3, v4, 1.0
	v_fmac_f32_e32 v4, v5, v4
	v_div_scale_f32 v5, vcc_lo, v15, v2, v15
	s_delay_alu instid0(VALU_DEP_1) | instskip(NEXT) | instid1(VALU_DEP_1)
	v_mul_f32_e32 v6, v5, v4
	v_fma_f32 v7, -v3, v6, v5
	s_delay_alu instid0(VALU_DEP_1) | instskip(NEXT) | instid1(VALU_DEP_1)
	v_fmac_f32_e32 v6, v7, v4
	v_fma_f32 v3, -v3, v6, v5
	s_delay_alu instid0(VALU_DEP_1) | instskip(NEXT) | instid1(VALU_DEP_1)
	v_div_fmas_f32 v3, v3, v4, v6
	v_div_fixup_f32 v3, v3, v2, v15
	s_delay_alu instid0(VALU_DEP_1)
	v_cndmask_b32_e64 v3, v3, 0x7fc00000, s15
	global_store_b32 v[0:1], v3, off offset:2304
	s_and_b32 exec_lo, exec_lo, s5
	s_cbranch_execz .LBB504_50
; %bb.44:
	v_div_scale_f32 v3, null, v2, v2, v14
	s_delay_alu instid0(VALU_DEP_1) | instskip(SKIP_2) | instid1(VALU_DEP_1)
	v_rcp_f32_e32 v4, v3
	s_waitcnt_depctr 0xfff
	v_fma_f32 v5, -v3, v4, 1.0
	v_fmac_f32_e32 v4, v5, v4
	v_div_scale_f32 v5, vcc_lo, v14, v2, v14
	s_delay_alu instid0(VALU_DEP_1) | instskip(NEXT) | instid1(VALU_DEP_1)
	v_mul_f32_e32 v6, v5, v4
	v_fma_f32 v7, -v3, v6, v5
	s_delay_alu instid0(VALU_DEP_1) | instskip(NEXT) | instid1(VALU_DEP_1)
	v_fmac_f32_e32 v6, v7, v4
	v_fma_f32 v3, -v3, v6, v5
	s_delay_alu instid0(VALU_DEP_1) | instskip(NEXT) | instid1(VALU_DEP_1)
	v_div_fmas_f32 v3, v3, v4, v6
	v_div_fixup_f32 v3, v3, v2, v14
	s_delay_alu instid0(VALU_DEP_1)
	v_cndmask_b32_e64 v3, v3, 0x7fc00000, s15
	global_store_b32 v[0:1], v3, off offset:2560
	s_and_b32 exec_lo, exec_lo, s4
	s_cbranch_execz .LBB504_50
; %bb.45:
	v_div_scale_f32 v3, null, v2, v2, v13
	s_delay_alu instid0(VALU_DEP_1) | instskip(SKIP_2) | instid1(VALU_DEP_1)
	v_rcp_f32_e32 v4, v3
	s_waitcnt_depctr 0xfff
	v_fma_f32 v5, -v3, v4, 1.0
	v_fmac_f32_e32 v4, v5, v4
	v_div_scale_f32 v5, vcc_lo, v13, v2, v13
	s_delay_alu instid0(VALU_DEP_1) | instskip(NEXT) | instid1(VALU_DEP_1)
	v_mul_f32_e32 v6, v5, v4
	v_fma_f32 v7, -v3, v6, v5
	s_delay_alu instid0(VALU_DEP_1) | instskip(NEXT) | instid1(VALU_DEP_1)
	v_fmac_f32_e32 v6, v7, v4
	v_fma_f32 v3, -v3, v6, v5
	s_delay_alu instid0(VALU_DEP_1) | instskip(NEXT) | instid1(VALU_DEP_1)
	v_div_fmas_f32 v3, v3, v4, v6
	v_div_fixup_f32 v3, v3, v2, v13
	s_delay_alu instid0(VALU_DEP_1)
	v_cndmask_b32_e64 v3, v3, 0x7fc00000, s15
	global_store_b32 v[0:1], v3, off offset:2816
	s_and_b32 exec_lo, exec_lo, s3
	s_cbranch_execz .LBB504_50
; %bb.46:
	v_div_scale_f32 v3, null, v2, v2, v12
	s_delay_alu instid0(VALU_DEP_1) | instskip(SKIP_2) | instid1(VALU_DEP_1)
	v_rcp_f32_e32 v4, v3
	s_waitcnt_depctr 0xfff
	v_fma_f32 v5, -v3, v4, 1.0
	v_fmac_f32_e32 v4, v5, v4
	v_div_scale_f32 v5, vcc_lo, v12, v2, v12
	s_delay_alu instid0(VALU_DEP_1) | instskip(NEXT) | instid1(VALU_DEP_1)
	v_mul_f32_e32 v6, v5, v4
	v_fma_f32 v7, -v3, v6, v5
	s_delay_alu instid0(VALU_DEP_1) | instskip(NEXT) | instid1(VALU_DEP_1)
	v_fmac_f32_e32 v6, v7, v4
	v_fma_f32 v3, -v3, v6, v5
	s_delay_alu instid0(VALU_DEP_1) | instskip(NEXT) | instid1(VALU_DEP_1)
	v_div_fmas_f32 v3, v3, v4, v6
	v_div_fixup_f32 v3, v3, v2, v12
	s_delay_alu instid0(VALU_DEP_1)
	v_cndmask_b32_e64 v3, v3, 0x7fc00000, s15
	global_store_b32 v[0:1], v3, off offset:3072
	s_and_b32 exec_lo, exec_lo, s2
	s_cbranch_execz .LBB504_50
; %bb.47:
	v_div_scale_f32 v3, null, v2, v2, v11
	s_delay_alu instid0(VALU_DEP_1) | instskip(SKIP_2) | instid1(VALU_DEP_1)
	v_rcp_f32_e32 v4, v3
	s_waitcnt_depctr 0xfff
	v_fma_f32 v5, -v3, v4, 1.0
	v_fmac_f32_e32 v4, v5, v4
	v_div_scale_f32 v5, vcc_lo, v11, v2, v11
	s_delay_alu instid0(VALU_DEP_1) | instskip(NEXT) | instid1(VALU_DEP_1)
	v_mul_f32_e32 v6, v5, v4
	v_fma_f32 v7, -v3, v6, v5
	s_delay_alu instid0(VALU_DEP_1) | instskip(NEXT) | instid1(VALU_DEP_1)
	v_fmac_f32_e32 v6, v7, v4
	v_fma_f32 v3, -v3, v6, v5
	s_delay_alu instid0(VALU_DEP_1) | instskip(NEXT) | instid1(VALU_DEP_1)
	v_div_fmas_f32 v3, v3, v4, v6
	v_div_fixup_f32 v3, v3, v2, v11
	s_delay_alu instid0(VALU_DEP_1)
	v_cndmask_b32_e64 v3, v3, 0x7fc00000, s15
	global_store_b32 v[0:1], v3, off offset:3328
	s_and_b32 exec_lo, exec_lo, s1
	s_cbranch_execz .LBB504_50
; %bb.48:
	v_div_scale_f32 v3, null, v2, v2, v10
	s_delay_alu instid0(VALU_DEP_1) | instskip(SKIP_2) | instid1(VALU_DEP_1)
	v_rcp_f32_e32 v4, v3
	s_waitcnt_depctr 0xfff
	v_fma_f32 v5, -v3, v4, 1.0
	v_fmac_f32_e32 v4, v5, v4
	v_div_scale_f32 v5, vcc_lo, v10, v2, v10
	s_delay_alu instid0(VALU_DEP_1) | instskip(NEXT) | instid1(VALU_DEP_1)
	v_mul_f32_e32 v6, v5, v4
	v_fma_f32 v7, -v3, v6, v5
	s_delay_alu instid0(VALU_DEP_1) | instskip(NEXT) | instid1(VALU_DEP_1)
	v_fmac_f32_e32 v6, v7, v4
	v_fma_f32 v3, -v3, v6, v5
	s_delay_alu instid0(VALU_DEP_1) | instskip(NEXT) | instid1(VALU_DEP_1)
	v_div_fmas_f32 v3, v3, v4, v6
	v_div_fixup_f32 v3, v3, v2, v10
	s_delay_alu instid0(VALU_DEP_1)
	v_cndmask_b32_e64 v3, v3, 0x7fc00000, s15
	global_store_b32 v[0:1], v3, off offset:3584
	s_and_b32 exec_lo, exec_lo, s0
	s_cbranch_execz .LBB504_50
; %bb.49:
	v_div_scale_f32 v3, null, v2, v2, v9
	s_delay_alu instid0(VALU_DEP_1) | instskip(SKIP_2) | instid1(VALU_DEP_1)
	v_rcp_f32_e32 v4, v3
	s_waitcnt_depctr 0xfff
	v_fma_f32 v5, -v3, v4, 1.0
	v_fmac_f32_e32 v4, v5, v4
	v_div_scale_f32 v5, vcc_lo, v9, v2, v9
	s_delay_alu instid0(VALU_DEP_1) | instskip(NEXT) | instid1(VALU_DEP_1)
	v_mul_f32_e32 v6, v5, v4
	v_fma_f32 v7, -v3, v6, v5
	s_delay_alu instid0(VALU_DEP_1) | instskip(NEXT) | instid1(VALU_DEP_1)
	v_fmac_f32_e32 v6, v7, v4
	v_fma_f32 v3, -v3, v6, v5
	s_delay_alu instid0(VALU_DEP_1) | instskip(NEXT) | instid1(VALU_DEP_1)
	v_div_fmas_f32 v3, v3, v4, v6
	v_div_fixup_f32 v2, v3, v2, v9
	s_delay_alu instid0(VALU_DEP_1)
	v_cndmask_b32_e64 v2, v2, 0x7fc00000, s15
	global_store_b32 v[0:1], v2, off offset:3840
.LBB504_50:
	s_nop 0
	s_sendmsg sendmsg(MSG_DEALLOC_VGPRS)
	s_endpgm
	.section	.rodata,"a",@progbits
	.p2align	6, 0x0
	.amdhsa_kernel _ZN12_GLOBAL__N_120softmax_warp_forwardIN3c108BFloat16EffLi10ELb0ELb0ELi64EEEvPT0_PKT_iiiPKbib
		.amdhsa_group_segment_fixed_size 0
		.amdhsa_private_segment_fixed_size 0
		.amdhsa_kernarg_size 304
		.amdhsa_user_sgpr_count 15
		.amdhsa_user_sgpr_dispatch_ptr 0
		.amdhsa_user_sgpr_queue_ptr 0
		.amdhsa_user_sgpr_kernarg_segment_ptr 1
		.amdhsa_user_sgpr_dispatch_id 0
		.amdhsa_user_sgpr_private_segment_size 0
		.amdhsa_wavefront_size32 1
		.amdhsa_uses_dynamic_stack 0
		.amdhsa_enable_private_segment 0
		.amdhsa_system_sgpr_workgroup_id_x 1
		.amdhsa_system_sgpr_workgroup_id_y 0
		.amdhsa_system_sgpr_workgroup_id_z 0
		.amdhsa_system_sgpr_workgroup_info 0
		.amdhsa_system_vgpr_workitem_id 1
		.amdhsa_next_free_vgpr 73
		.amdhsa_next_free_sgpr 24
		.amdhsa_reserve_vcc 1
		.amdhsa_float_round_mode_32 0
		.amdhsa_float_round_mode_16_64 0
		.amdhsa_float_denorm_mode_32 3
		.amdhsa_float_denorm_mode_16_64 3
		.amdhsa_dx10_clamp 1
		.amdhsa_ieee_mode 1
		.amdhsa_fp16_overflow 0
		.amdhsa_workgroup_processor_mode 1
		.amdhsa_memory_ordered 1
		.amdhsa_forward_progress 0
		.amdhsa_shared_vgpr_count 0
		.amdhsa_exception_fp_ieee_invalid_op 0
		.amdhsa_exception_fp_denorm_src 0
		.amdhsa_exception_fp_ieee_div_zero 0
		.amdhsa_exception_fp_ieee_overflow 0
		.amdhsa_exception_fp_ieee_underflow 0
		.amdhsa_exception_fp_ieee_inexact 0
		.amdhsa_exception_int_div_zero 0
	.end_amdhsa_kernel
	.section	.text._ZN12_GLOBAL__N_120softmax_warp_forwardIN3c108BFloat16EffLi10ELb0ELb0ELi64EEEvPT0_PKT_iiiPKbib,"axG",@progbits,_ZN12_GLOBAL__N_120softmax_warp_forwardIN3c108BFloat16EffLi10ELb0ELb0ELi64EEEvPT0_PKT_iiiPKbib,comdat
.Lfunc_end504:
	.size	_ZN12_GLOBAL__N_120softmax_warp_forwardIN3c108BFloat16EffLi10ELb0ELb0ELi64EEEvPT0_PKT_iiiPKbib, .Lfunc_end504-_ZN12_GLOBAL__N_120softmax_warp_forwardIN3c108BFloat16EffLi10ELb0ELb0ELi64EEEvPT0_PKT_iiiPKbib
                                        ; -- End function
	.section	.AMDGPU.csdata,"",@progbits
; Kernel info:
; codeLenInByte = 5664
; NumSgprs: 26
; NumVgprs: 73
; ScratchSize: 0
; MemoryBound: 0
; FloatMode: 240
; IeeeMode: 1
; LDSByteSize: 0 bytes/workgroup (compile time only)
; SGPRBlocks: 3
; VGPRBlocks: 9
; NumSGPRsForWavesPerEU: 26
; NumVGPRsForWavesPerEU: 73
; Occupancy: 16
; WaveLimiterHint : 0
; COMPUTE_PGM_RSRC2:SCRATCH_EN: 0
; COMPUTE_PGM_RSRC2:USER_SGPR: 15
; COMPUTE_PGM_RSRC2:TRAP_HANDLER: 0
; COMPUTE_PGM_RSRC2:TGID_X_EN: 1
; COMPUTE_PGM_RSRC2:TGID_Y_EN: 0
; COMPUTE_PGM_RSRC2:TGID_Z_EN: 0
; COMPUTE_PGM_RSRC2:TIDIG_COMP_CNT: 1
	.section	.text._ZN12_GLOBAL__N_120softmax_warp_forwardIN3c108BFloat16EffLi10ELb0ELb0ELi32EEEvPT0_PKT_iiiPKbib,"axG",@progbits,_ZN12_GLOBAL__N_120softmax_warp_forwardIN3c108BFloat16EffLi10ELb0ELb0ELi32EEEvPT0_PKT_iiiPKbib,comdat
	.globl	_ZN12_GLOBAL__N_120softmax_warp_forwardIN3c108BFloat16EffLi10ELb0ELb0ELi32EEEvPT0_PKT_iiiPKbib ; -- Begin function _ZN12_GLOBAL__N_120softmax_warp_forwardIN3c108BFloat16EffLi10ELb0ELb0ELi32EEEvPT0_PKT_iiiPKbib
	.p2align	8
	.type	_ZN12_GLOBAL__N_120softmax_warp_forwardIN3c108BFloat16EffLi10ELb0ELb0ELi32EEEvPT0_PKT_iiiPKbib,@function
_ZN12_GLOBAL__N_120softmax_warp_forwardIN3c108BFloat16EffLi10ELb0ELb0ELi32EEEvPT0_PKT_iiiPKbib: ; @_ZN12_GLOBAL__N_120softmax_warp_forwardIN3c108BFloat16EffLi10ELb0ELb0ELi32EEEvPT0_PKT_iiiPKbib
; %bb.0:
	s_clause 0x1
	s_load_b32 s2, s[0:1], 0x3c
	s_load_b256 s[36:43], s[0:1], 0x0
	v_bfe_u32 v1, v0, 10, 10
	v_mov_b32_e32 v18, 0xff800000
	v_mov_b32_e32 v26, 0xff800000
	s_waitcnt lgkmcnt(0)
	s_lshr_b32 s0, s2, 16
	s_delay_alu instid0(SALU_CYCLE_1) | instskip(SKIP_1) | instid1(VALU_DEP_1)
	v_mad_u64_u32 v[3:4], null, s15, s0, v[1:2]
	v_and_b32_e32 v2, 0x3ff, v0
	v_cmp_gt_i32_e32 vcc_lo, s42, v2
	s_delay_alu instid0(VALU_DEP_3) | instskip(SKIP_1) | instid1(VALU_DEP_1)
	v_mad_u64_u32 v[0:1], null, v3, s41, v[2:3]
	v_sub_nc_u32_e32 v5, s40, v3
	v_cmp_lt_i32_e64 s31, 0, v5
	s_delay_alu instid0(VALU_DEP_3) | instskip(NEXT) | instid1(VALU_DEP_2)
	v_ashrrev_i32_e32 v1, 31, v0
	s_and_b32 s1, s31, vcc_lo
	s_delay_alu instid0(VALU_DEP_1) | instskip(NEXT) | instid1(VALU_DEP_1)
	v_lshlrev_b64 v[3:4], 1, v[0:1]
	v_add_co_u32 v3, s0, s38, v3
	s_delay_alu instid0(VALU_DEP_1)
	v_add_co_ci_u32_e64 v4, s0, s39, v4, s0
	s_and_saveexec_b32 s0, s1
	s_cbranch_execz .LBB505_2
; %bb.1:
	global_load_u16 v6, v[3:4], off
	s_waitcnt vmcnt(0)
	v_lshlrev_b32_e32 v26, 16, v6
.LBB505_2:
	s_or_b32 exec_lo, exec_lo, s0
	v_add_nc_u32_e32 v6, 32, v2
	s_delay_alu instid0(VALU_DEP_1) | instskip(NEXT) | instid1(VALU_DEP_1)
	v_cmp_gt_i32_e64 s30, s42, v6
	s_and_b32 s1, s31, s30
	s_delay_alu instid0(SALU_CYCLE_1)
	s_and_saveexec_b32 s0, s1
	s_cbranch_execz .LBB505_4
; %bb.3:
	global_load_u16 v6, v[3:4], off offset:64
	s_waitcnt vmcnt(0)
	v_lshlrev_b32_e32 v18, 16, v6
.LBB505_4:
	s_or_b32 exec_lo, exec_lo, s0
	v_dual_mov_b32 v19, 0xff800000 :: v_dual_add_nc_u32 v6, 64, v2
	v_mov_b32_e32 v29, 0xff800000
	s_delay_alu instid0(VALU_DEP_2) | instskip(NEXT) | instid1(VALU_DEP_1)
	v_cmp_gt_i32_e64 s29, s42, v6
	s_and_b32 s1, s31, s29
	s_delay_alu instid0(SALU_CYCLE_1)
	s_and_saveexec_b32 s0, s1
	s_cbranch_execz .LBB505_6
; %bb.5:
	global_load_u16 v6, v[3:4], off offset:128
	s_waitcnt vmcnt(0)
	v_lshlrev_b32_e32 v29, 16, v6
.LBB505_6:
	s_or_b32 exec_lo, exec_lo, s0
	v_add_nc_u32_e32 v6, 0x60, v2
	s_delay_alu instid0(VALU_DEP_1) | instskip(NEXT) | instid1(VALU_DEP_1)
	v_cmp_gt_i32_e64 s28, s42, v6
	s_and_b32 s1, s31, s28
	s_delay_alu instid0(SALU_CYCLE_1)
	s_and_saveexec_b32 s0, s1
	s_cbranch_execz .LBB505_8
; %bb.7:
	global_load_u16 v6, v[3:4], off offset:192
	s_waitcnt vmcnt(0)
	v_lshlrev_b32_e32 v19, 16, v6
.LBB505_8:
	s_or_b32 exec_lo, exec_lo, s0
	v_add_nc_u32_e32 v6, 0x80, v2
	v_dual_mov_b32 v20, 0xff800000 :: v_dual_mov_b32 v31, 0xff800000
	s_delay_alu instid0(VALU_DEP_2) | instskip(NEXT) | instid1(VALU_DEP_1)
	v_cmp_gt_i32_e64 s27, s42, v6
	s_and_b32 s1, s31, s27
	s_delay_alu instid0(SALU_CYCLE_1)
	s_and_saveexec_b32 s0, s1
	s_cbranch_execz .LBB505_10
; %bb.9:
	global_load_u16 v6, v[3:4], off offset:256
	s_waitcnt vmcnt(0)
	v_lshlrev_b32_e32 v31, 16, v6
.LBB505_10:
	s_or_b32 exec_lo, exec_lo, s0
	v_add_nc_u32_e32 v6, 0xa0, v2
	s_delay_alu instid0(VALU_DEP_1) | instskip(NEXT) | instid1(VALU_DEP_1)
	v_cmp_gt_i32_e64 s26, s42, v6
	s_and_b32 s1, s31, s26
	s_delay_alu instid0(SALU_CYCLE_1)
	s_and_saveexec_b32 s0, s1
	s_cbranch_execz .LBB505_12
; %bb.11:
	global_load_u16 v6, v[3:4], off offset:320
	s_waitcnt vmcnt(0)
	v_lshlrev_b32_e32 v20, 16, v6
.LBB505_12:
	s_or_b32 exec_lo, exec_lo, s0
	v_add_nc_u32_e32 v6, 0xc0, v2
	v_dual_mov_b32 v21, 0xff800000 :: v_dual_mov_b32 v32, 0xff800000
	;; [unrolled: 27-line block ×6, first 2 shown]
	s_delay_alu instid0(VALU_DEP_2) | instskip(NEXT) | instid1(VALU_DEP_1)
	v_cmp_gt_i32_e64 s17, s42, v6
	s_and_b32 s1, s31, s17
	s_delay_alu instid0(SALU_CYCLE_1)
	s_and_saveexec_b32 s0, s1
	s_cbranch_execz .LBB505_30
; %bb.29:
	global_load_u16 v6, v[3:4], off offset:896
	s_waitcnt vmcnt(0)
	v_lshlrev_b32_e32 v36, 16, v6
.LBB505_30:
	s_or_b32 exec_lo, exec_lo, s0
	v_add_nc_u32_e32 v6, 0x1e0, v2
	s_delay_alu instid0(VALU_DEP_1) | instskip(NEXT) | instid1(VALU_DEP_1)
	v_cmp_gt_i32_e64 s16, s42, v6
	s_and_b32 s1, s31, s16
	s_delay_alu instid0(SALU_CYCLE_1)
	s_and_saveexec_b32 s0, s1
	s_cbranch_execz .LBB505_32
; %bb.31:
	global_load_u16 v6, v[3:4], off offset:960
	s_waitcnt vmcnt(0)
	v_lshlrev_b32_e32 v25, 16, v6
.LBB505_32:
	s_or_b32 exec_lo, exec_lo, s0
	v_add_nc_u32_e32 v6, 0x200, v2
	v_mov_b32_e32 v27, 0xff800000
	v_mov_b32_e32 v37, 0xff800000
	s_delay_alu instid0(VALU_DEP_3) | instskip(NEXT) | instid1(VALU_DEP_1)
	v_cmp_gt_i32_e64 s15, s42, v6
	s_and_b32 s1, s31, s15
	s_delay_alu instid0(SALU_CYCLE_1)
	s_and_saveexec_b32 s0, s1
	s_cbranch_execz .LBB505_34
; %bb.33:
	global_load_u16 v6, v[3:4], off offset:1024
	s_waitcnt vmcnt(0)
	v_lshlrev_b32_e32 v37, 16, v6
.LBB505_34:
	s_or_b32 exec_lo, exec_lo, s0
	v_add_nc_u32_e32 v6, 0x220, v2
	s_delay_alu instid0(VALU_DEP_1) | instskip(NEXT) | instid1(VALU_DEP_1)
	v_cmp_gt_i32_e64 s14, s42, v6
	s_and_b32 s1, s31, s14
	s_delay_alu instid0(SALU_CYCLE_1)
	s_and_saveexec_b32 s0, s1
	s_cbranch_execz .LBB505_36
; %bb.35:
	global_load_u16 v6, v[3:4], off offset:1088
	s_waitcnt vmcnt(0)
	v_lshlrev_b32_e32 v27, 16, v6
.LBB505_36:
	s_or_b32 exec_lo, exec_lo, s0
	v_add_nc_u32_e32 v6, 0x240, v2
	v_mov_b32_e32 v28, 0xff800000
	v_mov_b32_e32 v38, 0xff800000
	s_delay_alu instid0(VALU_DEP_3) | instskip(NEXT) | instid1(VALU_DEP_1)
	v_cmp_gt_i32_e64 s13, s42, v6
	s_and_b32 s1, s31, s13
	s_delay_alu instid0(SALU_CYCLE_1)
	s_and_saveexec_b32 s0, s1
	s_cbranch_execz .LBB505_38
; %bb.37:
	global_load_u16 v6, v[3:4], off offset:1152
	s_waitcnt vmcnt(0)
	v_lshlrev_b32_e32 v38, 16, v6
.LBB505_38:
	s_or_b32 exec_lo, exec_lo, s0
	v_add_nc_u32_e32 v6, 0x260, v2
	s_delay_alu instid0(VALU_DEP_1) | instskip(NEXT) | instid1(VALU_DEP_1)
	v_cmp_gt_i32_e64 s12, s42, v6
	s_and_b32 s1, s31, s12
	s_delay_alu instid0(SALU_CYCLE_1)
	s_and_saveexec_b32 s0, s1
	s_cbranch_execz .LBB505_40
; %bb.39:
	global_load_u16 v6, v[3:4], off offset:1216
	s_waitcnt vmcnt(0)
	v_lshlrev_b32_e32 v28, 16, v6
.LBB505_40:
	s_or_b32 exec_lo, exec_lo, s0
	v_add_nc_u32_e32 v6, 0x280, v2
	v_dual_mov_b32 v30, 0xff800000 :: v_dual_mov_b32 v39, 0xff800000
	s_delay_alu instid0(VALU_DEP_2) | instskip(NEXT) | instid1(VALU_DEP_1)
	v_cmp_gt_i32_e64 s11, s42, v6
	s_and_b32 s1, s31, s11
	s_delay_alu instid0(SALU_CYCLE_1)
	s_and_saveexec_b32 s0, s1
	s_cbranch_execz .LBB505_42
; %bb.41:
	global_load_u16 v6, v[3:4], off offset:1280
	s_waitcnt vmcnt(0)
	v_lshlrev_b32_e32 v39, 16, v6
.LBB505_42:
	s_or_b32 exec_lo, exec_lo, s0
	v_add_nc_u32_e32 v6, 0x2a0, v2
	s_delay_alu instid0(VALU_DEP_1) | instskip(NEXT) | instid1(VALU_DEP_1)
	v_cmp_gt_i32_e64 s10, s42, v6
	s_and_b32 s1, s31, s10
	s_delay_alu instid0(SALU_CYCLE_1)
	s_and_saveexec_b32 s0, s1
	s_cbranch_execz .LBB505_44
; %bb.43:
	global_load_u16 v6, v[3:4], off offset:1344
	s_waitcnt vmcnt(0)
	v_lshlrev_b32_e32 v30, 16, v6
.LBB505_44:
	s_or_b32 exec_lo, exec_lo, s0
	v_add_nc_u32_e32 v6, 0x2c0, v2
	v_dual_mov_b32 v13, 0xff800000 :: v_dual_mov_b32 v40, 0xff800000
	s_delay_alu instid0(VALU_DEP_2) | instskip(NEXT) | instid1(VALU_DEP_1)
	v_cmp_gt_i32_e64 s9, s42, v6
	s_and_b32 s1, s31, s9
	s_delay_alu instid0(SALU_CYCLE_1)
	s_and_saveexec_b32 s0, s1
	s_cbranch_execz .LBB505_46
; %bb.45:
	global_load_u16 v6, v[3:4], off offset:1408
	s_waitcnt vmcnt(0)
	v_lshlrev_b32_e32 v40, 16, v6
.LBB505_46:
	s_or_b32 exec_lo, exec_lo, s0
	v_add_nc_u32_e32 v6, 0x2e0, v2
	s_delay_alu instid0(VALU_DEP_1) | instskip(NEXT) | instid1(VALU_DEP_1)
	v_cmp_gt_i32_e64 s8, s42, v6
	s_and_b32 s1, s31, s8
	s_delay_alu instid0(SALU_CYCLE_1)
	s_and_saveexec_b32 s0, s1
	s_cbranch_execz .LBB505_48
; %bb.47:
	global_load_u16 v6, v[3:4], off offset:1472
	s_waitcnt vmcnt(0)
	v_lshlrev_b32_e32 v13, 16, v6
.LBB505_48:
	s_or_b32 exec_lo, exec_lo, s0
	v_add_nc_u32_e32 v6, 0x300, v2
	v_mov_b32_e32 v11, 0xff800000
	v_mov_b32_e32 v15, 0xff800000
	s_delay_alu instid0(VALU_DEP_3) | instskip(NEXT) | instid1(VALU_DEP_1)
	v_cmp_gt_i32_e64 s7, s42, v6
	s_and_b32 s1, s31, s7
	s_delay_alu instid0(SALU_CYCLE_1)
	s_and_saveexec_b32 s0, s1
	s_cbranch_execz .LBB505_50
; %bb.49:
	global_load_u16 v6, v[3:4], off offset:1536
	s_waitcnt vmcnt(0)
	v_lshlrev_b32_e32 v15, 16, v6
.LBB505_50:
	s_or_b32 exec_lo, exec_lo, s0
	v_add_nc_u32_e32 v6, 0x320, v2
	s_delay_alu instid0(VALU_DEP_1) | instskip(NEXT) | instid1(VALU_DEP_1)
	v_cmp_gt_i32_e64 s6, s42, v6
	s_and_b32 s1, s31, s6
	s_delay_alu instid0(SALU_CYCLE_1)
	s_and_saveexec_b32 s0, s1
	s_cbranch_execz .LBB505_52
; %bb.51:
	global_load_u16 v6, v[3:4], off offset:1600
	s_waitcnt vmcnt(0)
	v_lshlrev_b32_e32 v11, 16, v6
.LBB505_52:
	s_or_b32 exec_lo, exec_lo, s0
	v_add_nc_u32_e32 v6, 0x340, v2
	v_mov_b32_e32 v10, 0xff800000
	v_mov_b32_e32 v12, 0xff800000
	s_delay_alu instid0(VALU_DEP_3) | instskip(NEXT) | instid1(VALU_DEP_1)
	;; [unrolled: 28-line block ×3, first 2 shown]
	v_cmp_gt_i32_e64 s3, s42, v6
	s_and_b32 s1, s31, s3
	s_delay_alu instid0(SALU_CYCLE_1)
	s_and_saveexec_b32 s0, s1
	s_cbranch_execz .LBB505_58
; %bb.57:
	global_load_u16 v6, v[3:4], off offset:1792
	s_waitcnt vmcnt(0)
	v_lshlrev_b32_e32 v9, 16, v6
.LBB505_58:
	s_or_b32 exec_lo, exec_lo, s0
	v_add_nc_u32_e32 v6, 0x3a0, v2
	s_delay_alu instid0(VALU_DEP_1) | instskip(NEXT) | instid1(VALU_DEP_1)
	v_cmp_gt_i32_e64 s2, s42, v6
	s_and_b32 s1, s31, s2
	s_delay_alu instid0(SALU_CYCLE_1)
	s_and_saveexec_b32 s0, s1
	s_cbranch_execz .LBB505_60
; %bb.59:
	global_load_u16 v6, v[3:4], off offset:1856
	s_waitcnt vmcnt(0)
	v_lshlrev_b32_e32 v7, 16, v6
.LBB505_60:
	s_or_b32 exec_lo, exec_lo, s0
	v_add_nc_u32_e32 v6, 0x3c0, v2
	v_mov_b32_e32 v8, 0xff800000
	s_delay_alu instid0(VALU_DEP_2) | instskip(SKIP_1) | instid1(VALU_DEP_2)
	v_cmp_gt_i32_e64 s1, s42, v6
	v_mov_b32_e32 v6, 0xff800000
	s_and_b32 s33, s31, s1
	s_delay_alu instid0(SALU_CYCLE_1)
	s_and_saveexec_b32 s0, s33
	s_cbranch_execz .LBB505_62
; %bb.61:
	global_load_u16 v8, v[3:4], off offset:1920
	s_waitcnt vmcnt(0)
	v_lshlrev_b32_e32 v8, 16, v8
.LBB505_62:
	s_or_b32 exec_lo, exec_lo, s0
	v_add_nc_u32_e32 v2, 0x3e0, v2
	s_delay_alu instid0(VALU_DEP_1) | instskip(NEXT) | instid1(VALU_DEP_1)
	v_cmp_gt_i32_e64 s0, s42, v2
	s_and_b32 s33, s31, s0
	s_delay_alu instid0(SALU_CYCLE_1)
	s_and_saveexec_b32 s31, s33
	s_cbranch_execz .LBB505_64
; %bb.63:
	global_load_u16 v2, v[3:4], off offset:1984
	s_waitcnt vmcnt(0)
	v_lshlrev_b32_e32 v6, 16, v2
.LBB505_64:
	s_or_b32 exec_lo, exec_lo, s31
	v_cmp_gt_f32_e64 s31, v26, v18
	v_mbcnt_lo_u32_b32 v16, -1, 0
	s_mov_b32 s33, exec_lo
	s_delay_alu instid0(VALU_DEP_2) | instskip(NEXT) | instid1(VALU_DEP_2)
	v_cndmask_b32_e64 v2, v18, v26, s31
	v_xor_b32_e32 v3, 16, v16
	v_xor_b32_e32 v42, 1, v16
	s_delay_alu instid0(VALU_DEP_3) | instskip(NEXT) | instid1(VALU_DEP_1)
	v_cmp_gt_f32_e64 s31, v2, v29
	v_cndmask_b32_e64 v2, v29, v2, s31
	s_delay_alu instid0(VALU_DEP_1) | instskip(NEXT) | instid1(VALU_DEP_1)
	v_cmp_gt_f32_e64 s31, v2, v19
	v_cndmask_b32_e64 v2, v19, v2, s31
	s_delay_alu instid0(VALU_DEP_1) | instskip(NEXT) | instid1(VALU_DEP_1)
	;; [unrolled: 3-line block ×27, first 2 shown]
	v_cmp_gt_f32_e64 s31, v2, v7
	v_cndmask_b32_e64 v2, v7, v2, s31
	v_cmp_gt_i32_e64 s31, 32, v3
	s_delay_alu instid0(VALU_DEP_1) | instskip(NEXT) | instid1(VALU_DEP_3)
	v_cndmask_b32_e64 v3, v16, v3, s31
	v_cmp_gt_f32_e64 s31, v2, v8
	s_delay_alu instid0(VALU_DEP_1) | instskip(NEXT) | instid1(VALU_DEP_3)
	v_cndmask_b32_e64 v4, v8, v2, s31
	v_lshlrev_b32_e32 v2, 2, v3
	v_xor_b32_e32 v3, 8, v16
	s_delay_alu instid0(VALU_DEP_3) | instskip(NEXT) | instid1(VALU_DEP_1)
	v_cmp_gt_f32_e64 s31, v4, v6
	v_cndmask_b32_e64 v4, v6, v4, s31
	s_delay_alu instid0(VALU_DEP_3) | instskip(SKIP_2) | instid1(VALU_DEP_1)
	v_cmp_gt_i32_e64 s31, 32, v3
	ds_bpermute_b32 v14, v2, v4
	v_cndmask_b32_e64 v3, v16, v3, s31
	v_lshlrev_b32_e32 v3, 2, v3
	s_waitcnt lgkmcnt(0)
	v_cmp_lt_f32_e64 s31, v4, v14
	s_delay_alu instid0(VALU_DEP_1) | instskip(SKIP_3) | instid1(VALU_DEP_1)
	v_cndmask_b32_e64 v14, v4, v14, s31
	v_xor_b32_e32 v4, 4, v16
	ds_bpermute_b32 v17, v3, v14
	v_cmp_gt_i32_e64 s31, 32, v4
	v_cndmask_b32_e64 v4, v16, v4, s31
	s_delay_alu instid0(VALU_DEP_1) | instskip(SKIP_2) | instid1(VALU_DEP_1)
	v_lshlrev_b32_e32 v4, 2, v4
	s_waitcnt lgkmcnt(0)
	v_cmp_lt_f32_e64 s31, v14, v17
	v_cndmask_b32_e64 v17, v14, v17, s31
	v_xor_b32_e32 v14, 2, v16
	ds_bpermute_b32 v41, v4, v17
	v_cmp_gt_i32_e64 s31, 32, v14
	s_delay_alu instid0(VALU_DEP_1) | instskip(NEXT) | instid1(VALU_DEP_1)
	v_cndmask_b32_e64 v14, v16, v14, s31
	v_lshlrev_b32_e32 v14, 2, v14
	s_waitcnt lgkmcnt(0)
	v_cmp_lt_f32_e64 s31, v17, v41
	s_delay_alu instid0(VALU_DEP_1) | instskip(SKIP_3) | instid1(VALU_DEP_1)
	v_cndmask_b32_e64 v17, v17, v41, s31
	v_cmp_gt_i32_e64 s31, 32, v42
	ds_bpermute_b32 v41, v14, v17
	v_cndmask_b32_e64 v16, v16, v42, s31
	v_lshlrev_b32_e32 v16, 2, v16
	s_waitcnt lgkmcnt(0)
	v_cmp_lt_f32_e64 s31, v17, v41
	s_delay_alu instid0(VALU_DEP_1) | instskip(SKIP_3) | instid1(VALU_DEP_1)
	v_cndmask_b32_e64 v17, v17, v41, s31
	ds_bpermute_b32 v41, v16, v17
	s_waitcnt lgkmcnt(0)
	v_cmp_lt_f32_e64 s31, v17, v41
	v_cndmask_b32_e64 v17, v17, v41, s31
	s_delay_alu instid0(VALU_DEP_1)
	v_sub_f32_e32 v21, v21, v17
	v_sub_f32_e32 v31, v31, v17
	;; [unrolled: 1-line block ×6, first 2 shown]
	v_dual_mul_f32 v33, 0x3fb8aa3b, v31 :: v_dual_sub_f32 v22, v22, v17
	v_sub_f32_e32 v43, v35, v17
	v_sub_f32_e32 v18, v18, v17
	;; [unrolled: 1-line block ×4, first 2 shown]
	v_dual_sub_f32 v48, v38, v17 :: v_dual_mul_f32 v25, 0x3fb8aa3b, v26
	v_dual_sub_f32 v20, v20, v17 :: v_dual_mul_f32 v35, 0x3fb8aa3b, v32
	v_mul_f32_e32 v38, 0x3fb8aa3b, v22
	v_dual_sub_f32 v42, v34, v17 :: v_dual_mul_f32 v53, 0x3fb8aa3b, v43
	v_sub_f32_e32 v24, v24, v17
	v_sub_f32_e32 v46, v37, v17
	s_delay_alu instid0(VALU_DEP_3) | instskip(NEXT) | instid1(VALU_DEP_3)
	v_dual_sub_f32 v44, v36, v17 :: v_dual_mul_f32 v39, 0x3fb8aa3b, v42
	v_dual_sub_f32 v47, v27, v17 :: v_dual_mul_f32 v54, 0x3fb8aa3b, v24
	v_mul_f32_e32 v27, 0x3fb8aa3b, v18
	v_dual_sub_f32 v23, v23, v17 :: v_dual_mul_f32 v34, 0x3fb8aa3b, v20
	v_mul_f32_e32 v57, 0x3fb8aa3b, v46
	v_mul_f32_e32 v55, 0x3fb8aa3b, v44
	v_fma_f32 v64, 0x3fb8aa3b, v26, -v25
	v_sub_f32_e32 v51, v30, v17
	v_fma_f32 v72, 0x3fb8aa3b, v31, -v33
	v_fma_f32 v74, 0x3fb8aa3b, v20, -v34
	v_rndne_f32_e32 v75, v34
	v_fmac_f32_e32 v64, 0x32a5705f, v26
	v_fma_f32 v84, 0x3fb8aa3b, v42, -v39
	v_rndne_f32_e32 v85, v39
	v_fma_f32 v88, 0x3fb8aa3b, v43, -v53
	v_rndne_f32_e32 v89, v53
	;; [unrolled: 2-line block ×3, first 2 shown]
	v_dual_mul_f32 v30, 0x3fb8aa3b, v19 :: v_dual_mul_f32 v37, 0x3fb8aa3b, v41
	v_mul_f32_e32 v62, 0x3fb8aa3b, v51
	v_mul_f32_e32 v52, 0x3fb8aa3b, v23
	v_fma_f32 v92, 0x3fb8aa3b, v44, -v55
	v_dual_fmac_f32 v72, 0x32a5705f, v31 :: v_dual_sub_f32 v39, v39, v85
	v_dual_fmac_f32 v74, 0x32a5705f, v20 :: v_dual_sub_f32 v53, v53, v89
	v_fmac_f32_e32 v84, 0x32a5705f, v42
	v_sub_f32_e32 v34, v34, v75
	v_fmac_f32_e32 v88, 0x32a5705f, v43
	v_fmac_f32_e32 v90, 0x32a5705f, v24
	v_dual_sub_f32 v54, v54, v91 :: v_dual_sub_f32 v29, v29, v17
	v_rndne_f32_e32 v65, v25
	v_rndne_f32_e32 v67, v27
	v_fma_f32 v86, 0x3fb8aa3b, v23, -v52
	v_rndne_f32_e32 v87, v52
	v_dual_add_f32 v39, v39, v84 :: v_dual_add_f32 v34, v34, v74
	v_add_f32_e32 v53, v53, v88
	v_dual_fmac_f32 v92, 0x32a5705f, v44 :: v_dual_sub_f32 v15, v15, v17
	v_fma_f32 v88, 0x3fb8aa3b, v51, -v62
	v_add_f32_e32 v54, v54, v90
	v_rndne_f32_e32 v90, v62
	v_dual_sub_f32 v49, v28, v17 :: v_dual_mul_f32 v58, 0x3fb8aa3b, v47
	v_dual_sub_f32 v40, v40, v17 :: v_dual_mul_f32 v61, 0x3fb8aa3b, v50
	v_fma_f32 v66, 0x3fb8aa3b, v18, -v27
	v_dual_sub_f32 v27, v27, v67 :: v_dual_mul_f32 v28, 0x3fb8aa3b, v29
	s_delay_alu instid0(VALU_DEP_3)
	v_mul_f32_e32 v63, 0x3fb8aa3b, v40
	v_fma_f32 v70, 0x3fb8aa3b, v19, -v30
	v_rndne_f32_e32 v71, v30
	v_dual_sub_f32 v25, v25, v65 :: v_dual_fmac_f32 v66, 0x32a5705f, v18
	v_fmac_f32_e32 v86, 0x32a5705f, v23
	v_fmac_f32_e32 v88, 0x32a5705f, v51
	v_sub_f32_e32 v62, v62, v90
	v_sub_f32_e32 v52, v52, v87
	v_dual_mul_f32 v36, 0x3fb8aa3b, v21 :: v_dual_add_f32 v25, v25, v64
	v_fma_f32 v68, 0x3fb8aa3b, v29, -v28
	v_rndne_f32_e32 v69, v28
	v_fma_f32 v76, 0x3fb8aa3b, v32, -v35
	v_rndne_f32_e32 v77, v35
	;; [unrolled: 2-line block ×3, first 2 shown]
	v_fmac_f32_e32 v70, 0x32a5705f, v19
	v_sub_f32_e32 v30, v30, v71
	v_add_f32_e32 v52, v52, v86
	v_rndne_f32_e32 v86, v61
	v_dual_mul_f32 v56, 0x3fb8aa3b, v45 :: v_dual_add_f32 v27, v27, v66
	v_mul_f32_e32 v59, 0x3fb8aa3b, v48
	v_fma_f32 v78, 0x3fb8aa3b, v21, -v36
	v_rndne_f32_e32 v79, v36
	v_rndne_f32_e32 v93, v55
	v_sub_f32_e32 v35, v35, v77
	v_fmac_f32_e32 v80, 0x32a5705f, v41
	v_dual_sub_f32 v37, v37, v81 :: v_dual_add_f32 v30, v30, v70
	s_delay_alu instid0(VALU_DEP_4)
	v_sub_f32_e32 v55, v55, v93
	v_rndne_f32_e32 v70, v57
	v_fmac_f32_e32 v76, 0x32a5705f, v32
	v_fmac_f32_e32 v68, 0x32a5705f, v29
	v_fma_f32 v84, 0x3fb8aa3b, v50, -v61
	v_dual_sub_f32 v61, v61, v86 :: v_dual_sub_f32 v28, v28, v69
	v_add_f32_e32 v37, v37, v80
	v_exp_f32_e32 v25, v25
	v_rndne_f32_e32 v73, v33
	v_dual_fmac_f32 v78, 0x32a5705f, v21 :: v_dual_add_f32 v55, v55, v92
	v_dual_sub_f32 v36, v36, v79 :: v_dual_add_f32 v35, v35, v76
	s_delay_alu instid0(VALU_DEP_3)
	v_dual_add_f32 v28, v28, v68 :: v_dual_sub_f32 v33, v33, v73
	v_fma_f32 v68, 0x3fb8aa3b, v46, -v57
	v_cvt_i32_f32_e32 v65, v65
	v_exp_f32_e32 v27, v27
	v_fma_f32 v82, 0x3fb8aa3b, v22, -v38
	v_rndne_f32_e32 v83, v38
	v_fma_f32 v76, 0x3fb8aa3b, v48, -v59
	v_cvt_i32_f32_e32 v67, v67
	v_fmac_f32_e32 v68, 0x32a5705f, v46
	v_sub_f32_e32 v57, v57, v70
	v_add_f32_e32 v36, v36, v78
	v_rndne_f32_e32 v78, v59
	v_exp_f32_e32 v28, v28
	v_ldexp_f32 v25, v25, v65
	v_add_f32_e32 v57, v57, v68
	v_cmp_ngt_f32_e64 s31, 0xc2ce8ed0, v26
	v_cvt_i32_f32_e32 v69, v69
	v_dual_fmac_f32 v76, 0x32a5705f, v48 :: v_dual_sub_f32 v59, v59, v78
	v_fmac_f32_e32 v82, 0x32a5705f, v22
	v_fmac_f32_e32 v84, 0x32a5705f, v50
	v_sub_f32_e32 v38, v38, v83
	v_ldexp_f32 v27, v27, v67
	v_cndmask_b32_e64 v25, 0, v25, s31
	v_cmp_ngt_f32_e64 s31, 0xc2ce8ed0, v18
	v_add_f32_e32 v61, v61, v84
	v_dual_add_f32 v59, v59, v76 :: v_dual_add_f32 v38, v38, v82
	v_exp_f32_e32 v39, v39
	v_ldexp_f32 v28, v28, v69
	v_cndmask_b32_e64 v27, 0, v27, s31
	v_cmp_ngt_f32_e64 s31, 0xc2ce8ed0, v29
	v_cvt_i32_f32_e32 v85, v85
	v_exp_f32_e32 v30, v30
	v_exp_f32_e32 v38, v38
	v_dual_mul_f32 v60, 0x3fb8aa3b, v49 :: v_dual_add_f32 v33, v33, v72
	v_cndmask_b32_e64 v28, 0, v28, s31
	v_cmp_nlt_f32_e64 s31, 0x42b17218, v26
	v_cvt_i32_f32_e32 v71, v71
	v_cvt_i32_f32_e32 v83, v83
	v_ldexp_f32 v69, v39, v85
	v_exp_f32_e32 v33, v33
	v_cndmask_b32_e64 v39, 0x7f800000, v25, s31
	v_cmp_nlt_f32_e64 s31, 0x42b17218, v18
	v_exp_f32_e32 v37, v37
	v_ldexp_f32 v30, v30, v71
	v_ldexp_f32 v68, v38, v83
	v_cvt_i32_f32_e32 v73, v73
	v_cndmask_b32_e64 v38, 0x7f800000, v27, s31
	v_cmp_ngt_f32_e64 s31, 0xc2ce8ed0, v19
	v_cvt_i32_f32_e32 v81, v81
	v_exp_f32_e32 v34, v34
	v_exp_f32_e32 v36, v36
	v_ldexp_f32 v33, v33, v73
	v_cndmask_b32_e64 v18, 0, v30, s31
	v_cmp_nlt_f32_e64 s31, 0x42b17218, v29
	v_ldexp_f32 v67, v37, v81
	v_cvt_i32_f32_e32 v75, v75
	v_cvt_i32_f32_e32 v79, v79
	v_fma_f32 v64, 0x3fb8aa3b, v45, -v56
	v_cndmask_b32_e64 v37, 0x7f800000, v28, s31
	v_cmp_ngt_f32_e64 s31, 0xc2ce8ed0, v31
	v_rndne_f32_e32 v66, v56
	v_exp_f32_e32 v35, v35
	v_ldexp_f32 v34, v34, v75
	v_ldexp_f32 v65, v36, v79
	v_cndmask_b32_e64 v26, 0, v33, s31
	v_cmp_nlt_f32_e64 s31, 0x42b17218, v19
	v_cvt_i32_f32_e32 v77, v77
	v_fmac_f32_e32 v64, 0x32a5705f, v45
	v_sub_f32_e32 v56, v56, v66
	v_add_f32_e32 v25, v39, v38
	v_cndmask_b32_e64 v36, 0x7f800000, v18, s31
	v_cmp_ngt_f32_e64 s31, 0xc2ce8ed0, v20
	v_exp_f32_e32 v52, v52
	v_add_f32_e32 v56, v56, v64
	v_ldexp_f32 v64, v35, v77
	v_add_f32_e32 v18, v25, v37
	v_cndmask_b32_e64 v19, 0, v34, s31
	v_cmp_nlt_f32_e64 s31, 0x42b17218, v31
	v_cvt_i32_f32_e32 v87, v87
	v_exp_f32_e32 v53, v53
	v_cvt_i32_f32_e32 v89, v89
	v_exp_f32_e32 v54, v54
	v_cndmask_b32_e64 v35, 0x7f800000, v26, s31
	v_cmp_ngt_f32_e64 s31, 0xc2ce8ed0, v32
	v_ldexp_f32 v52, v52, v87
	v_cvt_i32_f32_e32 v91, v91
	v_exp_f32_e32 v55, v55
	v_add_f32_e32 v18, v18, v36
	v_cndmask_b32_e64 v25, 0, v64, s31
	v_cmp_nlt_f32_e64 s31, 0x42b17218, v20
	v_ldexp_f32 v53, v53, v89
	v_ldexp_f32 v54, v54, v91
	v_cvt_i32_f32_e32 v93, v93
	v_add_f32_e32 v18, v18, v35
	v_cndmask_b32_e64 v34, 0x7f800000, v19, s31
	v_cmp_ngt_f32_e64 s31, 0xc2ce8ed0, v21
	v_exp_f32_e32 v56, v56
	v_ldexp_f32 v55, v55, v93
	v_sub_f32_e32 v8, v8, v17
	v_add_f32_e32 v18, v18, v34
	v_cndmask_b32_e64 v19, 0, v65, s31
	v_cmp_nlt_f32_e64 s31, 0x42b17218, v32
	v_fma_f32 v72, 0x3fb8aa3b, v47, -v58
	v_rndne_f32_e32 v74, v58
	v_cvt_i32_f32_e32 v66, v66
	v_exp_f32_e32 v57, v57
	v_cndmask_b32_e64 v33, 0x7f800000, v25, s31
	v_cmp_ngt_f32_e64 s31, 0xc2ce8ed0, v41
	v_fmac_f32_e32 v72, 0x32a5705f, v47
	v_sub_f32_e32 v58, v58, v74
	v_ldexp_f32 v56, v56, v66
	v_add_f32_e32 v18, v18, v33
	v_cndmask_b32_e64 v20, 0, v67, s31
	v_cmp_nlt_f32_e64 s31, 0x42b17218, v21
	v_cvt_i32_f32_e32 v70, v70
	v_add_f32_e32 v58, v58, v72
	v_sub_f32_e32 v6, v6, v17
	v_fma_f32 v80, 0x3fb8aa3b, v49, -v60
	v_cndmask_b32_e64 v32, 0x7f800000, v19, s31
	v_cmp_ngt_f32_e64 s31, 0xc2ce8ed0, v22
	v_exp_f32_e32 v58, v58
	v_ldexp_f32 v57, v57, v70
	v_rndne_f32_e32 v82, v60
	v_add_f32_e32 v18, v18, v32
	v_cndmask_b32_e64 v19, 0, v68, s31
	v_cmp_nlt_f32_e64 s31, 0x42b17218, v41
	v_cvt_i32_f32_e32 v74, v74
	v_fmac_f32_e32 v80, 0x32a5705f, v49
	v_sub_f32_e32 v60, v60, v82
	v_exp_f32_e32 v59, v59
	v_cndmask_b32_e64 v31, 0x7f800000, v20, s31
	v_cmp_ngt_f32_e64 s31, 0xc2ce8ed0, v42
	v_ldexp_f32 v58, v58, v74
	v_cvt_i32_f32_e32 v78, v78
	v_add_f32_e32 v60, v60, v80
	v_add_f32_e32 v18, v18, v31
	v_cndmask_b32_e64 v20, 0, v69, s31
	v_cmp_nlt_f32_e64 s31, 0x42b17218, v22
	v_cvt_i32_f32_e32 v82, v82
	v_exp_f32_e32 v60, v60
	v_ldexp_f32 v59, v59, v78
	v_exp_f32_e32 v61, v61
	v_cndmask_b32_e64 v30, 0x7f800000, v19, s31
	v_cmp_ngt_f32_e64 s31, 0xc2ce8ed0, v23
	v_cvt_i32_f32_e32 v86, v86
	v_fma_f32 v92, 0x3fb8aa3b, v40, -v63
	v_add_f32_e32 v41, v62, v88
	v_add_f32_e32 v18, v18, v30
	v_cndmask_b32_e64 v19, 0, v52, s31
	v_cmp_nlt_f32_e64 s31, 0x42b17218, v42
	v_ldexp_f32 v60, v60, v82
	v_ldexp_f32 v42, v61, v86
	v_exp_f32_e32 v41, v41
	v_fmac_f32_e32 v92, 0x32a5705f, v40
	v_cndmask_b32_e64 v29, 0x7f800000, v20, s31
	v_cmp_ngt_f32_e64 s31, 0xc2ce8ed0, v43
	s_delay_alu instid0(VALU_DEP_2) | instskip(NEXT) | instid1(VALU_DEP_2)
	v_add_f32_e32 v18, v18, v29
	v_cndmask_b32_e64 v20, 0, v53, s31
	v_cmp_nlt_f32_e64 s31, 0x42b17218, v23
	s_delay_alu instid0(VALU_DEP_1) | instskip(SKIP_1) | instid1(VALU_DEP_2)
	v_cndmask_b32_e64 v28, 0x7f800000, v19, s31
	v_cmp_ngt_f32_e64 s31, 0xc2ce8ed0, v24
	v_add_f32_e32 v18, v18, v28
	s_delay_alu instid0(VALU_DEP_2) | instskip(SKIP_1) | instid1(VALU_DEP_1)
	v_cndmask_b32_e64 v19, 0, v54, s31
	v_cmp_nlt_f32_e64 s31, 0x42b17218, v43
	v_cndmask_b32_e64 v27, 0x7f800000, v20, s31
	v_cmp_ngt_f32_e64 s31, 0xc2ce8ed0, v44
	s_delay_alu instid0(VALU_DEP_2) | instskip(NEXT) | instid1(VALU_DEP_2)
	v_add_f32_e32 v18, v18, v27
	v_cndmask_b32_e64 v20, 0, v55, s31
	v_cmp_nlt_f32_e64 s31, 0x42b17218, v24
	s_delay_alu instid0(VALU_DEP_1) | instskip(SKIP_1) | instid1(VALU_DEP_2)
	v_cndmask_b32_e64 v26, 0x7f800000, v19, s31
	v_cmp_ngt_f32_e64 s31, 0xc2ce8ed0, v45
	v_add_f32_e32 v18, v18, v26
	s_delay_alu instid0(VALU_DEP_2) | instskip(SKIP_1) | instid1(VALU_DEP_1)
	v_cndmask_b32_e64 v19, 0, v56, s31
	v_cmp_nlt_f32_e64 s31, 0x42b17218, v44
	v_cndmask_b32_e64 v25, 0x7f800000, v20, s31
	v_cmp_ngt_f32_e64 s31, 0xc2ce8ed0, v46
	s_delay_alu instid0(VALU_DEP_2) | instskip(NEXT) | instid1(VALU_DEP_2)
	v_add_f32_e32 v18, v18, v25
	v_cndmask_b32_e64 v20, 0, v57, s31
	v_cmp_nlt_f32_e64 s31, 0x42b17218, v45
	v_sub_f32_e32 v45, v13, v17
	v_cvt_i32_f32_e32 v13, v90
	s_delay_alu instid0(VALU_DEP_3) | instskip(SKIP_1) | instid1(VALU_DEP_3)
	v_cndmask_b32_e64 v24, 0x7f800000, v19, s31
	v_cmp_ngt_f32_e64 s31, 0xc2ce8ed0, v47
	v_ldexp_f32 v13, v41, v13
	s_delay_alu instid0(VALU_DEP_3) | instskip(NEXT) | instid1(VALU_DEP_3)
	v_add_f32_e32 v18, v18, v24
	v_cndmask_b32_e64 v19, 0, v58, s31
	v_cmp_nlt_f32_e64 s31, 0x42b17218, v46
	s_delay_alu instid0(VALU_DEP_1) | instskip(SKIP_1) | instid1(VALU_DEP_2)
	v_cndmask_b32_e64 v22, 0x7f800000, v20, s31
	v_cmp_ngt_f32_e64 s31, 0xc2ce8ed0, v48
	v_add_f32_e32 v18, v18, v22
	s_delay_alu instid0(VALU_DEP_2) | instskip(SKIP_1) | instid1(VALU_DEP_1)
	v_cndmask_b32_e64 v20, 0, v59, s31
	v_cmp_nlt_f32_e64 s31, 0x42b17218, v47
	v_cndmask_b32_e64 v21, 0x7f800000, v19, s31
	v_cmp_ngt_f32_e64 s31, 0xc2ce8ed0, v49
	s_delay_alu instid0(VALU_DEP_2) | instskip(NEXT) | instid1(VALU_DEP_2)
	v_add_f32_e32 v23, v18, v21
	v_cndmask_b32_e64 v19, 0, v60, s31
	v_cmp_nlt_f32_e64 s31, 0x42b17218, v48
	s_delay_alu instid0(VALU_DEP_1) | instskip(SKIP_2) | instid1(VALU_DEP_2)
	v_cndmask_b32_e64 v20, 0x7f800000, v20, s31
	v_cmp_nlt_f32_e64 s31, 0x42b17218, v49
	v_sub_f32_e32 v49, v12, v17
	v_cndmask_b32_e64 v18, 0x7f800000, v19, s31
	s_delay_alu instid0(VALU_DEP_4) | instskip(SKIP_2) | instid1(VALU_DEP_3)
	v_add_f32_e32 v19, v23, v20
	v_rndne_f32_e32 v23, v63
	v_cmp_ngt_f32_e64 s31, 0xc2ce8ed0, v50
	v_add_f32_e32 v43, v19, v18
	s_delay_alu instid0(VALU_DEP_3) | instskip(NEXT) | instid1(VALU_DEP_3)
	v_sub_f32_e32 v44, v63, v23
	v_cndmask_b32_e64 v42, 0, v42, s31
	v_cmp_nlt_f32_e64 s31, 0x42b17218, v50
	v_cvt_i32_f32_e32 v23, v23
	s_delay_alu instid0(VALU_DEP_2) | instskip(SKIP_3) | instid1(VALU_DEP_4)
	v_cndmask_b32_e64 v19, 0x7f800000, v42, s31
	v_add_f32_e32 v42, v44, v92
	v_mul_f32_e32 v44, 0x3fb8aa3b, v45
	v_cmp_ngt_f32_e64 s31, 0xc2ce8ed0, v51
	v_add_f32_e32 v43, v43, v19
	s_delay_alu instid0(VALU_DEP_4) | instskip(NEXT) | instid1(VALU_DEP_3)
	v_exp_f32_e32 v41, v42
	v_fma_f32 v42, 0x3fb8aa3b, v45, -v44
	v_rndne_f32_e32 v46, v44
	v_cndmask_b32_e64 v13, 0, v13, s31
	v_cmp_nlt_f32_e64 s31, 0x42b17218, v51
	s_delay_alu instid0(VALU_DEP_4) | instskip(NEXT) | instid1(VALU_DEP_4)
	v_fmac_f32_e32 v42, 0x32a5705f, v45
	v_sub_f32_e32 v44, v44, v46
	s_delay_alu instid0(VALU_DEP_3) | instskip(NEXT) | instid1(TRANS32_DEP_1)
	v_cndmask_b32_e64 v13, 0x7f800000, v13, s31
	v_ldexp_f32 v23, v41, v23
	v_cmp_ngt_f32_e64 s31, 0xc2ce8ed0, v40
	s_delay_alu instid0(VALU_DEP_4) | instskip(NEXT) | instid1(VALU_DEP_4)
	v_dual_add_f32 v41, v44, v42 :: v_dual_sub_f32 v44, v11, v17
	v_dual_add_f32 v42, v43, v13 :: v_dual_mul_f32 v43, 0x3fb8aa3b, v15
	s_delay_alu instid0(VALU_DEP_3) | instskip(NEXT) | instid1(VALU_DEP_3)
	v_cndmask_b32_e64 v23, 0, v23, s31
	v_exp_f32_e32 v41, v41
	v_cmp_nlt_f32_e64 s31, 0x42b17218, v40
	v_mul_f32_e32 v47, 0x3fb8aa3b, v44
	v_fma_f32 v40, 0x3fb8aa3b, v15, -v43
	s_delay_alu instid0(VALU_DEP_3) | instskip(SKIP_2) | instid1(VALU_DEP_4)
	v_cndmask_b32_e64 v11, 0x7f800000, v23, s31
	v_cvt_i32_f32_e32 v23, v46
	v_rndne_f32_e32 v46, v43
	v_fmac_f32_e32 v40, 0x32a5705f, v15
	v_cmp_ngt_f32_e64 s31, 0xc2ce8ed0, v45
	v_rndne_f32_e32 v48, v47
	v_ldexp_f32 v23, v41, v23
	v_sub_f32_e32 v41, v43, v46
	v_fma_f32 v43, 0x3fb8aa3b, v44, -v47
	v_add_f32_e32 v42, v42, v11
	s_delay_alu instid0(VALU_DEP_4) | instskip(NEXT) | instid1(VALU_DEP_4)
	v_cndmask_b32_e64 v12, 0, v23, s31
	v_add_f32_e32 v23, v41, v40
	s_delay_alu instid0(VALU_DEP_4) | instskip(SKIP_2) | instid1(VALU_DEP_4)
	v_fmac_f32_e32 v43, 0x32a5705f, v44
	v_dual_sub_f32 v40, v47, v48 :: v_dual_mul_f32 v41, 0x3fb8aa3b, v49
	v_cmp_nlt_f32_e64 s31, 0x42b17218, v45
	v_exp_f32_e32 v23, v23
	s_delay_alu instid0(VALU_DEP_2) | instskip(NEXT) | instid1(VALU_DEP_3)
	v_dual_sub_f32 v47, v10, v17 :: v_dual_add_f32 v40, v40, v43
	v_fma_f32 v43, 0x3fb8aa3b, v49, -v41
	v_rndne_f32_e32 v45, v41
	v_cvt_i32_f32_e32 v10, v46
	v_cndmask_b32_e64 v12, 0x7f800000, v12, s31
	v_exp_f32_e32 v40, v40
	v_fmac_f32_e32 v43, 0x32a5705f, v49
	v_dual_sub_f32 v41, v41, v45 :: v_dual_mul_f32 v46, 0x3fb8aa3b, v47
	s_delay_alu instid0(TRANS32_DEP_2) | instskip(SKIP_2) | instid1(VALU_DEP_4)
	v_ldexp_f32 v10, v23, v10
	v_cmp_ngt_f32_e64 s31, 0xc2ce8ed0, v15
	v_cvt_i32_f32_e32 v23, v48
	v_add_f32_e32 v41, v41, v43
	v_fma_f32 v43, 0x3fb8aa3b, v47, -v46
	v_rndne_f32_e32 v48, v46
	v_cndmask_b32_e64 v10, 0, v10, s31
	v_cmp_nlt_f32_e64 s31, 0x42b17218, v15
	v_ldexp_f32 v23, v40, v23
	v_exp_f32_e32 v40, v41
	v_fmac_f32_e32 v43, 0x32a5705f, v47
	v_sub_f32_e32 v41, v46, v48
	v_cndmask_b32_e64 v15, 0x7f800000, v10, s31
	v_cmp_ngt_f32_e64 s31, 0xc2ce8ed0, v44
	v_cvt_i32_f32_e32 v10, v45
	v_sub_f32_e32 v45, v7, v17
	v_add_f32_e32 v41, v41, v43
	v_cvt_i32_f32_e32 v43, v48
	v_cndmask_b32_e64 v23, 0, v23, s31
	v_cmp_nlt_f32_e64 s31, 0x42b17218, v44
	v_ldexp_f32 v40, v40, v10
	v_add_f32_e32 v42, v42, v12
	s_delay_alu instid0(VALU_DEP_3) | instskip(SKIP_2) | instid1(VALU_DEP_3)
	v_cndmask_b32_e64 v10, 0x7f800000, v23, s31
	v_exp_f32_e32 v23, v41
	v_cmp_ngt_f32_e64 s31, 0xc2ce8ed0, v49
	v_dual_sub_f32 v41, v9, v17 :: v_dual_add_f32 v42, v42, v15
	s_delay_alu instid0(VALU_DEP_2) | instskip(SKIP_2) | instid1(VALU_DEP_4)
	v_cndmask_b32_e64 v40, 0, v40, s31
	v_cmp_nlt_f32_e64 s31, 0x42b17218, v49
	v_mul_f32_e32 v49, 0x3fb8aa3b, v6
	v_add_f32_e32 v42, v42, v10
	s_delay_alu instid0(TRANS32_DEP_1) | instskip(NEXT) | instid1(VALU_DEP_4)
	v_ldexp_f32 v23, v23, v43
	v_cndmask_b32_e64 v9, 0x7f800000, v40, s31
	v_mul_f32_e32 v40, 0x3fb8aa3b, v41
	v_cmp_ngt_f32_e64 s31, 0xc2ce8ed0, v47
	v_rndne_f32_e32 v50, v49
	s_delay_alu instid0(VALU_DEP_4) | instskip(NEXT) | instid1(VALU_DEP_4)
	v_add_f32_e32 v42, v42, v9
	v_fma_f32 v43, 0x3fb8aa3b, v41, -v40
	v_rndne_f32_e32 v44, v40
	v_cndmask_b32_e64 v23, 0, v23, s31
	v_cmp_nlt_f32_e64 s31, 0x42b17218, v47
	v_mul_f32_e32 v47, 0x3fb8aa3b, v8
	s_delay_alu instid0(VALU_DEP_4) | instskip(SKIP_1) | instid1(VALU_DEP_4)
	v_dual_fmac_f32 v43, 0x32a5705f, v41 :: v_dual_sub_f32 v40, v40, v44
	v_cvt_i32_f32_e32 v44, v44
	v_cndmask_b32_e64 v7, 0x7f800000, v23, s31
	v_mul_f32_e32 v23, 0x3fb8aa3b, v45
	v_rndne_f32_e32 v48, v47
	v_add_f32_e32 v40, v40, v43
	v_cmp_ngt_f32_e64 s31, 0xc2ce8ed0, v41
	v_add_f32_e32 v42, v42, v7
	v_fma_f32 v43, 0x3fb8aa3b, v45, -v23
	v_rndne_f32_e32 v46, v23
	v_exp_f32_e32 v40, v40
	s_delay_alu instid0(VALU_DEP_2) | instskip(NEXT) | instid1(VALU_DEP_2)
	v_fmac_f32_e32 v43, 0x32a5705f, v45
	v_sub_f32_e32 v17, v23, v46
	v_fma_f32 v23, 0x3fb8aa3b, v8, -v47
	s_delay_alu instid0(VALU_DEP_2) | instskip(NEXT) | instid1(VALU_DEP_2)
	v_add_f32_e32 v17, v17, v43
	v_fmac_f32_e32 v23, 0x32a5705f, v8
	v_sub_f32_e32 v43, v47, v48
	s_delay_alu instid0(TRANS32_DEP_1)
	v_ldexp_f32 v40, v40, v44
	v_fma_f32 v47, 0x3fb8aa3b, v6, -v49
	v_exp_f32_e32 v17, v17
	v_cvt_i32_f32_e32 v44, v46
	v_add_f32_e32 v23, v43, v23
	v_cndmask_b32_e64 v40, 0, v40, s31
	v_cmp_nlt_f32_e64 s31, 0x42b17218, v41
	v_fmac_f32_e32 v47, 0x32a5705f, v6
	v_sub_f32_e32 v43, v49, v50
	v_exp_f32_e32 v46, v23
	s_delay_alu instid0(VALU_DEP_3) | instskip(NEXT) | instid1(TRANS32_DEP_2)
	v_cndmask_b32_e64 v23, 0x7f800000, v40, s31
	v_ldexp_f32 v17, v17, v44
	v_cmp_ngt_f32_e64 s31, 0xc2ce8ed0, v45
	v_add_f32_e32 v43, v43, v47
	v_cvt_i32_f32_e32 v40, v48
	v_add_f32_e32 v42, v42, v23
	s_delay_alu instid0(VALU_DEP_4) | instskip(SKIP_4) | instid1(VALU_DEP_3)
	v_cndmask_b32_e64 v17, 0, v17, s31
	v_cmp_nlt_f32_e64 s31, 0x42b17218, v45
	v_exp_f32_e32 v41, v43
	v_ldexp_f32 v40, v46, v40
	v_cvt_i32_f32_e32 v43, v50
	v_cndmask_b32_e64 v17, 0x7f800000, v17, s31
	v_cmp_ngt_f32_e64 s31, 0xc2ce8ed0, v8
	s_delay_alu instid0(VALU_DEP_2) | instskip(NEXT) | instid1(VALU_DEP_2)
	v_add_f32_e32 v42, v42, v17
	v_cndmask_b32_e64 v40, 0, v40, s31
	v_cmp_nlt_f32_e64 s31, 0x42b17218, v8
	s_delay_alu instid0(TRANS32_DEP_1) | instskip(NEXT) | instid1(VALU_DEP_2)
	v_ldexp_f32 v41, v41, v43
	v_cndmask_b32_e64 v8, 0x7f800000, v40, s31
	v_cmp_ngt_f32_e64 s31, 0xc2ce8ed0, v6
	s_delay_alu instid0(VALU_DEP_1) | instskip(NEXT) | instid1(VALU_DEP_3)
	v_cndmask_b32_e64 v40, 0, v41, s31
	v_add_f32_e32 v41, v42, v8
	v_cmp_nlt_f32_e64 s31, 0x42b17218, v6
	s_delay_alu instid0(VALU_DEP_1) | instskip(NEXT) | instid1(VALU_DEP_1)
	v_cndmask_b32_e64 v6, 0x7f800000, v40, s31
	v_add_f32_e32 v40, v41, v6
	ds_bpermute_b32 v2, v2, v40
	s_waitcnt lgkmcnt(0)
	v_add_f32_e32 v2, v40, v2
	ds_bpermute_b32 v3, v3, v2
	s_waitcnt lgkmcnt(0)
	;; [unrolled: 3-line block ×4, first 2 shown]
	v_add_f32_e32 v2, v2, v3
	ds_bpermute_b32 v3, v16, v2
	v_cmpx_lt_i32_e32 0, v5
	s_cbranch_execz .LBB505_98
; %bb.65:
	s_and_b32 exec_lo, exec_lo, vcc_lo
	s_cbranch_execz .LBB505_98
; %bb.66:
	s_waitcnt lgkmcnt(0)
	v_add_f32_e32 v2, v2, v3
	v_lshlrev_b64 v[0:1], 2, v[0:1]
	s_delay_alu instid0(VALU_DEP_2) | instskip(SKIP_1) | instid1(VALU_DEP_2)
	v_div_scale_f32 v3, null, v2, v2, v39
	v_div_scale_f32 v14, vcc_lo, v39, v2, v39
	v_rcp_f32_e32 v4, v3
	s_waitcnt_depctr 0xfff
	v_fma_f32 v5, -v3, v4, 1.0
	s_delay_alu instid0(VALU_DEP_1) | instskip(NEXT) | instid1(VALU_DEP_1)
	v_fmac_f32_e32 v4, v5, v4
	v_mul_f32_e32 v5, v14, v4
	s_delay_alu instid0(VALU_DEP_1) | instskip(NEXT) | instid1(VALU_DEP_1)
	v_fma_f32 v16, -v3, v5, v14
	v_fmac_f32_e32 v5, v16, v4
	v_cmp_eq_f32_e64 s31, 0, v2
	s_delay_alu instid0(VALU_DEP_2) | instskip(NEXT) | instid1(VALU_DEP_1)
	v_fma_f32 v3, -v3, v5, v14
	v_div_fmas_f32 v3, v3, v4, v5
	v_add_co_u32 v0, vcc_lo, s36, v0
	v_add_co_ci_u32_e32 v1, vcc_lo, s37, v1, vcc_lo
	s_delay_alu instid0(VALU_DEP_3) | instskip(NEXT) | instid1(VALU_DEP_1)
	v_div_fixup_f32 v3, v3, v2, v39
	v_cndmask_b32_e64 v3, v3, 0x7fc00000, s31
	global_store_b32 v[0:1], v3, off
	s_and_b32 exec_lo, exec_lo, s30
	s_cbranch_execz .LBB505_98
; %bb.67:
	v_div_scale_f32 v3, null, v2, v2, v38
	s_delay_alu instid0(VALU_DEP_1) | instskip(SKIP_2) | instid1(VALU_DEP_1)
	v_rcp_f32_e32 v4, v3
	s_waitcnt_depctr 0xfff
	v_fma_f32 v5, -v3, v4, 1.0
	v_fmac_f32_e32 v4, v5, v4
	v_div_scale_f32 v5, vcc_lo, v38, v2, v38
	s_delay_alu instid0(VALU_DEP_1) | instskip(NEXT) | instid1(VALU_DEP_1)
	v_mul_f32_e32 v14, v5, v4
	v_fma_f32 v16, -v3, v14, v5
	s_delay_alu instid0(VALU_DEP_1) | instskip(NEXT) | instid1(VALU_DEP_1)
	v_fmac_f32_e32 v14, v16, v4
	v_fma_f32 v3, -v3, v14, v5
	s_delay_alu instid0(VALU_DEP_1) | instskip(NEXT) | instid1(VALU_DEP_1)
	v_div_fmas_f32 v3, v3, v4, v14
	v_div_fixup_f32 v3, v3, v2, v38
	s_delay_alu instid0(VALU_DEP_1)
	v_cndmask_b32_e64 v3, v3, 0x7fc00000, s31
	global_store_b32 v[0:1], v3, off offset:128
	s_and_b32 exec_lo, exec_lo, s29
	s_cbranch_execz .LBB505_98
; %bb.68:
	v_div_scale_f32 v3, null, v2, v2, v37
	s_delay_alu instid0(VALU_DEP_1) | instskip(SKIP_2) | instid1(VALU_DEP_1)
	v_rcp_f32_e32 v4, v3
	s_waitcnt_depctr 0xfff
	v_fma_f32 v5, -v3, v4, 1.0
	v_fmac_f32_e32 v4, v5, v4
	v_div_scale_f32 v5, vcc_lo, v37, v2, v37
	s_delay_alu instid0(VALU_DEP_1) | instskip(NEXT) | instid1(VALU_DEP_1)
	v_mul_f32_e32 v14, v5, v4
	v_fma_f32 v16, -v3, v14, v5
	s_delay_alu instid0(VALU_DEP_1) | instskip(NEXT) | instid1(VALU_DEP_1)
	v_fmac_f32_e32 v14, v16, v4
	v_fma_f32 v3, -v3, v14, v5
	s_delay_alu instid0(VALU_DEP_1) | instskip(NEXT) | instid1(VALU_DEP_1)
	v_div_fmas_f32 v3, v3, v4, v14
	v_div_fixup_f32 v3, v3, v2, v37
	s_delay_alu instid0(VALU_DEP_1)
	v_cndmask_b32_e64 v3, v3, 0x7fc00000, s31
	global_store_b32 v[0:1], v3, off offset:256
	;; [unrolled: 22-line block ×31, first 2 shown]
.LBB505_98:
	s_nop 0
	s_sendmsg sendmsg(MSG_DEALLOC_VGPRS)
	s_endpgm
	.section	.rodata,"a",@progbits
	.p2align	6, 0x0
	.amdhsa_kernel _ZN12_GLOBAL__N_120softmax_warp_forwardIN3c108BFloat16EffLi10ELb0ELb0ELi32EEEvPT0_PKT_iiiPKbib
		.amdhsa_group_segment_fixed_size 0
		.amdhsa_private_segment_fixed_size 0
		.amdhsa_kernarg_size 304
		.amdhsa_user_sgpr_count 15
		.amdhsa_user_sgpr_dispatch_ptr 0
		.amdhsa_user_sgpr_queue_ptr 0
		.amdhsa_user_sgpr_kernarg_segment_ptr 1
		.amdhsa_user_sgpr_dispatch_id 0
		.amdhsa_user_sgpr_private_segment_size 0
		.amdhsa_wavefront_size32 1
		.amdhsa_uses_dynamic_stack 0
		.amdhsa_enable_private_segment 0
		.amdhsa_system_sgpr_workgroup_id_x 1
		.amdhsa_system_sgpr_workgroup_id_y 0
		.amdhsa_system_sgpr_workgroup_id_z 0
		.amdhsa_system_sgpr_workgroup_info 0
		.amdhsa_system_vgpr_workitem_id 1
		.amdhsa_next_free_vgpr 94
		.amdhsa_next_free_sgpr 44
		.amdhsa_reserve_vcc 1
		.amdhsa_float_round_mode_32 0
		.amdhsa_float_round_mode_16_64 0
		.amdhsa_float_denorm_mode_32 3
		.amdhsa_float_denorm_mode_16_64 3
		.amdhsa_dx10_clamp 1
		.amdhsa_ieee_mode 1
		.amdhsa_fp16_overflow 0
		.amdhsa_workgroup_processor_mode 1
		.amdhsa_memory_ordered 1
		.amdhsa_forward_progress 0
		.amdhsa_shared_vgpr_count 0
		.amdhsa_exception_fp_ieee_invalid_op 0
		.amdhsa_exception_fp_denorm_src 0
		.amdhsa_exception_fp_ieee_div_zero 0
		.amdhsa_exception_fp_ieee_overflow 0
		.amdhsa_exception_fp_ieee_underflow 0
		.amdhsa_exception_fp_ieee_inexact 0
		.amdhsa_exception_int_div_zero 0
	.end_amdhsa_kernel
	.section	.text._ZN12_GLOBAL__N_120softmax_warp_forwardIN3c108BFloat16EffLi10ELb0ELb0ELi32EEEvPT0_PKT_iiiPKbib,"axG",@progbits,_ZN12_GLOBAL__N_120softmax_warp_forwardIN3c108BFloat16EffLi10ELb0ELb0ELi32EEEvPT0_PKT_iiiPKbib,comdat
.Lfunc_end505:
	.size	_ZN12_GLOBAL__N_120softmax_warp_forwardIN3c108BFloat16EffLi10ELb0ELb0ELi32EEEvPT0_PKT_iiiPKbib, .Lfunc_end505-_ZN12_GLOBAL__N_120softmax_warp_forwardIN3c108BFloat16EffLi10ELb0ELb0ELi32EEEvPT0_PKT_iiiPKbib
                                        ; -- End function
	.section	.AMDGPU.csdata,"",@progbits
; Kernel info:
; codeLenInByte = 10752
; NumSgprs: 46
; NumVgprs: 94
; ScratchSize: 0
; MemoryBound: 0
; FloatMode: 240
; IeeeMode: 1
; LDSByteSize: 0 bytes/workgroup (compile time only)
; SGPRBlocks: 5
; VGPRBlocks: 11
; NumSGPRsForWavesPerEU: 46
; NumVGPRsForWavesPerEU: 94
; Occupancy: 16
; WaveLimiterHint : 0
; COMPUTE_PGM_RSRC2:SCRATCH_EN: 0
; COMPUTE_PGM_RSRC2:USER_SGPR: 15
; COMPUTE_PGM_RSRC2:TRAP_HANDLER: 0
; COMPUTE_PGM_RSRC2:TGID_X_EN: 1
; COMPUTE_PGM_RSRC2:TGID_Y_EN: 0
; COMPUTE_PGM_RSRC2:TGID_Z_EN: 0
; COMPUTE_PGM_RSRC2:TIDIG_COMP_CNT: 1
	.section	.text._ZN12_GLOBAL__N_120softmax_warp_forwardIN3c108BFloat16EffLi11ELb0ELb0ELi64EEEvPT0_PKT_iiiPKbib,"axG",@progbits,_ZN12_GLOBAL__N_120softmax_warp_forwardIN3c108BFloat16EffLi11ELb0ELb0ELi64EEEvPT0_PKT_iiiPKbib,comdat
	.globl	_ZN12_GLOBAL__N_120softmax_warp_forwardIN3c108BFloat16EffLi11ELb0ELb0ELi64EEEvPT0_PKT_iiiPKbib ; -- Begin function _ZN12_GLOBAL__N_120softmax_warp_forwardIN3c108BFloat16EffLi11ELb0ELb0ELi64EEEvPT0_PKT_iiiPKbib
	.p2align	8
	.type	_ZN12_GLOBAL__N_120softmax_warp_forwardIN3c108BFloat16EffLi11ELb0ELb0ELi64EEEvPT0_PKT_iiiPKbib,@function
_ZN12_GLOBAL__N_120softmax_warp_forwardIN3c108BFloat16EffLi11ELb0ELb0ELi64EEEvPT0_PKT_iiiPKbib: ; @_ZN12_GLOBAL__N_120softmax_warp_forwardIN3c108BFloat16EffLi11ELb0ELb0ELi64EEEvPT0_PKT_iiiPKbib
; %bb.0:
	s_clause 0x1
	s_load_b32 s2, s[0:1], 0x3c
	s_load_b256 s[36:43], s[0:1], 0x0
	v_bfe_u32 v1, v0, 10, 10
	v_mov_b32_e32 v17, 0xff800000
	v_mov_b32_e32 v25, 0xff800000
	s_waitcnt lgkmcnt(0)
	s_lshr_b32 s0, s2, 16
	s_delay_alu instid0(SALU_CYCLE_1) | instskip(SKIP_1) | instid1(VALU_DEP_1)
	v_mad_u64_u32 v[3:4], null, s15, s0, v[1:2]
	v_and_b32_e32 v2, 0x3ff, v0
	v_cmp_gt_i32_e32 vcc_lo, s42, v2
	s_delay_alu instid0(VALU_DEP_3) | instskip(SKIP_1) | instid1(VALU_DEP_1)
	v_mad_u64_u32 v[0:1], null, v3, s41, v[2:3]
	v_sub_nc_u32_e32 v5, s40, v3
	v_cmp_lt_i32_e64 s31, 0, v5
	s_delay_alu instid0(VALU_DEP_3) | instskip(NEXT) | instid1(VALU_DEP_2)
	v_ashrrev_i32_e32 v1, 31, v0
	s_and_b32 s1, s31, vcc_lo
	s_delay_alu instid0(VALU_DEP_1) | instskip(NEXT) | instid1(VALU_DEP_1)
	v_lshlrev_b64 v[3:4], 1, v[0:1]
	v_add_co_u32 v3, s0, s38, v3
	s_delay_alu instid0(VALU_DEP_1)
	v_add_co_ci_u32_e64 v4, s0, s39, v4, s0
	s_and_saveexec_b32 s0, s1
	s_cbranch_execz .LBB506_2
; %bb.1:
	global_load_u16 v6, v[3:4], off
	s_waitcnt vmcnt(0)
	v_lshlrev_b32_e32 v25, 16, v6
.LBB506_2:
	s_or_b32 exec_lo, exec_lo, s0
	v_add_nc_u32_e32 v6, 64, v2
	s_delay_alu instid0(VALU_DEP_1) | instskip(NEXT) | instid1(VALU_DEP_1)
	v_cmp_gt_i32_e64 s30, s42, v6
	s_and_b32 s1, s31, s30
	s_delay_alu instid0(SALU_CYCLE_1)
	s_and_saveexec_b32 s0, s1
	s_cbranch_execz .LBB506_4
; %bb.3:
	global_load_u16 v6, v[3:4], off offset:128
	s_waitcnt vmcnt(0)
	v_lshlrev_b32_e32 v17, 16, v6
.LBB506_4:
	s_or_b32 exec_lo, exec_lo, s0
	v_add_nc_u32_e32 v6, 0x80, v2
	v_mov_b32_e32 v18, 0xff800000
	v_mov_b32_e32 v28, 0xff800000
	s_delay_alu instid0(VALU_DEP_3) | instskip(NEXT) | instid1(VALU_DEP_1)
	v_cmp_gt_i32_e64 s29, s42, v6
	s_and_b32 s1, s31, s29
	s_delay_alu instid0(SALU_CYCLE_1)
	s_and_saveexec_b32 s0, s1
	s_cbranch_execz .LBB506_6
; %bb.5:
	global_load_u16 v6, v[3:4], off offset:256
	s_waitcnt vmcnt(0)
	v_lshlrev_b32_e32 v28, 16, v6
.LBB506_6:
	s_or_b32 exec_lo, exec_lo, s0
	v_add_nc_u32_e32 v6, 0xc0, v2
	s_delay_alu instid0(VALU_DEP_1) | instskip(NEXT) | instid1(VALU_DEP_1)
	v_cmp_gt_i32_e64 s28, s42, v6
	s_and_b32 s1, s31, s28
	s_delay_alu instid0(SALU_CYCLE_1)
	s_and_saveexec_b32 s0, s1
	s_cbranch_execz .LBB506_8
; %bb.7:
	global_load_u16 v6, v[3:4], off offset:384
	s_waitcnt vmcnt(0)
	v_lshlrev_b32_e32 v18, 16, v6
.LBB506_8:
	s_or_b32 exec_lo, exec_lo, s0
	v_add_nc_u32_e32 v6, 0x100, v2
	v_dual_mov_b32 v19, 0xff800000 :: v_dual_mov_b32 v30, 0xff800000
	s_delay_alu instid0(VALU_DEP_2) | instskip(NEXT) | instid1(VALU_DEP_1)
	v_cmp_gt_i32_e64 s27, s42, v6
	s_and_b32 s1, s31, s27
	s_delay_alu instid0(SALU_CYCLE_1)
	s_and_saveexec_b32 s0, s1
	s_cbranch_execz .LBB506_10
; %bb.9:
	global_load_u16 v6, v[3:4], off offset:512
	s_waitcnt vmcnt(0)
	v_lshlrev_b32_e32 v30, 16, v6
.LBB506_10:
	s_or_b32 exec_lo, exec_lo, s0
	v_add_nc_u32_e32 v6, 0x140, v2
	s_delay_alu instid0(VALU_DEP_1) | instskip(NEXT) | instid1(VALU_DEP_1)
	v_cmp_gt_i32_e64 s26, s42, v6
	s_and_b32 s1, s31, s26
	s_delay_alu instid0(SALU_CYCLE_1)
	s_and_saveexec_b32 s0, s1
	s_cbranch_execz .LBB506_12
; %bb.11:
	global_load_u16 v6, v[3:4], off offset:640
	s_waitcnt vmcnt(0)
	v_lshlrev_b32_e32 v19, 16, v6
.LBB506_12:
	s_or_b32 exec_lo, exec_lo, s0
	v_add_nc_u32_e32 v6, 0x180, v2
	v_mov_b32_e32 v20, 0xff800000
	v_mov_b32_e32 v32, 0xff800000
	s_delay_alu instid0(VALU_DEP_3) | instskip(NEXT) | instid1(VALU_DEP_1)
	v_cmp_gt_i32_e64 s25, s42, v6
	s_and_b32 s1, s31, s25
	s_delay_alu instid0(SALU_CYCLE_1)
	s_and_saveexec_b32 s0, s1
	s_cbranch_execz .LBB506_14
; %bb.13:
	global_load_u16 v6, v[3:4], off offset:768
	s_waitcnt vmcnt(0)
	v_lshlrev_b32_e32 v32, 16, v6
.LBB506_14:
	s_or_b32 exec_lo, exec_lo, s0
	v_add_nc_u32_e32 v6, 0x1c0, v2
	s_delay_alu instid0(VALU_DEP_1) | instskip(NEXT) | instid1(VALU_DEP_1)
	v_cmp_gt_i32_e64 s24, s42, v6
	s_and_b32 s1, s31, s24
	s_delay_alu instid0(SALU_CYCLE_1)
	s_and_saveexec_b32 s0, s1
	s_cbranch_execz .LBB506_16
; %bb.15:
	global_load_u16 v6, v[3:4], off offset:896
	s_waitcnt vmcnt(0)
	v_lshlrev_b32_e32 v20, 16, v6
.LBB506_16:
	s_or_b32 exec_lo, exec_lo, s0
	v_add_nc_u32_e32 v6, 0x200, v2
	v_mov_b32_e32 v21, 0xff800000
	v_mov_b32_e32 v33, 0xff800000
	s_delay_alu instid0(VALU_DEP_3) | instskip(NEXT) | instid1(VALU_DEP_1)
	;; [unrolled: 28-line block ×5, first 2 shown]
	v_cmp_gt_i32_e64 s17, s42, v6
	s_and_b32 s1, s31, s17
	s_delay_alu instid0(SALU_CYCLE_1)
	s_and_saveexec_b32 s0, s1
	s_cbranch_execz .LBB506_30
; %bb.29:
	global_load_u16 v6, v[3:4], off offset:1792
	s_waitcnt vmcnt(0)
	v_lshlrev_b32_e32 v36, 16, v6
.LBB506_30:
	s_or_b32 exec_lo, exec_lo, s0
	v_add_nc_u32_e32 v6, 0x3c0, v2
	s_delay_alu instid0(VALU_DEP_1) | instskip(NEXT) | instid1(VALU_DEP_1)
	v_cmp_gt_i32_e64 s16, s42, v6
	s_and_b32 s1, s31, s16
	s_delay_alu instid0(SALU_CYCLE_1)
	s_and_saveexec_b32 s0, s1
	s_cbranch_execz .LBB506_32
; %bb.31:
	global_load_u16 v6, v[3:4], off offset:1920
	s_waitcnt vmcnt(0)
	v_lshlrev_b32_e32 v24, 16, v6
.LBB506_32:
	s_or_b32 exec_lo, exec_lo, s0
	v_or_b32_e32 v6, 0x400, v2
	v_dual_mov_b32 v26, 0xff800000 :: v_dual_mov_b32 v37, 0xff800000
	s_delay_alu instid0(VALU_DEP_2) | instskip(NEXT) | instid1(VALU_DEP_1)
	v_cmp_gt_i32_e64 s15, s42, v6
	s_and_b32 s1, s31, s15
	s_delay_alu instid0(SALU_CYCLE_1)
	s_and_saveexec_b32 s0, s1
	s_cbranch_execz .LBB506_34
; %bb.33:
	global_load_u16 v6, v[3:4], off offset:2048
	s_waitcnt vmcnt(0)
	v_lshlrev_b32_e32 v37, 16, v6
.LBB506_34:
	s_or_b32 exec_lo, exec_lo, s0
	v_add_nc_u32_e32 v6, 0x440, v2
	s_delay_alu instid0(VALU_DEP_1) | instskip(NEXT) | instid1(VALU_DEP_1)
	v_cmp_gt_i32_e64 s14, s42, v6
	s_and_b32 s1, s31, s14
	s_delay_alu instid0(SALU_CYCLE_1)
	s_and_saveexec_b32 s0, s1
	s_cbranch_execz .LBB506_36
; %bb.35:
	global_load_u16 v6, v[3:4], off offset:2176
	s_waitcnt vmcnt(0)
	v_lshlrev_b32_e32 v26, 16, v6
.LBB506_36:
	s_or_b32 exec_lo, exec_lo, s0
	v_add_nc_u32_e32 v6, 0x480, v2
	v_dual_mov_b32 v27, 0xff800000 :: v_dual_mov_b32 v38, 0xff800000
	s_delay_alu instid0(VALU_DEP_2) | instskip(NEXT) | instid1(VALU_DEP_1)
	v_cmp_gt_i32_e64 s13, s42, v6
	s_and_b32 s1, s31, s13
	s_delay_alu instid0(SALU_CYCLE_1)
	s_and_saveexec_b32 s0, s1
	s_cbranch_execz .LBB506_38
; %bb.37:
	global_load_u16 v6, v[3:4], off offset:2304
	s_waitcnt vmcnt(0)
	v_lshlrev_b32_e32 v38, 16, v6
.LBB506_38:
	s_or_b32 exec_lo, exec_lo, s0
	v_add_nc_u32_e32 v6, 0x4c0, v2
	s_delay_alu instid0(VALU_DEP_1) | instskip(NEXT) | instid1(VALU_DEP_1)
	v_cmp_gt_i32_e64 s12, s42, v6
	s_and_b32 s1, s31, s12
	s_delay_alu instid0(SALU_CYCLE_1)
	s_and_saveexec_b32 s0, s1
	s_cbranch_execz .LBB506_40
; %bb.39:
	global_load_u16 v6, v[3:4], off offset:2432
	s_waitcnt vmcnt(0)
	v_lshlrev_b32_e32 v27, 16, v6
.LBB506_40:
	s_or_b32 exec_lo, exec_lo, s0
	v_add_nc_u32_e32 v6, 0x500, v2
	v_mov_b32_e32 v29, 0xff800000
	v_mov_b32_e32 v39, 0xff800000
	s_delay_alu instid0(VALU_DEP_3) | instskip(NEXT) | instid1(VALU_DEP_1)
	v_cmp_gt_i32_e64 s11, s42, v6
	s_and_b32 s1, s31, s11
	s_delay_alu instid0(SALU_CYCLE_1)
	s_and_saveexec_b32 s0, s1
	s_cbranch_execz .LBB506_42
; %bb.41:
	global_load_u16 v6, v[3:4], off offset:2560
	s_waitcnt vmcnt(0)
	v_lshlrev_b32_e32 v39, 16, v6
.LBB506_42:
	s_or_b32 exec_lo, exec_lo, s0
	v_add_nc_u32_e32 v6, 0x540, v2
	s_delay_alu instid0(VALU_DEP_1) | instskip(NEXT) | instid1(VALU_DEP_1)
	v_cmp_gt_i32_e64 s10, s42, v6
	s_and_b32 s1, s31, s10
	s_delay_alu instid0(SALU_CYCLE_1)
	s_and_saveexec_b32 s0, s1
	s_cbranch_execz .LBB506_44
; %bb.43:
	global_load_u16 v6, v[3:4], off offset:2688
	s_waitcnt vmcnt(0)
	v_lshlrev_b32_e32 v29, 16, v6
.LBB506_44:
	s_or_b32 exec_lo, exec_lo, s0
	v_add_nc_u32_e32 v6, 0x580, v2
	v_dual_mov_b32 v31, 0xff800000 :: v_dual_mov_b32 v40, 0xff800000
	s_delay_alu instid0(VALU_DEP_2) | instskip(NEXT) | instid1(VALU_DEP_1)
	v_cmp_gt_i32_e64 s9, s42, v6
	s_and_b32 s1, s31, s9
	s_delay_alu instid0(SALU_CYCLE_1)
	s_and_saveexec_b32 s0, s1
	s_cbranch_execz .LBB506_46
; %bb.45:
	global_load_u16 v6, v[3:4], off offset:2816
	s_waitcnt vmcnt(0)
	v_lshlrev_b32_e32 v40, 16, v6
.LBB506_46:
	s_or_b32 exec_lo, exec_lo, s0
	v_add_nc_u32_e32 v6, 0x5c0, v2
	s_delay_alu instid0(VALU_DEP_1) | instskip(NEXT) | instid1(VALU_DEP_1)
	v_cmp_gt_i32_e64 s8, s42, v6
	s_and_b32 s1, s31, s8
	s_delay_alu instid0(SALU_CYCLE_1)
	s_and_saveexec_b32 s0, s1
	s_cbranch_execz .LBB506_48
; %bb.47:
	global_load_u16 v6, v[3:4], off offset:2944
	s_waitcnt vmcnt(0)
	v_lshlrev_b32_e32 v31, 16, v6
.LBB506_48:
	s_or_b32 exec_lo, exec_lo, s0
	v_add_nc_u32_e32 v6, 0x600, v2
	v_mov_b32_e32 v11, 0xff800000
	v_mov_b32_e32 v41, 0xff800000
	s_delay_alu instid0(VALU_DEP_3) | instskip(NEXT) | instid1(VALU_DEP_1)
	v_cmp_gt_i32_e64 s7, s42, v6
	s_and_b32 s1, s31, s7
	s_delay_alu instid0(SALU_CYCLE_1)
	s_and_saveexec_b32 s0, s1
	s_cbranch_execz .LBB506_50
; %bb.49:
	global_load_u16 v6, v[3:4], off offset:3072
	s_waitcnt vmcnt(0)
	v_lshlrev_b32_e32 v41, 16, v6
.LBB506_50:
	s_or_b32 exec_lo, exec_lo, s0
	v_add_nc_u32_e32 v6, 0x640, v2
	s_delay_alu instid0(VALU_DEP_1) | instskip(NEXT) | instid1(VALU_DEP_1)
	v_cmp_gt_i32_e64 s6, s42, v6
	s_and_b32 s1, s31, s6
	s_delay_alu instid0(SALU_CYCLE_1)
	s_and_saveexec_b32 s0, s1
	s_cbranch_execz .LBB506_52
; %bb.51:
	global_load_u16 v6, v[3:4], off offset:3200
	s_waitcnt vmcnt(0)
	v_lshlrev_b32_e32 v11, 16, v6
.LBB506_52:
	s_or_b32 exec_lo, exec_lo, s0
	v_add_nc_u32_e32 v6, 0x680, v2
	v_mov_b32_e32 v10, 0xff800000
	v_mov_b32_e32 v12, 0xff800000
	s_delay_alu instid0(VALU_DEP_3) | instskip(NEXT) | instid1(VALU_DEP_1)
	;; [unrolled: 28-line block ×3, first 2 shown]
	v_cmp_gt_i32_e64 s3, s42, v6
	s_and_b32 s1, s31, s3
	s_delay_alu instid0(SALU_CYCLE_1)
	s_and_saveexec_b32 s0, s1
	s_cbranch_execz .LBB506_58
; %bb.57:
	global_load_u16 v6, v[3:4], off offset:3584
	s_waitcnt vmcnt(0)
	v_lshlrev_b32_e32 v9, 16, v6
.LBB506_58:
	s_or_b32 exec_lo, exec_lo, s0
	v_add_nc_u32_e32 v6, 0x740, v2
	s_delay_alu instid0(VALU_DEP_1) | instskip(NEXT) | instid1(VALU_DEP_1)
	v_cmp_gt_i32_e64 s2, s42, v6
	s_and_b32 s1, s31, s2
	s_delay_alu instid0(SALU_CYCLE_1)
	s_and_saveexec_b32 s0, s1
	s_cbranch_execz .LBB506_60
; %bb.59:
	global_load_u16 v6, v[3:4], off offset:3712
	s_waitcnt vmcnt(0)
	v_lshlrev_b32_e32 v7, 16, v6
.LBB506_60:
	s_or_b32 exec_lo, exec_lo, s0
	v_add_nc_u32_e32 v6, 0x780, v2
	v_mov_b32_e32 v8, 0xff800000
	s_delay_alu instid0(VALU_DEP_2) | instskip(SKIP_1) | instid1(VALU_DEP_2)
	v_cmp_gt_i32_e64 s1, s42, v6
	v_mov_b32_e32 v6, 0xff800000
	s_and_b32 s33, s31, s1
	s_delay_alu instid0(SALU_CYCLE_1)
	s_and_saveexec_b32 s0, s33
	s_cbranch_execz .LBB506_62
; %bb.61:
	global_load_u16 v8, v[3:4], off offset:3840
	s_waitcnt vmcnt(0)
	v_lshlrev_b32_e32 v8, 16, v8
.LBB506_62:
	s_or_b32 exec_lo, exec_lo, s0
	v_add_nc_u32_e32 v2, 0x7c0, v2
	s_delay_alu instid0(VALU_DEP_1) | instskip(NEXT) | instid1(VALU_DEP_1)
	v_cmp_gt_i32_e64 s0, s42, v2
	s_and_b32 s33, s31, s0
	s_delay_alu instid0(SALU_CYCLE_1)
	s_and_saveexec_b32 s31, s33
	s_cbranch_execz .LBB506_64
; %bb.63:
	global_load_u16 v2, v[3:4], off offset:3968
	s_waitcnt vmcnt(0)
	v_lshlrev_b32_e32 v6, 16, v2
.LBB506_64:
	s_or_b32 exec_lo, exec_lo, s31
	v_cmp_gt_f32_e64 s31, v25, v17
	v_mbcnt_lo_u32_b32 v15, -1, 0
	s_mov_b32 s33, exec_lo
	s_delay_alu instid0(VALU_DEP_2) | instskip(NEXT) | instid1(VALU_DEP_2)
	v_cndmask_b32_e64 v2, v17, v25, s31
	v_or_b32_e32 v3, 32, v15
	v_xor_b32_e32 v43, 1, v15
	s_delay_alu instid0(VALU_DEP_3) | instskip(NEXT) | instid1(VALU_DEP_1)
	v_cmp_gt_f32_e64 s31, v2, v28
	v_cndmask_b32_e64 v2, v28, v2, s31
	s_delay_alu instid0(VALU_DEP_1) | instskip(NEXT) | instid1(VALU_DEP_1)
	v_cmp_gt_f32_e64 s31, v2, v18
	v_cndmask_b32_e64 v2, v18, v2, s31
	s_delay_alu instid0(VALU_DEP_1) | instskip(NEXT) | instid1(VALU_DEP_1)
	;; [unrolled: 3-line block ×27, first 2 shown]
	v_cmp_gt_f32_e64 s31, v2, v7
	v_cndmask_b32_e64 v2, v7, v2, s31
	v_cmp_gt_i32_e64 s31, 64, v3
	s_delay_alu instid0(VALU_DEP_1) | instskip(NEXT) | instid1(VALU_DEP_3)
	v_cndmask_b32_e64 v3, v15, v3, s31
	v_cmp_gt_f32_e64 s31, v2, v8
	s_delay_alu instid0(VALU_DEP_1) | instskip(NEXT) | instid1(VALU_DEP_3)
	v_cndmask_b32_e64 v4, v8, v2, s31
	v_lshlrev_b32_e32 v2, 2, v3
	v_xor_b32_e32 v3, 16, v15
	s_delay_alu instid0(VALU_DEP_3) | instskip(NEXT) | instid1(VALU_DEP_1)
	v_cmp_gt_f32_e64 s31, v4, v6
	v_cndmask_b32_e64 v4, v6, v4, s31
	s_delay_alu instid0(VALU_DEP_3) | instskip(SKIP_2) | instid1(VALU_DEP_1)
	v_cmp_gt_i32_e64 s31, 64, v3
	ds_bpermute_b32 v13, v2, v4
	v_cndmask_b32_e64 v3, v15, v3, s31
	v_lshlrev_b32_e32 v3, 2, v3
	s_waitcnt lgkmcnt(0)
	v_cmp_lt_f32_e64 s31, v4, v13
	s_delay_alu instid0(VALU_DEP_1) | instskip(SKIP_3) | instid1(VALU_DEP_1)
	v_cndmask_b32_e64 v13, v4, v13, s31
	v_xor_b32_e32 v4, 8, v15
	ds_bpermute_b32 v14, v3, v13
	v_cmp_gt_i32_e64 s31, 64, v4
	v_cndmask_b32_e64 v4, v15, v4, s31
	s_delay_alu instid0(VALU_DEP_1) | instskip(SKIP_2) | instid1(VALU_DEP_1)
	v_lshlrev_b32_e32 v4, 2, v4
	s_waitcnt lgkmcnt(0)
	v_cmp_lt_f32_e64 s31, v13, v14
	v_cndmask_b32_e64 v14, v13, v14, s31
	v_xor_b32_e32 v13, 4, v15
	ds_bpermute_b32 v16, v4, v14
	v_cmp_gt_i32_e64 s31, 64, v13
	s_delay_alu instid0(VALU_DEP_1) | instskip(NEXT) | instid1(VALU_DEP_1)
	v_cndmask_b32_e64 v13, v15, v13, s31
	v_lshlrev_b32_e32 v13, 2, v13
	s_waitcnt lgkmcnt(0)
	v_cmp_lt_f32_e64 s31, v14, v16
	s_delay_alu instid0(VALU_DEP_1) | instskip(SKIP_3) | instid1(VALU_DEP_1)
	v_cndmask_b32_e64 v16, v14, v16, s31
	v_xor_b32_e32 v14, 2, v15
	ds_bpermute_b32 v42, v13, v16
	v_cmp_gt_i32_e64 s31, 64, v14
	v_cndmask_b32_e64 v14, v15, v14, s31
	s_delay_alu instid0(VALU_DEP_1) | instskip(SKIP_2) | instid1(VALU_DEP_1)
	v_lshlrev_b32_e32 v14, 2, v14
	s_waitcnt lgkmcnt(0)
	v_cmp_lt_f32_e64 s31, v16, v42
	v_cndmask_b32_e64 v16, v16, v42, s31
	v_cmp_gt_i32_e64 s31, 64, v43
	ds_bpermute_b32 v42, v14, v16
	v_cndmask_b32_e64 v15, v15, v43, s31
	s_delay_alu instid0(VALU_DEP_1) | instskip(SKIP_2) | instid1(VALU_DEP_1)
	v_lshlrev_b32_e32 v15, 2, v15
	s_waitcnt lgkmcnt(0)
	v_cmp_lt_f32_e64 s31, v16, v42
	v_cndmask_b32_e64 v16, v16, v42, s31
	ds_bpermute_b32 v42, v15, v16
	s_waitcnt lgkmcnt(0)
	v_cmp_lt_f32_e64 s31, v16, v42
	s_delay_alu instid0(VALU_DEP_1) | instskip(NEXT) | instid1(VALU_DEP_1)
	v_cndmask_b32_e64 v16, v16, v42, s31
	v_sub_f32_e32 v30, v30, v16
	v_sub_f32_e32 v25, v25, v16
	;; [unrolled: 1-line block ×6, first 2 shown]
	v_mul_f32_e32 v26, 0x3fb8aa3b, v25
	v_sub_f32_e32 v28, v28, v16
	v_dual_sub_f32 v32, v32, v16 :: v_dual_mul_f32 v31, 0x3fb8aa3b, v18
	v_sub_f32_e32 v20, v20, v16
	v_sub_f32_e32 v33, v33, v16
	;; [unrolled: 1-line block ×3, first 2 shown]
	v_dual_mul_f32 v34, 0x3fb8aa3b, v30 :: v_dual_sub_f32 v21, v21, v16
	v_fma_f32 v66, 0x3fb8aa3b, v25, -v26
	v_rndne_f32_e32 v67, v26
	v_sub_f32_e32 v47, v38, v16
	v_sub_f32_e32 v45, v37, v16
	;; [unrolled: 1-line block ×5, first 2 shown]
	v_dual_mul_f32 v29, 0x3fb8aa3b, v28 :: v_dual_sub_f32 v26, v26, v67
	v_mul_f32_e32 v38, 0x3fb8aa3b, v33
	v_dual_mul_f32 v39, 0x3fb8aa3b, v21 :: v_dual_sub_f32 v22, v22, v16
	v_rndne_f32_e32 v73, v31
	v_dual_sub_f32 v40, v41, v16 :: v_dual_mul_f32 v41, 0x3fb8aa3b, v42
	s_delay_alu instid0(VALU_DEP_3)
	v_dual_sub_f32 v43, v35, v16 :: v_dual_mul_f32 v50, 0x3fb8aa3b, v22
	v_mul_f32_e32 v35, 0x3fb8aa3b, v19
	v_fmac_f32_e32 v66, 0x32a5705f, v25
	v_mul_f32_e32 v37, 0x3fb8aa3b, v20
	v_sub_f32_e32 v17, v17, v16
	v_fma_f32 v70, 0x3fb8aa3b, v28, -v29
	v_dual_sub_f32 v23, v23, v16 :: v_dual_mul_f32 v54, 0x3fb8aa3b, v43
	v_add_f32_e32 v26, v26, v66
	v_fma_f32 v80, 0x3fb8aa3b, v20, -v37
	v_rndne_f32_e32 v81, v37
	s_delay_alu instid0(VALU_DEP_4)
	v_dual_sub_f32 v44, v36, v16 :: v_dual_mul_f32 v55, 0x3fb8aa3b, v23
	v_dual_mul_f32 v65, 0x3fb8aa3b, v49 :: v_dual_sub_f32 v24, v24, v16
	v_mul_f32_e32 v59, 0x3fb8aa3b, v46
	v_rndne_f32_e32 v71, v29
	v_dual_sub_f32 v48, v27, v16 :: v_dual_mul_f32 v27, 0x3fb8aa3b, v17
	v_fma_f32 v72, 0x3fb8aa3b, v18, -v31
	v_fma_f32 v76, 0x3fb8aa3b, v19, -v35
	s_delay_alu instid0(VALU_DEP_4) | instskip(SKIP_4) | instid1(VALU_DEP_4)
	v_sub_f32_e32 v29, v29, v71
	v_rndne_f32_e32 v77, v35
	v_rndne_f32_e32 v87, v41
	v_dual_fmac_f32 v70, 0x32a5705f, v28 :: v_dual_sub_f32 v37, v37, v81
	v_fmac_f32_e32 v80, 0x32a5705f, v20
	v_dual_mul_f32 v56, 0x3fb8aa3b, v44 :: v_dual_sub_f32 v35, v35, v77
	v_fma_f32 v68, 0x3fb8aa3b, v17, -v27
	v_rndne_f32_e32 v69, v27
	v_rndne_f32_e32 v75, v34
	v_mul_f32_e32 v57, 0x3fb8aa3b, v24
	v_fma_f32 v86, 0x3fb8aa3b, v42, -v41
	v_sub_f32_e32 v31, v31, v73
	v_sub_f32_e32 v41, v41, v87
	v_dual_fmac_f32 v76, 0x32a5705f, v19 :: v_dual_add_f32 v37, v37, v80
	v_fmac_f32_e32 v72, 0x32a5705f, v18
	v_dual_mul_f32 v36, 0x3fb8aa3b, v32 :: v_dual_add_f32 v29, v29, v70
	v_fma_f32 v74, 0x3fb8aa3b, v30, -v34
	v_fma_f32 v88, 0x3fb8aa3b, v22, -v50
	v_rndne_f32_e32 v89, v50
	v_dual_sub_f32 v27, v27, v69 :: v_dual_sub_f32 v34, v34, v75
	v_fma_f32 v70, 0x3fb8aa3b, v24, -v57
	v_dual_add_f32 v35, v35, v76 :: v_dual_fmac_f32 v68, 0x32a5705f, v17
	v_add_f32_e32 v31, v31, v72
	v_rndne_f32_e32 v72, v57
	v_rndne_f32_e32 v79, v36
	v_mul_f32_e32 v63, 0x3fb8aa3b, v52
	v_fma_f32 v82, 0x3fb8aa3b, v33, -v38
	v_dual_add_f32 v27, v27, v68 :: v_dual_fmac_f32 v74, 0x32a5705f, v30
	v_mul_f32_e32 v61, 0x3fb8aa3b, v48
	v_dual_fmac_f32 v86, 0x32a5705f, v42 :: v_dual_sub_f32 v57, v57, v72
	v_fmac_f32_e32 v88, 0x32a5705f, v22
	v_fmac_f32_e32 v70, 0x32a5705f, v24
	v_sub_f32_e32 v50, v50, v89
	v_fma_f32 v78, 0x3fb8aa3b, v32, -v36
	v_fma_f32 v90, 0x3fb8aa3b, v43, -v54
	v_add_f32_e32 v34, v34, v74
	v_dual_add_f32 v57, v57, v70 :: v_dual_sub_f32 v36, v36, v79
	v_dual_fmac_f32 v82, 0x32a5705f, v33 :: v_dual_add_f32 v41, v41, v86
	v_fma_f32 v86, 0x3fb8aa3b, v48, -v61
	v_rndne_f32_e32 v70, v63
	v_add_f32_e32 v50, v50, v88
	v_rndne_f32_e32 v88, v61
	v_rndne_f32_e32 v83, v38
	v_fma_f32 v84, 0x3fb8aa3b, v21, -v39
	v_rndne_f32_e32 v85, v39
	v_fma_f32 v92, 0x3fb8aa3b, v23, -v55
	v_rndne_f32_e32 v93, v55
	v_dual_fmac_f32 v90, 0x32a5705f, v43 :: v_dual_sub_f32 v61, v61, v88
	v_fmac_f32_e32 v86, 0x32a5705f, v48
	v_exp_f32_e32 v26, v26
	v_mul_f32_e32 v60, 0x3fb8aa3b, v47
	v_dual_fmac_f32 v78, 0x32a5705f, v32 :: v_dual_sub_f32 v39, v39, v85
	v_dual_sub_f32 v38, v38, v83 :: v_dual_sub_f32 v55, v55, v93
	v_dual_fmac_f32 v92, 0x32a5705f, v23 :: v_dual_add_f32 v61, v61, v86
	v_fmac_f32_e32 v84, 0x32a5705f, v21
	v_cvt_i32_f32_e32 v67, v67
	v_exp_f32_e32 v27, v27
	s_delay_alu instid0(VALU_DEP_3)
	v_dual_add_f32 v55, v55, v92 :: v_dual_mul_f32 v58, 0x3fb8aa3b, v45
	v_fma_f32 v66, 0x3fb8aa3b, v44, -v56
	v_rndne_f32_e32 v68, v56
	v_dual_add_f32 v36, v36, v78 :: v_dual_add_f32 v39, v39, v84
	v_rndne_f32_e32 v80, v59
	v_add_f32_e32 v38, v38, v82
	v_fma_f32 v82, 0x3fb8aa3b, v47, -v60
	v_rndne_f32_e32 v84, v60
	v_cvt_i32_f32_e32 v69, v69
	v_exp_f32_e32 v29, v29
	v_ldexp_f32 v26, v26, v67
	v_cmp_ngt_f32_e64 s31, 0xc2ce8ed0, v25
	v_sub_f32_e32 v56, v56, v68
	v_fmac_f32_e32 v82, 0x32a5705f, v47
	v_sub_f32_e32 v60, v60, v84
	v_rndne_f32_e32 v86, v65
	v_fmac_f32_e32 v66, 0x32a5705f, v44
	v_cvt_i32_f32_e32 v71, v71
	v_ldexp_f32 v27, v27, v69
	v_cndmask_b32_e64 v26, 0, v26, s31
	v_cmp_ngt_f32_e64 s31, 0xc2ce8ed0, v17
	v_add_f32_e32 v60, v60, v82
	v_fma_f32 v82, 0x3fb8aa3b, v49, -v65
	v_sub_f32_e32 v65, v65, v86
	v_add_f32_e32 v56, v56, v66
	v_fma_f32 v66, 0x3fb8aa3b, v52, -v63
	v_sub_f32_e32 v63, v63, v70
	v_exp_f32_e32 v31, v31
	v_exp_f32_e32 v50, v50
	v_ldexp_f32 v29, v29, v71
	v_cndmask_b32_e64 v27, 0, v27, s31
	v_cmp_ngt_f32_e64 s31, 0xc2ce8ed0, v28
	v_cvt_i32_f32_e32 v73, v73
	v_cvt_i32_f32_e32 v89, v89
	v_exp_f32_e32 v41, v41
	v_cvt_i32_f32_e32 v87, v87
	v_cndmask_b32_e64 v29, 0, v29, s31
	v_cmp_nlt_f32_e64 s31, 0x42b17218, v25
	v_ldexp_f32 v31, v31, v73
	v_ldexp_f32 v73, v50, v89
	v_exp_f32_e32 v34, v34
	v_exp_f32_e32 v39, v39
	v_cndmask_b32_e64 v50, 0x7f800000, v26, s31
	v_cmp_nlt_f32_e64 s31, 0x42b17218, v17
	v_ldexp_f32 v71, v41, v87
	v_cvt_i32_f32_e32 v75, v75
	v_cvt_i32_f32_e32 v85, v85
	v_fma_f32 v78, 0x3fb8aa3b, v46, -v59
	v_cndmask_b32_e64 v41, 0x7f800000, v27, s31
	v_cmp_ngt_f32_e64 s31, 0xc2ce8ed0, v18
	v_sub_f32_e32 v59, v59, v80
	v_exp_f32_e32 v35, v35
	v_exp_f32_e32 v38, v38
	v_ldexp_f32 v34, v34, v75
	v_cndmask_b32_e64 v17, 0, v31, s31
	v_cmp_nlt_f32_e64 s31, 0x42b17218, v28
	v_ldexp_f32 v69, v39, v85
	v_cvt_i32_f32_e32 v77, v77
	v_cvt_i32_f32_e32 v83, v83
	v_exp_f32_e32 v36, v36
	v_cndmask_b32_e64 v39, 0x7f800000, v29, s31
	v_cmp_ngt_f32_e64 s31, 0xc2ce8ed0, v30
	v_exp_f32_e32 v37, v37
	v_ldexp_f32 v35, v35, v77
	v_ldexp_f32 v67, v38, v83
	v_rndne_f32_e32 v91, v54
	v_cndmask_b32_e64 v26, 0, v34, s31
	v_cmp_nlt_f32_e64 s31, 0x42b17218, v18
	v_cvt_i32_f32_e32 v79, v79
	v_cvt_i32_f32_e32 v81, v81
	v_fmac_f32_e32 v66, 0x32a5705f, v52
	v_fmac_f32_e32 v78, 0x32a5705f, v46
	v_cndmask_b32_e64 v38, 0x7f800000, v17, s31
	v_cmp_ngt_f32_e64 s31, 0xc2ce8ed0, v19
	s_delay_alu instid0(VALU_DEP_4) | instskip(NEXT) | instid1(VALU_DEP_4)
	v_dual_sub_f32 v54, v54, v91 :: v_dual_add_f32 v63, v63, v66
	v_add_f32_e32 v59, v59, v78
	v_ldexp_f32 v36, v36, v79
	s_delay_alu instid0(VALU_DEP_4)
	v_cndmask_b32_e64 v18, 0, v35, s31
	v_cmp_nlt_f32_e64 s31, 0x42b17218, v30
	v_ldexp_f32 v66, v37, v81
	v_add_f32_e32 v25, v50, v41
	v_add_f32_e32 v54, v54, v90
	v_rndne_f32_e32 v76, v58
	v_cndmask_b32_e64 v37, 0x7f800000, v26, s31
	v_cmp_ngt_f32_e64 s31, 0xc2ce8ed0, v32
	v_add_f32_e32 v17, v25, v39
	v_exp_f32_e32 v54, v54
	v_cvt_i32_f32_e32 v91, v91
	v_fma_f32 v74, 0x3fb8aa3b, v45, -v58
	v_cndmask_b32_e64 v25, 0, v36, s31
	v_cmp_nlt_f32_e64 s31, 0x42b17218, v19
	v_dual_add_f32 v17, v17, v38 :: v_dual_sub_f32 v58, v58, v76
	v_exp_f32_e32 v55, v55
	v_cvt_i32_f32_e32 v93, v93
	s_delay_alu instid0(VALU_DEP_3) | instskip(NEXT) | instid1(VALU_DEP_3)
	v_cndmask_b32_e64 v36, 0x7f800000, v18, s31
	v_add_f32_e32 v17, v17, v37
	v_cmp_ngt_f32_e64 s31, 0xc2ce8ed0, v20
	v_ldexp_f32 v54, v54, v91
	v_fmac_f32_e32 v74, 0x32a5705f, v45
	v_cvt_i32_f32_e32 v68, v68
	v_add_f32_e32 v17, v17, v36
	v_cndmask_b32_e64 v18, 0, v66, s31
	v_cmp_nlt_f32_e64 s31, 0x42b17218, v32
	v_ldexp_f32 v55, v55, v93
	v_exp_f32_e32 v57, v57
	v_cvt_i32_f32_e32 v72, v72
	v_cvt_i32_f32_e32 v76, v76
	v_cndmask_b32_e64 v35, 0x7f800000, v25, s31
	v_cmp_ngt_f32_e64 s31, 0xc2ce8ed0, v33
	v_exp_f32_e32 v59, v59
	v_cvt_i32_f32_e32 v80, v80
	s_delay_alu instid0(VALU_DEP_3) | instskip(NEXT) | instid1(VALU_DEP_3)
	v_dual_mul_f32 v64, 0x3fb8aa3b, v53 :: v_dual_add_f32 v17, v17, v35
	v_cndmask_b32_e64 v19, 0, v67, s31
	v_cmp_nlt_f32_e64 s31, 0x42b17218, v20
	v_exp_f32_e32 v56, v56
	v_ldexp_f32 v57, v57, v72
	v_mul_f32_e32 v62, 0x3fb8aa3b, v51
	v_cvt_i32_f32_e32 v84, v84
	v_cndmask_b32_e64 v34, 0x7f800000, v18, s31
	v_cmp_ngt_f32_e64 s31, 0xc2ce8ed0, v21
	v_ldexp_f32 v59, v59, v80
	v_rndne_f32_e32 v92, v62
	v_fma_f32 v90, 0x3fb8aa3b, v51, -v62
	v_add_f32_e32 v17, v17, v34
	v_cndmask_b32_e64 v18, 0, v69, s31
	v_cmp_nlt_f32_e64 s31, 0x42b17218, v33
	v_ldexp_f32 v56, v56, v68
	v_exp_f32_e32 v61, v61
	v_cvt_i32_f32_e32 v88, v88
	v_rndne_f32_e32 v78, v64
	v_cndmask_b32_e64 v32, 0x7f800000, v19, s31
	v_cmp_ngt_f32_e64 s31, 0xc2ce8ed0, v42
	v_add_f32_e32 v58, v58, v74
	v_fma_f32 v74, 0x3fb8aa3b, v53, -v64
	v_exp_f32_e32 v63, v63
	v_add_f32_e32 v17, v17, v32
	v_cndmask_b32_e64 v19, 0, v71, s31
	v_cmp_nlt_f32_e64 s31, 0x42b17218, v21
	v_exp_f32_e32 v58, v58
	v_ldexp_f32 v61, v61, v88
	v_cvt_i32_f32_e32 v70, v70
	v_sub_f32_e32 v8, v8, v16
	v_cndmask_b32_e64 v31, 0x7f800000, v18, s31
	v_cmp_ngt_f32_e64 s31, 0xc2ce8ed0, v22
	s_delay_alu instid0(VALU_DEP_4) | instskip(NEXT) | instid1(VALU_DEP_3)
	v_ldexp_f32 v63, v63, v70
	v_add_f32_e32 v17, v17, v31
	s_delay_alu instid0(VALU_DEP_3) | instskip(SKIP_2) | instid1(VALU_DEP_2)
	v_cndmask_b32_e64 v18, 0, v73, s31
	v_cmp_nlt_f32_e64 s31, 0x42b17218, v42
	v_ldexp_f32 v58, v58, v76
	v_cndmask_b32_e64 v30, 0x7f800000, v19, s31
	v_cmp_ngt_f32_e64 s31, 0xc2ce8ed0, v43
	s_delay_alu instid0(VALU_DEP_2) | instskip(NEXT) | instid1(VALU_DEP_2)
	v_add_f32_e32 v17, v17, v30
	v_cndmask_b32_e64 v19, 0, v54, s31
	v_cmp_nlt_f32_e64 s31, 0x42b17218, v22
	s_delay_alu instid0(VALU_DEP_1) | instskip(SKIP_1) | instid1(VALU_DEP_2)
	v_cndmask_b32_e64 v29, 0x7f800000, v18, s31
	v_cmp_ngt_f32_e64 s31, 0xc2ce8ed0, v23
	v_add_f32_e32 v17, v17, v29
	s_delay_alu instid0(VALU_DEP_2) | instskip(SKIP_1) | instid1(VALU_DEP_1)
	v_cndmask_b32_e64 v18, 0, v55, s31
	v_cmp_nlt_f32_e64 s31, 0x42b17218, v43
	v_cndmask_b32_e64 v28, 0x7f800000, v19, s31
	v_cmp_ngt_f32_e64 s31, 0xc2ce8ed0, v44
	s_delay_alu instid0(VALU_DEP_2) | instskip(NEXT) | instid1(VALU_DEP_2)
	v_add_f32_e32 v17, v17, v28
	v_cndmask_b32_e64 v19, 0, v56, s31
	v_cmp_nlt_f32_e64 s31, 0x42b17218, v23
	v_exp_f32_e32 v60, v60
	s_delay_alu instid0(VALU_DEP_1) | instskip(SKIP_3) | instid1(VALU_DEP_4)
	v_cndmask_b32_e64 v27, 0x7f800000, v18, s31
	v_cmp_ngt_f32_e64 s31, 0xc2ce8ed0, v24
	v_sub_f32_e32 v62, v62, v92
	v_cvt_i32_f32_e32 v92, v92
	v_add_f32_e32 v17, v17, v27
	s_delay_alu instid0(VALU_DEP_4) | instskip(SKIP_1) | instid1(TRANS32_DEP_1)
	v_cndmask_b32_e64 v18, 0, v57, s31
	v_cmp_nlt_f32_e64 s31, 0x42b17218, v44
	v_ldexp_f32 v60, v60, v84
	s_delay_alu instid0(VALU_DEP_2) | instskip(SKIP_1) | instid1(VALU_DEP_2)
	v_cndmask_b32_e64 v26, 0x7f800000, v19, s31
	v_cmp_ngt_f32_e64 s31, 0xc2ce8ed0, v45
	v_dual_fmac_f32 v90, 0x32a5705f, v51 :: v_dual_add_f32 v17, v17, v26
	s_delay_alu instid0(VALU_DEP_2) | instskip(SKIP_1) | instid1(VALU_DEP_1)
	v_cndmask_b32_e64 v19, 0, v58, s31
	v_cmp_nlt_f32_e64 s31, 0x42b17218, v24
	v_cndmask_b32_e64 v25, 0x7f800000, v18, s31
	v_cmp_ngt_f32_e64 s31, 0xc2ce8ed0, v46
	s_delay_alu instid0(VALU_DEP_2) | instskip(NEXT) | instid1(VALU_DEP_2)
	v_add_f32_e32 v17, v17, v25
	v_cndmask_b32_e64 v18, 0, v59, s31
	v_cmp_nlt_f32_e64 s31, 0x42b17218, v45
	s_delay_alu instid0(VALU_DEP_1) | instskip(SKIP_1) | instid1(VALU_DEP_2)
	v_cndmask_b32_e64 v24, 0x7f800000, v19, s31
	v_cmp_ngt_f32_e64 s31, 0xc2ce8ed0, v47
	v_dual_fmac_f32 v74, 0x32a5705f, v53 :: v_dual_add_f32 v17, v17, v24
	s_delay_alu instid0(VALU_DEP_2) | instskip(SKIP_1) | instid1(VALU_DEP_1)
	v_cndmask_b32_e64 v19, 0, v60, s31
	v_cmp_nlt_f32_e64 s31, 0x42b17218, v46
	v_cndmask_b32_e64 v23, 0x7f800000, v18, s31
	v_cmp_ngt_f32_e64 s31, 0xc2ce8ed0, v48
	v_sub_f32_e32 v64, v64, v78
	v_cvt_i32_f32_e32 v78, v78
	s_delay_alu instid0(VALU_DEP_4) | instskip(NEXT) | instid1(VALU_DEP_4)
	v_add_f32_e32 v17, v17, v23
	v_cndmask_b32_e64 v18, 0, v61, s31
	v_cmp_nlt_f32_e64 s31, 0x42b17218, v47
	v_add_f32_e32 v64, v64, v74
	s_delay_alu instid0(VALU_DEP_2) | instskip(SKIP_2) | instid1(VALU_DEP_3)
	v_cndmask_b32_e64 v22, 0x7f800000, v19, s31
	v_fmac_f32_e32 v82, 0x32a5705f, v49
	v_cmp_ngt_f32_e64 s31, 0xc2ce8ed0, v51
	v_add_f32_e32 v17, v17, v22
	v_add_f32_e32 v62, v62, v90
	s_delay_alu instid0(VALU_DEP_1) | instskip(SKIP_2) | instid1(VALU_DEP_1)
	v_exp_f32_e32 v62, v62
	s_waitcnt_depctr 0xfff
	v_ldexp_f32 v62, v62, v92
	v_cndmask_b32_e64 v19, 0, v62, s31
	v_cmp_nlt_f32_e64 s31, 0x42b17218, v48
	v_sub_f32_e32 v48, v12, v16
	s_delay_alu instid0(VALU_DEP_2) | instskip(SKIP_1) | instid1(VALU_DEP_1)
	v_cndmask_b32_e64 v20, 0x7f800000, v18, s31
	v_cmp_ngt_f32_e64 s31, 0xc2ce8ed0, v52
	v_cndmask_b32_e64 v21, 0, v63, s31
	v_cmp_nlt_f32_e64 s31, 0x42b17218, v51
	s_delay_alu instid0(VALU_DEP_1) | instskip(SKIP_2) | instid1(VALU_DEP_1)
	v_cndmask_b32_e64 v18, 0x7f800000, v19, s31
	v_add_f32_e32 v19, v17, v20
	v_cmp_nlt_f32_e64 s31, 0x42b17218, v52
	v_cndmask_b32_e64 v17, 0x7f800000, v21, s31
	v_mul_f32_e32 v21, 0x3fb8aa3b, v40
	v_exp_f32_e32 v64, v64
	v_cmp_ngt_f32_e64 s31, 0xc2ce8ed0, v53
	s_delay_alu instid0(VALU_DEP_2) | instskip(SKIP_2) | instid1(VALU_DEP_2)
	v_fma_f32 v44, 0x3fb8aa3b, v40, -v21
	v_add_f32_e32 v19, v19, v18
	v_rndne_f32_e32 v45, v21
	v_dual_fmac_f32 v44, 0x32a5705f, v40 :: v_dual_add_f32 v19, v19, v17
	s_delay_alu instid0(VALU_DEP_2) | instskip(NEXT) | instid1(TRANS32_DEP_1)
	v_sub_f32_e32 v21, v21, v45
	v_ldexp_f32 v42, v64, v78
	s_delay_alu instid0(VALU_DEP_2)
	v_add_f32_e32 v21, v21, v44
	v_mul_f32_e32 v44, 0x3fb8aa3b, v48
	v_sub_f32_e32 v43, v11, v16
	v_add_f32_e32 v33, v65, v82
	v_cndmask_b32_e64 v42, 0, v42, s31
	v_cmp_nlt_f32_e64 s31, 0x42b17218, v53
	v_exp_f32_e32 v21, v21
	v_mul_f32_e32 v46, 0x3fb8aa3b, v43
	v_exp_f32_e32 v33, v33
	s_delay_alu instid0(VALU_DEP_2) | instskip(SKIP_1) | instid1(VALU_DEP_3)
	v_cndmask_b32_e64 v11, 0x7f800000, v42, s31
	v_cvt_i32_f32_e32 v42, v86
	v_rndne_f32_e32 v47, v46
	v_cmp_ngt_f32_e64 s31, 0xc2ce8ed0, v49
	s_waitcnt_depctr 0xfff
	v_ldexp_f32 v33, v33, v42
	v_fma_f32 v42, 0x3fb8aa3b, v43, -v46
	s_delay_alu instid0(VALU_DEP_2) | instskip(NEXT) | instid1(VALU_DEP_2)
	v_cndmask_b32_e64 v12, 0, v33, s31
	v_fmac_f32_e32 v42, 0x32a5705f, v43
	v_sub_f32_e32 v33, v46, v47
	v_cmp_nlt_f32_e64 s31, 0x42b17218, v49
	s_delay_alu instid0(VALU_DEP_2) | instskip(NEXT) | instid1(VALU_DEP_2)
	v_add_f32_e32 v33, v33, v42
	v_cndmask_b32_e64 v12, 0x7f800000, v12, s31
	v_fma_f32 v42, 0x3fb8aa3b, v48, -v44
	v_add_f32_e32 v19, v19, v11
	v_rndne_f32_e32 v46, v44
	v_exp_f32_e32 v33, v33
	v_cmp_ngt_f32_e64 s31, 0xc2ce8ed0, v40
	v_fmac_f32_e32 v42, 0x32a5705f, v48
	v_add_f32_e32 v51, v19, v12
	v_sub_f32_e32 v49, v10, v16
	v_cvt_i32_f32_e32 v10, v45
	v_sub_f32_e32 v44, v44, v46
	v_cvt_i32_f32_e32 v19, v47
	v_mul_f32_e32 v47, 0x3fb8aa3b, v8
	v_mul_f32_e32 v45, 0x3fb8aa3b, v49
	v_ldexp_f32 v10, v21, v10
	v_add_f32_e32 v21, v44, v42
	v_ldexp_f32 v33, v33, v19
	s_delay_alu instid0(VALU_DEP_4) | instskip(SKIP_4) | instid1(VALU_DEP_3)
	v_fma_f32 v42, 0x3fb8aa3b, v49, -v45
	v_rndne_f32_e32 v44, v45
	v_cndmask_b32_e64 v10, 0, v10, s31
	v_cmp_nlt_f32_e64 s31, 0x42b17218, v40
	v_exp_f32_e32 v21, v21
	v_dual_fmac_f32 v42, 0x32a5705f, v49 :: v_dual_sub_f32 v45, v45, v44
	s_delay_alu instid0(VALU_DEP_2) | instskip(SKIP_2) | instid1(VALU_DEP_4)
	v_cndmask_b32_e64 v19, 0x7f800000, v10, s31
	v_cmp_ngt_f32_e64 s31, 0xc2ce8ed0, v43
	v_cvt_i32_f32_e32 v10, v46
	v_dual_add_f32 v40, v45, v42 :: v_dual_sub_f32 v45, v7, v16
	s_delay_alu instid0(VALU_DEP_4) | instskip(NEXT) | instid1(VALU_DEP_4)
	v_add_f32_e32 v42, v51, v19
	v_cndmask_b32_e64 v33, 0, v33, s31
	v_cmp_nlt_f32_e64 s31, 0x42b17218, v43
	s_delay_alu instid0(TRANS32_DEP_1) | instskip(SKIP_2) | instid1(VALU_DEP_4)
	v_ldexp_f32 v21, v21, v10
	v_cvt_i32_f32_e32 v43, v44
	v_sub_f32_e32 v6, v6, v16
	v_cndmask_b32_e64 v10, 0x7f800000, v33, s31
	v_exp_f32_e32 v33, v40
	v_cmp_ngt_f32_e64 s31, 0xc2ce8ed0, v48
	v_sub_f32_e32 v40, v9, v16
	s_delay_alu instid0(VALU_DEP_3) | instskip(NEXT) | instid1(VALU_DEP_3)
	v_add_f32_e32 v42, v42, v10
	v_cndmask_b32_e64 v21, 0, v21, s31
	v_cmp_nlt_f32_e64 s31, 0x42b17218, v48
	v_rndne_f32_e32 v48, v47
	s_delay_alu instid0(TRANS32_DEP_1) | instskip(NEXT) | instid1(VALU_DEP_3)
	v_ldexp_f32 v33, v33, v43
	v_cndmask_b32_e64 v9, 0x7f800000, v21, s31
	v_cmp_ngt_f32_e64 s31, 0xc2ce8ed0, v49
	s_delay_alu instid0(VALU_DEP_2) | instskip(NEXT) | instid1(VALU_DEP_2)
	v_add_f32_e32 v42, v42, v9
	v_cndmask_b32_e64 v33, 0, v33, s31
	v_cmp_nlt_f32_e64 s31, 0x42b17218, v49
	s_delay_alu instid0(VALU_DEP_1) | instskip(SKIP_2) | instid1(VALU_DEP_3)
	v_cndmask_b32_e64 v7, 0x7f800000, v33, s31
	v_mul_f32_e32 v33, 0x3fb8aa3b, v45
	v_cmp_ngt_f32_e64 s31, 0xc2ce8ed0, v40
	v_add_f32_e32 v42, v42, v7
	s_delay_alu instid0(VALU_DEP_3) | instskip(NEXT) | instid1(VALU_DEP_1)
	v_rndne_f32_e32 v46, v33
	v_dual_mul_f32 v21, 0x3fb8aa3b, v40 :: v_dual_sub_f32 v16, v33, v46
	s_delay_alu instid0(VALU_DEP_1) | instskip(SKIP_1) | instid1(VALU_DEP_2)
	v_fma_f32 v43, 0x3fb8aa3b, v40, -v21
	v_rndne_f32_e32 v44, v21
	v_fmac_f32_e32 v43, 0x32a5705f, v40
	s_delay_alu instid0(VALU_DEP_2) | instskip(SKIP_1) | instid1(VALU_DEP_2)
	v_sub_f32_e32 v21, v21, v44
	v_cvt_i32_f32_e32 v44, v44
	v_add_f32_e32 v21, v21, v43
	v_fma_f32 v43, 0x3fb8aa3b, v45, -v33
	v_fma_f32 v33, 0x3fb8aa3b, v8, -v47
	s_delay_alu instid0(VALU_DEP_3) | instskip(NEXT) | instid1(VALU_DEP_2)
	v_exp_f32_e32 v21, v21
	v_fmac_f32_e32 v43, 0x32a5705f, v45
	s_delay_alu instid0(VALU_DEP_1)
	v_dual_fmac_f32 v33, 0x32a5705f, v8 :: v_dual_add_f32 v16, v16, v43
	v_sub_f32_e32 v43, v47, v48
	s_waitcnt_depctr 0xfff
	v_ldexp_f32 v21, v21, v44
	v_exp_f32_e32 v16, v16
	v_add_f32_e32 v33, v43, v33
	v_cvt_i32_f32_e32 v44, v46
	s_delay_alu instid0(VALU_DEP_3) | instskip(SKIP_1) | instid1(VALU_DEP_4)
	v_cndmask_b32_e64 v21, 0, v21, s31
	v_cmp_nlt_f32_e64 s31, 0x42b17218, v40
	v_exp_f32_e32 v33, v33
	v_cvt_i32_f32_e32 v40, v48
	s_delay_alu instid0(TRANS32_DEP_2) | instskip(NEXT) | instid1(VALU_DEP_3)
	v_ldexp_f32 v16, v16, v44
	v_cndmask_b32_e64 v21, 0x7f800000, v21, s31
	v_cmp_ngt_f32_e64 s31, 0xc2ce8ed0, v45
	s_waitcnt_depctr 0xfff
	v_ldexp_f32 v33, v33, v40
	v_cndmask_b32_e64 v16, 0, v16, s31
	v_cmp_nlt_f32_e64 s31, 0x42b17218, v45
	v_add_f32_e32 v42, v42, v21
	s_delay_alu instid0(VALU_DEP_2) | instskip(SKIP_1) | instid1(VALU_DEP_2)
	v_cndmask_b32_e64 v16, 0x7f800000, v16, s31
	v_cmp_ngt_f32_e64 s31, 0xc2ce8ed0, v8
	v_add_f32_e32 v42, v42, v16
	s_delay_alu instid0(VALU_DEP_2) | instskip(SKIP_1) | instid1(VALU_DEP_1)
	v_cndmask_b32_e64 v33, 0, v33, s31
	v_cmp_nlt_f32_e64 s31, 0x42b17218, v8
	v_cndmask_b32_e64 v8, 0x7f800000, v33, s31
	v_mul_f32_e32 v49, 0x3fb8aa3b, v6
	v_cmp_ngt_f32_e64 s31, 0xc2ce8ed0, v6
	s_delay_alu instid0(VALU_DEP_2) | instskip(SKIP_1) | instid1(VALU_DEP_2)
	v_fma_f32 v47, 0x3fb8aa3b, v6, -v49
	v_rndne_f32_e32 v51, v49
	v_fmac_f32_e32 v47, 0x32a5705f, v6
	s_delay_alu instid0(VALU_DEP_2) | instskip(SKIP_1) | instid1(VALU_DEP_2)
	v_sub_f32_e32 v43, v49, v51
	v_cvt_i32_f32_e32 v40, v51
	v_add_f32_e32 v43, v43, v47
	s_delay_alu instid0(VALU_DEP_1) | instskip(SKIP_2) | instid1(VALU_DEP_1)
	v_exp_f32_e32 v43, v43
	s_waitcnt_depctr 0xfff
	v_ldexp_f32 v40, v43, v40
	v_cndmask_b32_e64 v33, 0, v40, s31
	v_add_f32_e32 v40, v42, v8
	v_cmp_nlt_f32_e64 s31, 0x42b17218, v6
	s_delay_alu instid0(VALU_DEP_1) | instskip(NEXT) | instid1(VALU_DEP_1)
	v_cndmask_b32_e64 v6, 0x7f800000, v33, s31
	v_add_f32_e32 v33, v40, v6
	ds_bpermute_b32 v2, v2, v33
	s_waitcnt lgkmcnt(0)
	v_add_f32_e32 v2, v33, v2
	ds_bpermute_b32 v3, v3, v2
	s_waitcnt lgkmcnt(0)
	;; [unrolled: 3-line block ×5, first 2 shown]
	v_add_f32_e32 v2, v2, v3
	ds_bpermute_b32 v3, v15, v2
	v_cmpx_lt_i32_e32 0, v5
	s_cbranch_execz .LBB506_98
; %bb.65:
	s_and_b32 exec_lo, exec_lo, vcc_lo
	s_cbranch_execz .LBB506_98
; %bb.66:
	s_waitcnt lgkmcnt(0)
	v_add_f32_e32 v2, v2, v3
	v_lshlrev_b64 v[0:1], 2, v[0:1]
	s_delay_alu instid0(VALU_DEP_2) | instskip(SKIP_1) | instid1(VALU_DEP_2)
	v_div_scale_f32 v3, null, v2, v2, v50
	v_div_scale_f32 v13, vcc_lo, v50, v2, v50
	v_rcp_f32_e32 v4, v3
	s_waitcnt_depctr 0xfff
	v_fma_f32 v5, -v3, v4, 1.0
	s_delay_alu instid0(VALU_DEP_1) | instskip(NEXT) | instid1(VALU_DEP_1)
	v_fmac_f32_e32 v4, v5, v4
	v_mul_f32_e32 v5, v13, v4
	v_cmp_eq_f32_e64 s31, 0, v2
	s_delay_alu instid0(VALU_DEP_2) | instskip(NEXT) | instid1(VALU_DEP_1)
	v_fma_f32 v14, -v3, v5, v13
	v_fmac_f32_e32 v5, v14, v4
	s_delay_alu instid0(VALU_DEP_1) | instskip(NEXT) | instid1(VALU_DEP_1)
	v_fma_f32 v3, -v3, v5, v13
	v_div_fmas_f32 v3, v3, v4, v5
	v_add_co_u32 v0, vcc_lo, s36, v0
	v_add_co_ci_u32_e32 v1, vcc_lo, s37, v1, vcc_lo
	s_delay_alu instid0(VALU_DEP_3) | instskip(NEXT) | instid1(VALU_DEP_1)
	v_div_fixup_f32 v3, v3, v2, v50
	v_cndmask_b32_e64 v3, v3, 0x7fc00000, s31
	global_store_b32 v[0:1], v3, off
	s_and_b32 exec_lo, exec_lo, s30
	s_cbranch_execz .LBB506_98
; %bb.67:
	v_div_scale_f32 v3, null, v2, v2, v41
	s_delay_alu instid0(VALU_DEP_1) | instskip(SKIP_2) | instid1(VALU_DEP_1)
	v_rcp_f32_e32 v4, v3
	s_waitcnt_depctr 0xfff
	v_fma_f32 v5, -v3, v4, 1.0
	v_fmac_f32_e32 v4, v5, v4
	v_div_scale_f32 v5, vcc_lo, v41, v2, v41
	s_delay_alu instid0(VALU_DEP_1) | instskip(NEXT) | instid1(VALU_DEP_1)
	v_mul_f32_e32 v13, v5, v4
	v_fma_f32 v14, -v3, v13, v5
	s_delay_alu instid0(VALU_DEP_1) | instskip(NEXT) | instid1(VALU_DEP_1)
	v_fmac_f32_e32 v13, v14, v4
	v_fma_f32 v3, -v3, v13, v5
	s_delay_alu instid0(VALU_DEP_1) | instskip(NEXT) | instid1(VALU_DEP_1)
	v_div_fmas_f32 v3, v3, v4, v13
	v_div_fixup_f32 v3, v3, v2, v41
	s_delay_alu instid0(VALU_DEP_1)
	v_cndmask_b32_e64 v3, v3, 0x7fc00000, s31
	global_store_b32 v[0:1], v3, off offset:256
	s_and_b32 exec_lo, exec_lo, s29
	s_cbranch_execz .LBB506_98
; %bb.68:
	v_div_scale_f32 v3, null, v2, v2, v39
	s_delay_alu instid0(VALU_DEP_1) | instskip(SKIP_2) | instid1(VALU_DEP_1)
	v_rcp_f32_e32 v4, v3
	s_waitcnt_depctr 0xfff
	v_fma_f32 v5, -v3, v4, 1.0
	v_fmac_f32_e32 v4, v5, v4
	v_div_scale_f32 v5, vcc_lo, v39, v2, v39
	s_delay_alu instid0(VALU_DEP_1) | instskip(NEXT) | instid1(VALU_DEP_1)
	v_mul_f32_e32 v13, v5, v4
	v_fma_f32 v14, -v3, v13, v5
	s_delay_alu instid0(VALU_DEP_1) | instskip(NEXT) | instid1(VALU_DEP_1)
	v_fmac_f32_e32 v13, v14, v4
	v_fma_f32 v3, -v3, v13, v5
	s_delay_alu instid0(VALU_DEP_1) | instskip(NEXT) | instid1(VALU_DEP_1)
	v_div_fmas_f32 v3, v3, v4, v13
	v_div_fixup_f32 v3, v3, v2, v39
	s_delay_alu instid0(VALU_DEP_1)
	v_cndmask_b32_e64 v3, v3, 0x7fc00000, s31
	global_store_b32 v[0:1], v3, off offset:512
	;; [unrolled: 22-line block ×15, first 2 shown]
	s_and_b32 exec_lo, exec_lo, s15
	s_cbranch_execz .LBB506_98
; %bb.82:
	v_div_scale_f32 v3, null, v2, v2, v24
	v_div_scale_f32 v13, vcc_lo, v24, v2, v24
	s_delay_alu instid0(VALU_DEP_2) | instskip(SKIP_2) | instid1(VALU_DEP_1)
	v_rcp_f32_e32 v4, v3
	s_waitcnt_depctr 0xfff
	v_fma_f32 v5, -v3, v4, 1.0
	v_fmac_f32_e32 v4, v5, v4
	s_delay_alu instid0(VALU_DEP_1) | instskip(NEXT) | instid1(VALU_DEP_1)
	v_mul_f32_e32 v5, v13, v4
	v_fma_f32 v14, -v3, v5, v13
	s_delay_alu instid0(VALU_DEP_1) | instskip(NEXT) | instid1(VALU_DEP_1)
	v_fmac_f32_e32 v5, v14, v4
	v_fma_f32 v3, -v3, v5, v13
	s_delay_alu instid0(VALU_DEP_1) | instskip(SKIP_2) | instid1(VALU_DEP_3)
	v_div_fmas_f32 v3, v3, v4, v5
	v_add_co_u32 v0, vcc_lo, 0x1000, v0
	v_add_co_ci_u32_e32 v1, vcc_lo, 0, v1, vcc_lo
	v_div_fixup_f32 v3, v3, v2, v24
	s_delay_alu instid0(VALU_DEP_1)
	v_cndmask_b32_e64 v3, v3, 0x7fc00000, s31
	global_store_b32 v[0:1], v3, off
	s_and_b32 exec_lo, exec_lo, s14
	s_cbranch_execz .LBB506_98
; %bb.83:
	v_div_scale_f32 v3, null, v2, v2, v23
	s_delay_alu instid0(VALU_DEP_1) | instskip(SKIP_2) | instid1(VALU_DEP_1)
	v_rcp_f32_e32 v4, v3
	s_waitcnt_depctr 0xfff
	v_fma_f32 v5, -v3, v4, 1.0
	v_fmac_f32_e32 v4, v5, v4
	v_div_scale_f32 v5, vcc_lo, v23, v2, v23
	s_delay_alu instid0(VALU_DEP_1) | instskip(NEXT) | instid1(VALU_DEP_1)
	v_mul_f32_e32 v13, v5, v4
	v_fma_f32 v14, -v3, v13, v5
	s_delay_alu instid0(VALU_DEP_1) | instskip(NEXT) | instid1(VALU_DEP_1)
	v_fmac_f32_e32 v13, v14, v4
	v_fma_f32 v3, -v3, v13, v5
	s_delay_alu instid0(VALU_DEP_1) | instskip(NEXT) | instid1(VALU_DEP_1)
	v_div_fmas_f32 v3, v3, v4, v13
	v_div_fixup_f32 v3, v3, v2, v23
	s_delay_alu instid0(VALU_DEP_1)
	v_cndmask_b32_e64 v3, v3, 0x7fc00000, s31
	global_store_b32 v[0:1], v3, off offset:256
	s_and_b32 exec_lo, exec_lo, s13
	s_cbranch_execz .LBB506_98
; %bb.84:
	v_div_scale_f32 v3, null, v2, v2, v22
	s_delay_alu instid0(VALU_DEP_1) | instskip(SKIP_2) | instid1(VALU_DEP_1)
	v_rcp_f32_e32 v4, v3
	s_waitcnt_depctr 0xfff
	v_fma_f32 v5, -v3, v4, 1.0
	v_fmac_f32_e32 v4, v5, v4
	v_div_scale_f32 v5, vcc_lo, v22, v2, v22
	s_delay_alu instid0(VALU_DEP_1) | instskip(NEXT) | instid1(VALU_DEP_1)
	v_mul_f32_e32 v13, v5, v4
	v_fma_f32 v14, -v3, v13, v5
	s_delay_alu instid0(VALU_DEP_1) | instskip(NEXT) | instid1(VALU_DEP_1)
	v_fmac_f32_e32 v13, v14, v4
	v_fma_f32 v3, -v3, v13, v5
	s_delay_alu instid0(VALU_DEP_1) | instskip(NEXT) | instid1(VALU_DEP_1)
	v_div_fmas_f32 v3, v3, v4, v13
	v_div_fixup_f32 v3, v3, v2, v22
	s_delay_alu instid0(VALU_DEP_1)
	v_cndmask_b32_e64 v3, v3, 0x7fc00000, s31
	global_store_b32 v[0:1], v3, off offset:512
	;; [unrolled: 22-line block ×15, first 2 shown]
.LBB506_98:
	s_nop 0
	s_sendmsg sendmsg(MSG_DEALLOC_VGPRS)
	s_endpgm
	.section	.rodata,"a",@progbits
	.p2align	6, 0x0
	.amdhsa_kernel _ZN12_GLOBAL__N_120softmax_warp_forwardIN3c108BFloat16EffLi11ELb0ELb0ELi64EEEvPT0_PKT_iiiPKbib
		.amdhsa_group_segment_fixed_size 0
		.amdhsa_private_segment_fixed_size 0
		.amdhsa_kernarg_size 304
		.amdhsa_user_sgpr_count 15
		.amdhsa_user_sgpr_dispatch_ptr 0
		.amdhsa_user_sgpr_queue_ptr 0
		.amdhsa_user_sgpr_kernarg_segment_ptr 1
		.amdhsa_user_sgpr_dispatch_id 0
		.amdhsa_user_sgpr_private_segment_size 0
		.amdhsa_wavefront_size32 1
		.amdhsa_uses_dynamic_stack 0
		.amdhsa_enable_private_segment 0
		.amdhsa_system_sgpr_workgroup_id_x 1
		.amdhsa_system_sgpr_workgroup_id_y 0
		.amdhsa_system_sgpr_workgroup_id_z 0
		.amdhsa_system_sgpr_workgroup_info 0
		.amdhsa_system_vgpr_workitem_id 1
		.amdhsa_next_free_vgpr 94
		.amdhsa_next_free_sgpr 44
		.amdhsa_reserve_vcc 1
		.amdhsa_float_round_mode_32 0
		.amdhsa_float_round_mode_16_64 0
		.amdhsa_float_denorm_mode_32 3
		.amdhsa_float_denorm_mode_16_64 3
		.amdhsa_dx10_clamp 1
		.amdhsa_ieee_mode 1
		.amdhsa_fp16_overflow 0
		.amdhsa_workgroup_processor_mode 1
		.amdhsa_memory_ordered 1
		.amdhsa_forward_progress 0
		.amdhsa_shared_vgpr_count 0
		.amdhsa_exception_fp_ieee_invalid_op 0
		.amdhsa_exception_fp_denorm_src 0
		.amdhsa_exception_fp_ieee_div_zero 0
		.amdhsa_exception_fp_ieee_overflow 0
		.amdhsa_exception_fp_ieee_underflow 0
		.amdhsa_exception_fp_ieee_inexact 0
		.amdhsa_exception_int_div_zero 0
	.end_amdhsa_kernel
	.section	.text._ZN12_GLOBAL__N_120softmax_warp_forwardIN3c108BFloat16EffLi11ELb0ELb0ELi64EEEvPT0_PKT_iiiPKbib,"axG",@progbits,_ZN12_GLOBAL__N_120softmax_warp_forwardIN3c108BFloat16EffLi11ELb0ELb0ELi64EEEvPT0_PKT_iiiPKbib,comdat
.Lfunc_end506:
	.size	_ZN12_GLOBAL__N_120softmax_warp_forwardIN3c108BFloat16EffLi11ELb0ELb0ELi64EEEvPT0_PKT_iiiPKbib, .Lfunc_end506-_ZN12_GLOBAL__N_120softmax_warp_forwardIN3c108BFloat16EffLi11ELb0ELb0ELi64EEEvPT0_PKT_iiiPKbib
                                        ; -- End function
	.section	.AMDGPU.csdata,"",@progbits
; Kernel info:
; codeLenInByte = 10920
; NumSgprs: 46
; NumVgprs: 94
; ScratchSize: 0
; MemoryBound: 0
; FloatMode: 240
; IeeeMode: 1
; LDSByteSize: 0 bytes/workgroup (compile time only)
; SGPRBlocks: 5
; VGPRBlocks: 11
; NumSGPRsForWavesPerEU: 46
; NumVGPRsForWavesPerEU: 94
; Occupancy: 16
; WaveLimiterHint : 0
; COMPUTE_PGM_RSRC2:SCRATCH_EN: 0
; COMPUTE_PGM_RSRC2:USER_SGPR: 15
; COMPUTE_PGM_RSRC2:TRAP_HANDLER: 0
; COMPUTE_PGM_RSRC2:TGID_X_EN: 1
; COMPUTE_PGM_RSRC2:TGID_Y_EN: 0
; COMPUTE_PGM_RSRC2:TGID_Z_EN: 0
; COMPUTE_PGM_RSRC2:TIDIG_COMP_CNT: 1
	.section	.text._ZN12_GLOBAL__N_120softmax_warp_forwardIN3c108BFloat16EffLi11ELb0ELb0ELi32EEEvPT0_PKT_iiiPKbib,"axG",@progbits,_ZN12_GLOBAL__N_120softmax_warp_forwardIN3c108BFloat16EffLi11ELb0ELb0ELi32EEEvPT0_PKT_iiiPKbib,comdat
	.globl	_ZN12_GLOBAL__N_120softmax_warp_forwardIN3c108BFloat16EffLi11ELb0ELb0ELi32EEEvPT0_PKT_iiiPKbib ; -- Begin function _ZN12_GLOBAL__N_120softmax_warp_forwardIN3c108BFloat16EffLi11ELb0ELb0ELi32EEEvPT0_PKT_iiiPKbib
	.p2align	8
	.type	_ZN12_GLOBAL__N_120softmax_warp_forwardIN3c108BFloat16EffLi11ELb0ELb0ELi32EEEvPT0_PKT_iiiPKbib,@function
_ZN12_GLOBAL__N_120softmax_warp_forwardIN3c108BFloat16EffLi11ELb0ELb0ELi32EEEvPT0_PKT_iiiPKbib: ; @_ZN12_GLOBAL__N_120softmax_warp_forwardIN3c108BFloat16EffLi11ELb0ELb0ELi32EEEvPT0_PKT_iiiPKbib
; %bb.0:
	s_clause 0x1
	s_load_b32 s2, s[0:1], 0x3c
	s_load_b256 s[68:75], s[0:1], 0x0
	v_bfe_u32 v1, v0, 10, 10
	v_dual_mov_b32 v14, 0xff800000 :: v_dual_mov_b32 v13, 0xff800000
	s_waitcnt lgkmcnt(0)
	s_lshr_b32 s0, s2, 16
	s_delay_alu instid0(VALU_DEP_2) | instid1(SALU_CYCLE_1)
	v_mad_u64_u32 v[3:4], null, s15, s0, v[1:2]
	v_and_b32_e32 v2, 0x3ff, v0
	s_delay_alu instid0(VALU_DEP_1) | instskip(NEXT) | instid1(VALU_DEP_3)
	v_cmp_gt_i32_e32 vcc_lo, s74, v2
	v_mad_u64_u32 v[0:1], null, v3, s73, v[2:3]
	v_sub_nc_u32_e32 v5, s72, v3
	s_delay_alu instid0(VALU_DEP_1) | instskip(NEXT) | instid1(VALU_DEP_3)
	v_cmp_lt_i32_e64 s64, 0, v5
	v_ashrrev_i32_e32 v1, 31, v0
	s_delay_alu instid0(VALU_DEP_2) | instskip(NEXT) | instid1(VALU_DEP_1)
	s_and_b32 s1, s64, vcc_lo
	v_lshlrev_b64 v[3:4], 1, v[0:1]
	s_delay_alu instid0(VALU_DEP_1) | instskip(NEXT) | instid1(VALU_DEP_1)
	v_add_co_u32 v3, s0, s70, v3
	v_add_co_ci_u32_e64 v4, s0, s71, v4, s0
	s_and_saveexec_b32 s0, s1
	s_cbranch_execz .LBB507_2
; %bb.1:
	global_load_u16 v6, v[3:4], off
	s_waitcnt vmcnt(0)
	v_lshlrev_b32_e32 v13, 16, v6
.LBB507_2:
	s_or_b32 exec_lo, exec_lo, s0
	v_add_nc_u32_e32 v6, 32, v2
	s_delay_alu instid0(VALU_DEP_1) | instskip(NEXT) | instid1(VALU_DEP_1)
	v_cmp_gt_i32_e64 s63, s74, v6
	s_and_b32 s1, s64, s63
	s_delay_alu instid0(SALU_CYCLE_1)
	s_and_saveexec_b32 s0, s1
	s_cbranch_execz .LBB507_4
; %bb.3:
	global_load_u16 v6, v[3:4], off offset:64
	s_waitcnt vmcnt(0)
	v_lshlrev_b32_e32 v14, 16, v6
.LBB507_4:
	s_or_b32 exec_lo, exec_lo, s0
	v_add_nc_u32_e32 v6, 64, v2
	v_mov_b32_e32 v20, 0xff800000
	v_mov_b32_e32 v16, 0xff800000
	s_delay_alu instid0(VALU_DEP_3) | instskip(NEXT) | instid1(VALU_DEP_1)
	v_cmp_gt_i32_e64 s62, s74, v6
	s_and_b32 s1, s64, s62
	s_delay_alu instid0(SALU_CYCLE_1)
	s_and_saveexec_b32 s0, s1
	s_cbranch_execz .LBB507_6
; %bb.5:
	global_load_u16 v6, v[3:4], off offset:128
	s_waitcnt vmcnt(0)
	v_lshlrev_b32_e32 v16, 16, v6
.LBB507_6:
	s_or_b32 exec_lo, exec_lo, s0
	v_add_nc_u32_e32 v6, 0x60, v2
	s_delay_alu instid0(VALU_DEP_1) | instskip(NEXT) | instid1(VALU_DEP_1)
	v_cmp_gt_i32_e64 s61, s74, v6
	s_and_b32 s1, s64, s61
	s_delay_alu instid0(SALU_CYCLE_1)
	s_and_saveexec_b32 s0, s1
	s_cbranch_execz .LBB507_8
; %bb.7:
	global_load_u16 v6, v[3:4], off offset:192
	s_waitcnt vmcnt(0)
	v_lshlrev_b32_e32 v20, 16, v6
.LBB507_8:
	s_or_b32 exec_lo, exec_lo, s0
	v_add_nc_u32_e32 v6, 0x80, v2
	v_dual_mov_b32 v22, 0xff800000 :: v_dual_mov_b32 v21, 0xff800000
	s_delay_alu instid0(VALU_DEP_2) | instskip(NEXT) | instid1(VALU_DEP_1)
	v_cmp_gt_i32_e64 s60, s74, v6
	s_and_b32 s1, s64, s60
	s_delay_alu instid0(SALU_CYCLE_1)
	s_and_saveexec_b32 s0, s1
	s_cbranch_execz .LBB507_10
; %bb.9:
	global_load_u16 v6, v[3:4], off offset:256
	s_waitcnt vmcnt(0)
	v_lshlrev_b32_e32 v21, 16, v6
.LBB507_10:
	s_or_b32 exec_lo, exec_lo, s0
	v_add_nc_u32_e32 v6, 0xa0, v2
	s_delay_alu instid0(VALU_DEP_1) | instskip(NEXT) | instid1(VALU_DEP_1)
	v_cmp_gt_i32_e64 s59, s74, v6
	s_and_b32 s1, s64, s59
	s_delay_alu instid0(SALU_CYCLE_1)
	s_and_saveexec_b32 s0, s1
	s_cbranch_execz .LBB507_12
; %bb.11:
	global_load_u16 v6, v[3:4], off offset:320
	s_waitcnt vmcnt(0)
	v_lshlrev_b32_e32 v22, 16, v6
.LBB507_12:
	s_or_b32 exec_lo, exec_lo, s0
	v_add_nc_u32_e32 v6, 0xc0, v2
	v_dual_mov_b32 v24, 0xff800000 :: v_dual_mov_b32 v23, 0xff800000
	s_delay_alu instid0(VALU_DEP_2) | instskip(NEXT) | instid1(VALU_DEP_1)
	v_cmp_gt_i32_e64 s58, s74, v6
	s_and_b32 s1, s64, s58
	s_delay_alu instid0(SALU_CYCLE_1)
	s_and_saveexec_b32 s0, s1
	s_cbranch_execz .LBB507_14
; %bb.13:
	global_load_u16 v6, v[3:4], off offset:384
	s_waitcnt vmcnt(0)
	v_lshlrev_b32_e32 v23, 16, v6
.LBB507_14:
	s_or_b32 exec_lo, exec_lo, s0
	v_add_nc_u32_e32 v6, 0xe0, v2
	s_delay_alu instid0(VALU_DEP_1) | instskip(NEXT) | instid1(VALU_DEP_1)
	v_cmp_gt_i32_e64 s57, s74, v6
	s_and_b32 s1, s64, s57
	s_delay_alu instid0(SALU_CYCLE_1)
	s_and_saveexec_b32 s0, s1
	s_cbranch_execz .LBB507_16
; %bb.15:
	global_load_u16 v6, v[3:4], off offset:448
	s_waitcnt vmcnt(0)
	v_lshlrev_b32_e32 v24, 16, v6
.LBB507_16:
	s_or_b32 exec_lo, exec_lo, s0
	v_add_nc_u32_e32 v6, 0x100, v2
	v_mov_b32_e32 v31, 0xff800000
	v_mov_b32_e32 v27, 0xff800000
	s_delay_alu instid0(VALU_DEP_3) | instskip(NEXT) | instid1(VALU_DEP_1)
	v_cmp_gt_i32_e64 s56, s74, v6
	s_and_b32 s1, s64, s56
	s_delay_alu instid0(SALU_CYCLE_1)
	s_and_saveexec_b32 s0, s1
	s_cbranch_execz .LBB507_18
; %bb.17:
	global_load_u16 v6, v[3:4], off offset:512
	s_waitcnt vmcnt(0)
	v_lshlrev_b32_e32 v27, 16, v6
.LBB507_18:
	s_or_b32 exec_lo, exec_lo, s0
	v_add_nc_u32_e32 v6, 0x120, v2
	s_delay_alu instid0(VALU_DEP_1) | instskip(NEXT) | instid1(VALU_DEP_1)
	v_cmp_gt_i32_e64 s55, s74, v6
	s_and_b32 s1, s64, s55
	s_delay_alu instid0(SALU_CYCLE_1)
	s_and_saveexec_b32 s0, s1
	s_cbranch_execz .LBB507_20
; %bb.19:
	global_load_u16 v6, v[3:4], off offset:576
	s_waitcnt vmcnt(0)
	v_lshlrev_b32_e32 v31, 16, v6
.LBB507_20:
	s_or_b32 exec_lo, exec_lo, s0
	v_add_nc_u32_e32 v6, 0x140, v2
	v_dual_mov_b32 v33, 0xff800000 :: v_dual_mov_b32 v32, 0xff800000
	s_delay_alu instid0(VALU_DEP_2) | instskip(NEXT) | instid1(VALU_DEP_1)
	v_cmp_gt_i32_e64 s54, s74, v6
	s_and_b32 s1, s64, s54
	s_delay_alu instid0(SALU_CYCLE_1)
	s_and_saveexec_b32 s0, s1
	s_cbranch_execz .LBB507_22
; %bb.21:
	global_load_u16 v6, v[3:4], off offset:640
	s_waitcnt vmcnt(0)
	v_lshlrev_b32_e32 v32, 16, v6
.LBB507_22:
	s_or_b32 exec_lo, exec_lo, s0
	v_add_nc_u32_e32 v6, 0x160, v2
	s_delay_alu instid0(VALU_DEP_1) | instskip(NEXT) | instid1(VALU_DEP_1)
	v_cmp_gt_i32_e64 s53, s74, v6
	s_and_b32 s1, s64, s53
	s_delay_alu instid0(SALU_CYCLE_1)
	s_and_saveexec_b32 s0, s1
	s_cbranch_execz .LBB507_24
; %bb.23:
	global_load_u16 v6, v[3:4], off offset:704
	s_waitcnt vmcnt(0)
	v_lshlrev_b32_e32 v33, 16, v6
.LBB507_24:
	s_or_b32 exec_lo, exec_lo, s0
	v_add_nc_u32_e32 v6, 0x180, v2
	v_mov_b32_e32 v37, 0xff800000
	v_mov_b32_e32 v35, 0xff800000
	s_delay_alu instid0(VALU_DEP_3) | instskip(NEXT) | instid1(VALU_DEP_1)
	v_cmp_gt_i32_e64 s52, s74, v6
	s_and_b32 s1, s64, s52
	s_delay_alu instid0(SALU_CYCLE_1)
	s_and_saveexec_b32 s0, s1
	s_cbranch_execz .LBB507_26
; %bb.25:
	global_load_u16 v6, v[3:4], off offset:768
	s_waitcnt vmcnt(0)
	v_lshlrev_b32_e32 v35, 16, v6
.LBB507_26:
	s_or_b32 exec_lo, exec_lo, s0
	v_add_nc_u32_e32 v6, 0x1a0, v2
	s_delay_alu instid0(VALU_DEP_1) | instskip(NEXT) | instid1(VALU_DEP_1)
	v_cmp_gt_i32_e64 s51, s74, v6
	s_and_b32 s1, s64, s51
	s_delay_alu instid0(SALU_CYCLE_1)
	s_and_saveexec_b32 s0, s1
	s_cbranch_execz .LBB507_28
; %bb.27:
	global_load_u16 v6, v[3:4], off offset:832
	s_waitcnt vmcnt(0)
	v_lshlrev_b32_e32 v37, 16, v6
.LBB507_28:
	s_or_b32 exec_lo, exec_lo, s0
	v_add_nc_u32_e32 v6, 0x1c0, v2
	v_dual_mov_b32 v39, 0xff800000 :: v_dual_mov_b32 v38, 0xff800000
	s_delay_alu instid0(VALU_DEP_2) | instskip(NEXT) | instid1(VALU_DEP_1)
	v_cmp_gt_i32_e64 s50, s74, v6
	s_and_b32 s1, s64, s50
	s_delay_alu instid0(SALU_CYCLE_1)
	s_and_saveexec_b32 s0, s1
	s_cbranch_execz .LBB507_30
; %bb.29:
	global_load_u16 v6, v[3:4], off offset:896
	s_waitcnt vmcnt(0)
	v_lshlrev_b32_e32 v38, 16, v6
.LBB507_30:
	s_or_b32 exec_lo, exec_lo, s0
	v_add_nc_u32_e32 v6, 0x1e0, v2
	s_delay_alu instid0(VALU_DEP_1) | instskip(NEXT) | instid1(VALU_DEP_1)
	v_cmp_gt_i32_e64 s49, s74, v6
	s_and_b32 s1, s64, s49
	s_delay_alu instid0(SALU_CYCLE_1)
	s_and_saveexec_b32 s0, s1
	s_cbranch_execz .LBB507_32
; %bb.31:
	global_load_u16 v6, v[3:4], off offset:960
	s_waitcnt vmcnt(0)
	v_lshlrev_b32_e32 v39, 16, v6
.LBB507_32:
	s_or_b32 exec_lo, exec_lo, s0
	v_add_nc_u32_e32 v6, 0x200, v2
	v_dual_mov_b32 v41, 0xff800000 :: v_dual_mov_b32 v40, 0xff800000
	s_delay_alu instid0(VALU_DEP_2) | instskip(NEXT) | instid1(VALU_DEP_1)
	;; [unrolled: 27-line block ×9, first 2 shown]
	v_cmp_gt_i32_e64 s34, s74, v6
	s_and_b32 s1, s64, s34
	s_delay_alu instid0(SALU_CYCLE_1)
	s_and_saveexec_b32 s0, s1
	s_cbranch_execz .LBB507_62
; %bb.61:
	global_load_u16 v6, v[3:4], off offset:1920
	s_waitcnt vmcnt(0)
	v_lshlrev_b32_e32 v60, 16, v6
.LBB507_62:
	s_or_b32 exec_lo, exec_lo, s0
	v_add_nc_u32_e32 v6, 0x3e0, v2
	s_delay_alu instid0(VALU_DEP_1) | instskip(NEXT) | instid1(VALU_DEP_1)
	v_cmp_gt_i32_e64 s33, s74, v6
	s_and_b32 s1, s64, s33
	s_delay_alu instid0(SALU_CYCLE_1)
	s_and_saveexec_b32 s0, s1
	s_cbranch_execz .LBB507_64
; %bb.63:
	global_load_u16 v6, v[3:4], off offset:1984
	s_waitcnt vmcnt(0)
	v_lshlrev_b32_e32 v63, 16, v6
.LBB507_64:
	s_or_b32 exec_lo, exec_lo, s0
	v_or_b32_e32 v6, 0x400, v2
	v_dual_mov_b32 v71, 0xff800000 :: v_dual_mov_b32 v70, 0xff800000
	s_delay_alu instid0(VALU_DEP_2) | instskip(NEXT) | instid1(VALU_DEP_1)
	v_cmp_gt_i32_e64 s31, s74, v6
	s_and_b32 s1, s64, s31
	s_delay_alu instid0(SALU_CYCLE_1)
	s_and_saveexec_b32 s0, s1
	s_cbranch_execz .LBB507_66
; %bb.65:
	global_load_u16 v6, v[3:4], off offset:2048
	s_waitcnt vmcnt(0)
	v_lshlrev_b32_e32 v70, 16, v6
.LBB507_66:
	s_or_b32 exec_lo, exec_lo, s0
	v_add_nc_u32_e32 v6, 0x420, v2
	s_delay_alu instid0(VALU_DEP_1) | instskip(NEXT) | instid1(VALU_DEP_1)
	v_cmp_gt_i32_e64 s30, s74, v6
	s_and_b32 s1, s64, s30
	s_delay_alu instid0(SALU_CYCLE_1)
	s_and_saveexec_b32 s0, s1
	s_cbranch_execz .LBB507_68
; %bb.67:
	global_load_u16 v6, v[3:4], off offset:2112
	s_waitcnt vmcnt(0)
	v_lshlrev_b32_e32 v71, 16, v6
.LBB507_68:
	s_or_b32 exec_lo, exec_lo, s0
	v_add_nc_u32_e32 v6, 0x440, v2
	v_mov_b32_e32 v68, 0xff800000
	v_mov_b32_e32 v72, 0xff800000
	s_delay_alu instid0(VALU_DEP_3) | instskip(NEXT) | instid1(VALU_DEP_1)
	v_cmp_gt_i32_e64 s29, s74, v6
	s_and_b32 s1, s64, s29
	s_delay_alu instid0(SALU_CYCLE_1)
	s_and_saveexec_b32 s0, s1
	s_cbranch_execz .LBB507_70
; %bb.69:
	global_load_u16 v6, v[3:4], off offset:2176
	s_waitcnt vmcnt(0)
	v_lshlrev_b32_e32 v72, 16, v6
.LBB507_70:
	s_or_b32 exec_lo, exec_lo, s0
	v_add_nc_u32_e32 v6, 0x460, v2
	s_delay_alu instid0(VALU_DEP_1) | instskip(NEXT) | instid1(VALU_DEP_1)
	v_cmp_gt_i32_e64 s28, s74, v6
	s_and_b32 s1, s64, s28
	s_delay_alu instid0(SALU_CYCLE_1)
	s_and_saveexec_b32 s0, s1
	s_cbranch_execz .LBB507_72
; %bb.71:
	global_load_u16 v6, v[3:4], off offset:2240
	s_waitcnt vmcnt(0)
	v_lshlrev_b32_e32 v68, 16, v6
.LBB507_72:
	s_or_b32 exec_lo, exec_lo, s0
	v_add_nc_u32_e32 v6, 0x480, v2
	v_mov_b32_e32 v67, 0xff800000
	v_mov_b32_e32 v69, 0xff800000
	s_delay_alu instid0(VALU_DEP_3) | instskip(NEXT) | instid1(VALU_DEP_1)
	v_cmp_gt_i32_e64 s27, s74, v6
	s_and_b32 s1, s64, s27
	s_delay_alu instid0(SALU_CYCLE_1)
	s_and_saveexec_b32 s0, s1
	s_cbranch_execz .LBB507_74
; %bb.73:
	global_load_u16 v6, v[3:4], off offset:2304
	s_waitcnt vmcnt(0)
	v_lshlrev_b32_e32 v69, 16, v6
.LBB507_74:
	s_or_b32 exec_lo, exec_lo, s0
	v_add_nc_u32_e32 v6, 0x4a0, v2
	s_delay_alu instid0(VALU_DEP_1) | instskip(NEXT) | instid1(VALU_DEP_1)
	v_cmp_gt_i32_e64 s26, s74, v6
	s_and_b32 s1, s64, s26
	s_delay_alu instid0(SALU_CYCLE_1)
	s_and_saveexec_b32 s0, s1
	s_cbranch_execz .LBB507_76
; %bb.75:
	global_load_u16 v6, v[3:4], off offset:2368
	s_waitcnt vmcnt(0)
	v_lshlrev_b32_e32 v67, 16, v6
.LBB507_76:
	s_or_b32 exec_lo, exec_lo, s0
	v_add_nc_u32_e32 v6, 0x4c0, v2
	v_dual_mov_b32 v65, 0xff800000 :: v_dual_mov_b32 v66, 0xff800000
	s_delay_alu instid0(VALU_DEP_2) | instskip(NEXT) | instid1(VALU_DEP_1)
	v_cmp_gt_i32_e64 s25, s74, v6
	s_and_b32 s1, s64, s25
	s_delay_alu instid0(SALU_CYCLE_1)
	s_and_saveexec_b32 s0, s1
	s_cbranch_execz .LBB507_78
; %bb.77:
	global_load_u16 v6, v[3:4], off offset:2432
	s_waitcnt vmcnt(0)
	v_lshlrev_b32_e32 v66, 16, v6
.LBB507_78:
	s_or_b32 exec_lo, exec_lo, s0
	v_add_nc_u32_e32 v6, 0x4e0, v2
	s_delay_alu instid0(VALU_DEP_1) | instskip(NEXT) | instid1(VALU_DEP_1)
	v_cmp_gt_i32_e64 s24, s74, v6
	s_and_b32 s1, s64, s24
	s_delay_alu instid0(SALU_CYCLE_1)
	s_and_saveexec_b32 s0, s1
	s_cbranch_execz .LBB507_80
; %bb.79:
	global_load_u16 v6, v[3:4], off offset:2496
	s_waitcnt vmcnt(0)
	v_lshlrev_b32_e32 v65, 16, v6
.LBB507_80:
	s_or_b32 exec_lo, exec_lo, s0
	v_add_nc_u32_e32 v6, 0x500, v2
	v_dual_mov_b32 v61, 0xff800000 :: v_dual_mov_b32 v64, 0xff800000
	s_delay_alu instid0(VALU_DEP_2) | instskip(NEXT) | instid1(VALU_DEP_1)
	v_cmp_gt_i32_e64 s23, s74, v6
	s_and_b32 s1, s64, s23
	s_delay_alu instid0(SALU_CYCLE_1)
	s_and_saveexec_b32 s0, s1
	s_cbranch_execz .LBB507_82
; %bb.81:
	global_load_u16 v6, v[3:4], off offset:2560
	s_waitcnt vmcnt(0)
	v_lshlrev_b32_e32 v64, 16, v6
.LBB507_82:
	s_or_b32 exec_lo, exec_lo, s0
	v_add_nc_u32_e32 v6, 0x520, v2
	s_delay_alu instid0(VALU_DEP_1) | instskip(NEXT) | instid1(VALU_DEP_1)
	v_cmp_gt_i32_e64 s22, s74, v6
	s_and_b32 s1, s64, s22
	s_delay_alu instid0(SALU_CYCLE_1)
	s_and_saveexec_b32 s0, s1
	s_cbranch_execz .LBB507_84
; %bb.83:
	global_load_u16 v6, v[3:4], off offset:2624
	s_waitcnt vmcnt(0)
	v_lshlrev_b32_e32 v61, 16, v6
.LBB507_84:
	s_or_b32 exec_lo, exec_lo, s0
	v_add_nc_u32_e32 v6, 0x540, v2
	v_mov_b32_e32 v58, 0xff800000
	v_mov_b32_e32 v62, 0xff800000
	s_delay_alu instid0(VALU_DEP_3) | instskip(NEXT) | instid1(VALU_DEP_1)
	v_cmp_gt_i32_e64 s21, s74, v6
	s_and_b32 s1, s64, s21
	s_delay_alu instid0(SALU_CYCLE_1)
	s_and_saveexec_b32 s0, s1
	s_cbranch_execz .LBB507_86
; %bb.85:
	global_load_u16 v6, v[3:4], off offset:2688
	s_waitcnt vmcnt(0)
	v_lshlrev_b32_e32 v62, 16, v6
.LBB507_86:
	s_or_b32 exec_lo, exec_lo, s0
	v_add_nc_u32_e32 v6, 0x560, v2
	s_delay_alu instid0(VALU_DEP_1) | instskip(NEXT) | instid1(VALU_DEP_1)
	v_cmp_gt_i32_e64 s20, s74, v6
	s_and_b32 s1, s64, s20
	s_delay_alu instid0(SALU_CYCLE_1)
	s_and_saveexec_b32 s0, s1
	s_cbranch_execz .LBB507_88
; %bb.87:
	global_load_u16 v6, v[3:4], off offset:2752
	s_waitcnt vmcnt(0)
	v_lshlrev_b32_e32 v58, 16, v6
.LBB507_88:
	s_or_b32 exec_lo, exec_lo, s0
	v_add_nc_u32_e32 v6, 0x580, v2
	v_dual_mov_b32 v56, 0xff800000 :: v_dual_mov_b32 v57, 0xff800000
	s_delay_alu instid0(VALU_DEP_2) | instskip(NEXT) | instid1(VALU_DEP_1)
	v_cmp_gt_i32_e64 s19, s74, v6
	s_and_b32 s1, s64, s19
	s_delay_alu instid0(SALU_CYCLE_1)
	s_and_saveexec_b32 s0, s1
	s_cbranch_execz .LBB507_90
; %bb.89:
	global_load_u16 v6, v[3:4], off offset:2816
	s_waitcnt vmcnt(0)
	v_lshlrev_b32_e32 v57, 16, v6
.LBB507_90:
	s_or_b32 exec_lo, exec_lo, s0
	v_add_nc_u32_e32 v6, 0x5a0, v2
	s_delay_alu instid0(VALU_DEP_1) | instskip(NEXT) | instid1(VALU_DEP_1)
	v_cmp_gt_i32_e64 s18, s74, v6
	s_and_b32 s1, s64, s18
	s_delay_alu instid0(SALU_CYCLE_1)
	s_and_saveexec_b32 s0, s1
	s_cbranch_execz .LBB507_92
; %bb.91:
	global_load_u16 v6, v[3:4], off offset:2880
	s_waitcnt vmcnt(0)
	v_lshlrev_b32_e32 v56, 16, v6
.LBB507_92:
	s_or_b32 exec_lo, exec_lo, s0
	v_add_nc_u32_e32 v6, 0x5c0, v2
	v_mov_b32_e32 v53, 0xff800000
	v_mov_b32_e32 v55, 0xff800000
	s_delay_alu instid0(VALU_DEP_3) | instskip(NEXT) | instid1(VALU_DEP_1)
	v_cmp_gt_i32_e64 s17, s74, v6
	s_and_b32 s1, s64, s17
	s_delay_alu instid0(SALU_CYCLE_1)
	s_and_saveexec_b32 s0, s1
	s_cbranch_execz .LBB507_94
; %bb.93:
	global_load_u16 v6, v[3:4], off offset:2944
	s_waitcnt vmcnt(0)
	v_lshlrev_b32_e32 v55, 16, v6
.LBB507_94:
	s_or_b32 exec_lo, exec_lo, s0
	v_add_nc_u32_e32 v6, 0x5e0, v2
	s_delay_alu instid0(VALU_DEP_1) | instskip(NEXT) | instid1(VALU_DEP_1)
	v_cmp_gt_i32_e64 s16, s74, v6
	s_and_b32 s1, s64, s16
	s_delay_alu instid0(SALU_CYCLE_1)
	s_and_saveexec_b32 s0, s1
	s_cbranch_execz .LBB507_96
; %bb.95:
	global_load_u16 v6, v[3:4], off offset:3008
	s_waitcnt vmcnt(0)
	v_lshlrev_b32_e32 v53, 16, v6
.LBB507_96:
	s_or_b32 exec_lo, exec_lo, s0
	v_add_nc_u32_e32 v6, 0x600, v2
	v_mov_b32_e32 v36, 0xff800000
	v_mov_b32_e32 v54, 0xff800000
	s_delay_alu instid0(VALU_DEP_3) | instskip(NEXT) | instid1(VALU_DEP_1)
	;; [unrolled: 28-line block ×5, first 2 shown]
	v_cmp_gt_i32_e64 s9, s74, v6
	s_and_b32 s1, s64, s9
	s_delay_alu instid0(SALU_CYCLE_1)
	s_and_saveexec_b32 s0, s1
	s_cbranch_execz .LBB507_110
; %bb.109:
	global_load_u16 v6, v[3:4], off offset:3456
	s_waitcnt vmcnt(0)
	v_lshlrev_b32_e32 v26, 16, v6
.LBB507_110:
	s_or_b32 exec_lo, exec_lo, s0
	v_add_nc_u32_e32 v6, 0x6e0, v2
	s_delay_alu instid0(VALU_DEP_1) | instskip(NEXT) | instid1(VALU_DEP_1)
	v_cmp_gt_i32_e64 s8, s74, v6
	s_and_b32 s1, s64, s8
	s_delay_alu instid0(SALU_CYCLE_1)
	s_and_saveexec_b32 s0, s1
	s_cbranch_execz .LBB507_112
; %bb.111:
	global_load_u16 v6, v[3:4], off offset:3520
	s_waitcnt vmcnt(0)
	v_lshlrev_b32_e32 v18, 16, v6
.LBB507_112:
	s_or_b32 exec_lo, exec_lo, s0
	v_add_nc_u32_e32 v6, 0x700, v2
	v_dual_mov_b32 v12, 0xff800000 :: v_dual_mov_b32 v17, 0xff800000
	s_delay_alu instid0(VALU_DEP_2) | instskip(NEXT) | instid1(VALU_DEP_1)
	v_cmp_gt_i32_e64 s7, s74, v6
	s_and_b32 s1, s64, s7
	s_delay_alu instid0(SALU_CYCLE_1)
	s_and_saveexec_b32 s0, s1
	s_cbranch_execz .LBB507_114
; %bb.113:
	global_load_u16 v6, v[3:4], off offset:3584
	s_waitcnt vmcnt(0)
	v_lshlrev_b32_e32 v17, 16, v6
.LBB507_114:
	s_or_b32 exec_lo, exec_lo, s0
	v_add_nc_u32_e32 v6, 0x720, v2
	s_delay_alu instid0(VALU_DEP_1) | instskip(NEXT) | instid1(VALU_DEP_1)
	v_cmp_gt_i32_e64 s6, s74, v6
	s_and_b32 s1, s64, s6
	s_delay_alu instid0(SALU_CYCLE_1)
	s_and_saveexec_b32 s0, s1
	s_cbranch_execz .LBB507_116
; %bb.115:
	global_load_u16 v6, v[3:4], off offset:3648
	s_waitcnt vmcnt(0)
	v_lshlrev_b32_e32 v12, 16, v6
.LBB507_116:
	s_or_b32 exec_lo, exec_lo, s0
	v_add_nc_u32_e32 v6, 0x740, v2
	v_dual_mov_b32 v10, 0xff800000 :: v_dual_mov_b32 v11, 0xff800000
	s_delay_alu instid0(VALU_DEP_2) | instskip(NEXT) | instid1(VALU_DEP_1)
	v_cmp_gt_i32_e64 s5, s74, v6
	s_and_b32 s1, s64, s5
	s_delay_alu instid0(SALU_CYCLE_1)
	s_and_saveexec_b32 s0, s1
	s_cbranch_execz .LBB507_118
; %bb.117:
	global_load_u16 v6, v[3:4], off offset:3712
	s_waitcnt vmcnt(0)
	v_lshlrev_b32_e32 v11, 16, v6
.LBB507_118:
	s_or_b32 exec_lo, exec_lo, s0
	v_add_nc_u32_e32 v6, 0x760, v2
	s_delay_alu instid0(VALU_DEP_1) | instskip(NEXT) | instid1(VALU_DEP_1)
	v_cmp_gt_i32_e64 s4, s74, v6
	s_and_b32 s1, s64, s4
	s_delay_alu instid0(SALU_CYCLE_1)
	s_and_saveexec_b32 s0, s1
	s_cbranch_execz .LBB507_120
; %bb.119:
	global_load_u16 v6, v[3:4], off offset:3776
	s_waitcnt vmcnt(0)
	v_lshlrev_b32_e32 v10, 16, v6
.LBB507_120:
	s_or_b32 exec_lo, exec_lo, s0
	v_add_nc_u32_e32 v6, 0x780, v2
	v_mov_b32_e32 v7, 0xff800000
	v_mov_b32_e32 v9, 0xff800000
	s_delay_alu instid0(VALU_DEP_3) | instskip(NEXT) | instid1(VALU_DEP_1)
	v_cmp_gt_i32_e64 s3, s74, v6
	s_and_b32 s1, s64, s3
	s_delay_alu instid0(SALU_CYCLE_1)
	s_and_saveexec_b32 s0, s1
	s_cbranch_execz .LBB507_122
; %bb.121:
	global_load_u16 v6, v[3:4], off offset:3840
	s_waitcnt vmcnt(0)
	v_lshlrev_b32_e32 v9, 16, v6
.LBB507_122:
	s_or_b32 exec_lo, exec_lo, s0
	v_add_nc_u32_e32 v6, 0x7a0, v2
	s_delay_alu instid0(VALU_DEP_1) | instskip(NEXT) | instid1(VALU_DEP_1)
	v_cmp_gt_i32_e64 s2, s74, v6
	s_and_b32 s1, s64, s2
	s_delay_alu instid0(SALU_CYCLE_1)
	s_and_saveexec_b32 s0, s1
	s_cbranch_execz .LBB507_124
; %bb.123:
	global_load_u16 v6, v[3:4], off offset:3904
	s_waitcnt vmcnt(0)
	v_lshlrev_b32_e32 v7, 16, v6
.LBB507_124:
	s_or_b32 exec_lo, exec_lo, s0
	v_add_nc_u32_e32 v6, 0x7c0, v2
	v_mov_b32_e32 v8, 0xff800000
	s_delay_alu instid0(VALU_DEP_2) | instskip(SKIP_1) | instid1(VALU_DEP_2)
	v_cmp_gt_i32_e64 s1, s74, v6
	v_mov_b32_e32 v6, 0xff800000
	s_and_b32 s65, s64, s1
	s_delay_alu instid0(SALU_CYCLE_1)
	s_and_saveexec_b32 s0, s65
	s_cbranch_execz .LBB507_126
; %bb.125:
	global_load_u16 v8, v[3:4], off offset:3968
	s_waitcnt vmcnt(0)
	v_lshlrev_b32_e32 v8, 16, v8
.LBB507_126:
	s_or_b32 exec_lo, exec_lo, s0
	v_add_nc_u32_e32 v2, 0x7e0, v2
	s_delay_alu instid0(VALU_DEP_1) | instskip(NEXT) | instid1(VALU_DEP_1)
	v_cmp_gt_i32_e64 s0, s74, v2
	s_and_b32 s65, s64, s0
	s_delay_alu instid0(SALU_CYCLE_1)
	s_and_saveexec_b32 s64, s65
	s_cbranch_execz .LBB507_128
; %bb.127:
	global_load_u16 v2, v[3:4], off offset:4032
	s_waitcnt vmcnt(0)
	v_lshlrev_b32_e32 v6, 16, v2
.LBB507_128:
	s_or_b32 exec_lo, exec_lo, s64
	v_cmp_gt_f32_e64 s64, v13, v14
	v_mbcnt_lo_u32_b32 v19, -1, 0
	s_mov_b32 s65, exec_lo
	s_delay_alu instid0(VALU_DEP_2) | instskip(NEXT) | instid1(VALU_DEP_1)
	v_cndmask_b32_e64 v2, v14, v13, s64
	v_cmp_gt_f32_e64 s64, v2, v16
	s_delay_alu instid0(VALU_DEP_1) | instskip(NEXT) | instid1(VALU_DEP_1)
	v_cndmask_b32_e64 v2, v16, v2, s64
	v_cmp_gt_f32_e64 s64, v2, v20
	s_delay_alu instid0(VALU_DEP_1) | instskip(NEXT) | instid1(VALU_DEP_1)
	;; [unrolled: 3-line block ×61, first 2 shown]
	v_cndmask_b32_e64 v2, v8, v2, s64
	v_cmp_gt_f32_e64 s64, v2, v6
	s_delay_alu instid0(VALU_DEP_1) | instskip(SKIP_1) | instid1(VALU_DEP_1)
	v_cndmask_b32_e64 v3, v6, v2, s64
	v_xor_b32_e32 v2, 16, v19
	v_cmp_gt_i32_e64 s64, 32, v2
	s_delay_alu instid0(VALU_DEP_1) | instskip(NEXT) | instid1(VALU_DEP_1)
	v_cndmask_b32_e64 v2, v19, v2, s64
	v_lshlrev_b32_e32 v2, 2, v2
	ds_bpermute_b32 v4, v2, v3
	s_waitcnt lgkmcnt(0)
	v_cmp_lt_f32_e64 s64, v3, v4
	s_delay_alu instid0(VALU_DEP_1) | instskip(SKIP_1) | instid1(VALU_DEP_1)
	v_cndmask_b32_e64 v4, v3, v4, s64
	v_xor_b32_e32 v3, 8, v19
	v_cmp_gt_i32_e64 s64, 32, v3
	s_delay_alu instid0(VALU_DEP_1) | instskip(NEXT) | instid1(VALU_DEP_1)
	v_cndmask_b32_e64 v3, v19, v3, s64
	v_lshlrev_b32_e32 v3, 2, v3
	ds_bpermute_b32 v15, v3, v4
	s_waitcnt lgkmcnt(0)
	v_cmp_lt_f32_e64 s64, v4, v15
	;; [unrolled: 10-line block ×5, first 2 shown]
	s_delay_alu instid0(VALU_DEP_1) | instskip(NEXT) | instid1(VALU_DEP_1)
	v_cndmask_b32_e64 v28, v28, v73, s64
	v_sub_f32_e32 v13, v13, v28
	v_sub_f32_e32 v14, v14, v28
	;; [unrolled: 1-line block ×5, first 2 shown]
	v_mul_f32_e32 v73, 0x3fb8aa3b, v13
	v_cmp_ngt_f32_e64 s64, 0xc2ce8ed0, v13
	v_sub_f32_e32 v22, v22, v28
	v_sub_f32_e32 v27, v27, v28
	;; [unrolled: 1-line block ×3, first 2 shown]
	v_fma_f32 v74, 0x3fb8aa3b, v13, -v73
	v_rndne_f32_e32 v75, v73
	v_sub_f32_e32 v16, v16, v28
	v_sub_f32_e32 v31, v31, v28
	v_sub_f32_e32 v32, v32, v28
	s_delay_alu instid0(VALU_DEP_4) | instskip(SKIP_3) | instid1(VALU_DEP_4)
	v_dual_fmac_f32 v74, 0x32a5705f, v13 :: v_dual_sub_f32 v73, v73, v75
	v_sub_f32_e32 v33, v33, v28
	v_sub_f32_e32 v35, v35, v28
	;; [unrolled: 1-line block ×3, first 2 shown]
	v_dual_sub_f32 v38, v38, v28 :: v_dual_add_f32 v73, v73, v74
	v_cvt_i32_f32_e32 v74, v75
	v_sub_f32_e32 v39, v39, v28
	v_sub_f32_e32 v47, v47, v28
	;; [unrolled: 1-line block ×3, first 2 shown]
	v_exp_f32_e32 v73, v73
	v_sub_f32_e32 v40, v40, v28
	v_sub_f32_e32 v45, v45, v28
	;; [unrolled: 1-line block ×9, first 2 shown]
	v_ldexp_f32 v73, v73, v74
	v_sub_f32_e32 v66, v66, v28
	v_sub_f32_e32 v52, v52, v28
	;; [unrolled: 1-line block ×4, first 2 shown]
	v_cndmask_b32_e64 v73, 0, v73, s64
	v_cmp_nlt_f32_e64 s64, 0x42b17218, v13
	v_sub_f32_e32 v60, v60, v28
	v_sub_f32_e32 v71, v71, v28
	v_sub_f32_e32 v72, v72, v28
	v_sub_f32_e32 v69, v69, v28
	v_cndmask_b32_e64 v13, 0x7f800000, v73, s64
	v_mul_f32_e32 v73, 0x3fb8aa3b, v14
	v_cmp_ngt_f32_e64 s64, 0xc2ce8ed0, v14
	v_sub_f32_e32 v20, v20, v28
	v_sub_f32_e32 v67, v67, v28
	;; [unrolled: 1-line block ×3, first 2 shown]
	v_fma_f32 v74, 0x3fb8aa3b, v14, -v73
	v_rndne_f32_e32 v75, v73
	v_sub_f32_e32 v68, v68, v28
	v_sub_f32_e32 v65, v65, v28
	;; [unrolled: 1-line block ×3, first 2 shown]
	s_delay_alu instid0(VALU_DEP_4) | instskip(SKIP_3) | instid1(VALU_DEP_4)
	v_dual_fmac_f32 v74, 0x32a5705f, v14 :: v_dual_sub_f32 v73, v73, v75
	v_sub_f32_e32 v64, v64, v28
	v_sub_f32_e32 v61, v61, v28
	;; [unrolled: 1-line block ×3, first 2 shown]
	v_dual_sub_f32 v58, v58, v28 :: v_dual_add_f32 v73, v73, v74
	v_cvt_i32_f32_e32 v74, v75
	v_sub_f32_e32 v57, v57, v28
	v_sub_f32_e32 v55, v55, v28
	v_sub_f32_e32 v56, v56, v28
	v_exp_f32_e32 v73, v73
	v_sub_f32_e32 v54, v54, v28
	v_sub_f32_e32 v30, v30, v28
	;; [unrolled: 1-line block ×9, first 2 shown]
	v_ldexp_f32 v73, v73, v74
	v_mul_f32_e32 v74, 0x3fb8aa3b, v16
	v_sub_f32_e32 v41, v41, v28
	v_sub_f32_e32 v43, v43, v28
	;; [unrolled: 1-line block ×3, first 2 shown]
	v_cndmask_b32_e64 v73, 0, v73, s64
	v_fma_f32 v75, 0x3fb8aa3b, v16, -v74
	v_rndne_f32_e32 v76, v74
	v_cmp_nlt_f32_e64 s64, 0x42b17218, v14
	v_sub_f32_e32 v29, v29, v28
	v_sub_f32_e32 v25, v25, v28
	v_fmac_f32_e32 v75, 0x32a5705f, v16
	v_sub_f32_e32 v74, v74, v76
	v_cndmask_b32_e64 v14, 0x7f800000, v73, s64
	v_cmp_ngt_f32_e64 s64, 0xc2ce8ed0, v16
	v_sub_f32_e32 v9, v9, v28
	s_delay_alu instid0(VALU_DEP_4) | instskip(SKIP_3) | instid1(VALU_DEP_4)
	v_dual_sub_f32 v7, v7, v28 :: v_dual_add_f32 v74, v74, v75
	v_cvt_i32_f32_e32 v75, v76
	v_add_f32_e32 v73, v13, v14
	v_mul_f32_e32 v28, 0x3fb8aa3b, v6
	v_exp_f32_e32 v74, v74
	s_waitcnt_depctr 0xfff
	v_ldexp_f32 v74, v74, v75
	s_delay_alu instid0(VALU_DEP_1) | instskip(SKIP_1) | instid1(VALU_DEP_1)
	v_cndmask_b32_e64 v74, 0, v74, s64
	v_cmp_nlt_f32_e64 s64, 0x42b17218, v16
	v_cndmask_b32_e64 v16, 0x7f800000, v74, s64
	v_mul_f32_e32 v74, 0x3fb8aa3b, v20
	v_cmp_ngt_f32_e64 s64, 0xc2ce8ed0, v20
	s_delay_alu instid0(VALU_DEP_2) | instskip(SKIP_1) | instid1(VALU_DEP_2)
	v_fma_f32 v75, 0x3fb8aa3b, v20, -v74
	v_rndne_f32_e32 v76, v74
	v_fmac_f32_e32 v75, 0x32a5705f, v20
	s_delay_alu instid0(VALU_DEP_2) | instskip(NEXT) | instid1(VALU_DEP_1)
	v_sub_f32_e32 v74, v74, v76
	v_dual_add_f32 v73, v73, v16 :: v_dual_add_f32 v74, v74, v75
	v_cvt_i32_f32_e32 v75, v76
	s_delay_alu instid0(VALU_DEP_2) | instskip(SKIP_2) | instid1(VALU_DEP_1)
	v_exp_f32_e32 v74, v74
	s_waitcnt_depctr 0xfff
	v_ldexp_f32 v74, v74, v75
	v_cndmask_b32_e64 v74, 0, v74, s64
	v_cmp_nlt_f32_e64 s64, 0x42b17218, v20
	s_delay_alu instid0(VALU_DEP_1) | instskip(NEXT) | instid1(VALU_DEP_1)
	v_cndmask_b32_e64 v20, 0x7f800000, v74, s64
	v_dual_mul_f32 v74, 0x3fb8aa3b, v21 :: v_dual_add_f32 v73, v73, v20
	s_delay_alu instid0(VALU_DEP_1) | instskip(SKIP_1) | instid1(VALU_DEP_1)
	v_fma_f32 v75, 0x3fb8aa3b, v21, -v74
	v_rndne_f32_e32 v76, v74
	v_dual_fmac_f32 v75, 0x32a5705f, v21 :: v_dual_sub_f32 v74, v74, v76
	s_delay_alu instid0(VALU_DEP_1) | instskip(SKIP_2) | instid1(VALU_DEP_3)
	v_add_f32_e32 v74, v74, v75
	v_cvt_i32_f32_e32 v75, v76
	v_cmp_ngt_f32_e64 s64, 0xc2ce8ed0, v21
	v_exp_f32_e32 v74, v74
	s_waitcnt_depctr 0xfff
	v_ldexp_f32 v74, v74, v75
	s_delay_alu instid0(VALU_DEP_1) | instskip(SKIP_1) | instid1(VALU_DEP_1)
	v_cndmask_b32_e64 v74, 0, v74, s64
	v_cmp_nlt_f32_e64 s64, 0x42b17218, v21
	v_cndmask_b32_e64 v21, 0x7f800000, v74, s64
	v_mul_f32_e32 v74, 0x3fb8aa3b, v22
	v_cmp_ngt_f32_e64 s64, 0xc2ce8ed0, v22
	s_delay_alu instid0(VALU_DEP_3) | instskip(NEXT) | instid1(VALU_DEP_3)
	v_add_f32_e32 v73, v73, v21
	v_fma_f32 v75, 0x3fb8aa3b, v22, -v74
	v_rndne_f32_e32 v76, v74
	s_delay_alu instid0(VALU_DEP_1) | instskip(NEXT) | instid1(VALU_DEP_1)
	v_dual_fmac_f32 v75, 0x32a5705f, v22 :: v_dual_sub_f32 v74, v74, v76
	v_add_f32_e32 v74, v74, v75
	v_cvt_i32_f32_e32 v75, v76
	s_delay_alu instid0(VALU_DEP_2) | instskip(SKIP_2) | instid1(VALU_DEP_1)
	v_exp_f32_e32 v74, v74
	s_waitcnt_depctr 0xfff
	v_ldexp_f32 v74, v74, v75
	v_cndmask_b32_e64 v74, 0, v74, s64
	v_cmp_nlt_f32_e64 s64, 0x42b17218, v22
	s_delay_alu instid0(VALU_DEP_1) | instskip(NEXT) | instid1(VALU_DEP_1)
	v_cndmask_b32_e64 v22, 0x7f800000, v74, s64
	v_dual_mul_f32 v74, 0x3fb8aa3b, v23 :: v_dual_add_f32 v73, v73, v22
	s_delay_alu instid0(VALU_DEP_1) | instskip(SKIP_1) | instid1(VALU_DEP_1)
	v_fma_f32 v75, 0x3fb8aa3b, v23, -v74
	v_rndne_f32_e32 v76, v74
	v_dual_fmac_f32 v75, 0x32a5705f, v23 :: v_dual_sub_f32 v74, v74, v76
	s_delay_alu instid0(VALU_DEP_1) | instskip(SKIP_2) | instid1(VALU_DEP_3)
	v_add_f32_e32 v74, v74, v75
	v_cvt_i32_f32_e32 v75, v76
	v_cmp_ngt_f32_e64 s64, 0xc2ce8ed0, v23
	v_exp_f32_e32 v74, v74
	s_waitcnt_depctr 0xfff
	v_ldexp_f32 v74, v74, v75
	s_delay_alu instid0(VALU_DEP_1) | instskip(SKIP_1) | instid1(VALU_DEP_1)
	v_cndmask_b32_e64 v74, 0, v74, s64
	v_cmp_nlt_f32_e64 s64, 0x42b17218, v23
	v_cndmask_b32_e64 v23, 0x7f800000, v74, s64
	v_mul_f32_e32 v74, 0x3fb8aa3b, v24
	v_cmp_ngt_f32_e64 s64, 0xc2ce8ed0, v24
	s_delay_alu instid0(VALU_DEP_3) | instskip(NEXT) | instid1(VALU_DEP_3)
	v_add_f32_e32 v73, v73, v23
	v_fma_f32 v75, 0x3fb8aa3b, v24, -v74
	v_rndne_f32_e32 v76, v74
	s_delay_alu instid0(VALU_DEP_2) | instskip(NEXT) | instid1(VALU_DEP_2)
	v_fmac_f32_e32 v75, 0x32a5705f, v24
	v_sub_f32_e32 v74, v74, v76
	s_delay_alu instid0(VALU_DEP_1) | instskip(SKIP_1) | instid1(VALU_DEP_2)
	v_add_f32_e32 v74, v74, v75
	v_cvt_i32_f32_e32 v75, v76
	v_exp_f32_e32 v74, v74
	s_waitcnt_depctr 0xfff
	v_ldexp_f32 v74, v74, v75
	s_delay_alu instid0(VALU_DEP_1) | instskip(SKIP_1) | instid1(VALU_DEP_1)
	v_cndmask_b32_e64 v74, 0, v74, s64
	v_cmp_nlt_f32_e64 s64, 0x42b17218, v24
	v_cndmask_b32_e64 v24, 0x7f800000, v74, s64
	s_delay_alu instid0(VALU_DEP_1) | instskip(NEXT) | instid1(VALU_DEP_1)
	v_dual_mul_f32 v74, 0x3fb8aa3b, v27 :: v_dual_add_f32 v73, v73, v24
	v_fma_f32 v75, 0x3fb8aa3b, v27, -v74
	v_rndne_f32_e32 v76, v74
	s_delay_alu instid0(VALU_DEP_1) | instskip(NEXT) | instid1(VALU_DEP_1)
	v_dual_fmac_f32 v75, 0x32a5705f, v27 :: v_dual_sub_f32 v74, v74, v76
	v_add_f32_e32 v74, v74, v75
	v_cvt_i32_f32_e32 v75, v76
	v_cmp_ngt_f32_e64 s64, 0xc2ce8ed0, v27
	s_delay_alu instid0(VALU_DEP_3) | instskip(SKIP_2) | instid1(VALU_DEP_1)
	v_exp_f32_e32 v74, v74
	s_waitcnt_depctr 0xfff
	v_ldexp_f32 v74, v74, v75
	v_cndmask_b32_e64 v74, 0, v74, s64
	v_cmp_nlt_f32_e64 s64, 0x42b17218, v27
	s_delay_alu instid0(VALU_DEP_1) | instskip(SKIP_1) | instid1(VALU_DEP_2)
	v_cndmask_b32_e64 v27, 0x7f800000, v74, s64
	v_mul_f32_e32 v74, 0x3fb8aa3b, v31
	v_add_f32_e32 v73, v73, v27
	s_delay_alu instid0(VALU_DEP_2) | instskip(SKIP_1) | instid1(VALU_DEP_1)
	v_fma_f32 v75, 0x3fb8aa3b, v31, -v74
	v_rndne_f32_e32 v76, v74
	v_dual_fmac_f32 v75, 0x32a5705f, v31 :: v_dual_sub_f32 v74, v74, v76
	s_delay_alu instid0(VALU_DEP_1) | instskip(SKIP_2) | instid1(VALU_DEP_3)
	v_add_f32_e32 v74, v74, v75
	v_cvt_i32_f32_e32 v75, v76
	v_cmp_ngt_f32_e64 s64, 0xc2ce8ed0, v31
	v_exp_f32_e32 v74, v74
	s_waitcnt_depctr 0xfff
	v_ldexp_f32 v74, v74, v75
	s_delay_alu instid0(VALU_DEP_1) | instskip(SKIP_1) | instid1(VALU_DEP_1)
	v_cndmask_b32_e64 v74, 0, v74, s64
	v_cmp_nlt_f32_e64 s64, 0x42b17218, v31
	v_cndmask_b32_e64 v31, 0x7f800000, v74, s64
	v_mul_f32_e32 v74, 0x3fb8aa3b, v32
	v_cmp_ngt_f32_e64 s64, 0xc2ce8ed0, v32
	s_delay_alu instid0(VALU_DEP_3) | instskip(NEXT) | instid1(VALU_DEP_3)
	v_add_f32_e32 v73, v73, v31
	v_fma_f32 v75, 0x3fb8aa3b, v32, -v74
	v_rndne_f32_e32 v76, v74
	s_delay_alu instid0(VALU_DEP_2) | instskip(NEXT) | instid1(VALU_DEP_2)
	v_fmac_f32_e32 v75, 0x32a5705f, v32
	v_sub_f32_e32 v74, v74, v76
	s_delay_alu instid0(VALU_DEP_1) | instskip(SKIP_1) | instid1(VALU_DEP_2)
	v_add_f32_e32 v74, v74, v75
	v_cvt_i32_f32_e32 v75, v76
	v_exp_f32_e32 v74, v74
	s_waitcnt_depctr 0xfff
	v_ldexp_f32 v74, v74, v75
	s_delay_alu instid0(VALU_DEP_1) | instskip(SKIP_1) | instid1(VALU_DEP_1)
	v_cndmask_b32_e64 v74, 0, v74, s64
	v_cmp_nlt_f32_e64 s64, 0x42b17218, v32
	v_cndmask_b32_e64 v32, 0x7f800000, v74, s64
	s_delay_alu instid0(VALU_DEP_1) | instskip(NEXT) | instid1(VALU_DEP_1)
	v_dual_mul_f32 v74, 0x3fb8aa3b, v33 :: v_dual_add_f32 v73, v73, v32
	v_fma_f32 v75, 0x3fb8aa3b, v33, -v74
	v_rndne_f32_e32 v76, v74
	s_delay_alu instid0(VALU_DEP_1) | instskip(NEXT) | instid1(VALU_DEP_1)
	v_dual_fmac_f32 v75, 0x32a5705f, v33 :: v_dual_sub_f32 v74, v74, v76
	v_add_f32_e32 v74, v74, v75
	v_cvt_i32_f32_e32 v75, v76
	v_cmp_ngt_f32_e64 s64, 0xc2ce8ed0, v33
	s_delay_alu instid0(VALU_DEP_3) | instskip(SKIP_2) | instid1(VALU_DEP_1)
	v_exp_f32_e32 v74, v74
	s_waitcnt_depctr 0xfff
	v_ldexp_f32 v74, v74, v75
	v_cndmask_b32_e64 v74, 0, v74, s64
	v_cmp_nlt_f32_e64 s64, 0x42b17218, v33
	s_delay_alu instid0(VALU_DEP_1) | instskip(NEXT) | instid1(VALU_DEP_1)
	v_cndmask_b32_e64 v33, 0x7f800000, v74, s64
	v_dual_mul_f32 v74, 0x3fb8aa3b, v35 :: v_dual_add_f32 v73, v73, v33
	s_delay_alu instid0(VALU_DEP_1) | instskip(SKIP_1) | instid1(VALU_DEP_1)
	v_fma_f32 v75, 0x3fb8aa3b, v35, -v74
	v_rndne_f32_e32 v76, v74
	v_dual_fmac_f32 v75, 0x32a5705f, v35 :: v_dual_sub_f32 v74, v74, v76
	s_delay_alu instid0(VALU_DEP_1) | instskip(SKIP_2) | instid1(VALU_DEP_3)
	v_add_f32_e32 v74, v74, v75
	v_cvt_i32_f32_e32 v75, v76
	v_cmp_ngt_f32_e64 s64, 0xc2ce8ed0, v35
	v_exp_f32_e32 v74, v74
	s_waitcnt_depctr 0xfff
	v_ldexp_f32 v74, v74, v75
	s_delay_alu instid0(VALU_DEP_1) | instskip(SKIP_1) | instid1(VALU_DEP_1)
	v_cndmask_b32_e64 v74, 0, v74, s64
	v_cmp_nlt_f32_e64 s64, 0x42b17218, v35
	v_cndmask_b32_e64 v35, 0x7f800000, v74, s64
	s_delay_alu instid0(VALU_DEP_1) | instskip(NEXT) | instid1(VALU_DEP_1)
	v_dual_mul_f32 v74, 0x3fb8aa3b, v37 :: v_dual_add_f32 v73, v73, v35
	v_fma_f32 v75, 0x3fb8aa3b, v37, -v74
	v_rndne_f32_e32 v76, v74
	s_delay_alu instid0(VALU_DEP_1) | instskip(NEXT) | instid1(VALU_DEP_1)
	v_dual_fmac_f32 v75, 0x32a5705f, v37 :: v_dual_sub_f32 v74, v74, v76
	v_add_f32_e32 v74, v74, v75
	v_cvt_i32_f32_e32 v75, v76
	v_cmp_ngt_f32_e64 s64, 0xc2ce8ed0, v37
	s_delay_alu instid0(VALU_DEP_3) | instskip(SKIP_2) | instid1(VALU_DEP_1)
	v_exp_f32_e32 v74, v74
	s_waitcnt_depctr 0xfff
	v_ldexp_f32 v74, v74, v75
	v_cndmask_b32_e64 v74, 0, v74, s64
	v_cmp_nlt_f32_e64 s64, 0x42b17218, v37
	s_delay_alu instid0(VALU_DEP_1) | instskip(SKIP_2) | instid1(VALU_DEP_3)
	v_cndmask_b32_e64 v37, 0x7f800000, v74, s64
	v_mul_f32_e32 v74, 0x3fb8aa3b, v38
	v_cmp_ngt_f32_e64 s64, 0xc2ce8ed0, v38
	v_add_f32_e32 v73, v73, v37
	s_delay_alu instid0(VALU_DEP_3) | instskip(SKIP_1) | instid1(VALU_DEP_1)
	v_fma_f32 v75, 0x3fb8aa3b, v38, -v74
	v_rndne_f32_e32 v76, v74
	v_dual_fmac_f32 v75, 0x32a5705f, v38 :: v_dual_sub_f32 v74, v74, v76
	s_delay_alu instid0(VALU_DEP_1) | instskip(SKIP_1) | instid1(VALU_DEP_2)
	v_add_f32_e32 v74, v74, v75
	v_cvt_i32_f32_e32 v75, v76
	v_exp_f32_e32 v74, v74
	s_waitcnt_depctr 0xfff
	v_ldexp_f32 v74, v74, v75
	s_delay_alu instid0(VALU_DEP_1) | instskip(SKIP_1) | instid1(VALU_DEP_1)
	v_cndmask_b32_e64 v74, 0, v74, s64
	v_cmp_nlt_f32_e64 s64, 0x42b17218, v38
	v_cndmask_b32_e64 v38, 0x7f800000, v74, s64
	s_delay_alu instid0(VALU_DEP_1) | instskip(NEXT) | instid1(VALU_DEP_1)
	v_dual_mul_f32 v74, 0x3fb8aa3b, v39 :: v_dual_add_f32 v73, v73, v38
	v_fma_f32 v75, 0x3fb8aa3b, v39, -v74
	v_rndne_f32_e32 v76, v74
	s_delay_alu instid0(VALU_DEP_1) | instskip(NEXT) | instid1(VALU_DEP_1)
	v_dual_fmac_f32 v75, 0x32a5705f, v39 :: v_dual_sub_f32 v74, v74, v76
	v_add_f32_e32 v74, v74, v75
	v_cvt_i32_f32_e32 v75, v76
	v_cmp_ngt_f32_e64 s64, 0xc2ce8ed0, v39
	s_delay_alu instid0(VALU_DEP_3) | instskip(SKIP_2) | instid1(VALU_DEP_1)
	v_exp_f32_e32 v74, v74
	s_waitcnt_depctr 0xfff
	v_ldexp_f32 v74, v74, v75
	v_cndmask_b32_e64 v74, 0, v74, s64
	v_cmp_nlt_f32_e64 s64, 0x42b17218, v39
	s_delay_alu instid0(VALU_DEP_1) | instskip(SKIP_2) | instid1(VALU_DEP_3)
	v_cndmask_b32_e64 v39, 0x7f800000, v74, s64
	v_mul_f32_e32 v74, 0x3fb8aa3b, v40
	v_cmp_ngt_f32_e64 s64, 0xc2ce8ed0, v40
	v_add_f32_e32 v73, v73, v39
	s_delay_alu instid0(VALU_DEP_3) | instskip(SKIP_1) | instid1(VALU_DEP_2)
	v_fma_f32 v75, 0x3fb8aa3b, v40, -v74
	v_rndne_f32_e32 v76, v74
	v_fmac_f32_e32 v75, 0x32a5705f, v40
	s_delay_alu instid0(VALU_DEP_2) | instskip(NEXT) | instid1(VALU_DEP_1)
	v_sub_f32_e32 v74, v74, v76
	v_add_f32_e32 v74, v74, v75
	v_cvt_i32_f32_e32 v75, v76
	s_delay_alu instid0(VALU_DEP_2) | instskip(SKIP_2) | instid1(VALU_DEP_1)
	v_exp_f32_e32 v74, v74
	s_waitcnt_depctr 0xfff
	v_ldexp_f32 v74, v74, v75
	v_cndmask_b32_e64 v74, 0, v74, s64
	v_cmp_nlt_f32_e64 s64, 0x42b17218, v40
	s_delay_alu instid0(VALU_DEP_1) | instskip(SKIP_2) | instid1(VALU_DEP_3)
	v_cndmask_b32_e64 v40, 0x7f800000, v74, s64
	v_mul_f32_e32 v74, 0x3fb8aa3b, v41
	v_cmp_ngt_f32_e64 s64, 0xc2ce8ed0, v41
	v_add_f32_e32 v73, v73, v40
	s_delay_alu instid0(VALU_DEP_3) | instskip(SKIP_1) | instid1(VALU_DEP_1)
	v_fma_f32 v75, 0x3fb8aa3b, v41, -v74
	v_rndne_f32_e32 v76, v74
	v_dual_fmac_f32 v75, 0x32a5705f, v41 :: v_dual_sub_f32 v74, v74, v76
	s_delay_alu instid0(VALU_DEP_1) | instskip(SKIP_1) | instid1(VALU_DEP_2)
	v_add_f32_e32 v74, v74, v75
	v_cvt_i32_f32_e32 v75, v76
	v_exp_f32_e32 v74, v74
	s_waitcnt_depctr 0xfff
	v_ldexp_f32 v74, v74, v75
	s_delay_alu instid0(VALU_DEP_1) | instskip(SKIP_1) | instid1(VALU_DEP_1)
	v_cndmask_b32_e64 v74, 0, v74, s64
	v_cmp_nlt_f32_e64 s64, 0x42b17218, v41
	v_cndmask_b32_e64 v41, 0x7f800000, v74, s64
	v_mul_f32_e32 v74, 0x3fb8aa3b, v42
	v_cmp_ngt_f32_e64 s64, 0xc2ce8ed0, v42
	s_delay_alu instid0(VALU_DEP_3) | instskip(NEXT) | instid1(VALU_DEP_3)
	v_add_f32_e32 v73, v73, v41
	v_fma_f32 v75, 0x3fb8aa3b, v42, -v74
	v_rndne_f32_e32 v76, v74
	s_delay_alu instid0(VALU_DEP_1) | instskip(NEXT) | instid1(VALU_DEP_1)
	v_dual_fmac_f32 v75, 0x32a5705f, v42 :: v_dual_sub_f32 v74, v74, v76
	v_add_f32_e32 v74, v74, v75
	v_cvt_i32_f32_e32 v75, v76
	s_delay_alu instid0(VALU_DEP_2) | instskip(SKIP_2) | instid1(VALU_DEP_1)
	v_exp_f32_e32 v74, v74
	s_waitcnt_depctr 0xfff
	v_ldexp_f32 v74, v74, v75
	v_cndmask_b32_e64 v74, 0, v74, s64
	v_cmp_nlt_f32_e64 s64, 0x42b17218, v42
	s_delay_alu instid0(VALU_DEP_1) | instskip(SKIP_2) | instid1(VALU_DEP_3)
	v_cndmask_b32_e64 v42, 0x7f800000, v74, s64
	v_mul_f32_e32 v74, 0x3fb8aa3b, v43
	v_cmp_ngt_f32_e64 s64, 0xc2ce8ed0, v43
	v_add_f32_e32 v73, v73, v42
	s_delay_alu instid0(VALU_DEP_3) | instskip(SKIP_1) | instid1(VALU_DEP_1)
	v_fma_f32 v75, 0x3fb8aa3b, v43, -v74
	v_rndne_f32_e32 v76, v74
	v_dual_fmac_f32 v75, 0x32a5705f, v43 :: v_dual_sub_f32 v74, v74, v76
	s_delay_alu instid0(VALU_DEP_1) | instskip(SKIP_1) | instid1(VALU_DEP_2)
	v_add_f32_e32 v74, v74, v75
	v_cvt_i32_f32_e32 v75, v76
	v_exp_f32_e32 v74, v74
	s_waitcnt_depctr 0xfff
	v_ldexp_f32 v74, v74, v75
	s_delay_alu instid0(VALU_DEP_1) | instskip(SKIP_1) | instid1(VALU_DEP_1)
	v_cndmask_b32_e64 v74, 0, v74, s64
	v_cmp_nlt_f32_e64 s64, 0x42b17218, v43
	v_cndmask_b32_e64 v43, 0x7f800000, v74, s64
	v_mul_f32_e32 v74, 0x3fb8aa3b, v44
	v_cmp_ngt_f32_e64 s64, 0xc2ce8ed0, v44
	s_delay_alu instid0(VALU_DEP_3) | instskip(NEXT) | instid1(VALU_DEP_3)
	v_add_f32_e32 v73, v73, v43
	v_fma_f32 v75, 0x3fb8aa3b, v44, -v74
	v_rndne_f32_e32 v76, v74
	s_delay_alu instid0(VALU_DEP_2) | instskip(NEXT) | instid1(VALU_DEP_2)
	v_fmac_f32_e32 v75, 0x32a5705f, v44
	v_sub_f32_e32 v74, v74, v76
	s_delay_alu instid0(VALU_DEP_1) | instskip(SKIP_1) | instid1(VALU_DEP_2)
	v_add_f32_e32 v74, v74, v75
	v_cvt_i32_f32_e32 v75, v76
	v_exp_f32_e32 v74, v74
	s_waitcnt_depctr 0xfff
	v_ldexp_f32 v74, v74, v75
	s_delay_alu instid0(VALU_DEP_1) | instskip(SKIP_1) | instid1(VALU_DEP_1)
	v_cndmask_b32_e64 v74, 0, v74, s64
	v_cmp_nlt_f32_e64 s64, 0x42b17218, v44
	v_cndmask_b32_e64 v44, 0x7f800000, v74, s64
	s_delay_alu instid0(VALU_DEP_1) | instskip(NEXT) | instid1(VALU_DEP_1)
	v_dual_mul_f32 v74, 0x3fb8aa3b, v45 :: v_dual_add_f32 v73, v73, v44
	v_fma_f32 v75, 0x3fb8aa3b, v45, -v74
	v_rndne_f32_e32 v76, v74
	s_delay_alu instid0(VALU_DEP_1) | instskip(NEXT) | instid1(VALU_DEP_1)
	v_dual_fmac_f32 v75, 0x32a5705f, v45 :: v_dual_sub_f32 v74, v74, v76
	v_add_f32_e32 v74, v74, v75
	v_cvt_i32_f32_e32 v75, v76
	v_cmp_ngt_f32_e64 s64, 0xc2ce8ed0, v45
	s_delay_alu instid0(VALU_DEP_3) | instskip(SKIP_2) | instid1(VALU_DEP_1)
	v_exp_f32_e32 v74, v74
	s_waitcnt_depctr 0xfff
	v_ldexp_f32 v74, v74, v75
	v_cndmask_b32_e64 v74, 0, v74, s64
	v_cmp_nlt_f32_e64 s64, 0x42b17218, v45
	s_delay_alu instid0(VALU_DEP_1) | instskip(SKIP_2) | instid1(VALU_DEP_3)
	v_cndmask_b32_e64 v45, 0x7f800000, v74, s64
	v_mul_f32_e32 v74, 0x3fb8aa3b, v46
	v_cmp_ngt_f32_e64 s64, 0xc2ce8ed0, v46
	v_add_f32_e32 v73, v73, v45
	s_delay_alu instid0(VALU_DEP_3) | instskip(SKIP_1) | instid1(VALU_DEP_1)
	v_fma_f32 v75, 0x3fb8aa3b, v46, -v74
	v_rndne_f32_e32 v76, v74
	v_dual_fmac_f32 v75, 0x32a5705f, v46 :: v_dual_sub_f32 v74, v74, v76
	s_delay_alu instid0(VALU_DEP_1) | instskip(SKIP_1) | instid1(VALU_DEP_2)
	v_add_f32_e32 v74, v74, v75
	v_cvt_i32_f32_e32 v75, v76
	v_exp_f32_e32 v74, v74
	s_waitcnt_depctr 0xfff
	v_ldexp_f32 v74, v74, v75
	s_delay_alu instid0(VALU_DEP_1) | instskip(SKIP_1) | instid1(VALU_DEP_1)
	v_cndmask_b32_e64 v74, 0, v74, s64
	v_cmp_nlt_f32_e64 s64, 0x42b17218, v46
	v_cndmask_b32_e64 v46, 0x7f800000, v74, s64
	s_delay_alu instid0(VALU_DEP_1) | instskip(NEXT) | instid1(VALU_DEP_1)
	v_dual_mul_f32 v74, 0x3fb8aa3b, v47 :: v_dual_add_f32 v73, v73, v46
	v_fma_f32 v75, 0x3fb8aa3b, v47, -v74
	v_rndne_f32_e32 v76, v74
	s_delay_alu instid0(VALU_DEP_1) | instskip(NEXT) | instid1(VALU_DEP_1)
	v_dual_fmac_f32 v75, 0x32a5705f, v47 :: v_dual_sub_f32 v74, v74, v76
	v_add_f32_e32 v74, v74, v75
	v_cvt_i32_f32_e32 v75, v76
	v_cmp_ngt_f32_e64 s64, 0xc2ce8ed0, v47
	s_delay_alu instid0(VALU_DEP_3) | instskip(SKIP_2) | instid1(VALU_DEP_1)
	v_exp_f32_e32 v74, v74
	s_waitcnt_depctr 0xfff
	v_ldexp_f32 v74, v74, v75
	v_cndmask_b32_e64 v74, 0, v74, s64
	v_cmp_nlt_f32_e64 s64, 0x42b17218, v47
	s_delay_alu instid0(VALU_DEP_1) | instskip(SKIP_2) | instid1(VALU_DEP_3)
	v_cndmask_b32_e64 v47, 0x7f800000, v74, s64
	v_mul_f32_e32 v74, 0x3fb8aa3b, v48
	v_cmp_ngt_f32_e64 s64, 0xc2ce8ed0, v48
	v_add_f32_e32 v73, v73, v47
	s_delay_alu instid0(VALU_DEP_3) | instskip(SKIP_1) | instid1(VALU_DEP_2)
	v_fma_f32 v75, 0x3fb8aa3b, v48, -v74
	v_rndne_f32_e32 v76, v74
	v_fmac_f32_e32 v75, 0x32a5705f, v48
	s_delay_alu instid0(VALU_DEP_2) | instskip(NEXT) | instid1(VALU_DEP_1)
	v_sub_f32_e32 v74, v74, v76
	v_add_f32_e32 v74, v74, v75
	v_cvt_i32_f32_e32 v75, v76
	s_delay_alu instid0(VALU_DEP_2) | instskip(SKIP_2) | instid1(VALU_DEP_1)
	v_exp_f32_e32 v74, v74
	s_waitcnt_depctr 0xfff
	v_ldexp_f32 v74, v74, v75
	v_cndmask_b32_e64 v74, 0, v74, s64
	v_cmp_nlt_f32_e64 s64, 0x42b17218, v48
	s_delay_alu instid0(VALU_DEP_1) | instskip(NEXT) | instid1(VALU_DEP_1)
	v_cndmask_b32_e64 v48, 0x7f800000, v74, s64
	v_dual_mul_f32 v74, 0x3fb8aa3b, v49 :: v_dual_add_f32 v73, v73, v48
	s_delay_alu instid0(VALU_DEP_1) | instskip(SKIP_1) | instid1(VALU_DEP_1)
	v_fma_f32 v75, 0x3fb8aa3b, v49, -v74
	v_rndne_f32_e32 v76, v74
	v_dual_fmac_f32 v75, 0x32a5705f, v49 :: v_dual_sub_f32 v74, v74, v76
	s_delay_alu instid0(VALU_DEP_1) | instskip(SKIP_2) | instid1(VALU_DEP_3)
	v_add_f32_e32 v74, v74, v75
	v_cvt_i32_f32_e32 v75, v76
	v_cmp_ngt_f32_e64 s64, 0xc2ce8ed0, v49
	v_exp_f32_e32 v74, v74
	s_waitcnt_depctr 0xfff
	v_ldexp_f32 v74, v74, v75
	s_delay_alu instid0(VALU_DEP_1) | instskip(SKIP_1) | instid1(VALU_DEP_1)
	v_cndmask_b32_e64 v74, 0, v74, s64
	v_cmp_nlt_f32_e64 s64, 0x42b17218, v49
	v_cndmask_b32_e64 v49, 0x7f800000, v74, s64
	v_mul_f32_e32 v74, 0x3fb8aa3b, v50
	v_cmp_ngt_f32_e64 s64, 0xc2ce8ed0, v50
	s_delay_alu instid0(VALU_DEP_3) | instskip(NEXT) | instid1(VALU_DEP_3)
	v_add_f32_e32 v73, v73, v49
	v_fma_f32 v75, 0x3fb8aa3b, v50, -v74
	v_rndne_f32_e32 v76, v74
	s_delay_alu instid0(VALU_DEP_1) | instskip(NEXT) | instid1(VALU_DEP_1)
	v_dual_fmac_f32 v75, 0x32a5705f, v50 :: v_dual_sub_f32 v74, v74, v76
	v_add_f32_e32 v74, v74, v75
	v_cvt_i32_f32_e32 v75, v76
	s_delay_alu instid0(VALU_DEP_2) | instskip(SKIP_2) | instid1(VALU_DEP_1)
	v_exp_f32_e32 v74, v74
	s_waitcnt_depctr 0xfff
	v_ldexp_f32 v74, v74, v75
	v_cndmask_b32_e64 v74, 0, v74, s64
	v_cmp_nlt_f32_e64 s64, 0x42b17218, v50
	s_delay_alu instid0(VALU_DEP_1) | instskip(NEXT) | instid1(VALU_DEP_1)
	v_cndmask_b32_e64 v50, 0x7f800000, v74, s64
	v_dual_mul_f32 v74, 0x3fb8aa3b, v51 :: v_dual_add_f32 v73, v73, v50
	s_delay_alu instid0(VALU_DEP_1) | instskip(SKIP_1) | instid1(VALU_DEP_1)
	v_fma_f32 v75, 0x3fb8aa3b, v51, -v74
	v_rndne_f32_e32 v76, v74
	v_dual_fmac_f32 v75, 0x32a5705f, v51 :: v_dual_sub_f32 v74, v74, v76
	s_delay_alu instid0(VALU_DEP_1) | instskip(SKIP_2) | instid1(VALU_DEP_3)
	v_add_f32_e32 v74, v74, v75
	v_cvt_i32_f32_e32 v75, v76
	v_cmp_ngt_f32_e64 s64, 0xc2ce8ed0, v51
	v_exp_f32_e32 v74, v74
	s_waitcnt_depctr 0xfff
	v_ldexp_f32 v74, v74, v75
	s_delay_alu instid0(VALU_DEP_1) | instskip(SKIP_1) | instid1(VALU_DEP_1)
	v_cndmask_b32_e64 v74, 0, v74, s64
	v_cmp_nlt_f32_e64 s64, 0x42b17218, v51
	v_cndmask_b32_e64 v51, 0x7f800000, v74, s64
	v_mul_f32_e32 v74, 0x3fb8aa3b, v52
	v_cmp_ngt_f32_e64 s64, 0xc2ce8ed0, v52
	s_delay_alu instid0(VALU_DEP_3) | instskip(NEXT) | instid1(VALU_DEP_3)
	v_add_f32_e32 v73, v73, v51
	v_fma_f32 v75, 0x3fb8aa3b, v52, -v74
	v_rndne_f32_e32 v76, v74
	s_delay_alu instid0(VALU_DEP_2) | instskip(NEXT) | instid1(VALU_DEP_2)
	v_fmac_f32_e32 v75, 0x32a5705f, v52
	v_sub_f32_e32 v74, v74, v76
	s_delay_alu instid0(VALU_DEP_1) | instskip(SKIP_1) | instid1(VALU_DEP_2)
	v_add_f32_e32 v74, v74, v75
	v_cvt_i32_f32_e32 v75, v76
	v_exp_f32_e32 v74, v74
	s_waitcnt_depctr 0xfff
	v_ldexp_f32 v74, v74, v75
	s_delay_alu instid0(VALU_DEP_1) | instskip(SKIP_1) | instid1(VALU_DEP_1)
	v_cndmask_b32_e64 v74, 0, v74, s64
	v_cmp_nlt_f32_e64 s64, 0x42b17218, v52
	v_cndmask_b32_e64 v52, 0x7f800000, v74, s64
	s_delay_alu instid0(VALU_DEP_1) | instskip(NEXT) | instid1(VALU_DEP_1)
	v_dual_mul_f32 v74, 0x3fb8aa3b, v59 :: v_dual_add_f32 v73, v73, v52
	v_fma_f32 v75, 0x3fb8aa3b, v59, -v74
	v_rndne_f32_e32 v76, v74
	s_delay_alu instid0(VALU_DEP_1) | instskip(NEXT) | instid1(VALU_DEP_1)
	v_dual_fmac_f32 v75, 0x32a5705f, v59 :: v_dual_sub_f32 v74, v74, v76
	v_add_f32_e32 v74, v74, v75
	v_cvt_i32_f32_e32 v75, v76
	v_cmp_ngt_f32_e64 s64, 0xc2ce8ed0, v59
	s_delay_alu instid0(VALU_DEP_3) | instskip(SKIP_2) | instid1(VALU_DEP_1)
	v_exp_f32_e32 v74, v74
	s_waitcnt_depctr 0xfff
	v_ldexp_f32 v74, v74, v75
	v_cndmask_b32_e64 v74, 0, v74, s64
	v_cmp_nlt_f32_e64 s64, 0x42b17218, v59
	s_delay_alu instid0(VALU_DEP_1) | instskip(SKIP_2) | instid1(VALU_DEP_3)
	v_cndmask_b32_e64 v59, 0x7f800000, v74, s64
	v_mul_f32_e32 v74, 0x3fb8aa3b, v60
	v_cmp_ngt_f32_e64 s64, 0xc2ce8ed0, v60
	v_add_f32_e32 v73, v73, v59
	s_delay_alu instid0(VALU_DEP_3) | instskip(SKIP_1) | instid1(VALU_DEP_2)
	v_fma_f32 v75, 0x3fb8aa3b, v60, -v74
	v_rndne_f32_e32 v76, v74
	v_fmac_f32_e32 v75, 0x32a5705f, v60
	s_delay_alu instid0(VALU_DEP_2) | instskip(NEXT) | instid1(VALU_DEP_1)
	v_sub_f32_e32 v74, v74, v76
	v_add_f32_e32 v74, v74, v75
	v_cvt_i32_f32_e32 v75, v76
	s_delay_alu instid0(VALU_DEP_2) | instskip(SKIP_2) | instid1(VALU_DEP_1)
	v_exp_f32_e32 v74, v74
	s_waitcnt_depctr 0xfff
	v_ldexp_f32 v74, v74, v75
	v_cndmask_b32_e64 v74, 0, v74, s64
	v_cmp_nlt_f32_e64 s64, 0x42b17218, v60
	s_delay_alu instid0(VALU_DEP_1) | instskip(NEXT) | instid1(VALU_DEP_1)
	v_cndmask_b32_e64 v60, 0x7f800000, v74, s64
	v_dual_mul_f32 v74, 0x3fb8aa3b, v63 :: v_dual_add_f32 v73, v73, v60
	s_delay_alu instid0(VALU_DEP_1) | instskip(SKIP_1) | instid1(VALU_DEP_1)
	v_fma_f32 v75, 0x3fb8aa3b, v63, -v74
	v_rndne_f32_e32 v76, v74
	v_dual_fmac_f32 v75, 0x32a5705f, v63 :: v_dual_sub_f32 v74, v74, v76
	s_delay_alu instid0(VALU_DEP_1) | instskip(SKIP_2) | instid1(VALU_DEP_3)
	v_add_f32_e32 v74, v74, v75
	v_cvt_i32_f32_e32 v75, v76
	v_cmp_ngt_f32_e64 s64, 0xc2ce8ed0, v63
	v_exp_f32_e32 v74, v74
	s_waitcnt_depctr 0xfff
	v_ldexp_f32 v74, v74, v75
	s_delay_alu instid0(VALU_DEP_1) | instskip(SKIP_1) | instid1(VALU_DEP_1)
	v_cndmask_b32_e64 v74, 0, v74, s64
	v_cmp_nlt_f32_e64 s64, 0x42b17218, v63
	v_cndmask_b32_e64 v63, 0x7f800000, v74, s64
	v_mul_f32_e32 v74, 0x3fb8aa3b, v70
	v_cmp_ngt_f32_e64 s64, 0xc2ce8ed0, v70
	s_delay_alu instid0(VALU_DEP_3) | instskip(NEXT) | instid1(VALU_DEP_3)
	v_add_f32_e32 v73, v73, v63
	v_fma_f32 v75, 0x3fb8aa3b, v70, -v74
	v_rndne_f32_e32 v76, v74
	s_delay_alu instid0(VALU_DEP_1) | instskip(NEXT) | instid1(VALU_DEP_1)
	v_dual_fmac_f32 v75, 0x32a5705f, v70 :: v_dual_sub_f32 v74, v74, v76
	v_add_f32_e32 v74, v74, v75
	v_cvt_i32_f32_e32 v75, v76
	s_delay_alu instid0(VALU_DEP_2) | instskip(SKIP_2) | instid1(VALU_DEP_1)
	v_exp_f32_e32 v74, v74
	s_waitcnt_depctr 0xfff
	v_ldexp_f32 v74, v74, v75
	v_cndmask_b32_e64 v74, 0, v74, s64
	v_cmp_nlt_f32_e64 s64, 0x42b17218, v70
	s_delay_alu instid0(VALU_DEP_1) | instskip(NEXT) | instid1(VALU_DEP_1)
	v_cndmask_b32_e64 v70, 0x7f800000, v74, s64
	v_dual_mul_f32 v74, 0x3fb8aa3b, v71 :: v_dual_add_f32 v73, v73, v70
	s_delay_alu instid0(VALU_DEP_1) | instskip(SKIP_1) | instid1(VALU_DEP_1)
	v_fma_f32 v75, 0x3fb8aa3b, v71, -v74
	v_rndne_f32_e32 v76, v74
	v_dual_fmac_f32 v75, 0x32a5705f, v71 :: v_dual_sub_f32 v74, v74, v76
	s_delay_alu instid0(VALU_DEP_1) | instskip(SKIP_2) | instid1(VALU_DEP_3)
	v_add_f32_e32 v74, v74, v75
	v_cvt_i32_f32_e32 v75, v76
	v_cmp_ngt_f32_e64 s64, 0xc2ce8ed0, v71
	v_exp_f32_e32 v74, v74
	s_waitcnt_depctr 0xfff
	v_ldexp_f32 v74, v74, v75
	s_delay_alu instid0(VALU_DEP_1) | instskip(SKIP_1) | instid1(VALU_DEP_1)
	v_cndmask_b32_e64 v74, 0, v74, s64
	v_cmp_nlt_f32_e64 s64, 0x42b17218, v71
	v_cndmask_b32_e64 v71, 0x7f800000, v74, s64
	v_mul_f32_e32 v74, 0x3fb8aa3b, v72
	v_cmp_ngt_f32_e64 s64, 0xc2ce8ed0, v72
	s_delay_alu instid0(VALU_DEP_3) | instskip(NEXT) | instid1(VALU_DEP_3)
	v_add_f32_e32 v73, v73, v71
	v_fma_f32 v75, 0x3fb8aa3b, v72, -v74
	v_rndne_f32_e32 v76, v74
	s_delay_alu instid0(VALU_DEP_2) | instskip(NEXT) | instid1(VALU_DEP_2)
	v_fmac_f32_e32 v75, 0x32a5705f, v72
	v_sub_f32_e32 v74, v74, v76
	s_delay_alu instid0(VALU_DEP_1) | instskip(SKIP_1) | instid1(VALU_DEP_2)
	v_add_f32_e32 v74, v74, v75
	v_cvt_i32_f32_e32 v75, v76
	v_exp_f32_e32 v74, v74
	s_waitcnt_depctr 0xfff
	v_ldexp_f32 v74, v74, v75
	s_delay_alu instid0(VALU_DEP_1) | instskip(SKIP_1) | instid1(VALU_DEP_1)
	v_cndmask_b32_e64 v74, 0, v74, s64
	v_cmp_nlt_f32_e64 s64, 0x42b17218, v72
	v_cndmask_b32_e64 v72, 0x7f800000, v74, s64
	v_mul_f32_e32 v74, 0x3fb8aa3b, v68
	v_cmp_ngt_f32_e64 s64, 0xc2ce8ed0, v68
	s_delay_alu instid0(VALU_DEP_3) | instskip(NEXT) | instid1(VALU_DEP_3)
	v_add_f32_e32 v73, v73, v72
	v_fma_f32 v75, 0x3fb8aa3b, v68, -v74
	v_rndne_f32_e32 v76, v74
	s_delay_alu instid0(VALU_DEP_2) | instskip(NEXT) | instid1(VALU_DEP_2)
	v_fmac_f32_e32 v75, 0x32a5705f, v68
	v_sub_f32_e32 v74, v74, v76
	s_delay_alu instid0(VALU_DEP_1) | instskip(SKIP_1) | instid1(VALU_DEP_2)
	v_add_f32_e32 v74, v74, v75
	v_cvt_i32_f32_e32 v75, v76
	v_exp_f32_e32 v74, v74
	s_waitcnt_depctr 0xfff
	v_ldexp_f32 v74, v74, v75
	s_delay_alu instid0(VALU_DEP_1) | instskip(SKIP_1) | instid1(VALU_DEP_1)
	v_cndmask_b32_e64 v74, 0, v74, s64
	v_cmp_nlt_f32_e64 s64, 0x42b17218, v68
	v_cndmask_b32_e64 v68, 0x7f800000, v74, s64
	s_delay_alu instid0(VALU_DEP_1) | instskip(NEXT) | instid1(VALU_DEP_1)
	v_dual_mul_f32 v74, 0x3fb8aa3b, v69 :: v_dual_add_f32 v73, v73, v68
	v_fma_f32 v75, 0x3fb8aa3b, v69, -v74
	v_rndne_f32_e32 v76, v74
	s_delay_alu instid0(VALU_DEP_1) | instskip(NEXT) | instid1(VALU_DEP_1)
	v_dual_fmac_f32 v75, 0x32a5705f, v69 :: v_dual_sub_f32 v74, v74, v76
	v_add_f32_e32 v74, v74, v75
	v_cvt_i32_f32_e32 v75, v76
	v_cmp_ngt_f32_e64 s64, 0xc2ce8ed0, v69
	s_delay_alu instid0(VALU_DEP_3) | instskip(SKIP_2) | instid1(VALU_DEP_1)
	v_exp_f32_e32 v74, v74
	s_waitcnt_depctr 0xfff
	v_ldexp_f32 v74, v74, v75
	v_cndmask_b32_e64 v74, 0, v74, s64
	v_cmp_nlt_f32_e64 s64, 0x42b17218, v69
	s_delay_alu instid0(VALU_DEP_1) | instskip(NEXT) | instid1(VALU_DEP_1)
	v_cndmask_b32_e64 v69, 0x7f800000, v74, s64
	v_dual_mul_f32 v74, 0x3fb8aa3b, v67 :: v_dual_add_f32 v73, v73, v69
	s_delay_alu instid0(VALU_DEP_1) | instskip(SKIP_1) | instid1(VALU_DEP_1)
	v_fma_f32 v75, 0x3fb8aa3b, v67, -v74
	v_rndne_f32_e32 v76, v74
	v_dual_fmac_f32 v75, 0x32a5705f, v67 :: v_dual_sub_f32 v74, v74, v76
	s_delay_alu instid0(VALU_DEP_1) | instskip(SKIP_2) | instid1(VALU_DEP_3)
	v_add_f32_e32 v74, v74, v75
	v_cvt_i32_f32_e32 v75, v76
	v_cmp_ngt_f32_e64 s64, 0xc2ce8ed0, v67
	v_exp_f32_e32 v74, v74
	s_waitcnt_depctr 0xfff
	v_ldexp_f32 v74, v74, v75
	s_delay_alu instid0(VALU_DEP_1) | instskip(SKIP_1) | instid1(VALU_DEP_1)
	v_cndmask_b32_e64 v74, 0, v74, s64
	v_cmp_nlt_f32_e64 s64, 0x42b17218, v67
	v_cndmask_b32_e64 v67, 0x7f800000, v74, s64
	v_mul_f32_e32 v74, 0x3fb8aa3b, v66
	v_cmp_ngt_f32_e64 s64, 0xc2ce8ed0, v66
	s_delay_alu instid0(VALU_DEP_3) | instskip(NEXT) | instid1(VALU_DEP_3)
	v_add_f32_e32 v73, v73, v67
	v_fma_f32 v75, 0x3fb8aa3b, v66, -v74
	v_rndne_f32_e32 v76, v74
	s_delay_alu instid0(VALU_DEP_1) | instskip(NEXT) | instid1(VALU_DEP_1)
	v_dual_fmac_f32 v75, 0x32a5705f, v66 :: v_dual_sub_f32 v74, v74, v76
	v_add_f32_e32 v74, v74, v75
	v_cvt_i32_f32_e32 v75, v76
	s_delay_alu instid0(VALU_DEP_2) | instskip(SKIP_2) | instid1(VALU_DEP_1)
	v_exp_f32_e32 v74, v74
	s_waitcnt_depctr 0xfff
	v_ldexp_f32 v74, v74, v75
	v_cndmask_b32_e64 v74, 0, v74, s64
	v_cmp_nlt_f32_e64 s64, 0x42b17218, v66
	s_delay_alu instid0(VALU_DEP_1) | instskip(NEXT) | instid1(VALU_DEP_1)
	v_cndmask_b32_e64 v66, 0x7f800000, v74, s64
	v_dual_mul_f32 v74, 0x3fb8aa3b, v65 :: v_dual_add_f32 v73, v73, v66
	s_delay_alu instid0(VALU_DEP_1) | instskip(SKIP_1) | instid1(VALU_DEP_1)
	v_fma_f32 v75, 0x3fb8aa3b, v65, -v74
	v_rndne_f32_e32 v76, v74
	v_dual_fmac_f32 v75, 0x32a5705f, v65 :: v_dual_sub_f32 v74, v74, v76
	s_delay_alu instid0(VALU_DEP_1) | instskip(SKIP_2) | instid1(VALU_DEP_3)
	v_add_f32_e32 v74, v74, v75
	v_cvt_i32_f32_e32 v75, v76
	v_cmp_ngt_f32_e64 s64, 0xc2ce8ed0, v65
	v_exp_f32_e32 v74, v74
	s_waitcnt_depctr 0xfff
	v_ldexp_f32 v74, v74, v75
	s_delay_alu instid0(VALU_DEP_1) | instskip(SKIP_1) | instid1(VALU_DEP_1)
	v_cndmask_b32_e64 v74, 0, v74, s64
	v_cmp_nlt_f32_e64 s64, 0x42b17218, v65
	v_cndmask_b32_e64 v65, 0x7f800000, v74, s64
	v_mul_f32_e32 v74, 0x3fb8aa3b, v64
	v_cmp_ngt_f32_e64 s64, 0xc2ce8ed0, v64
	s_delay_alu instid0(VALU_DEP_3) | instskip(NEXT) | instid1(VALU_DEP_3)
	v_add_f32_e32 v73, v73, v65
	v_fma_f32 v75, 0x3fb8aa3b, v64, -v74
	v_rndne_f32_e32 v76, v74
	s_delay_alu instid0(VALU_DEP_2) | instskip(NEXT) | instid1(VALU_DEP_2)
	v_fmac_f32_e32 v75, 0x32a5705f, v64
	v_sub_f32_e32 v74, v74, v76
	s_delay_alu instid0(VALU_DEP_1) | instskip(SKIP_1) | instid1(VALU_DEP_2)
	v_add_f32_e32 v74, v74, v75
	v_cvt_i32_f32_e32 v75, v76
	v_exp_f32_e32 v74, v74
	s_waitcnt_depctr 0xfff
	v_ldexp_f32 v74, v74, v75
	s_delay_alu instid0(VALU_DEP_1) | instskip(SKIP_1) | instid1(VALU_DEP_1)
	v_cndmask_b32_e64 v74, 0, v74, s64
	v_cmp_nlt_f32_e64 s64, 0x42b17218, v64
	v_cndmask_b32_e64 v64, 0x7f800000, v74, s64
	s_delay_alu instid0(VALU_DEP_1) | instskip(NEXT) | instid1(VALU_DEP_1)
	v_dual_mul_f32 v74, 0x3fb8aa3b, v61 :: v_dual_add_f32 v73, v73, v64
	v_fma_f32 v75, 0x3fb8aa3b, v61, -v74
	v_rndne_f32_e32 v76, v74
	s_delay_alu instid0(VALU_DEP_1) | instskip(NEXT) | instid1(VALU_DEP_1)
	v_dual_fmac_f32 v75, 0x32a5705f, v61 :: v_dual_sub_f32 v74, v74, v76
	v_add_f32_e32 v74, v74, v75
	v_cvt_i32_f32_e32 v75, v76
	v_cmp_ngt_f32_e64 s64, 0xc2ce8ed0, v61
	s_delay_alu instid0(VALU_DEP_3) | instskip(SKIP_2) | instid1(VALU_DEP_1)
	v_exp_f32_e32 v74, v74
	s_waitcnt_depctr 0xfff
	v_ldexp_f32 v74, v74, v75
	v_cndmask_b32_e64 v74, 0, v74, s64
	v_cmp_nlt_f32_e64 s64, 0x42b17218, v61
	s_delay_alu instid0(VALU_DEP_1) | instskip(SKIP_2) | instid1(VALU_DEP_3)
	v_cndmask_b32_e64 v61, 0x7f800000, v74, s64
	v_mul_f32_e32 v74, 0x3fb8aa3b, v62
	v_cmp_ngt_f32_e64 s64, 0xc2ce8ed0, v62
	v_add_f32_e32 v73, v73, v61
	s_delay_alu instid0(VALU_DEP_3) | instskip(SKIP_1) | instid1(VALU_DEP_1)
	v_fma_f32 v75, 0x3fb8aa3b, v62, -v74
	v_rndne_f32_e32 v76, v74
	v_dual_fmac_f32 v75, 0x32a5705f, v62 :: v_dual_sub_f32 v74, v74, v76
	s_delay_alu instid0(VALU_DEP_1) | instskip(SKIP_1) | instid1(VALU_DEP_2)
	v_add_f32_e32 v74, v74, v75
	v_cvt_i32_f32_e32 v75, v76
	v_exp_f32_e32 v74, v74
	s_waitcnt_depctr 0xfff
	v_ldexp_f32 v74, v74, v75
	s_delay_alu instid0(VALU_DEP_1) | instskip(SKIP_1) | instid1(VALU_DEP_1)
	v_cndmask_b32_e64 v74, 0, v74, s64
	v_cmp_nlt_f32_e64 s64, 0x42b17218, v62
	v_cndmask_b32_e64 v62, 0x7f800000, v74, s64
	v_mul_f32_e32 v74, 0x3fb8aa3b, v58
	v_cmp_ngt_f32_e64 s64, 0xc2ce8ed0, v58
	s_delay_alu instid0(VALU_DEP_3) | instskip(NEXT) | instid1(VALU_DEP_3)
	v_add_f32_e32 v73, v73, v62
	v_fma_f32 v75, 0x3fb8aa3b, v58, -v74
	v_rndne_f32_e32 v76, v74
	s_delay_alu instid0(VALU_DEP_1) | instskip(NEXT) | instid1(VALU_DEP_1)
	v_dual_fmac_f32 v75, 0x32a5705f, v58 :: v_dual_sub_f32 v74, v74, v76
	v_add_f32_e32 v74, v74, v75
	v_cvt_i32_f32_e32 v75, v76
	s_delay_alu instid0(VALU_DEP_2) | instskip(SKIP_2) | instid1(VALU_DEP_1)
	v_exp_f32_e32 v74, v74
	s_waitcnt_depctr 0xfff
	v_ldexp_f32 v74, v74, v75
	v_cndmask_b32_e64 v74, 0, v74, s64
	v_cmp_nlt_f32_e64 s64, 0x42b17218, v58
	s_delay_alu instid0(VALU_DEP_1) | instskip(NEXT) | instid1(VALU_DEP_1)
	v_cndmask_b32_e64 v58, 0x7f800000, v74, s64
	v_dual_mul_f32 v74, 0x3fb8aa3b, v57 :: v_dual_add_f32 v73, v73, v58
	s_delay_alu instid0(VALU_DEP_1) | instskip(SKIP_1) | instid1(VALU_DEP_1)
	v_fma_f32 v75, 0x3fb8aa3b, v57, -v74
	v_rndne_f32_e32 v76, v74
	v_dual_fmac_f32 v75, 0x32a5705f, v57 :: v_dual_sub_f32 v74, v74, v76
	s_delay_alu instid0(VALU_DEP_1) | instskip(SKIP_2) | instid1(VALU_DEP_3)
	v_add_f32_e32 v74, v74, v75
	v_cvt_i32_f32_e32 v75, v76
	v_cmp_ngt_f32_e64 s64, 0xc2ce8ed0, v57
	v_exp_f32_e32 v74, v74
	s_waitcnt_depctr 0xfff
	v_ldexp_f32 v74, v74, v75
	s_delay_alu instid0(VALU_DEP_1) | instskip(SKIP_1) | instid1(VALU_DEP_1)
	v_cndmask_b32_e64 v74, 0, v74, s64
	v_cmp_nlt_f32_e64 s64, 0x42b17218, v57
	v_cndmask_b32_e64 v57, 0x7f800000, v74, s64
	v_mul_f32_e32 v74, 0x3fb8aa3b, v56
	v_cmp_ngt_f32_e64 s64, 0xc2ce8ed0, v56
	s_delay_alu instid0(VALU_DEP_3) | instskip(NEXT) | instid1(VALU_DEP_3)
	v_add_f32_e32 v73, v73, v57
	v_fma_f32 v75, 0x3fb8aa3b, v56, -v74
	v_rndne_f32_e32 v76, v74
	s_delay_alu instid0(VALU_DEP_2) | instskip(NEXT) | instid1(VALU_DEP_2)
	v_fmac_f32_e32 v75, 0x32a5705f, v56
	v_sub_f32_e32 v74, v74, v76
	s_delay_alu instid0(VALU_DEP_1) | instskip(SKIP_1) | instid1(VALU_DEP_2)
	v_add_f32_e32 v74, v74, v75
	v_cvt_i32_f32_e32 v75, v76
	v_exp_f32_e32 v74, v74
	s_waitcnt_depctr 0xfff
	v_ldexp_f32 v74, v74, v75
	s_delay_alu instid0(VALU_DEP_1) | instskip(SKIP_1) | instid1(VALU_DEP_1)
	v_cndmask_b32_e64 v74, 0, v74, s64
	v_cmp_nlt_f32_e64 s64, 0x42b17218, v56
	v_cndmask_b32_e64 v56, 0x7f800000, v74, s64
	s_delay_alu instid0(VALU_DEP_1) | instskip(NEXT) | instid1(VALU_DEP_1)
	v_dual_mul_f32 v74, 0x3fb8aa3b, v55 :: v_dual_add_f32 v73, v73, v56
	v_fma_f32 v75, 0x3fb8aa3b, v55, -v74
	v_rndne_f32_e32 v76, v74
	s_delay_alu instid0(VALU_DEP_1) | instskip(NEXT) | instid1(VALU_DEP_1)
	v_dual_fmac_f32 v75, 0x32a5705f, v55 :: v_dual_sub_f32 v74, v74, v76
	v_add_f32_e32 v74, v74, v75
	v_cvt_i32_f32_e32 v75, v76
	v_cmp_ngt_f32_e64 s64, 0xc2ce8ed0, v55
	s_delay_alu instid0(VALU_DEP_3) | instskip(SKIP_2) | instid1(VALU_DEP_1)
	v_exp_f32_e32 v74, v74
	s_waitcnt_depctr 0xfff
	v_ldexp_f32 v74, v74, v75
	v_cndmask_b32_e64 v74, 0, v74, s64
	v_cmp_nlt_f32_e64 s64, 0x42b17218, v55
	s_delay_alu instid0(VALU_DEP_1) | instskip(SKIP_2) | instid1(VALU_DEP_3)
	v_cndmask_b32_e64 v55, 0x7f800000, v74, s64
	v_mul_f32_e32 v74, 0x3fb8aa3b, v53
	v_cmp_ngt_f32_e64 s64, 0xc2ce8ed0, v53
	v_add_f32_e32 v73, v73, v55
	s_delay_alu instid0(VALU_DEP_3) | instskip(SKIP_1) | instid1(VALU_DEP_1)
	v_fma_f32 v75, 0x3fb8aa3b, v53, -v74
	v_rndne_f32_e32 v76, v74
	v_dual_fmac_f32 v75, 0x32a5705f, v53 :: v_dual_sub_f32 v74, v74, v76
	s_delay_alu instid0(VALU_DEP_1) | instskip(SKIP_1) | instid1(VALU_DEP_2)
	v_add_f32_e32 v74, v74, v75
	v_cvt_i32_f32_e32 v75, v76
	v_exp_f32_e32 v74, v74
	s_waitcnt_depctr 0xfff
	v_ldexp_f32 v74, v74, v75
	s_delay_alu instid0(VALU_DEP_1) | instskip(SKIP_1) | instid1(VALU_DEP_1)
	v_cndmask_b32_e64 v74, 0, v74, s64
	v_cmp_nlt_f32_e64 s64, 0x42b17218, v53
	v_cndmask_b32_e64 v53, 0x7f800000, v74, s64
	v_mul_f32_e32 v74, 0x3fb8aa3b, v54
	v_cmp_ngt_f32_e64 s64, 0xc2ce8ed0, v54
	s_delay_alu instid0(VALU_DEP_3) | instskip(NEXT) | instid1(VALU_DEP_3)
	v_add_f32_e32 v73, v73, v53
	v_fma_f32 v75, 0x3fb8aa3b, v54, -v74
	v_rndne_f32_e32 v76, v74
	s_delay_alu instid0(VALU_DEP_1) | instskip(NEXT) | instid1(VALU_DEP_1)
	v_dual_fmac_f32 v75, 0x32a5705f, v54 :: v_dual_sub_f32 v74, v74, v76
	v_add_f32_e32 v74, v74, v75
	v_cvt_i32_f32_e32 v75, v76
	s_delay_alu instid0(VALU_DEP_2) | instskip(SKIP_2) | instid1(VALU_DEP_1)
	v_exp_f32_e32 v74, v74
	s_waitcnt_depctr 0xfff
	v_ldexp_f32 v74, v74, v75
	v_cndmask_b32_e64 v74, 0, v74, s64
	v_cmp_nlt_f32_e64 s64, 0x42b17218, v54
	s_delay_alu instid0(VALU_DEP_1) | instskip(SKIP_2) | instid1(VALU_DEP_3)
	v_cndmask_b32_e64 v54, 0x7f800000, v74, s64
	v_mul_f32_e32 v74, 0x3fb8aa3b, v36
	v_cmp_ngt_f32_e64 s64, 0xc2ce8ed0, v36
	v_add_f32_e32 v73, v73, v54
	s_delay_alu instid0(VALU_DEP_3) | instskip(SKIP_1) | instid1(VALU_DEP_2)
	v_fma_f32 v75, 0x3fb8aa3b, v36, -v74
	v_rndne_f32_e32 v76, v74
	v_fmac_f32_e32 v75, 0x32a5705f, v36
	s_delay_alu instid0(VALU_DEP_2) | instskip(NEXT) | instid1(VALU_DEP_1)
	v_sub_f32_e32 v74, v74, v76
	v_add_f32_e32 v74, v74, v75
	v_cvt_i32_f32_e32 v75, v76
	s_delay_alu instid0(VALU_DEP_2) | instskip(SKIP_2) | instid1(VALU_DEP_1)
	v_exp_f32_e32 v74, v74
	s_waitcnt_depctr 0xfff
	v_ldexp_f32 v74, v74, v75
	v_cndmask_b32_e64 v74, 0, v74, s64
	v_cmp_nlt_f32_e64 s64, 0x42b17218, v36
	s_delay_alu instid0(VALU_DEP_1) | instskip(SKIP_2) | instid1(VALU_DEP_3)
	v_cndmask_b32_e64 v36, 0x7f800000, v74, s64
	v_mul_f32_e32 v74, 0x3fb8aa3b, v34
	v_cmp_ngt_f32_e64 s64, 0xc2ce8ed0, v34
	v_add_f32_e32 v73, v73, v36
	s_delay_alu instid0(VALU_DEP_3) | instskip(SKIP_1) | instid1(VALU_DEP_1)
	v_fma_f32 v75, 0x3fb8aa3b, v34, -v74
	v_rndne_f32_e32 v76, v74
	v_dual_fmac_f32 v75, 0x32a5705f, v34 :: v_dual_sub_f32 v74, v74, v76
	s_delay_alu instid0(VALU_DEP_1) | instskip(SKIP_1) | instid1(VALU_DEP_2)
	v_add_f32_e32 v74, v74, v75
	v_cvt_i32_f32_e32 v75, v76
	v_exp_f32_e32 v74, v74
	s_waitcnt_depctr 0xfff
	v_ldexp_f32 v74, v74, v75
	s_delay_alu instid0(VALU_DEP_1) | instskip(SKIP_1) | instid1(VALU_DEP_1)
	v_cndmask_b32_e64 v74, 0, v74, s64
	v_cmp_nlt_f32_e64 s64, 0x42b17218, v34
	v_cndmask_b32_e64 v34, 0x7f800000, v74, s64
	v_mul_f32_e32 v74, 0x3fb8aa3b, v30
	v_cmp_ngt_f32_e64 s64, 0xc2ce8ed0, v30
	s_delay_alu instid0(VALU_DEP_3) | instskip(NEXT) | instid1(VALU_DEP_3)
	v_add_f32_e32 v73, v73, v34
	v_fma_f32 v75, 0x3fb8aa3b, v30, -v74
	v_rndne_f32_e32 v76, v74
	s_delay_alu instid0(VALU_DEP_1) | instskip(NEXT) | instid1(VALU_DEP_1)
	v_dual_fmac_f32 v75, 0x32a5705f, v30 :: v_dual_sub_f32 v74, v74, v76
	v_add_f32_e32 v74, v74, v75
	v_cvt_i32_f32_e32 v75, v76
	s_delay_alu instid0(VALU_DEP_2) | instskip(SKIP_2) | instid1(VALU_DEP_1)
	v_exp_f32_e32 v74, v74
	s_waitcnt_depctr 0xfff
	v_ldexp_f32 v74, v74, v75
	v_cndmask_b32_e64 v74, 0, v74, s64
	v_cmp_nlt_f32_e64 s64, 0x42b17218, v30
	s_delay_alu instid0(VALU_DEP_1) | instskip(SKIP_2) | instid1(VALU_DEP_3)
	v_cndmask_b32_e64 v30, 0x7f800000, v74, s64
	v_mul_f32_e32 v74, 0x3fb8aa3b, v29
	v_cmp_ngt_f32_e64 s64, 0xc2ce8ed0, v29
	v_add_f32_e32 v73, v73, v30
	s_delay_alu instid0(VALU_DEP_3) | instskip(SKIP_1) | instid1(VALU_DEP_1)
	v_fma_f32 v75, 0x3fb8aa3b, v29, -v74
	v_rndne_f32_e32 v76, v74
	v_dual_fmac_f32 v75, 0x32a5705f, v29 :: v_dual_sub_f32 v74, v74, v76
	s_delay_alu instid0(VALU_DEP_1) | instskip(SKIP_1) | instid1(VALU_DEP_2)
	v_add_f32_e32 v74, v74, v75
	v_cvt_i32_f32_e32 v75, v76
	v_exp_f32_e32 v74, v74
	s_waitcnt_depctr 0xfff
	v_ldexp_f32 v74, v74, v75
	s_delay_alu instid0(VALU_DEP_1) | instskip(SKIP_1) | instid1(VALU_DEP_1)
	v_cndmask_b32_e64 v74, 0, v74, s64
	v_cmp_nlt_f32_e64 s64, 0x42b17218, v29
	v_cndmask_b32_e64 v29, 0x7f800000, v74, s64
	v_mul_f32_e32 v74, 0x3fb8aa3b, v25
	v_cmp_ngt_f32_e64 s64, 0xc2ce8ed0, v25
	s_delay_alu instid0(VALU_DEP_3) | instskip(NEXT) | instid1(VALU_DEP_3)
	v_add_f32_e32 v73, v73, v29
	v_fma_f32 v75, 0x3fb8aa3b, v25, -v74
	v_rndne_f32_e32 v76, v74
	s_delay_alu instid0(VALU_DEP_1) | instskip(NEXT) | instid1(VALU_DEP_1)
	v_dual_fmac_f32 v75, 0x32a5705f, v25 :: v_dual_sub_f32 v74, v74, v76
	;; [unrolled: 35-line block ×3, first 2 shown]
	v_add_f32_e32 v74, v74, v75
	v_cvt_i32_f32_e32 v75, v76
	s_delay_alu instid0(VALU_DEP_2) | instskip(SKIP_2) | instid1(VALU_DEP_1)
	v_exp_f32_e32 v74, v74
	s_waitcnt_depctr 0xfff
	v_ldexp_f32 v74, v74, v75
	v_cndmask_b32_e64 v74, 0, v74, s64
	v_cmp_nlt_f32_e64 s64, 0x42b17218, v18
	s_delay_alu instid0(VALU_DEP_1) | instskip(NEXT) | instid1(VALU_DEP_1)
	v_cndmask_b32_e64 v18, 0x7f800000, v74, s64
	v_dual_mul_f32 v74, 0x3fb8aa3b, v17 :: v_dual_add_f32 v73, v73, v18
	s_delay_alu instid0(VALU_DEP_1) | instskip(SKIP_1) | instid1(VALU_DEP_1)
	v_fma_f32 v75, 0x3fb8aa3b, v17, -v74
	v_rndne_f32_e32 v76, v74
	v_dual_fmac_f32 v75, 0x32a5705f, v17 :: v_dual_sub_f32 v74, v74, v76
	s_delay_alu instid0(VALU_DEP_1) | instskip(SKIP_2) | instid1(VALU_DEP_3)
	v_add_f32_e32 v74, v74, v75
	v_cvt_i32_f32_e32 v75, v76
	v_cmp_ngt_f32_e64 s64, 0xc2ce8ed0, v17
	v_exp_f32_e32 v74, v74
	s_waitcnt_depctr 0xfff
	v_ldexp_f32 v74, v74, v75
	s_delay_alu instid0(VALU_DEP_1) | instskip(SKIP_1) | instid1(VALU_DEP_1)
	v_cndmask_b32_e64 v74, 0, v74, s64
	v_cmp_nlt_f32_e64 s64, 0x42b17218, v17
	v_cndmask_b32_e64 v17, 0x7f800000, v74, s64
	v_mul_f32_e32 v74, 0x3fb8aa3b, v12
	v_cmp_ngt_f32_e64 s64, 0xc2ce8ed0, v12
	s_delay_alu instid0(VALU_DEP_3) | instskip(NEXT) | instid1(VALU_DEP_3)
	v_add_f32_e32 v73, v73, v17
	v_fma_f32 v75, 0x3fb8aa3b, v12, -v74
	v_rndne_f32_e32 v76, v74
	s_delay_alu instid0(VALU_DEP_2) | instskip(NEXT) | instid1(VALU_DEP_2)
	v_fmac_f32_e32 v75, 0x32a5705f, v12
	v_sub_f32_e32 v74, v74, v76
	s_delay_alu instid0(VALU_DEP_1) | instskip(SKIP_1) | instid1(VALU_DEP_2)
	v_add_f32_e32 v74, v74, v75
	v_cvt_i32_f32_e32 v75, v76
	v_exp_f32_e32 v74, v74
	s_waitcnt_depctr 0xfff
	v_ldexp_f32 v74, v74, v75
	s_delay_alu instid0(VALU_DEP_1) | instskip(SKIP_1) | instid1(VALU_DEP_1)
	v_cndmask_b32_e64 v74, 0, v74, s64
	v_cmp_nlt_f32_e64 s64, 0x42b17218, v12
	v_cndmask_b32_e64 v12, 0x7f800000, v74, s64
	s_delay_alu instid0(VALU_DEP_1) | instskip(NEXT) | instid1(VALU_DEP_1)
	v_dual_mul_f32 v74, 0x3fb8aa3b, v11 :: v_dual_add_f32 v73, v73, v12
	v_fma_f32 v75, 0x3fb8aa3b, v11, -v74
	v_rndne_f32_e32 v76, v74
	s_delay_alu instid0(VALU_DEP_1) | instskip(NEXT) | instid1(VALU_DEP_1)
	v_dual_fmac_f32 v75, 0x32a5705f, v11 :: v_dual_sub_f32 v74, v74, v76
	v_add_f32_e32 v74, v74, v75
	v_cvt_i32_f32_e32 v75, v76
	v_cmp_ngt_f32_e64 s64, 0xc2ce8ed0, v11
	s_delay_alu instid0(VALU_DEP_3) | instskip(SKIP_2) | instid1(VALU_DEP_1)
	v_exp_f32_e32 v74, v74
	s_waitcnt_depctr 0xfff
	v_ldexp_f32 v74, v74, v75
	v_cndmask_b32_e64 v74, 0, v74, s64
	v_cmp_nlt_f32_e64 s64, 0x42b17218, v11
	s_delay_alu instid0(VALU_DEP_1) | instskip(SKIP_2) | instid1(VALU_DEP_3)
	v_cndmask_b32_e64 v11, 0x7f800000, v74, s64
	v_mul_f32_e32 v74, 0x3fb8aa3b, v10
	v_cmp_ngt_f32_e64 s64, 0xc2ce8ed0, v10
	v_add_f32_e32 v73, v73, v11
	s_delay_alu instid0(VALU_DEP_3) | instskip(SKIP_1) | instid1(VALU_DEP_1)
	v_fma_f32 v75, 0x3fb8aa3b, v10, -v74
	v_rndne_f32_e32 v76, v74
	v_dual_fmac_f32 v75, 0x32a5705f, v10 :: v_dual_sub_f32 v74, v74, v76
	s_delay_alu instid0(VALU_DEP_1) | instskip(SKIP_1) | instid1(VALU_DEP_2)
	v_add_f32_e32 v74, v74, v75
	v_cvt_i32_f32_e32 v75, v76
	v_exp_f32_e32 v74, v74
	s_waitcnt_depctr 0xfff
	v_ldexp_f32 v74, v74, v75
	s_delay_alu instid0(VALU_DEP_1) | instskip(SKIP_1) | instid1(VALU_DEP_1)
	v_cndmask_b32_e64 v74, 0, v74, s64
	v_cmp_nlt_f32_e64 s64, 0x42b17218, v10
	v_cndmask_b32_e64 v10, 0x7f800000, v74, s64
	v_mul_f32_e32 v74, 0x3fb8aa3b, v9
	v_cmp_ngt_f32_e64 s64, 0xc2ce8ed0, v9
	s_delay_alu instid0(VALU_DEP_3) | instskip(NEXT) | instid1(VALU_DEP_3)
	v_add_f32_e32 v73, v73, v10
	v_fma_f32 v75, 0x3fb8aa3b, v9, -v74
	v_rndne_f32_e32 v76, v74
	s_delay_alu instid0(VALU_DEP_1) | instskip(NEXT) | instid1(VALU_DEP_1)
	v_dual_fmac_f32 v75, 0x32a5705f, v9 :: v_dual_sub_f32 v74, v74, v76
	v_add_f32_e32 v74, v74, v75
	v_cvt_i32_f32_e32 v75, v76
	s_delay_alu instid0(VALU_DEP_2) | instskip(SKIP_2) | instid1(VALU_DEP_1)
	v_exp_f32_e32 v74, v74
	s_waitcnt_depctr 0xfff
	v_ldexp_f32 v74, v74, v75
	v_cndmask_b32_e64 v74, 0, v74, s64
	v_cmp_nlt_f32_e64 s64, 0x42b17218, v9
	s_delay_alu instid0(VALU_DEP_1) | instskip(SKIP_2) | instid1(VALU_DEP_3)
	v_cndmask_b32_e64 v9, 0x7f800000, v74, s64
	v_mul_f32_e32 v74, 0x3fb8aa3b, v7
	v_cmp_ngt_f32_e64 s64, 0xc2ce8ed0, v7
	v_add_f32_e32 v73, v73, v9
	s_delay_alu instid0(VALU_DEP_3) | instskip(SKIP_1) | instid1(VALU_DEP_1)
	v_fma_f32 v75, 0x3fb8aa3b, v7, -v74
	v_rndne_f32_e32 v76, v74
	v_dual_fmac_f32 v75, 0x32a5705f, v7 :: v_dual_sub_f32 v74, v74, v76
	s_delay_alu instid0(VALU_DEP_1) | instskip(SKIP_1) | instid1(VALU_DEP_2)
	v_add_f32_e32 v74, v74, v75
	v_cvt_i32_f32_e32 v75, v76
	v_exp_f32_e32 v74, v74
	s_waitcnt_depctr 0xfff
	v_ldexp_f32 v74, v74, v75
	s_delay_alu instid0(VALU_DEP_1) | instskip(SKIP_1) | instid1(VALU_DEP_1)
	v_cndmask_b32_e64 v74, 0, v74, s64
	v_cmp_nlt_f32_e64 s64, 0x42b17218, v7
	v_cndmask_b32_e64 v7, 0x7f800000, v74, s64
	v_mul_f32_e32 v74, 0x3fb8aa3b, v8
	v_cmp_ngt_f32_e64 s64, 0xc2ce8ed0, v8
	s_delay_alu instid0(VALU_DEP_3) | instskip(NEXT) | instid1(VALU_DEP_3)
	v_add_f32_e32 v73, v73, v7
	v_fma_f32 v75, 0x3fb8aa3b, v8, -v74
	v_rndne_f32_e32 v76, v74
	s_delay_alu instid0(VALU_DEP_2) | instskip(NEXT) | instid1(VALU_DEP_2)
	v_fmac_f32_e32 v75, 0x32a5705f, v8
	v_sub_f32_e32 v74, v74, v76
	s_delay_alu instid0(VALU_DEP_1) | instskip(SKIP_1) | instid1(VALU_DEP_2)
	v_add_f32_e32 v74, v74, v75
	v_cvt_i32_f32_e32 v75, v76
	v_exp_f32_e32 v74, v74
	s_waitcnt_depctr 0xfff
	v_ldexp_f32 v74, v74, v75
	v_rndne_f32_e32 v75, v28
	s_delay_alu instid0(VALU_DEP_2) | instskip(SKIP_1) | instid1(VALU_DEP_1)
	v_cndmask_b32_e64 v74, 0, v74, s64
	v_cmp_nlt_f32_e64 s64, 0x42b17218, v8
	v_cndmask_b32_e64 v8, 0x7f800000, v74, s64
	v_fma_f32 v74, 0x3fb8aa3b, v6, -v28
	v_sub_f32_e32 v28, v28, v75
	v_cmp_ngt_f32_e64 s64, 0xc2ce8ed0, v6
	s_delay_alu instid0(VALU_DEP_3) | instskip(NEXT) | instid1(VALU_DEP_1)
	v_dual_add_f32 v73, v73, v8 :: v_dual_fmac_f32 v74, 0x32a5705f, v6
	v_add_f32_e32 v28, v28, v74
	v_cvt_i32_f32_e32 v74, v75
	s_delay_alu instid0(VALU_DEP_2) | instskip(SKIP_2) | instid1(VALU_DEP_1)
	v_exp_f32_e32 v28, v28
	s_waitcnt_depctr 0xfff
	v_ldexp_f32 v28, v28, v74
	v_cndmask_b32_e64 v28, 0, v28, s64
	v_cmp_nlt_f32_e64 s64, 0x42b17218, v6
	s_delay_alu instid0(VALU_DEP_1) | instskip(NEXT) | instid1(VALU_DEP_1)
	v_cndmask_b32_e64 v6, 0x7f800000, v28, s64
	v_add_f32_e32 v28, v73, v6
	ds_bpermute_b32 v2, v2, v28
	s_waitcnt lgkmcnt(0)
	v_add_f32_e32 v2, v28, v2
	ds_bpermute_b32 v3, v3, v2
	s_waitcnt lgkmcnt(0)
	;; [unrolled: 3-line block ×4, first 2 shown]
	v_add_f32_e32 v2, v2, v3
	ds_bpermute_b32 v3, v19, v2
	v_cmpx_lt_i32_e32 0, v5
	s_cbranch_execz .LBB507_194
; %bb.129:
	s_and_b32 exec_lo, exec_lo, vcc_lo
	s_cbranch_execz .LBB507_194
; %bb.130:
	s_waitcnt lgkmcnt(0)
	v_add_f32_e32 v2, v2, v3
	v_lshlrev_b64 v[0:1], 2, v[0:1]
	s_delay_alu instid0(VALU_DEP_2) | instskip(SKIP_1) | instid1(VALU_DEP_2)
	v_div_scale_f32 v3, null, v2, v2, v13
	v_div_scale_f32 v15, vcc_lo, v13, v2, v13
	v_rcp_f32_e32 v4, v3
	s_waitcnt_depctr 0xfff
	v_fma_f32 v5, -v3, v4, 1.0
	s_delay_alu instid0(VALU_DEP_1) | instskip(NEXT) | instid1(VALU_DEP_1)
	v_fmac_f32_e32 v4, v5, v4
	v_mul_f32_e32 v5, v15, v4
	v_cmp_eq_f32_e64 s64, 0, v2
	s_delay_alu instid0(VALU_DEP_2) | instskip(NEXT) | instid1(VALU_DEP_1)
	v_fma_f32 v19, -v3, v5, v15
	v_fmac_f32_e32 v5, v19, v4
	s_delay_alu instid0(VALU_DEP_1) | instskip(NEXT) | instid1(VALU_DEP_1)
	v_fma_f32 v3, -v3, v5, v15
	v_div_fmas_f32 v3, v3, v4, v5
	v_add_co_u32 v0, vcc_lo, s68, v0
	v_add_co_ci_u32_e32 v1, vcc_lo, s69, v1, vcc_lo
	s_delay_alu instid0(VALU_DEP_3) | instskip(NEXT) | instid1(VALU_DEP_1)
	v_div_fixup_f32 v3, v3, v2, v13
	v_cndmask_b32_e64 v3, v3, 0x7fc00000, s64
	global_store_b32 v[0:1], v3, off
	s_and_b32 exec_lo, exec_lo, s63
	s_cbranch_execz .LBB507_194
; %bb.131:
	v_div_scale_f32 v3, null, v2, v2, v14
	s_delay_alu instid0(VALU_DEP_1) | instskip(SKIP_2) | instid1(VALU_DEP_1)
	v_rcp_f32_e32 v4, v3
	s_waitcnt_depctr 0xfff
	v_fma_f32 v5, -v3, v4, 1.0
	v_fmac_f32_e32 v4, v5, v4
	v_div_scale_f32 v5, vcc_lo, v14, v2, v14
	s_delay_alu instid0(VALU_DEP_1) | instskip(NEXT) | instid1(VALU_DEP_1)
	v_mul_f32_e32 v13, v5, v4
	v_fma_f32 v15, -v3, v13, v5
	s_delay_alu instid0(VALU_DEP_1) | instskip(NEXT) | instid1(VALU_DEP_1)
	v_fmac_f32_e32 v13, v15, v4
	v_fma_f32 v3, -v3, v13, v5
	s_delay_alu instid0(VALU_DEP_1) | instskip(NEXT) | instid1(VALU_DEP_1)
	v_div_fmas_f32 v3, v3, v4, v13
	v_div_fixup_f32 v3, v3, v2, v14
	s_delay_alu instid0(VALU_DEP_1)
	v_cndmask_b32_e64 v3, v3, 0x7fc00000, s64
	global_store_b32 v[0:1], v3, off offset:128
	s_and_b32 exec_lo, exec_lo, s62
	s_cbranch_execz .LBB507_194
; %bb.132:
	v_div_scale_f32 v3, null, v2, v2, v16
	s_delay_alu instid0(VALU_DEP_1) | instskip(SKIP_2) | instid1(VALU_DEP_1)
	v_rcp_f32_e32 v4, v3
	s_waitcnt_depctr 0xfff
	v_fma_f32 v5, -v3, v4, 1.0
	v_fmac_f32_e32 v4, v5, v4
	v_div_scale_f32 v5, vcc_lo, v16, v2, v16
	s_delay_alu instid0(VALU_DEP_1) | instskip(NEXT) | instid1(VALU_DEP_1)
	v_mul_f32_e32 v13, v5, v4
	v_fma_f32 v14, -v3, v13, v5
	s_delay_alu instid0(VALU_DEP_1) | instskip(NEXT) | instid1(VALU_DEP_1)
	v_fmac_f32_e32 v13, v14, v4
	v_fma_f32 v3, -v3, v13, v5
	s_delay_alu instid0(VALU_DEP_1) | instskip(NEXT) | instid1(VALU_DEP_1)
	v_div_fmas_f32 v3, v3, v4, v13
	v_div_fixup_f32 v3, v3, v2, v16
	s_delay_alu instid0(VALU_DEP_1)
	v_cndmask_b32_e64 v3, v3, 0x7fc00000, s64
	global_store_b32 v[0:1], v3, off offset:256
	;; [unrolled: 22-line block ×31, first 2 shown]
	s_and_b32 exec_lo, exec_lo, s31
	s_cbranch_execz .LBB507_194
; %bb.162:
	v_div_scale_f32 v3, null, v2, v2, v70
	v_div_scale_f32 v13, vcc_lo, v70, v2, v70
	s_delay_alu instid0(VALU_DEP_2) | instskip(SKIP_2) | instid1(VALU_DEP_1)
	v_rcp_f32_e32 v4, v3
	s_waitcnt_depctr 0xfff
	v_fma_f32 v5, -v3, v4, 1.0
	v_fmac_f32_e32 v4, v5, v4
	s_delay_alu instid0(VALU_DEP_1) | instskip(NEXT) | instid1(VALU_DEP_1)
	v_mul_f32_e32 v5, v13, v4
	v_fma_f32 v14, -v3, v5, v13
	s_delay_alu instid0(VALU_DEP_1) | instskip(NEXT) | instid1(VALU_DEP_1)
	v_fmac_f32_e32 v5, v14, v4
	v_fma_f32 v3, -v3, v5, v13
	s_delay_alu instid0(VALU_DEP_1) | instskip(SKIP_2) | instid1(VALU_DEP_3)
	v_div_fmas_f32 v3, v3, v4, v5
	v_add_co_u32 v0, vcc_lo, 0x1000, v0
	v_add_co_ci_u32_e32 v1, vcc_lo, 0, v1, vcc_lo
	v_div_fixup_f32 v3, v3, v2, v70
	s_delay_alu instid0(VALU_DEP_1)
	v_cndmask_b32_e64 v3, v3, 0x7fc00000, s64
	global_store_b32 v[0:1], v3, off
	s_and_b32 exec_lo, exec_lo, s30
	s_cbranch_execz .LBB507_194
; %bb.163:
	v_div_scale_f32 v3, null, v2, v2, v71
	s_delay_alu instid0(VALU_DEP_1) | instskip(SKIP_2) | instid1(VALU_DEP_1)
	v_rcp_f32_e32 v4, v3
	s_waitcnt_depctr 0xfff
	v_fma_f32 v5, -v3, v4, 1.0
	v_fmac_f32_e32 v4, v5, v4
	v_div_scale_f32 v5, vcc_lo, v71, v2, v71
	s_delay_alu instid0(VALU_DEP_1) | instskip(NEXT) | instid1(VALU_DEP_1)
	v_mul_f32_e32 v13, v5, v4
	v_fma_f32 v14, -v3, v13, v5
	s_delay_alu instid0(VALU_DEP_1) | instskip(NEXT) | instid1(VALU_DEP_1)
	v_fmac_f32_e32 v13, v14, v4
	v_fma_f32 v3, -v3, v13, v5
	s_delay_alu instid0(VALU_DEP_1) | instskip(NEXT) | instid1(VALU_DEP_1)
	v_div_fmas_f32 v3, v3, v4, v13
	v_div_fixup_f32 v3, v3, v2, v71
	s_delay_alu instid0(VALU_DEP_1)
	v_cndmask_b32_e64 v3, v3, 0x7fc00000, s64
	global_store_b32 v[0:1], v3, off offset:128
	s_and_b32 exec_lo, exec_lo, s29
	s_cbranch_execz .LBB507_194
; %bb.164:
	v_div_scale_f32 v3, null, v2, v2, v72
	s_delay_alu instid0(VALU_DEP_1) | instskip(SKIP_2) | instid1(VALU_DEP_1)
	v_rcp_f32_e32 v4, v3
	s_waitcnt_depctr 0xfff
	v_fma_f32 v5, -v3, v4, 1.0
	v_fmac_f32_e32 v4, v5, v4
	v_div_scale_f32 v5, vcc_lo, v72, v2, v72
	s_delay_alu instid0(VALU_DEP_1) | instskip(NEXT) | instid1(VALU_DEP_1)
	v_mul_f32_e32 v13, v5, v4
	v_fma_f32 v14, -v3, v13, v5
	s_delay_alu instid0(VALU_DEP_1) | instskip(NEXT) | instid1(VALU_DEP_1)
	v_fmac_f32_e32 v13, v14, v4
	v_fma_f32 v3, -v3, v13, v5
	s_delay_alu instid0(VALU_DEP_1) | instskip(NEXT) | instid1(VALU_DEP_1)
	v_div_fmas_f32 v3, v3, v4, v13
	v_div_fixup_f32 v3, v3, v2, v72
	s_delay_alu instid0(VALU_DEP_1)
	v_cndmask_b32_e64 v3, v3, 0x7fc00000, s64
	global_store_b32 v[0:1], v3, off offset:256
	s_and_b32 exec_lo, exec_lo, s28
	s_cbranch_execz .LBB507_194
; %bb.165:
	v_div_scale_f32 v3, null, v2, v2, v68
	s_delay_alu instid0(VALU_DEP_1) | instskip(SKIP_2) | instid1(VALU_DEP_1)
	v_rcp_f32_e32 v4, v3
	s_waitcnt_depctr 0xfff
	v_fma_f32 v5, -v3, v4, 1.0
	v_fmac_f32_e32 v4, v5, v4
	v_div_scale_f32 v5, vcc_lo, v68, v2, v68
	s_delay_alu instid0(VALU_DEP_1) | instskip(NEXT) | instid1(VALU_DEP_1)
	v_mul_f32_e32 v13, v5, v4
	v_fma_f32 v14, -v3, v13, v5
	s_delay_alu instid0(VALU_DEP_1) | instskip(NEXT) | instid1(VALU_DEP_1)
	v_fmac_f32_e32 v13, v14, v4
	v_fma_f32 v3, -v3, v13, v5
	s_delay_alu instid0(VALU_DEP_1) | instskip(NEXT) | instid1(VALU_DEP_1)
	v_div_fmas_f32 v3, v3, v4, v13
	v_div_fixup_f32 v3, v3, v2, v68
	s_delay_alu instid0(VALU_DEP_1)
	v_cndmask_b32_e64 v3, v3, 0x7fc00000, s64
	global_store_b32 v[0:1], v3, off offset:384
	s_and_b32 exec_lo, exec_lo, s27
	s_cbranch_execz .LBB507_194
; %bb.166:
	v_div_scale_f32 v3, null, v2, v2, v69
	s_delay_alu instid0(VALU_DEP_1) | instskip(SKIP_2) | instid1(VALU_DEP_1)
	v_rcp_f32_e32 v4, v3
	s_waitcnt_depctr 0xfff
	v_fma_f32 v5, -v3, v4, 1.0
	v_fmac_f32_e32 v4, v5, v4
	v_div_scale_f32 v5, vcc_lo, v69, v2, v69
	s_delay_alu instid0(VALU_DEP_1) | instskip(NEXT) | instid1(VALU_DEP_1)
	v_mul_f32_e32 v13, v5, v4
	v_fma_f32 v14, -v3, v13, v5
	s_delay_alu instid0(VALU_DEP_1) | instskip(NEXT) | instid1(VALU_DEP_1)
	v_fmac_f32_e32 v13, v14, v4
	v_fma_f32 v3, -v3, v13, v5
	s_delay_alu instid0(VALU_DEP_1) | instskip(NEXT) | instid1(VALU_DEP_1)
	v_div_fmas_f32 v3, v3, v4, v13
	v_div_fixup_f32 v3, v3, v2, v69
	s_delay_alu instid0(VALU_DEP_1)
	v_cndmask_b32_e64 v3, v3, 0x7fc00000, s64
	global_store_b32 v[0:1], v3, off offset:512
	s_and_b32 exec_lo, exec_lo, s26
	s_cbranch_execz .LBB507_194
; %bb.167:
	v_div_scale_f32 v3, null, v2, v2, v67
	s_delay_alu instid0(VALU_DEP_1) | instskip(SKIP_2) | instid1(VALU_DEP_1)
	v_rcp_f32_e32 v4, v3
	s_waitcnt_depctr 0xfff
	v_fma_f32 v5, -v3, v4, 1.0
	v_fmac_f32_e32 v4, v5, v4
	v_div_scale_f32 v5, vcc_lo, v67, v2, v67
	s_delay_alu instid0(VALU_DEP_1) | instskip(NEXT) | instid1(VALU_DEP_1)
	v_mul_f32_e32 v13, v5, v4
	v_fma_f32 v14, -v3, v13, v5
	s_delay_alu instid0(VALU_DEP_1) | instskip(NEXT) | instid1(VALU_DEP_1)
	v_fmac_f32_e32 v13, v14, v4
	v_fma_f32 v3, -v3, v13, v5
	s_delay_alu instid0(VALU_DEP_1) | instskip(NEXT) | instid1(VALU_DEP_1)
	v_div_fmas_f32 v3, v3, v4, v13
	v_div_fixup_f32 v3, v3, v2, v67
	s_delay_alu instid0(VALU_DEP_1)
	v_cndmask_b32_e64 v3, v3, 0x7fc00000, s64
	global_store_b32 v[0:1], v3, off offset:640
	s_and_b32 exec_lo, exec_lo, s25
	s_cbranch_execz .LBB507_194
; %bb.168:
	v_div_scale_f32 v3, null, v2, v2, v66
	s_delay_alu instid0(VALU_DEP_1) | instskip(SKIP_2) | instid1(VALU_DEP_1)
	v_rcp_f32_e32 v4, v3
	s_waitcnt_depctr 0xfff
	v_fma_f32 v5, -v3, v4, 1.0
	v_fmac_f32_e32 v4, v5, v4
	v_div_scale_f32 v5, vcc_lo, v66, v2, v66
	s_delay_alu instid0(VALU_DEP_1) | instskip(NEXT) | instid1(VALU_DEP_1)
	v_mul_f32_e32 v13, v5, v4
	v_fma_f32 v14, -v3, v13, v5
	s_delay_alu instid0(VALU_DEP_1) | instskip(NEXT) | instid1(VALU_DEP_1)
	v_fmac_f32_e32 v13, v14, v4
	v_fma_f32 v3, -v3, v13, v5
	s_delay_alu instid0(VALU_DEP_1) | instskip(NEXT) | instid1(VALU_DEP_1)
	v_div_fmas_f32 v3, v3, v4, v13
	v_div_fixup_f32 v3, v3, v2, v66
	s_delay_alu instid0(VALU_DEP_1)
	v_cndmask_b32_e64 v3, v3, 0x7fc00000, s64
	global_store_b32 v[0:1], v3, off offset:768
	s_and_b32 exec_lo, exec_lo, s24
	s_cbranch_execz .LBB507_194
; %bb.169:
	v_div_scale_f32 v3, null, v2, v2, v65
	s_delay_alu instid0(VALU_DEP_1) | instskip(SKIP_2) | instid1(VALU_DEP_1)
	v_rcp_f32_e32 v4, v3
	s_waitcnt_depctr 0xfff
	v_fma_f32 v5, -v3, v4, 1.0
	v_fmac_f32_e32 v4, v5, v4
	v_div_scale_f32 v5, vcc_lo, v65, v2, v65
	s_delay_alu instid0(VALU_DEP_1) | instskip(NEXT) | instid1(VALU_DEP_1)
	v_mul_f32_e32 v13, v5, v4
	v_fma_f32 v14, -v3, v13, v5
	s_delay_alu instid0(VALU_DEP_1) | instskip(NEXT) | instid1(VALU_DEP_1)
	v_fmac_f32_e32 v13, v14, v4
	v_fma_f32 v3, -v3, v13, v5
	s_delay_alu instid0(VALU_DEP_1) | instskip(NEXT) | instid1(VALU_DEP_1)
	v_div_fmas_f32 v3, v3, v4, v13
	v_div_fixup_f32 v3, v3, v2, v65
	s_delay_alu instid0(VALU_DEP_1)
	v_cndmask_b32_e64 v3, v3, 0x7fc00000, s64
	global_store_b32 v[0:1], v3, off offset:896
	s_and_b32 exec_lo, exec_lo, s23
	s_cbranch_execz .LBB507_194
; %bb.170:
	v_div_scale_f32 v3, null, v2, v2, v64
	s_delay_alu instid0(VALU_DEP_1) | instskip(SKIP_2) | instid1(VALU_DEP_1)
	v_rcp_f32_e32 v4, v3
	s_waitcnt_depctr 0xfff
	v_fma_f32 v5, -v3, v4, 1.0
	v_fmac_f32_e32 v4, v5, v4
	v_div_scale_f32 v5, vcc_lo, v64, v2, v64
	s_delay_alu instid0(VALU_DEP_1) | instskip(NEXT) | instid1(VALU_DEP_1)
	v_mul_f32_e32 v13, v5, v4
	v_fma_f32 v14, -v3, v13, v5
	s_delay_alu instid0(VALU_DEP_1) | instskip(NEXT) | instid1(VALU_DEP_1)
	v_fmac_f32_e32 v13, v14, v4
	v_fma_f32 v3, -v3, v13, v5
	s_delay_alu instid0(VALU_DEP_1) | instskip(NEXT) | instid1(VALU_DEP_1)
	v_div_fmas_f32 v3, v3, v4, v13
	v_div_fixup_f32 v3, v3, v2, v64
	s_delay_alu instid0(VALU_DEP_1)
	v_cndmask_b32_e64 v3, v3, 0x7fc00000, s64
	global_store_b32 v[0:1], v3, off offset:1024
	s_and_b32 exec_lo, exec_lo, s22
	s_cbranch_execz .LBB507_194
; %bb.171:
	v_div_scale_f32 v3, null, v2, v2, v61
	s_delay_alu instid0(VALU_DEP_1) | instskip(SKIP_2) | instid1(VALU_DEP_1)
	v_rcp_f32_e32 v4, v3
	s_waitcnt_depctr 0xfff
	v_fma_f32 v5, -v3, v4, 1.0
	v_fmac_f32_e32 v4, v5, v4
	v_div_scale_f32 v5, vcc_lo, v61, v2, v61
	s_delay_alu instid0(VALU_DEP_1) | instskip(NEXT) | instid1(VALU_DEP_1)
	v_mul_f32_e32 v13, v5, v4
	v_fma_f32 v14, -v3, v13, v5
	s_delay_alu instid0(VALU_DEP_1) | instskip(NEXT) | instid1(VALU_DEP_1)
	v_fmac_f32_e32 v13, v14, v4
	v_fma_f32 v3, -v3, v13, v5
	s_delay_alu instid0(VALU_DEP_1) | instskip(NEXT) | instid1(VALU_DEP_1)
	v_div_fmas_f32 v3, v3, v4, v13
	v_div_fixup_f32 v3, v3, v2, v61
	s_delay_alu instid0(VALU_DEP_1)
	v_cndmask_b32_e64 v3, v3, 0x7fc00000, s64
	global_store_b32 v[0:1], v3, off offset:1152
	s_and_b32 exec_lo, exec_lo, s21
	s_cbranch_execz .LBB507_194
; %bb.172:
	v_div_scale_f32 v3, null, v2, v2, v62
	s_delay_alu instid0(VALU_DEP_1) | instskip(SKIP_2) | instid1(VALU_DEP_1)
	v_rcp_f32_e32 v4, v3
	s_waitcnt_depctr 0xfff
	v_fma_f32 v5, -v3, v4, 1.0
	v_fmac_f32_e32 v4, v5, v4
	v_div_scale_f32 v5, vcc_lo, v62, v2, v62
	s_delay_alu instid0(VALU_DEP_1) | instskip(NEXT) | instid1(VALU_DEP_1)
	v_mul_f32_e32 v13, v5, v4
	v_fma_f32 v14, -v3, v13, v5
	s_delay_alu instid0(VALU_DEP_1) | instskip(NEXT) | instid1(VALU_DEP_1)
	v_fmac_f32_e32 v13, v14, v4
	v_fma_f32 v3, -v3, v13, v5
	s_delay_alu instid0(VALU_DEP_1) | instskip(NEXT) | instid1(VALU_DEP_1)
	v_div_fmas_f32 v3, v3, v4, v13
	v_div_fixup_f32 v3, v3, v2, v62
	s_delay_alu instid0(VALU_DEP_1)
	v_cndmask_b32_e64 v3, v3, 0x7fc00000, s64
	global_store_b32 v[0:1], v3, off offset:1280
	s_and_b32 exec_lo, exec_lo, s20
	s_cbranch_execz .LBB507_194
; %bb.173:
	v_div_scale_f32 v3, null, v2, v2, v58
	s_delay_alu instid0(VALU_DEP_1) | instskip(SKIP_2) | instid1(VALU_DEP_1)
	v_rcp_f32_e32 v4, v3
	s_waitcnt_depctr 0xfff
	v_fma_f32 v5, -v3, v4, 1.0
	v_fmac_f32_e32 v4, v5, v4
	v_div_scale_f32 v5, vcc_lo, v58, v2, v58
	s_delay_alu instid0(VALU_DEP_1) | instskip(NEXT) | instid1(VALU_DEP_1)
	v_mul_f32_e32 v13, v5, v4
	v_fma_f32 v14, -v3, v13, v5
	s_delay_alu instid0(VALU_DEP_1) | instskip(NEXT) | instid1(VALU_DEP_1)
	v_fmac_f32_e32 v13, v14, v4
	v_fma_f32 v3, -v3, v13, v5
	s_delay_alu instid0(VALU_DEP_1) | instskip(NEXT) | instid1(VALU_DEP_1)
	v_div_fmas_f32 v3, v3, v4, v13
	v_div_fixup_f32 v3, v3, v2, v58
	s_delay_alu instid0(VALU_DEP_1)
	v_cndmask_b32_e64 v3, v3, 0x7fc00000, s64
	global_store_b32 v[0:1], v3, off offset:1408
	s_and_b32 exec_lo, exec_lo, s19
	s_cbranch_execz .LBB507_194
; %bb.174:
	v_div_scale_f32 v3, null, v2, v2, v57
	s_delay_alu instid0(VALU_DEP_1) | instskip(SKIP_2) | instid1(VALU_DEP_1)
	v_rcp_f32_e32 v4, v3
	s_waitcnt_depctr 0xfff
	v_fma_f32 v5, -v3, v4, 1.0
	v_fmac_f32_e32 v4, v5, v4
	v_div_scale_f32 v5, vcc_lo, v57, v2, v57
	s_delay_alu instid0(VALU_DEP_1) | instskip(NEXT) | instid1(VALU_DEP_1)
	v_mul_f32_e32 v13, v5, v4
	v_fma_f32 v14, -v3, v13, v5
	s_delay_alu instid0(VALU_DEP_1) | instskip(NEXT) | instid1(VALU_DEP_1)
	v_fmac_f32_e32 v13, v14, v4
	v_fma_f32 v3, -v3, v13, v5
	s_delay_alu instid0(VALU_DEP_1) | instskip(NEXT) | instid1(VALU_DEP_1)
	v_div_fmas_f32 v3, v3, v4, v13
	v_div_fixup_f32 v3, v3, v2, v57
	s_delay_alu instid0(VALU_DEP_1)
	v_cndmask_b32_e64 v3, v3, 0x7fc00000, s64
	global_store_b32 v[0:1], v3, off offset:1536
	s_and_b32 exec_lo, exec_lo, s18
	s_cbranch_execz .LBB507_194
; %bb.175:
	v_div_scale_f32 v3, null, v2, v2, v56
	s_delay_alu instid0(VALU_DEP_1) | instskip(SKIP_2) | instid1(VALU_DEP_1)
	v_rcp_f32_e32 v4, v3
	s_waitcnt_depctr 0xfff
	v_fma_f32 v5, -v3, v4, 1.0
	v_fmac_f32_e32 v4, v5, v4
	v_div_scale_f32 v5, vcc_lo, v56, v2, v56
	s_delay_alu instid0(VALU_DEP_1) | instskip(NEXT) | instid1(VALU_DEP_1)
	v_mul_f32_e32 v13, v5, v4
	v_fma_f32 v14, -v3, v13, v5
	s_delay_alu instid0(VALU_DEP_1) | instskip(NEXT) | instid1(VALU_DEP_1)
	v_fmac_f32_e32 v13, v14, v4
	v_fma_f32 v3, -v3, v13, v5
	s_delay_alu instid0(VALU_DEP_1) | instskip(NEXT) | instid1(VALU_DEP_1)
	v_div_fmas_f32 v3, v3, v4, v13
	v_div_fixup_f32 v3, v3, v2, v56
	s_delay_alu instid0(VALU_DEP_1)
	v_cndmask_b32_e64 v3, v3, 0x7fc00000, s64
	global_store_b32 v[0:1], v3, off offset:1664
	s_and_b32 exec_lo, exec_lo, s17
	s_cbranch_execz .LBB507_194
; %bb.176:
	v_div_scale_f32 v3, null, v2, v2, v55
	s_delay_alu instid0(VALU_DEP_1) | instskip(SKIP_2) | instid1(VALU_DEP_1)
	v_rcp_f32_e32 v4, v3
	s_waitcnt_depctr 0xfff
	v_fma_f32 v5, -v3, v4, 1.0
	v_fmac_f32_e32 v4, v5, v4
	v_div_scale_f32 v5, vcc_lo, v55, v2, v55
	s_delay_alu instid0(VALU_DEP_1) | instskip(NEXT) | instid1(VALU_DEP_1)
	v_mul_f32_e32 v13, v5, v4
	v_fma_f32 v14, -v3, v13, v5
	s_delay_alu instid0(VALU_DEP_1) | instskip(NEXT) | instid1(VALU_DEP_1)
	v_fmac_f32_e32 v13, v14, v4
	v_fma_f32 v3, -v3, v13, v5
	s_delay_alu instid0(VALU_DEP_1) | instskip(NEXT) | instid1(VALU_DEP_1)
	v_div_fmas_f32 v3, v3, v4, v13
	v_div_fixup_f32 v3, v3, v2, v55
	s_delay_alu instid0(VALU_DEP_1)
	v_cndmask_b32_e64 v3, v3, 0x7fc00000, s64
	global_store_b32 v[0:1], v3, off offset:1792
	s_and_b32 exec_lo, exec_lo, s16
	s_cbranch_execz .LBB507_194
; %bb.177:
	v_div_scale_f32 v3, null, v2, v2, v53
	s_delay_alu instid0(VALU_DEP_1) | instskip(SKIP_2) | instid1(VALU_DEP_1)
	v_rcp_f32_e32 v4, v3
	s_waitcnt_depctr 0xfff
	v_fma_f32 v5, -v3, v4, 1.0
	v_fmac_f32_e32 v4, v5, v4
	v_div_scale_f32 v5, vcc_lo, v53, v2, v53
	s_delay_alu instid0(VALU_DEP_1) | instskip(NEXT) | instid1(VALU_DEP_1)
	v_mul_f32_e32 v13, v5, v4
	v_fma_f32 v14, -v3, v13, v5
	s_delay_alu instid0(VALU_DEP_1) | instskip(NEXT) | instid1(VALU_DEP_1)
	v_fmac_f32_e32 v13, v14, v4
	v_fma_f32 v3, -v3, v13, v5
	s_delay_alu instid0(VALU_DEP_1) | instskip(NEXT) | instid1(VALU_DEP_1)
	v_div_fmas_f32 v3, v3, v4, v13
	v_div_fixup_f32 v3, v3, v2, v53
	s_delay_alu instid0(VALU_DEP_1)
	v_cndmask_b32_e64 v3, v3, 0x7fc00000, s64
	global_store_b32 v[0:1], v3, off offset:1920
	s_and_b32 exec_lo, exec_lo, s15
	s_cbranch_execz .LBB507_194
; %bb.178:
	v_div_scale_f32 v3, null, v2, v2, v54
	s_delay_alu instid0(VALU_DEP_1) | instskip(SKIP_2) | instid1(VALU_DEP_1)
	v_rcp_f32_e32 v4, v3
	s_waitcnt_depctr 0xfff
	v_fma_f32 v5, -v3, v4, 1.0
	v_fmac_f32_e32 v4, v5, v4
	v_div_scale_f32 v5, vcc_lo, v54, v2, v54
	s_delay_alu instid0(VALU_DEP_1) | instskip(NEXT) | instid1(VALU_DEP_1)
	v_mul_f32_e32 v13, v5, v4
	v_fma_f32 v14, -v3, v13, v5
	s_delay_alu instid0(VALU_DEP_1) | instskip(NEXT) | instid1(VALU_DEP_1)
	v_fmac_f32_e32 v13, v14, v4
	v_fma_f32 v3, -v3, v13, v5
	s_delay_alu instid0(VALU_DEP_1) | instskip(NEXT) | instid1(VALU_DEP_1)
	v_div_fmas_f32 v3, v3, v4, v13
	v_div_fixup_f32 v3, v3, v2, v54
	s_delay_alu instid0(VALU_DEP_1)
	v_cndmask_b32_e64 v3, v3, 0x7fc00000, s64
	global_store_b32 v[0:1], v3, off offset:2048
	s_and_b32 exec_lo, exec_lo, s14
	s_cbranch_execz .LBB507_194
; %bb.179:
	v_div_scale_f32 v3, null, v2, v2, v36
	s_delay_alu instid0(VALU_DEP_1) | instskip(SKIP_2) | instid1(VALU_DEP_1)
	v_rcp_f32_e32 v4, v3
	s_waitcnt_depctr 0xfff
	v_fma_f32 v5, -v3, v4, 1.0
	v_fmac_f32_e32 v4, v5, v4
	v_div_scale_f32 v5, vcc_lo, v36, v2, v36
	s_delay_alu instid0(VALU_DEP_1) | instskip(NEXT) | instid1(VALU_DEP_1)
	v_mul_f32_e32 v13, v5, v4
	v_fma_f32 v14, -v3, v13, v5
	s_delay_alu instid0(VALU_DEP_1) | instskip(NEXT) | instid1(VALU_DEP_1)
	v_fmac_f32_e32 v13, v14, v4
	v_fma_f32 v3, -v3, v13, v5
	s_delay_alu instid0(VALU_DEP_1) | instskip(NEXT) | instid1(VALU_DEP_1)
	v_div_fmas_f32 v3, v3, v4, v13
	v_div_fixup_f32 v3, v3, v2, v36
	s_delay_alu instid0(VALU_DEP_1)
	v_cndmask_b32_e64 v3, v3, 0x7fc00000, s64
	global_store_b32 v[0:1], v3, off offset:2176
	s_and_b32 exec_lo, exec_lo, s13
	s_cbranch_execz .LBB507_194
; %bb.180:
	v_div_scale_f32 v3, null, v2, v2, v34
	s_delay_alu instid0(VALU_DEP_1) | instskip(SKIP_2) | instid1(VALU_DEP_1)
	v_rcp_f32_e32 v4, v3
	s_waitcnt_depctr 0xfff
	v_fma_f32 v5, -v3, v4, 1.0
	v_fmac_f32_e32 v4, v5, v4
	v_div_scale_f32 v5, vcc_lo, v34, v2, v34
	s_delay_alu instid0(VALU_DEP_1) | instskip(NEXT) | instid1(VALU_DEP_1)
	v_mul_f32_e32 v13, v5, v4
	v_fma_f32 v14, -v3, v13, v5
	s_delay_alu instid0(VALU_DEP_1) | instskip(NEXT) | instid1(VALU_DEP_1)
	v_fmac_f32_e32 v13, v14, v4
	v_fma_f32 v3, -v3, v13, v5
	s_delay_alu instid0(VALU_DEP_1) | instskip(NEXT) | instid1(VALU_DEP_1)
	v_div_fmas_f32 v3, v3, v4, v13
	v_div_fixup_f32 v3, v3, v2, v34
	s_delay_alu instid0(VALU_DEP_1)
	v_cndmask_b32_e64 v3, v3, 0x7fc00000, s64
	global_store_b32 v[0:1], v3, off offset:2304
	s_and_b32 exec_lo, exec_lo, s12
	s_cbranch_execz .LBB507_194
; %bb.181:
	v_div_scale_f32 v3, null, v2, v2, v30
	s_delay_alu instid0(VALU_DEP_1) | instskip(SKIP_2) | instid1(VALU_DEP_1)
	v_rcp_f32_e32 v4, v3
	s_waitcnt_depctr 0xfff
	v_fma_f32 v5, -v3, v4, 1.0
	v_fmac_f32_e32 v4, v5, v4
	v_div_scale_f32 v5, vcc_lo, v30, v2, v30
	s_delay_alu instid0(VALU_DEP_1) | instskip(NEXT) | instid1(VALU_DEP_1)
	v_mul_f32_e32 v13, v5, v4
	v_fma_f32 v14, -v3, v13, v5
	s_delay_alu instid0(VALU_DEP_1) | instskip(NEXT) | instid1(VALU_DEP_1)
	v_fmac_f32_e32 v13, v14, v4
	v_fma_f32 v3, -v3, v13, v5
	s_delay_alu instid0(VALU_DEP_1) | instskip(NEXT) | instid1(VALU_DEP_1)
	v_div_fmas_f32 v3, v3, v4, v13
	v_div_fixup_f32 v3, v3, v2, v30
	s_delay_alu instid0(VALU_DEP_1)
	v_cndmask_b32_e64 v3, v3, 0x7fc00000, s64
	global_store_b32 v[0:1], v3, off offset:2432
	s_and_b32 exec_lo, exec_lo, s11
	s_cbranch_execz .LBB507_194
; %bb.182:
	v_div_scale_f32 v3, null, v2, v2, v29
	s_delay_alu instid0(VALU_DEP_1) | instskip(SKIP_2) | instid1(VALU_DEP_1)
	v_rcp_f32_e32 v4, v3
	s_waitcnt_depctr 0xfff
	v_fma_f32 v5, -v3, v4, 1.0
	v_fmac_f32_e32 v4, v5, v4
	v_div_scale_f32 v5, vcc_lo, v29, v2, v29
	s_delay_alu instid0(VALU_DEP_1) | instskip(NEXT) | instid1(VALU_DEP_1)
	v_mul_f32_e32 v13, v5, v4
	v_fma_f32 v14, -v3, v13, v5
	s_delay_alu instid0(VALU_DEP_1) | instskip(NEXT) | instid1(VALU_DEP_1)
	v_fmac_f32_e32 v13, v14, v4
	v_fma_f32 v3, -v3, v13, v5
	s_delay_alu instid0(VALU_DEP_1) | instskip(NEXT) | instid1(VALU_DEP_1)
	v_div_fmas_f32 v3, v3, v4, v13
	v_div_fixup_f32 v3, v3, v2, v29
	s_delay_alu instid0(VALU_DEP_1)
	v_cndmask_b32_e64 v3, v3, 0x7fc00000, s64
	global_store_b32 v[0:1], v3, off offset:2560
	s_and_b32 exec_lo, exec_lo, s10
	s_cbranch_execz .LBB507_194
; %bb.183:
	v_div_scale_f32 v3, null, v2, v2, v25
	s_delay_alu instid0(VALU_DEP_1) | instskip(SKIP_2) | instid1(VALU_DEP_1)
	v_rcp_f32_e32 v4, v3
	s_waitcnt_depctr 0xfff
	v_fma_f32 v5, -v3, v4, 1.0
	v_fmac_f32_e32 v4, v5, v4
	v_div_scale_f32 v5, vcc_lo, v25, v2, v25
	s_delay_alu instid0(VALU_DEP_1) | instskip(NEXT) | instid1(VALU_DEP_1)
	v_mul_f32_e32 v13, v5, v4
	v_fma_f32 v14, -v3, v13, v5
	s_delay_alu instid0(VALU_DEP_1) | instskip(NEXT) | instid1(VALU_DEP_1)
	v_fmac_f32_e32 v13, v14, v4
	v_fma_f32 v3, -v3, v13, v5
	s_delay_alu instid0(VALU_DEP_1) | instskip(NEXT) | instid1(VALU_DEP_1)
	v_div_fmas_f32 v3, v3, v4, v13
	v_div_fixup_f32 v3, v3, v2, v25
	s_delay_alu instid0(VALU_DEP_1)
	v_cndmask_b32_e64 v3, v3, 0x7fc00000, s64
	global_store_b32 v[0:1], v3, off offset:2688
	s_and_b32 exec_lo, exec_lo, s9
	s_cbranch_execz .LBB507_194
; %bb.184:
	v_div_scale_f32 v3, null, v2, v2, v26
	s_delay_alu instid0(VALU_DEP_1) | instskip(SKIP_2) | instid1(VALU_DEP_1)
	v_rcp_f32_e32 v4, v3
	s_waitcnt_depctr 0xfff
	v_fma_f32 v5, -v3, v4, 1.0
	v_fmac_f32_e32 v4, v5, v4
	v_div_scale_f32 v5, vcc_lo, v26, v2, v26
	s_delay_alu instid0(VALU_DEP_1) | instskip(NEXT) | instid1(VALU_DEP_1)
	v_mul_f32_e32 v13, v5, v4
	v_fma_f32 v14, -v3, v13, v5
	s_delay_alu instid0(VALU_DEP_1) | instskip(NEXT) | instid1(VALU_DEP_1)
	v_fmac_f32_e32 v13, v14, v4
	v_fma_f32 v3, -v3, v13, v5
	s_delay_alu instid0(VALU_DEP_1) | instskip(NEXT) | instid1(VALU_DEP_1)
	v_div_fmas_f32 v3, v3, v4, v13
	v_div_fixup_f32 v3, v3, v2, v26
	s_delay_alu instid0(VALU_DEP_1)
	v_cndmask_b32_e64 v3, v3, 0x7fc00000, s64
	global_store_b32 v[0:1], v3, off offset:2816
	s_and_b32 exec_lo, exec_lo, s8
	s_cbranch_execz .LBB507_194
; %bb.185:
	v_div_scale_f32 v3, null, v2, v2, v18
	s_delay_alu instid0(VALU_DEP_1) | instskip(SKIP_2) | instid1(VALU_DEP_1)
	v_rcp_f32_e32 v4, v3
	s_waitcnt_depctr 0xfff
	v_fma_f32 v5, -v3, v4, 1.0
	v_fmac_f32_e32 v4, v5, v4
	v_div_scale_f32 v5, vcc_lo, v18, v2, v18
	s_delay_alu instid0(VALU_DEP_1) | instskip(NEXT) | instid1(VALU_DEP_1)
	v_mul_f32_e32 v13, v5, v4
	v_fma_f32 v14, -v3, v13, v5
	s_delay_alu instid0(VALU_DEP_1) | instskip(NEXT) | instid1(VALU_DEP_1)
	v_fmac_f32_e32 v13, v14, v4
	v_fma_f32 v3, -v3, v13, v5
	s_delay_alu instid0(VALU_DEP_1) | instskip(NEXT) | instid1(VALU_DEP_1)
	v_div_fmas_f32 v3, v3, v4, v13
	v_div_fixup_f32 v3, v3, v2, v18
	s_delay_alu instid0(VALU_DEP_1)
	v_cndmask_b32_e64 v3, v3, 0x7fc00000, s64
	global_store_b32 v[0:1], v3, off offset:2944
	s_and_b32 exec_lo, exec_lo, s7
	s_cbranch_execz .LBB507_194
; %bb.186:
	v_div_scale_f32 v3, null, v2, v2, v17
	s_delay_alu instid0(VALU_DEP_1) | instskip(SKIP_2) | instid1(VALU_DEP_1)
	v_rcp_f32_e32 v4, v3
	s_waitcnt_depctr 0xfff
	v_fma_f32 v5, -v3, v4, 1.0
	v_fmac_f32_e32 v4, v5, v4
	v_div_scale_f32 v5, vcc_lo, v17, v2, v17
	s_delay_alu instid0(VALU_DEP_1) | instskip(NEXT) | instid1(VALU_DEP_1)
	v_mul_f32_e32 v13, v5, v4
	v_fma_f32 v14, -v3, v13, v5
	s_delay_alu instid0(VALU_DEP_1) | instskip(NEXT) | instid1(VALU_DEP_1)
	v_fmac_f32_e32 v13, v14, v4
	v_fma_f32 v3, -v3, v13, v5
	s_delay_alu instid0(VALU_DEP_1) | instskip(NEXT) | instid1(VALU_DEP_1)
	v_div_fmas_f32 v3, v3, v4, v13
	v_div_fixup_f32 v3, v3, v2, v17
	s_delay_alu instid0(VALU_DEP_1)
	v_cndmask_b32_e64 v3, v3, 0x7fc00000, s64
	global_store_b32 v[0:1], v3, off offset:3072
	s_and_b32 exec_lo, exec_lo, s6
	s_cbranch_execz .LBB507_194
; %bb.187:
	v_div_scale_f32 v3, null, v2, v2, v12
	s_delay_alu instid0(VALU_DEP_1) | instskip(SKIP_2) | instid1(VALU_DEP_1)
	v_rcp_f32_e32 v4, v3
	s_waitcnt_depctr 0xfff
	v_fma_f32 v5, -v3, v4, 1.0
	v_fmac_f32_e32 v4, v5, v4
	v_div_scale_f32 v5, vcc_lo, v12, v2, v12
	s_delay_alu instid0(VALU_DEP_1) | instskip(NEXT) | instid1(VALU_DEP_1)
	v_mul_f32_e32 v13, v5, v4
	v_fma_f32 v14, -v3, v13, v5
	s_delay_alu instid0(VALU_DEP_1) | instskip(NEXT) | instid1(VALU_DEP_1)
	v_fmac_f32_e32 v13, v14, v4
	v_fma_f32 v3, -v3, v13, v5
	s_delay_alu instid0(VALU_DEP_1) | instskip(NEXT) | instid1(VALU_DEP_1)
	v_div_fmas_f32 v3, v3, v4, v13
	v_div_fixup_f32 v3, v3, v2, v12
	s_delay_alu instid0(VALU_DEP_1)
	v_cndmask_b32_e64 v3, v3, 0x7fc00000, s64
	global_store_b32 v[0:1], v3, off offset:3200
	s_and_b32 exec_lo, exec_lo, s5
	s_cbranch_execz .LBB507_194
; %bb.188:
	v_div_scale_f32 v3, null, v2, v2, v11
	s_delay_alu instid0(VALU_DEP_1) | instskip(SKIP_2) | instid1(VALU_DEP_1)
	v_rcp_f32_e32 v4, v3
	s_waitcnt_depctr 0xfff
	v_fma_f32 v5, -v3, v4, 1.0
	v_fmac_f32_e32 v4, v5, v4
	v_div_scale_f32 v5, vcc_lo, v11, v2, v11
	s_delay_alu instid0(VALU_DEP_1) | instskip(NEXT) | instid1(VALU_DEP_1)
	v_mul_f32_e32 v12, v5, v4
	v_fma_f32 v13, -v3, v12, v5
	s_delay_alu instid0(VALU_DEP_1) | instskip(NEXT) | instid1(VALU_DEP_1)
	v_fmac_f32_e32 v12, v13, v4
	v_fma_f32 v3, -v3, v12, v5
	s_delay_alu instid0(VALU_DEP_1) | instskip(NEXT) | instid1(VALU_DEP_1)
	v_div_fmas_f32 v3, v3, v4, v12
	v_div_fixup_f32 v3, v3, v2, v11
	s_delay_alu instid0(VALU_DEP_1)
	v_cndmask_b32_e64 v3, v3, 0x7fc00000, s64
	global_store_b32 v[0:1], v3, off offset:3328
	s_and_b32 exec_lo, exec_lo, s4
	s_cbranch_execz .LBB507_194
; %bb.189:
	v_div_scale_f32 v3, null, v2, v2, v10
	s_delay_alu instid0(VALU_DEP_1) | instskip(SKIP_2) | instid1(VALU_DEP_1)
	v_rcp_f32_e32 v4, v3
	s_waitcnt_depctr 0xfff
	v_fma_f32 v5, -v3, v4, 1.0
	v_fmac_f32_e32 v4, v5, v4
	v_div_scale_f32 v5, vcc_lo, v10, v2, v10
	s_delay_alu instid0(VALU_DEP_1) | instskip(NEXT) | instid1(VALU_DEP_1)
	v_mul_f32_e32 v11, v5, v4
	v_fma_f32 v12, -v3, v11, v5
	s_delay_alu instid0(VALU_DEP_1) | instskip(NEXT) | instid1(VALU_DEP_1)
	v_fmac_f32_e32 v11, v12, v4
	v_fma_f32 v3, -v3, v11, v5
	s_delay_alu instid0(VALU_DEP_1) | instskip(NEXT) | instid1(VALU_DEP_1)
	v_div_fmas_f32 v3, v3, v4, v11
	v_div_fixup_f32 v3, v3, v2, v10
	s_delay_alu instid0(VALU_DEP_1)
	v_cndmask_b32_e64 v3, v3, 0x7fc00000, s64
	global_store_b32 v[0:1], v3, off offset:3456
	s_and_b32 exec_lo, exec_lo, s3
	s_cbranch_execz .LBB507_194
; %bb.190:
	v_div_scale_f32 v3, null, v2, v2, v9
	s_delay_alu instid0(VALU_DEP_1) | instskip(SKIP_2) | instid1(VALU_DEP_1)
	v_rcp_f32_e32 v4, v3
	s_waitcnt_depctr 0xfff
	v_fma_f32 v5, -v3, v4, 1.0
	v_fmac_f32_e32 v4, v5, v4
	v_div_scale_f32 v5, vcc_lo, v9, v2, v9
	s_delay_alu instid0(VALU_DEP_1) | instskip(NEXT) | instid1(VALU_DEP_1)
	v_mul_f32_e32 v10, v5, v4
	v_fma_f32 v11, -v3, v10, v5
	s_delay_alu instid0(VALU_DEP_1) | instskip(NEXT) | instid1(VALU_DEP_1)
	v_fmac_f32_e32 v10, v11, v4
	v_fma_f32 v3, -v3, v10, v5
	s_delay_alu instid0(VALU_DEP_1) | instskip(NEXT) | instid1(VALU_DEP_1)
	v_div_fmas_f32 v3, v3, v4, v10
	v_div_fixup_f32 v3, v3, v2, v9
	s_delay_alu instid0(VALU_DEP_1)
	v_cndmask_b32_e64 v3, v3, 0x7fc00000, s64
	global_store_b32 v[0:1], v3, off offset:3584
	s_and_b32 exec_lo, exec_lo, s2
	s_cbranch_execz .LBB507_194
; %bb.191:
	v_div_scale_f32 v3, null, v2, v2, v7
	s_delay_alu instid0(VALU_DEP_1) | instskip(SKIP_2) | instid1(VALU_DEP_1)
	v_rcp_f32_e32 v4, v3
	s_waitcnt_depctr 0xfff
	v_fma_f32 v5, -v3, v4, 1.0
	v_fmac_f32_e32 v4, v5, v4
	v_div_scale_f32 v5, vcc_lo, v7, v2, v7
	s_delay_alu instid0(VALU_DEP_1) | instskip(NEXT) | instid1(VALU_DEP_1)
	v_mul_f32_e32 v9, v5, v4
	v_fma_f32 v10, -v3, v9, v5
	s_delay_alu instid0(VALU_DEP_1) | instskip(NEXT) | instid1(VALU_DEP_1)
	v_fmac_f32_e32 v9, v10, v4
	v_fma_f32 v3, -v3, v9, v5
	s_delay_alu instid0(VALU_DEP_1) | instskip(NEXT) | instid1(VALU_DEP_1)
	v_div_fmas_f32 v3, v3, v4, v9
	v_div_fixup_f32 v3, v3, v2, v7
	s_delay_alu instid0(VALU_DEP_1)
	v_cndmask_b32_e64 v3, v3, 0x7fc00000, s64
	global_store_b32 v[0:1], v3, off offset:3712
	s_and_b32 exec_lo, exec_lo, s1
	s_cbranch_execz .LBB507_194
; %bb.192:
	v_div_scale_f32 v3, null, v2, v2, v8
	s_delay_alu instid0(VALU_DEP_1) | instskip(SKIP_2) | instid1(VALU_DEP_1)
	v_rcp_f32_e32 v4, v3
	s_waitcnt_depctr 0xfff
	v_fma_f32 v5, -v3, v4, 1.0
	v_fmac_f32_e32 v4, v5, v4
	v_div_scale_f32 v5, vcc_lo, v8, v2, v8
	s_delay_alu instid0(VALU_DEP_1) | instskip(NEXT) | instid1(VALU_DEP_1)
	v_mul_f32_e32 v7, v5, v4
	v_fma_f32 v9, -v3, v7, v5
	s_delay_alu instid0(VALU_DEP_1) | instskip(NEXT) | instid1(VALU_DEP_1)
	v_fmac_f32_e32 v7, v9, v4
	v_fma_f32 v3, -v3, v7, v5
	s_delay_alu instid0(VALU_DEP_1) | instskip(NEXT) | instid1(VALU_DEP_1)
	v_div_fmas_f32 v3, v3, v4, v7
	v_div_fixup_f32 v3, v3, v2, v8
	s_delay_alu instid0(VALU_DEP_1)
	v_cndmask_b32_e64 v3, v3, 0x7fc00000, s64
	global_store_b32 v[0:1], v3, off offset:3840
	s_and_b32 exec_lo, exec_lo, s0
	s_cbranch_execz .LBB507_194
; %bb.193:
	v_div_scale_f32 v3, null, v2, v2, v6
	s_delay_alu instid0(VALU_DEP_1) | instskip(SKIP_2) | instid1(VALU_DEP_1)
	v_rcp_f32_e32 v4, v3
	s_waitcnt_depctr 0xfff
	v_fma_f32 v5, -v3, v4, 1.0
	v_fmac_f32_e32 v4, v5, v4
	v_div_scale_f32 v5, vcc_lo, v6, v2, v6
	s_delay_alu instid0(VALU_DEP_1) | instskip(NEXT) | instid1(VALU_DEP_1)
	v_mul_f32_e32 v7, v5, v4
	v_fma_f32 v8, -v3, v7, v5
	s_delay_alu instid0(VALU_DEP_1) | instskip(NEXT) | instid1(VALU_DEP_1)
	v_fmac_f32_e32 v7, v8, v4
	v_fma_f32 v3, -v3, v7, v5
	s_delay_alu instid0(VALU_DEP_1) | instskip(NEXT) | instid1(VALU_DEP_1)
	v_div_fmas_f32 v3, v3, v4, v7
	v_div_fixup_f32 v2, v3, v2, v6
	s_delay_alu instid0(VALU_DEP_1)
	v_cndmask_b32_e64 v2, v2, 0x7fc00000, s64
	global_store_b32 v[0:1], v2, off offset:3968
.LBB507_194:
	s_nop 0
	s_sendmsg sendmsg(MSG_DEALLOC_VGPRS)
	s_endpgm
	.section	.rodata,"a",@progbits
	.p2align	6, 0x0
	.amdhsa_kernel _ZN12_GLOBAL__N_120softmax_warp_forwardIN3c108BFloat16EffLi11ELb0ELb0ELi32EEEvPT0_PKT_iiiPKbib
		.amdhsa_group_segment_fixed_size 0
		.amdhsa_private_segment_fixed_size 0
		.amdhsa_kernarg_size 304
		.amdhsa_user_sgpr_count 15
		.amdhsa_user_sgpr_dispatch_ptr 0
		.amdhsa_user_sgpr_queue_ptr 0
		.amdhsa_user_sgpr_kernarg_segment_ptr 1
		.amdhsa_user_sgpr_dispatch_id 0
		.amdhsa_user_sgpr_private_segment_size 0
		.amdhsa_wavefront_size32 1
		.amdhsa_uses_dynamic_stack 0
		.amdhsa_enable_private_segment 0
		.amdhsa_system_sgpr_workgroup_id_x 1
		.amdhsa_system_sgpr_workgroup_id_y 0
		.amdhsa_system_sgpr_workgroup_id_z 0
		.amdhsa_system_sgpr_workgroup_info 0
		.amdhsa_system_vgpr_workitem_id 1
		.amdhsa_next_free_vgpr 77
		.amdhsa_next_free_sgpr 76
		.amdhsa_reserve_vcc 1
		.amdhsa_float_round_mode_32 0
		.amdhsa_float_round_mode_16_64 0
		.amdhsa_float_denorm_mode_32 3
		.amdhsa_float_denorm_mode_16_64 3
		.amdhsa_dx10_clamp 1
		.amdhsa_ieee_mode 1
		.amdhsa_fp16_overflow 0
		.amdhsa_workgroup_processor_mode 1
		.amdhsa_memory_ordered 1
		.amdhsa_forward_progress 0
		.amdhsa_shared_vgpr_count 0
		.amdhsa_exception_fp_ieee_invalid_op 0
		.amdhsa_exception_fp_denorm_src 0
		.amdhsa_exception_fp_ieee_div_zero 0
		.amdhsa_exception_fp_ieee_overflow 0
		.amdhsa_exception_fp_ieee_underflow 0
		.amdhsa_exception_fp_ieee_inexact 0
		.amdhsa_exception_int_div_zero 0
	.end_amdhsa_kernel
	.section	.text._ZN12_GLOBAL__N_120softmax_warp_forwardIN3c108BFloat16EffLi11ELb0ELb0ELi32EEEvPT0_PKT_iiiPKbib,"axG",@progbits,_ZN12_GLOBAL__N_120softmax_warp_forwardIN3c108BFloat16EffLi11ELb0ELb0ELi32EEEvPT0_PKT_iiiPKbib,comdat
.Lfunc_end507:
	.size	_ZN12_GLOBAL__N_120softmax_warp_forwardIN3c108BFloat16EffLi11ELb0ELb0ELi32EEEvPT0_PKT_iiiPKbib, .Lfunc_end507-_ZN12_GLOBAL__N_120softmax_warp_forwardIN3c108BFloat16EffLi11ELb0ELb0ELi32EEEvPT0_PKT_iiiPKbib
                                        ; -- End function
	.section	.AMDGPU.csdata,"",@progbits
; Kernel info:
; codeLenInByte = 21816
; NumSgprs: 78
; NumVgprs: 77
; ScratchSize: 0
; MemoryBound: 0
; FloatMode: 240
; IeeeMode: 1
; LDSByteSize: 0 bytes/workgroup (compile time only)
; SGPRBlocks: 9
; VGPRBlocks: 9
; NumSGPRsForWavesPerEU: 78
; NumVGPRsForWavesPerEU: 77
; Occupancy: 16
; WaveLimiterHint : 0
; COMPUTE_PGM_RSRC2:SCRATCH_EN: 0
; COMPUTE_PGM_RSRC2:USER_SGPR: 15
; COMPUTE_PGM_RSRC2:TRAP_HANDLER: 0
; COMPUTE_PGM_RSRC2:TGID_X_EN: 1
; COMPUTE_PGM_RSRC2:TGID_Y_EN: 0
; COMPUTE_PGM_RSRC2:TGID_Z_EN: 0
; COMPUTE_PGM_RSRC2:TIDIG_COMP_CNT: 1
	.section	.text._ZN2at6native12_GLOBAL__N_123cunn_SoftMaxForwardGmemILi8EN3c108BFloat16EffNS1_29SoftMaxForwardWithMulEpilogueElEEvPT2_PKT0_T4_,"axG",@progbits,_ZN2at6native12_GLOBAL__N_123cunn_SoftMaxForwardGmemILi8EN3c108BFloat16EffNS1_29SoftMaxForwardWithMulEpilogueElEEvPT2_PKT0_T4_,comdat
	.globl	_ZN2at6native12_GLOBAL__N_123cunn_SoftMaxForwardGmemILi8EN3c108BFloat16EffNS1_29SoftMaxForwardWithMulEpilogueElEEvPT2_PKT0_T4_ ; -- Begin function _ZN2at6native12_GLOBAL__N_123cunn_SoftMaxForwardGmemILi8EN3c108BFloat16EffNS1_29SoftMaxForwardWithMulEpilogueElEEvPT2_PKT0_T4_
	.p2align	8
	.type	_ZN2at6native12_GLOBAL__N_123cunn_SoftMaxForwardGmemILi8EN3c108BFloat16EffNS1_29SoftMaxForwardWithMulEpilogueElEEvPT2_PKT0_T4_,@function
_ZN2at6native12_GLOBAL__N_123cunn_SoftMaxForwardGmemILi8EN3c108BFloat16EffNS1_29SoftMaxForwardWithMulEpilogueElEEvPT2_PKT0_T4_: ; @_ZN2at6native12_GLOBAL__N_123cunn_SoftMaxForwardGmemILi8EN3c108BFloat16EffNS1_29SoftMaxForwardWithMulEpilogueElEEvPT2_PKT0_T4_
; %bb.0:
	s_clause 0x1
	s_load_b64 s[6:7], s[0:1], 0x10
	s_load_b128 s[8:11], s[0:1], 0x0
	v_dual_mov_b32 v1, 0 :: v_dual_lshlrev_b32 v2, 3, v0
	v_mov_b32_e32 v7, 0xff7fffff
	s_mov_b32 s4, 0
	s_delay_alu instid0(VALU_DEP_2) | instskip(SKIP_1) | instid1(VALU_DEP_1)
	v_dual_mov_b32 v3, v1 :: v_dual_lshlrev_b32 v6, 4, v0
	s_waitcnt lgkmcnt(0)
	v_cmp_gt_i64_e64 s2, s[6:7], v[2:3]
	s_mul_i32 s14, s7, s15
	s_mul_hi_u32 s16, s6, s15
	s_mul_i32 s12, s6, s15
	s_delay_alu instid0(VALU_DEP_1)
	s_and_saveexec_b32 s5, s2
	s_cbranch_execz .LBB508_4
; %bb.1:
	s_load_b32 s3, s[0:1], 0x24
	s_add_i32 s13, s16, s14
	v_mov_b32_e32 v5, v1
	s_lshl_b64 s[18:19], s[12:13], 1
	v_dual_mov_b32 v7, 0xff7fffff :: v_dual_mov_b32 v4, v0
	s_waitcnt lgkmcnt(0)
	s_and_b32 s13, s3, 0xffff
	s_add_u32 s3, s10, s18
	s_addc_u32 s15, s11, s19
	v_add_co_u32 v2, s3, s3, v6
	s_delay_alu instid0(VALU_DEP_1) | instskip(SKIP_1) | instid1(VALU_DEP_2)
	v_add_co_ci_u32_e64 v3, null, s15, 0, s3
	s_lshl_b32 s15, s13, 4
	v_add_co_u32 v2, vcc_lo, v2, 14
	s_delay_alu instid0(VALU_DEP_2)
	v_add_co_ci_u32_e32 v3, vcc_lo, 0, v3, vcc_lo
	s_set_inst_prefetch_distance 0x1
	.p2align	6
.LBB508_2:                              ; =>This Inner Loop Header: Depth=1
	global_load_b128 v[8:11], v[2:3], off offset:-14
	v_add_co_u32 v4, vcc_lo, v4, s13
	v_add_co_ci_u32_e32 v5, vcc_lo, 0, v5, vcc_lo
	v_add_co_u32 v2, s3, v2, s15
	s_delay_alu instid0(VALU_DEP_1)
	v_add_co_ci_u32_e64 v3, s3, 0, v3, s3
	s_waitcnt vmcnt(0)
	v_lshlrev_b32_e32 v12, 16, v8
	v_and_b32_e32 v8, 0xffff0000, v8
	v_lshlrev_b32_e32 v13, 16, v9
	v_and_b32_e32 v9, 0xffff0000, v9
	;; [unrolled: 2-line block ×3, first 2 shown]
	v_max3_f32 v12, v7, v12, v8
	v_lshlrev_b64 v[7:8], 3, v[4:5]
	s_delay_alu instid0(VALU_DEP_2) | instskip(NEXT) | instid1(VALU_DEP_2)
	v_max3_f32 v9, v12, v13, v9
	v_cmp_le_i64_e32 vcc_lo, s[6:7], v[7:8]
	v_lshlrev_b32_e32 v7, 16, v11
	v_and_b32_e32 v8, 0xffff0000, v11
	s_delay_alu instid0(VALU_DEP_4) | instskip(SKIP_1) | instid1(VALU_DEP_1)
	v_max3_f32 v9, v9, v14, v10
	s_or_b32 s4, vcc_lo, s4
	v_max3_f32 v7, v9, v7, v8
	s_and_not1_b32 exec_lo, exec_lo, s4
	s_cbranch_execnz .LBB508_2
; %bb.3:
	s_set_inst_prefetch_distance 0x2
	s_or_b32 exec_lo, exec_lo, s4
.LBB508_4:
	s_delay_alu instid0(SALU_CYCLE_1)
	s_or_b32 exec_lo, exec_lo, s5
	v_mbcnt_lo_u32_b32 v2, -1, 0
	v_lshrrev_b32_e32 v13, 3, v0
	s_barrier
	buffer_gl0_inv
	v_cmp_gt_u32_e32 vcc_lo, 16, v2
	v_cndmask_b32_e64 v3, 0, 1, vcc_lo
	v_cmp_gt_u32_e32 vcc_lo, 24, v2
	s_delay_alu instid0(VALU_DEP_2) | instskip(SKIP_1) | instid1(VALU_DEP_2)
	v_lshlrev_b32_e32 v3, 4, v3
	v_cndmask_b32_e64 v4, 0, 1, vcc_lo
	v_add_lshl_u32 v8, v3, v2, 2
	ds_bpermute_b32 v3, v8, v7
	s_waitcnt lgkmcnt(0)
	v_cmp_lt_f32_e32 vcc_lo, v7, v3
	v_dual_cndmask_b32 v3, v7, v3 :: v_dual_lshlrev_b32 v4, 3, v4
	s_delay_alu instid0(VALU_DEP_1) | instskip(SKIP_3) | instid1(VALU_DEP_1)
	v_add_lshl_u32 v9, v4, v2, 2
	v_cmp_gt_u32_e32 vcc_lo, 28, v2
	ds_bpermute_b32 v4, v9, v3
	v_cndmask_b32_e64 v5, 0, 1, vcc_lo
	v_lshlrev_b32_e32 v5, 2, v5
	s_delay_alu instid0(VALU_DEP_1)
	v_add_lshl_u32 v10, v5, v2, 2
	s_waitcnt lgkmcnt(0)
	v_cmp_lt_f32_e32 vcc_lo, v3, v4
	v_cndmask_b32_e32 v3, v3, v4, vcc_lo
	v_cmp_gt_u32_e32 vcc_lo, 30, v2
	ds_bpermute_b32 v4, v10, v3
	v_cndmask_b32_e64 v5, 0, 1, vcc_lo
	s_delay_alu instid0(VALU_DEP_1) | instskip(NEXT) | instid1(VALU_DEP_1)
	v_lshlrev_b32_e32 v5, 1, v5
	v_add_lshl_u32 v11, v5, v2, 2
	s_waitcnt lgkmcnt(0)
	v_cmp_lt_f32_e32 vcc_lo, v3, v4
	v_cndmask_b32_e32 v3, v3, v4, vcc_lo
	v_cmp_ne_u32_e32 vcc_lo, 31, v2
	ds_bpermute_b32 v4, v11, v3
	v_add_co_ci_u32_e32 v5, vcc_lo, 0, v2, vcc_lo
	s_delay_alu instid0(VALU_DEP_1)
	v_lshlrev_b32_e32 v12, 2, v5
	s_waitcnt lgkmcnt(0)
	v_cmp_lt_f32_e32 vcc_lo, v3, v4
	v_cndmask_b32_e32 v2, v3, v4, vcc_lo
	v_and_b32_e32 v3, 31, v0
	ds_bpermute_b32 v4, v12, v2
	v_cmp_eq_u32_e32 vcc_lo, 0, v3
	s_and_saveexec_b32 s4, vcc_lo
	s_cbranch_execz .LBB508_6
; %bb.5:
	s_waitcnt lgkmcnt(0)
	v_cmp_lt_f32_e64 s3, v2, v4
	v_add_nc_u32_e32 v5, 0, v13
	s_delay_alu instid0(VALU_DEP_2)
	v_cndmask_b32_e64 v2, v2, v4, s3
	ds_store_b32 v5, v2
.LBB508_6:
	s_or_b32 exec_lo, exec_lo, s4
	s_waitcnt lgkmcnt(0)
	s_barrier
	buffer_gl0_inv
	s_load_b32 s15, s[0:1], 0x24
	v_mov_b32_e32 v2, 0xff7fffff
	v_lshl_add_u32 v14, v3, 2, 0
	s_waitcnt lgkmcnt(0)
	s_bfe_u32 s0, s15, 0xb0005
	s_delay_alu instid0(SALU_CYCLE_1) | instskip(NEXT) | instid1(VALU_DEP_1)
	v_cmp_gt_u32_e64 s0, s0, v0
	s_and_saveexec_b32 s1, s0
	s_cbranch_execnz .LBB508_24
; %bb.7:
	s_or_b32 exec_lo, exec_lo, s1
	v_cmp_gt_u32_e64 s1, 32, v0
	s_delay_alu instid0(VALU_DEP_1)
	s_and_saveexec_b32 s4, s1
	s_cbranch_execnz .LBB508_25
.LBB508_8:
	s_or_b32 exec_lo, exec_lo, s4
	v_cmp_eq_u32_e64 s3, 0, v0
	s_delay_alu instid0(VALU_DEP_1)
	s_and_saveexec_b32 s4, s3
	s_cbranch_execz .LBB508_10
.LBB508_9:
	v_mov_b32_e32 v3, 0
	s_waitcnt lgkmcnt(0)
	ds_store_b32 v3, v2
.LBB508_10:
	s_or_b32 exec_lo, exec_lo, s4
	v_mov_b32_e32 v15, 0
	s_waitcnt lgkmcnt(0)
	s_barrier
	buffer_gl0_inv
	s_mov_b32 s18, 0
	ds_load_b32 v7, v15
	s_and_saveexec_b32 s17, s2
	s_cbranch_execz .LBB508_14
; %bb.11:
	s_add_i32 s13, s16, s14
	v_mov_b32_e32 v5, v1
	s_lshl_b64 s[4:5], s[12:13], 1
	s_and_b32 s13, s15, 0xffff
	s_add_u32 s4, s10, s4
	s_addc_u32 s5, s11, s5
	v_add_co_u32 v2, s4, s4, v6
	s_delay_alu instid0(VALU_DEP_1) | instskip(SKIP_1) | instid1(VALU_DEP_3)
	v_add_co_ci_u32_e64 v3, null, s5, 0, s4
	v_dual_mov_b32 v15, 0 :: v_dual_mov_b32 v4, v0
	v_add_co_u32 v2, s4, v2, 14
	s_delay_alu instid0(VALU_DEP_1)
	v_add_co_ci_u32_e64 v3, s4, 0, v3, s4
	s_lshl_b32 s19, s13, 4
.LBB508_12:                             ; =>This Inner Loop Header: Depth=1
	global_load_b128 v[16:19], v[2:3], off offset:-14
	v_add_co_u32 v4, s4, v4, s13
	s_delay_alu instid0(VALU_DEP_1) | instskip(SKIP_1) | instid1(VALU_DEP_1)
	v_add_co_ci_u32_e64 v5, s4, 0, v5, s4
	v_add_co_u32 v2, s5, v2, s19
	v_add_co_ci_u32_e64 v3, s5, 0, v3, s5
	s_waitcnt vmcnt(0)
	v_lshlrev_b32_e32 v21, 16, v17
	v_lshlrev_b32_e32 v20, 16, v16
	v_and_b32_e32 v17, 0xffff0000, v17
	v_and_b32_e32 v16, 0xffff0000, v16
	v_lshlrev_b32_e32 v23, 16, v19
	s_waitcnt lgkmcnt(0)
	v_sub_f32_e32 v21, v21, v7
	v_sub_f32_e32 v20, v20, v7
	;; [unrolled: 1-line block ×4, first 2 shown]
	s_delay_alu instid0(VALU_DEP_4) | instskip(NEXT) | instid1(VALU_DEP_3)
	v_dual_mul_f32 v21, 0x3fb8aa3b, v21 :: v_dual_lshlrev_b32 v22, 16, v18
	v_dual_mul_f32 v20, 0x3fb8aa3b, v20 :: v_dual_mul_f32 v17, 0x3fb8aa3b, v17
	s_delay_alu instid0(VALU_DEP_3) | instskip(NEXT) | instid1(VALU_DEP_3)
	v_mul_f32_e32 v16, 0x3fb8aa3b, v16
	v_exp_f32_e32 v21, v21
	s_delay_alu instid0(VALU_DEP_2) | instskip(SKIP_1) | instid1(VALU_DEP_2)
	v_exp_f32_e32 v20, v20
	v_and_b32_e32 v18, 0xffff0000, v18
	v_exp_f32_e32 v16, v16
	v_exp_f32_e32 v17, v17
	s_delay_alu instid0(TRANS32_DEP_3) | instskip(SKIP_4) | instid1(VALU_DEP_3)
	v_dual_add_f32 v15, v15, v20 :: v_dual_sub_f32 v22, v22, v7
	s_waitcnt_depctr 0xfff
	v_dual_add_f32 v15, v15, v16 :: v_dual_mul_f32 v20, 0x3fb8aa3b, v22
	v_sub_f32_e32 v18, v18, v7
	v_sub_f32_e32 v16, v23, v7
	v_add_f32_e32 v15, v15, v21
	s_delay_alu instid0(VALU_DEP_4) | instskip(NEXT) | instid1(VALU_DEP_1)
	v_exp_f32_e32 v20, v20
	v_dual_mul_f32 v18, 0x3fb8aa3b, v18 :: v_dual_add_f32 v15, v15, v17
	v_and_b32_e32 v19, 0xffff0000, v19
	s_delay_alu instid0(VALU_DEP_2) | instskip(SKIP_3) | instid1(VALU_DEP_1)
	v_exp_f32_e32 v18, v18
	s_waitcnt_depctr 0xfff
	v_add_f32_e32 v20, v15, v20
	v_dual_sub_f32 v19, v19, v7 :: v_dual_mul_f32 v16, 0x3fb8aa3b, v16
	v_mul_f32_e32 v17, 0x3fb8aa3b, v19
	s_delay_alu instid0(VALU_DEP_2) | instskip(SKIP_1) | instid1(VALU_DEP_2)
	v_exp_f32_e32 v19, v16
	v_lshlrev_b64 v[15:16], 3, v[4:5]
	v_exp_f32_e32 v17, v17
	v_add_f32_e32 v18, v20, v18
	s_delay_alu instid0(VALU_DEP_2) | instskip(SKIP_3) | instid1(VALU_DEP_1)
	v_cmp_le_i64_e64 s4, s[6:7], v[15:16]
	s_waitcnt_depctr 0xfff
	v_add_f32_e32 v15, v18, v19
	s_or_b32 s18, s4, s18
	v_add_f32_e32 v15, v15, v17
	s_and_not1_b32 exec_lo, exec_lo, s18
	s_cbranch_execnz .LBB508_12
; %bb.13:
	s_or_b32 exec_lo, exec_lo, s18
.LBB508_14:
	s_delay_alu instid0(SALU_CYCLE_1)
	s_or_b32 exec_lo, exec_lo, s17
	ds_bpermute_b32 v2, v8, v15
	s_waitcnt lgkmcnt(0)
	s_barrier
	buffer_gl0_inv
	v_add_f32_e32 v2, v15, v2
	ds_bpermute_b32 v3, v9, v2
	s_waitcnt lgkmcnt(0)
	v_add_f32_e32 v2, v2, v3
	ds_bpermute_b32 v3, v10, v2
	s_waitcnt lgkmcnt(0)
	;; [unrolled: 3-line block ×3, first 2 shown]
	v_add_f32_e32 v2, v2, v3
	ds_bpermute_b32 v3, v12, v2
	s_and_saveexec_b32 s4, vcc_lo
	s_cbranch_execz .LBB508_16
; %bb.15:
	v_add_nc_u32_e32 v4, 0, v13
	s_waitcnt lgkmcnt(0)
	v_add_f32_e32 v2, v2, v3
	ds_store_b32 v4, v2
.LBB508_16:
	s_or_b32 exec_lo, exec_lo, s4
	v_mov_b32_e32 v2, 0
	s_waitcnt lgkmcnt(0)
	s_barrier
	buffer_gl0_inv
	s_and_saveexec_b32 s4, s0
	s_cbranch_execnz .LBB508_26
; %bb.17:
	s_or_b32 exec_lo, exec_lo, s4
	s_and_saveexec_b32 s0, s1
	s_cbranch_execnz .LBB508_27
.LBB508_18:
	s_or_b32 exec_lo, exec_lo, s0
	s_and_saveexec_b32 s0, s3
	s_cbranch_execz .LBB508_20
.LBB508_19:
	s_waitcnt lgkmcnt(0)
	v_div_scale_f32 v3, null, v2, v2, 1.0
	v_div_scale_f32 v8, vcc_lo, 1.0, v2, 1.0
	s_delay_alu instid0(VALU_DEP_2) | instskip(SKIP_2) | instid1(VALU_DEP_1)
	v_rcp_f32_e32 v4, v3
	s_waitcnt_depctr 0xfff
	v_fma_f32 v5, -v3, v4, 1.0
	v_fmac_f32_e32 v4, v5, v4
	s_delay_alu instid0(VALU_DEP_1) | instskip(NEXT) | instid1(VALU_DEP_1)
	v_mul_f32_e32 v5, v8, v4
	v_fma_f32 v9, -v3, v5, v8
	s_delay_alu instid0(VALU_DEP_1) | instskip(NEXT) | instid1(VALU_DEP_1)
	v_fmac_f32_e32 v5, v9, v4
	v_fma_f32 v3, -v3, v5, v8
	s_delay_alu instid0(VALU_DEP_1) | instskip(NEXT) | instid1(VALU_DEP_1)
	v_div_fmas_f32 v3, v3, v4, v5
	v_div_fixup_f32 v2, v3, v2, 1.0
	v_mov_b32_e32 v3, 0
	ds_store_b32 v3, v2
.LBB508_20:
	s_or_b32 exec_lo, exec_lo, s0
	s_waitcnt lgkmcnt(0)
	s_barrier
	buffer_gl0_inv
	s_and_saveexec_b32 s0, s2
	s_cbranch_execz .LBB508_23
; %bb.21:
	v_mov_b32_e32 v2, 0
	s_add_i32 s13, s16, s14
	s_and_b32 s1, s15, 0xffff
	s_lshl_b64 s[2:3], s[12:13], 1
	v_lshlrev_b32_e32 v4, 5, v0
	ds_load_b32 v8, v2
	s_add_u32 s0, s10, s2
	s_addc_u32 s2, s11, s3
	v_add_co_u32 v2, s0, s0, v6
	s_lshl_b64 s[4:5], s[12:13], 2
	v_add_co_ci_u32_e64 v3, null, s2, 0, s0
	s_lshl_b32 s2, s1, 4
	s_add_u32 s0, s8, s4
	s_addc_u32 s3, s9, s5
	v_add_co_u32 v4, s0, s0, v4
	s_delay_alu instid0(VALU_DEP_1) | instskip(SKIP_2) | instid1(VALU_DEP_4)
	v_add_co_ci_u32_e64 v5, null, s3, 0, s0
	v_add_co_u32 v2, vcc_lo, v2, 14
	v_add_co_ci_u32_e32 v3, vcc_lo, 0, v3, vcc_lo
	v_add_co_u32 v4, vcc_lo, v4, 16
	s_delay_alu instid0(VALU_DEP_4)
	v_add_co_ci_u32_e32 v5, vcc_lo, 0, v5, vcc_lo
	s_mov_b32 s3, 0
	s_lshl_b32 s4, s1, 5
.LBB508_22:                             ; =>This Inner Loop Header: Depth=1
	global_load_b128 v[9:12], v[2:3], off offset:-14
	v_add_co_u32 v0, vcc_lo, v0, s1
	v_add_co_ci_u32_e32 v1, vcc_lo, 0, v1, vcc_lo
	v_add_co_u32 v2, vcc_lo, v2, s2
	v_add_co_ci_u32_e32 v3, vcc_lo, 0, v3, vcc_lo
	s_delay_alu instid0(VALU_DEP_3) | instskip(NEXT) | instid1(VALU_DEP_1)
	v_lshlrev_b64 v[13:14], 3, v[0:1]
	v_cmp_le_i64_e32 vcc_lo, s[6:7], v[13:14]
	s_or_b32 s3, vcc_lo, s3
	s_waitcnt vmcnt(0)
	v_lshlrev_b32_e32 v6, 16, v9
	v_and_b32_e32 v9, 0xffff0000, v9
	v_lshlrev_b32_e32 v13, 16, v10
	s_delay_alu instid0(VALU_DEP_2) | instskip(SKIP_1) | instid1(VALU_DEP_2)
	v_dual_sub_f32 v9, v9, v7 :: v_dual_and_b32 v10, 0xffff0000, v10
	v_lshlrev_b32_e32 v14, 16, v11
	v_sub_f32_e32 v10, v10, v7
	v_sub_f32_e32 v6, v6, v7
	;; [unrolled: 1-line block ×3, first 2 shown]
	v_mul_f32_e32 v9, 0x3fb8aa3b, v9
	v_dual_sub_f32 v14, v14, v7 :: v_dual_lshlrev_b32 v15, 16, v12
	v_mul_f32_e32 v10, 0x3fb8aa3b, v10
	v_mul_f32_e32 v6, 0x3fb8aa3b, v6
	s_delay_alu instid0(VALU_DEP_4)
	v_exp_f32_e32 v16, v9
	v_and_b32_e32 v11, 0xffff0000, v11
	v_sub_f32_e32 v15, v15, v7
	v_exp_f32_e32 v17, v10
	v_exp_f32_e32 v6, v6
	v_dual_mul_f32 v14, 0x3fb8aa3b, v14 :: v_dual_mul_f32 v13, 0x3fb8aa3b, v13
	s_waitcnt lgkmcnt(0)
	s_delay_alu instid0(TRANS32_DEP_3) | instskip(SKIP_1) | instid1(VALU_DEP_3)
	v_dual_mul_f32 v15, 0x3fb8aa3b, v15 :: v_dual_mul_f32 v10, v8, v16
	v_dual_sub_f32 v11, v11, v7 :: v_dual_and_b32 v12, 0xffff0000, v12
	v_exp_f32_e32 v14, v14
	s_delay_alu instid0(VALU_DEP_2) | instskip(SKIP_1) | instid1(VALU_DEP_1)
	v_exp_f32_e32 v15, v15
	v_exp_f32_e32 v13, v13
	v_sub_f32_e32 v12, v12, v7
	v_mul_f32_e32 v11, 0x3fb8aa3b, v11
	s_delay_alu instid0(VALU_DEP_2) | instskip(NEXT) | instid1(VALU_DEP_2)
	v_dual_mul_f32 v9, v8, v6 :: v_dual_mul_f32 v12, 0x3fb8aa3b, v12
	v_exp_f32_e32 v18, v11
	s_delay_alu instid0(TRANS32_DEP_3)
	v_mul_f32_e32 v15, v8, v15
	s_waitcnt_depctr 0xfff
	v_mul_f32_e32 v11, v8, v13
	v_exp_f32_e32 v19, v12
	v_mul_f32_e32 v12, v8, v17
	v_mul_f32_e32 v13, v8, v14
	;; [unrolled: 1-line block ×3, first 2 shown]
	s_waitcnt_depctr 0xfff
	v_mul_f32_e32 v16, v8, v19
	s_clause 0x1
	global_store_b128 v[4:5], v[9:12], off offset:-16
	global_store_b128 v[4:5], v[13:16], off
	v_add_co_u32 v4, s0, v4, s4
	s_delay_alu instid0(VALU_DEP_1)
	v_add_co_ci_u32_e64 v5, s0, 0, v5, s0
	s_and_not1_b32 exec_lo, exec_lo, s3
	s_cbranch_execnz .LBB508_22
.LBB508_23:
	s_nop 0
	s_sendmsg sendmsg(MSG_DEALLOC_VGPRS)
	s_endpgm
.LBB508_24:
	ds_load_b32 v2, v14
	s_or_b32 exec_lo, exec_lo, s1
	v_cmp_gt_u32_e64 s1, 32, v0
	s_delay_alu instid0(VALU_DEP_1)
	s_and_saveexec_b32 s4, s1
	s_cbranch_execz .LBB508_8
.LBB508_25:
	s_waitcnt lgkmcnt(0)
	ds_bpermute_b32 v3, v8, v2
	s_waitcnt lgkmcnt(0)
	v_cmp_lt_f32_e64 s3, v2, v3
	s_delay_alu instid0(VALU_DEP_1) | instskip(SKIP_3) | instid1(VALU_DEP_1)
	v_cndmask_b32_e64 v2, v2, v3, s3
	ds_bpermute_b32 v3, v9, v2
	s_waitcnt lgkmcnt(0)
	v_cmp_lt_f32_e64 s3, v2, v3
	v_cndmask_b32_e64 v2, v2, v3, s3
	ds_bpermute_b32 v3, v10, v2
	s_waitcnt lgkmcnt(0)
	v_cmp_lt_f32_e64 s3, v2, v3
	s_delay_alu instid0(VALU_DEP_1) | instskip(SKIP_3) | instid1(VALU_DEP_1)
	v_cndmask_b32_e64 v2, v2, v3, s3
	ds_bpermute_b32 v3, v11, v2
	s_waitcnt lgkmcnt(0)
	v_cmp_lt_f32_e64 s3, v2, v3
	v_cndmask_b32_e64 v2, v2, v3, s3
	ds_bpermute_b32 v3, v12, v2
	s_waitcnt lgkmcnt(0)
	v_cmp_lt_f32_e64 s3, v2, v3
	s_delay_alu instid0(VALU_DEP_1) | instskip(SKIP_2) | instid1(VALU_DEP_1)
	v_cndmask_b32_e64 v2, v2, v3, s3
	s_or_b32 exec_lo, exec_lo, s4
	v_cmp_eq_u32_e64 s3, 0, v0
	s_and_saveexec_b32 s4, s3
	s_cbranch_execnz .LBB508_9
	s_branch .LBB508_10
.LBB508_26:
	ds_load_b32 v2, v14
	s_or_b32 exec_lo, exec_lo, s4
	s_and_saveexec_b32 s0, s1
	s_cbranch_execz .LBB508_18
.LBB508_27:
	s_waitcnt lgkmcnt(0)
	ds_bpermute_b32 v3, v8, v2
	s_waitcnt lgkmcnt(0)
	v_add_f32_e32 v2, v2, v3
	ds_bpermute_b32 v3, v9, v2
	s_waitcnt lgkmcnt(0)
	v_add_f32_e32 v2, v2, v3
	;; [unrolled: 3-line block ×5, first 2 shown]
	s_or_b32 exec_lo, exec_lo, s0
	s_and_saveexec_b32 s0, s3
	s_cbranch_execnz .LBB508_19
	s_branch .LBB508_20
	.section	.rodata,"a",@progbits
	.p2align	6, 0x0
	.amdhsa_kernel _ZN2at6native12_GLOBAL__N_123cunn_SoftMaxForwardGmemILi8EN3c108BFloat16EffNS1_29SoftMaxForwardWithMulEpilogueElEEvPT2_PKT0_T4_
		.amdhsa_group_segment_fixed_size 0
		.amdhsa_private_segment_fixed_size 0
		.amdhsa_kernarg_size 280
		.amdhsa_user_sgpr_count 15
		.amdhsa_user_sgpr_dispatch_ptr 0
		.amdhsa_user_sgpr_queue_ptr 0
		.amdhsa_user_sgpr_kernarg_segment_ptr 1
		.amdhsa_user_sgpr_dispatch_id 0
		.amdhsa_user_sgpr_private_segment_size 0
		.amdhsa_wavefront_size32 1
		.amdhsa_uses_dynamic_stack 0
		.amdhsa_enable_private_segment 0
		.amdhsa_system_sgpr_workgroup_id_x 1
		.amdhsa_system_sgpr_workgroup_id_y 0
		.amdhsa_system_sgpr_workgroup_id_z 0
		.amdhsa_system_sgpr_workgroup_info 0
		.amdhsa_system_vgpr_workitem_id 0
		.amdhsa_next_free_vgpr 24
		.amdhsa_next_free_sgpr 20
		.amdhsa_reserve_vcc 1
		.amdhsa_float_round_mode_32 0
		.amdhsa_float_round_mode_16_64 0
		.amdhsa_float_denorm_mode_32 3
		.amdhsa_float_denorm_mode_16_64 3
		.amdhsa_dx10_clamp 1
		.amdhsa_ieee_mode 1
		.amdhsa_fp16_overflow 0
		.amdhsa_workgroup_processor_mode 1
		.amdhsa_memory_ordered 1
		.amdhsa_forward_progress 0
		.amdhsa_shared_vgpr_count 0
		.amdhsa_exception_fp_ieee_invalid_op 0
		.amdhsa_exception_fp_denorm_src 0
		.amdhsa_exception_fp_ieee_div_zero 0
		.amdhsa_exception_fp_ieee_overflow 0
		.amdhsa_exception_fp_ieee_underflow 0
		.amdhsa_exception_fp_ieee_inexact 0
		.amdhsa_exception_int_div_zero 0
	.end_amdhsa_kernel
	.section	.text._ZN2at6native12_GLOBAL__N_123cunn_SoftMaxForwardGmemILi8EN3c108BFloat16EffNS1_29SoftMaxForwardWithMulEpilogueElEEvPT2_PKT0_T4_,"axG",@progbits,_ZN2at6native12_GLOBAL__N_123cunn_SoftMaxForwardGmemILi8EN3c108BFloat16EffNS1_29SoftMaxForwardWithMulEpilogueElEEvPT2_PKT0_T4_,comdat
.Lfunc_end508:
	.size	_ZN2at6native12_GLOBAL__N_123cunn_SoftMaxForwardGmemILi8EN3c108BFloat16EffNS1_29SoftMaxForwardWithMulEpilogueElEEvPT2_PKT0_T4_, .Lfunc_end508-_ZN2at6native12_GLOBAL__N_123cunn_SoftMaxForwardGmemILi8EN3c108BFloat16EffNS1_29SoftMaxForwardWithMulEpilogueElEEvPT2_PKT0_T4_
                                        ; -- End function
	.section	.AMDGPU.csdata,"",@progbits
; Kernel info:
; codeLenInByte = 2372
; NumSgprs: 22
; NumVgprs: 24
; ScratchSize: 0
; MemoryBound: 0
; FloatMode: 240
; IeeeMode: 1
; LDSByteSize: 0 bytes/workgroup (compile time only)
; SGPRBlocks: 2
; VGPRBlocks: 2
; NumSGPRsForWavesPerEU: 22
; NumVGPRsForWavesPerEU: 24
; Occupancy: 16
; WaveLimiterHint : 0
; COMPUTE_PGM_RSRC2:SCRATCH_EN: 0
; COMPUTE_PGM_RSRC2:USER_SGPR: 15
; COMPUTE_PGM_RSRC2:TRAP_HANDLER: 0
; COMPUTE_PGM_RSRC2:TGID_X_EN: 1
; COMPUTE_PGM_RSRC2:TGID_Y_EN: 0
; COMPUTE_PGM_RSRC2:TGID_Z_EN: 0
; COMPUTE_PGM_RSRC2:TIDIG_COMP_CNT: 0
	.section	.text._ZN2at6native12_GLOBAL__N_123cunn_SoftMaxForwardFastILi8EN3c108BFloat16EffNS1_29SoftMaxForwardWithMulEpilogueEEEvPT2_PKT0_i,"axG",@progbits,_ZN2at6native12_GLOBAL__N_123cunn_SoftMaxForwardFastILi8EN3c108BFloat16EffNS1_29SoftMaxForwardWithMulEpilogueEEEvPT2_PKT0_i,comdat
	.globl	_ZN2at6native12_GLOBAL__N_123cunn_SoftMaxForwardFastILi8EN3c108BFloat16EffNS1_29SoftMaxForwardWithMulEpilogueEEEvPT2_PKT0_i ; -- Begin function _ZN2at6native12_GLOBAL__N_123cunn_SoftMaxForwardFastILi8EN3c108BFloat16EffNS1_29SoftMaxForwardWithMulEpilogueEEEvPT2_PKT0_i
	.p2align	8
	.type	_ZN2at6native12_GLOBAL__N_123cunn_SoftMaxForwardFastILi8EN3c108BFloat16EffNS1_29SoftMaxForwardWithMulEpilogueEEEvPT2_PKT0_i,@function
_ZN2at6native12_GLOBAL__N_123cunn_SoftMaxForwardFastILi8EN3c108BFloat16EffNS1_29SoftMaxForwardWithMulEpilogueEEEvPT2_PKT0_i: ; @_ZN2at6native12_GLOBAL__N_123cunn_SoftMaxForwardFastILi8EN3c108BFloat16EffNS1_29SoftMaxForwardWithMulEpilogueEEEvPT2_PKT0_i
; %bb.0:
	s_clause 0x1
	s_load_b32 s14, s[0:1], 0x10
	s_load_b128 s[8:11], s[0:1], 0x0
	s_mov_b32 s5, 0
	s_waitcnt lgkmcnt(0)
	s_ashr_i32 s2, s14, 31
	s_mul_hi_u32 s3, s14, s15
	s_mul_i32 s2, s2, s15
	s_mul_i32 s12, s14, s15
	s_add_i32 s13, s3, s2
	s_delay_alu instid0(SALU_CYCLE_1) | instskip(NEXT) | instid1(SALU_CYCLE_1)
	s_lshl_b64 s[2:3], s[12:13], 1
	s_add_u32 s6, s10, s2
	s_addc_u32 s7, s11, s3
	s_bfe_u32 s4, s6, 0x30001
	s_delay_alu instid0(SALU_CYCLE_1) | instskip(SKIP_2) | instid1(SALU_CYCLE_1)
	s_cmp_lg_u32 s4, 0
	v_cmp_le_u32_e64 s2, s4, v0
	s_cselect_b32 s19, -1, 0
	s_and_b32 vcc_lo, exec_lo, s19
	s_cbranch_vccz .LBB509_25
; %bb.1:
	s_lshl_b64 s[10:11], s[4:5], 1
	v_mov_b32_e32 v5, 0xff7fffff
	s_sub_u32 s16, s6, s10
	s_subb_u32 s17, s7, s11
	s_add_i32 s3, s4, s14
	s_delay_alu instid0(SALU_CYCLE_1) | instskip(SKIP_1) | instid1(SALU_CYCLE_1)
	v_cmp_gt_i32_e32 vcc_lo, s3, v0
	s_and_b32 s5, s2, vcc_lo
	s_and_saveexec_b32 s2, s5
	s_cbranch_execz .LBB509_3
; %bb.2:
	v_lshlrev_b32_e32 v1, 1, v0
	global_load_u16 v1, v1, s[16:17]
	s_waitcnt vmcnt(0)
	v_lshlrev_b32_e32 v1, 16, v1
	s_delay_alu instid0(VALU_DEP_1) | instskip(NEXT) | instid1(VALU_DEP_1)
	v_max_f32_e32 v1, v1, v1
	v_max_f32_e32 v5, 0xff7fffff, v1
.LBB509_3:
	s_or_b32 exec_lo, exec_lo, s2
	s_load_b32 s2, s[0:1], 0x24
	s_add_u32 s10, s0, 24
	s_addc_u32 s11, s1, 0
	s_waitcnt lgkmcnt(0)
	s_and_b32 s2, s2, 0xffff
	s_delay_alu instid0(SALU_CYCLE_1) | instskip(SKIP_1) | instid1(SALU_CYCLE_1)
	v_sub_nc_u32_e64 v1, s3, s2 clamp
	s_lshl_b32 s2, s2, 1
	s_add_u32 s2, s16, s2
	s_addc_u32 s3, s17, 0
	s_delay_alu instid0(VALU_DEP_1)
	v_readfirstlane_b32 s5, v1
	s_branch .LBB509_5
.LBB509_4:
	v_mov_b32_e32 v5, 0xff7fffff
	s_add_u32 s10, s0, 24
	s_addc_u32 s11, s1, 0
	s_mov_b32 s5, s14
	s_mov_b64 s[2:3], s[6:7]
.LBB509_5:
	s_load_b32 s16, s[10:11], 0x0
	v_mov_b32_e32 v1, 0
	v_lshlrev_b32_e32 v11, 3, v0
	s_waitcnt lgkmcnt(0)
	s_cmp_lt_u32 s15, s16
	s_cselect_b32 s16, 12, 18
	s_delay_alu instid0(SALU_CYCLE_1) | instskip(SKIP_4) | instid1(VALU_DEP_1)
	s_add_u32 s10, s10, s16
	s_addc_u32 s11, s11, 0
	global_load_u16 v3, v1, s[10:11]
	s_waitcnt vmcnt(0)
	v_readfirstlane_b32 s10, v3
	s_lshl_b32 s10, s10, 3
	s_delay_alu instid0(SALU_CYCLE_1) | instskip(SKIP_1) | instid1(VALU_DEP_1)
	v_cvt_f32_u32_e32 v1, s10
	s_sub_i32 s16, 0, s10
	v_rcp_iflag_f32_e32 v1, v1
	s_waitcnt_depctr 0xfff
	v_mul_f32_e32 v1, 0x4f7ffffe, v1
	s_delay_alu instid0(VALU_DEP_1) | instskip(NEXT) | instid1(VALU_DEP_1)
	v_cvt_u32_f32_e32 v1, v1
	v_readfirstlane_b32 s11, v1
	s_delay_alu instid0(VALU_DEP_1) | instskip(NEXT) | instid1(SALU_CYCLE_1)
	s_mul_i32 s16, s16, s11
	s_mul_hi_u32 s16, s11, s16
	s_delay_alu instid0(SALU_CYCLE_1) | instskip(NEXT) | instid1(SALU_CYCLE_1)
	s_add_i32 s11, s11, s16
	s_mul_hi_u32 s11, s5, s11
	s_delay_alu instid0(SALU_CYCLE_1) | instskip(NEXT) | instid1(SALU_CYCLE_1)
	s_mul_i32 s11, s11, s10
	s_sub_i32 s11, s5, s11
	s_delay_alu instid0(SALU_CYCLE_1) | instskip(SKIP_2) | instid1(SALU_CYCLE_1)
	s_sub_i32 s16, s11, s10
	s_cmp_ge_u32 s11, s10
	s_cselect_b32 s11, s16, s11
	s_sub_i32 s16, s11, s10
	s_cmp_ge_u32 s11, s10
	s_cselect_b32 s10, s16, s11
	s_mov_b32 s16, 0
	s_sub_i32 s10, s5, s10
	s_mov_b32 s11, exec_lo
	v_cmpx_gt_i32_e64 s10, v11
	s_cbranch_execz .LBB509_9
; %bb.6:
	v_mov_b32_e32 v1, v0
	s_set_inst_prefetch_distance 0x1
	.p2align	6
.LBB509_7:                              ; =>This Inner Loop Header: Depth=1
	s_delay_alu instid0(VALU_DEP_1) | instskip(NEXT) | instid1(VALU_DEP_1)
	v_ashrrev_i32_e32 v2, 31, v1
	v_lshlrev_b64 v[6:7], 4, v[1:2]
	v_add_nc_u32_e32 v1, v1, v3
	s_delay_alu instid0(VALU_DEP_2) | instskip(NEXT) | instid1(VALU_DEP_3)
	v_add_co_u32 v6, vcc_lo, s2, v6
	v_add_co_ci_u32_e32 v7, vcc_lo, s3, v7, vcc_lo
	global_load_b128 v[6:9], v[6:7], off
	s_waitcnt vmcnt(0)
	v_lshlrev_b32_e32 v2, 16, v6
	v_and_b32_e32 v4, 0xffff0000, v6
	v_lshlrev_b32_e32 v6, 16, v7
	v_and_b32_e32 v7, 0xffff0000, v7
	s_delay_alu instid0(VALU_DEP_3) | instskip(SKIP_3) | instid1(VALU_DEP_4)
	v_max3_f32 v2, v5, v2, v4
	v_lshlrev_b32_e32 v4, 16, v8
	v_and_b32_e32 v5, 0xffff0000, v8
	v_and_b32_e32 v8, 0xffff0000, v9
	v_max3_f32 v2, v2, v6, v7
	v_lshlrev_b32_e32 v6, 3, v1
	v_lshlrev_b32_e32 v7, 16, v9
	s_delay_alu instid0(VALU_DEP_3) | instskip(NEXT) | instid1(VALU_DEP_3)
	v_max3_f32 v2, v2, v4, v5
	v_cmp_le_i32_e32 vcc_lo, s10, v6
	s_delay_alu instid0(VALU_DEP_2) | instskip(SKIP_1) | instid1(SALU_CYCLE_1)
	v_max3_f32 v5, v2, v7, v8
	s_or_b32 s16, vcc_lo, s16
	s_and_not1_b32 exec_lo, exec_lo, s16
	s_cbranch_execnz .LBB509_7
; %bb.8:
	s_set_inst_prefetch_distance 0x2
	s_or_b32 exec_lo, exec_lo, s16
.LBB509_9:
	s_delay_alu instid0(SALU_CYCLE_1) | instskip(SKIP_2) | instid1(VALU_DEP_1)
	s_or_b32 exec_lo, exec_lo, s11
	v_add_nc_u32_e32 v1, s10, v0
	s_mov_b32 s10, exec_lo
	v_cmpx_gt_i32_e64 s5, v1
	s_cbranch_execz .LBB509_13
; %bb.10:
	s_mov_b32 s11, 0
	.p2align	6
.LBB509_11:                             ; =>This Inner Loop Header: Depth=1
	v_ashrrev_i32_e32 v2, 31, v1
	v_max_f32_e32 v4, v5, v5
	s_delay_alu instid0(VALU_DEP_2) | instskip(NEXT) | instid1(VALU_DEP_1)
	v_lshlrev_b64 v[6:7], 1, v[1:2]
	v_add_co_u32 v6, vcc_lo, s2, v6
	s_delay_alu instid0(VALU_DEP_2) | instskip(SKIP_3) | instid1(VALU_DEP_1)
	v_add_co_ci_u32_e32 v7, vcc_lo, s3, v7, vcc_lo
	global_load_u16 v2, v[6:7], off
	s_waitcnt vmcnt(0)
	v_lshlrev_b32_e32 v2, 16, v2
	v_dual_max_f32 v2, v2, v2 :: v_dual_add_nc_u32 v1, v1, v3
	s_delay_alu instid0(VALU_DEP_1) | instskip(NEXT) | instid1(VALU_DEP_2)
	v_cmp_le_i32_e32 vcc_lo, s5, v1
	v_max_f32_e32 v5, v4, v2
	s_or_b32 s11, vcc_lo, s11
	s_delay_alu instid0(SALU_CYCLE_1)
	s_and_not1_b32 exec_lo, exec_lo, s11
	s_cbranch_execnz .LBB509_11
; %bb.12:
	s_or_b32 exec_lo, exec_lo, s11
.LBB509_13:
	s_delay_alu instid0(SALU_CYCLE_1)
	s_or_b32 exec_lo, exec_lo, s10
	v_mbcnt_lo_u32_b32 v1, -1, 0
	v_lshrrev_b32_e32 v9, 3, v0
	s_barrier
	buffer_gl0_inv
	v_cmp_gt_u32_e32 vcc_lo, 16, v1
	v_cndmask_b32_e64 v2, 0, 1, vcc_lo
	v_cmp_gt_u32_e32 vcc_lo, 24, v1
	s_delay_alu instid0(VALU_DEP_2) | instskip(SKIP_1) | instid1(VALU_DEP_2)
	v_lshlrev_b32_e32 v2, 4, v2
	v_cndmask_b32_e64 v4, 0, 1, vcc_lo
	v_add_lshl_u32 v3, v2, v1, 2
	s_delay_alu instid0(VALU_DEP_2)
	v_lshlrev_b32_e32 v4, 3, v4
	ds_bpermute_b32 v2, v3, v5
	v_add_lshl_u32 v4, v4, v1, 2
	s_waitcnt lgkmcnt(0)
	v_cmp_lt_f32_e32 vcc_lo, v5, v2
	v_cndmask_b32_e32 v2, v5, v2, vcc_lo
	v_cmp_gt_u32_e32 vcc_lo, 28, v1
	v_cndmask_b32_e64 v5, 0, 1, vcc_lo
	s_delay_alu instid0(VALU_DEP_1)
	v_lshlrev_b32_e32 v5, 2, v5
	ds_bpermute_b32 v6, v4, v2
	v_add_lshl_u32 v5, v5, v1, 2
	s_waitcnt lgkmcnt(0)
	v_cmp_lt_f32_e32 vcc_lo, v2, v6
	v_cndmask_b32_e32 v2, v2, v6, vcc_lo
	v_cmp_gt_u32_e32 vcc_lo, 30, v1
	ds_bpermute_b32 v7, v5, v2
	v_cndmask_b32_e64 v6, 0, 1, vcc_lo
	s_delay_alu instid0(VALU_DEP_1) | instskip(NEXT) | instid1(VALU_DEP_1)
	v_lshlrev_b32_e32 v6, 1, v6
	v_add_lshl_u32 v6, v6, v1, 2
	s_waitcnt lgkmcnt(0)
	v_cmp_lt_f32_e32 vcc_lo, v2, v7
	v_cndmask_b32_e32 v2, v2, v7, vcc_lo
	v_cmp_ne_u32_e32 vcc_lo, 31, v1
	ds_bpermute_b32 v7, v6, v2
	v_add_co_ci_u32_e32 v8, vcc_lo, 0, v1, vcc_lo
	s_waitcnt lgkmcnt(0)
	v_cmp_lt_f32_e32 vcc_lo, v2, v7
	v_cndmask_b32_e32 v1, v2, v7, vcc_lo
	s_delay_alu instid0(VALU_DEP_3) | instskip(SKIP_3) | instid1(VALU_DEP_1)
	v_lshlrev_b32_e32 v7, 2, v8
	v_and_b32_e32 v2, 31, v0
	ds_bpermute_b32 v8, v7, v1
	v_cmp_eq_u32_e64 s2, 0, v2
	s_and_saveexec_b32 s3, s2
	s_cbranch_execz .LBB509_15
; %bb.14:
	s_waitcnt lgkmcnt(0)
	v_cmp_lt_f32_e32 vcc_lo, v1, v8
	v_dual_cndmask_b32 v1, v1, v8 :: v_dual_add_nc_u32 v10, 0, v9
	ds_store_b32 v10, v1
.LBB509_15:
	s_or_b32 exec_lo, exec_lo, s3
	s_waitcnt lgkmcnt(0)
	s_barrier
	buffer_gl0_inv
	s_load_b32 s5, s[0:1], 0x24
	s_add_u32 s10, s0, 24
	s_addc_u32 s11, s1, 0
	v_mov_b32_e32 v1, 0xff7fffff
	v_lshl_add_u32 v10, v2, 2, 0
	s_waitcnt lgkmcnt(0)
	s_bfe_u32 s0, s5, 0xb0005
	s_delay_alu instid0(SALU_CYCLE_1) | instskip(NEXT) | instid1(VALU_DEP_1)
	v_cmp_gt_u32_e64 s0, s0, v0
	s_and_saveexec_b32 s1, s0
	s_cbranch_execnz .LBB509_23
; %bb.16:
	s_or_b32 exec_lo, exec_lo, s1
	v_cmp_gt_u32_e64 s1, 32, v0
	s_delay_alu instid0(VALU_DEP_1)
	s_and_saveexec_b32 s3, s1
	s_cbranch_execnz .LBB509_24
.LBB509_17:
	s_or_b32 exec_lo, exec_lo, s3
	v_cmp_eq_u32_e64 s3, 0, v0
	s_delay_alu instid0(VALU_DEP_1)
	s_and_saveexec_b32 s16, s3
	s_cbranch_execz .LBB509_19
.LBB509_18:
	v_mov_b32_e32 v2, 0
	s_waitcnt lgkmcnt(0)
	ds_store_b32 v2, v1
.LBB509_19:
	s_or_b32 exec_lo, exec_lo, s16
	v_mov_b32_e32 v12, 0
	s_waitcnt lgkmcnt(0)
	s_barrier
	buffer_gl0_inv
	s_and_b32 s18, s5, 0xffff
	ds_load_b32 v8, v12
	s_and_not1_b32 vcc_lo, exec_lo, s19
	s_mov_b32 s5, 0
	s_cbranch_vccnz .LBB509_26
; %bb.20:
	s_lshl_b64 s[16:17], s[4:5], 1
	v_cmp_le_u32_e32 vcc_lo, s4, v0
	s_sub_u32 s16, s6, s16
	s_subb_u32 s17, s7, s17
	s_add_i32 s5, s4, s14
	v_mov_b32_e32 v12, 0
	v_cmp_gt_i32_e64 s4, s5, v0
	s_delay_alu instid0(VALU_DEP_1) | instskip(NEXT) | instid1(SALU_CYCLE_1)
	s_and_b32 s19, vcc_lo, s4
	s_and_saveexec_b32 s4, s19
	s_cbranch_execz .LBB509_22
; %bb.21:
	v_lshlrev_b32_e32 v1, 1, v0
	global_load_u16 v1, v1, s[16:17]
	s_waitcnt vmcnt(0)
	v_lshlrev_b32_e32 v1, 16, v1
	s_waitcnt lgkmcnt(0)
	s_delay_alu instid0(VALU_DEP_1) | instskip(NEXT) | instid1(VALU_DEP_1)
	v_sub_f32_e32 v1, v1, v8
	v_mul_f32_e32 v1, 0x3fb8aa3b, v1
	s_delay_alu instid0(VALU_DEP_1)
	v_exp_f32_e32 v1, v1
	s_waitcnt_depctr 0xfff
	v_add_f32_e32 v12, 0, v1
.LBB509_22:
	s_or_b32 exec_lo, exec_lo, s4
	v_sub_nc_u32_e64 v1, s5, s18 clamp
	s_lshl_b32 s4, s18, 1
	s_delay_alu instid0(SALU_CYCLE_1) | instskip(SKIP_1) | instid1(VALU_DEP_1)
	s_add_u32 s4, s16, s4
	s_addc_u32 s5, s17, 0
	v_readfirstlane_b32 s19, v1
	s_branch .LBB509_27
.LBB509_23:
	ds_load_b32 v1, v10
	s_or_b32 exec_lo, exec_lo, s1
	v_cmp_gt_u32_e64 s1, 32, v0
	s_delay_alu instid0(VALU_DEP_1)
	s_and_saveexec_b32 s3, s1
	s_cbranch_execz .LBB509_17
.LBB509_24:
	s_waitcnt lgkmcnt(0)
	ds_bpermute_b32 v2, v3, v1
	s_waitcnt lgkmcnt(0)
	v_cmp_lt_f32_e32 vcc_lo, v1, v2
	v_cndmask_b32_e32 v1, v1, v2, vcc_lo
	ds_bpermute_b32 v2, v4, v1
	s_waitcnt lgkmcnt(0)
	v_cmp_lt_f32_e32 vcc_lo, v1, v2
	v_cndmask_b32_e32 v1, v1, v2, vcc_lo
	;; [unrolled: 4-line block ×5, first 2 shown]
	s_or_b32 exec_lo, exec_lo, s3
	v_cmp_eq_u32_e64 s3, 0, v0
	s_delay_alu instid0(VALU_DEP_1)
	s_and_saveexec_b32 s16, s3
	s_cbranch_execnz .LBB509_18
	s_branch .LBB509_19
.LBB509_25:
                                        ; implicit-def: $sgpr2_sgpr3
                                        ; implicit-def: $sgpr5
                                        ; implicit-def: $vgpr5
                                        ; implicit-def: $sgpr10_sgpr11
	s_cbranch_execnz .LBB509_4
	s_branch .LBB509_5
.LBB509_26:
	s_mov_b64 s[4:5], s[6:7]
	s_mov_b32 s19, s14
.LBB509_27:
	s_load_b32 s16, s[10:11], 0x0
	v_mov_b32_e32 v1, 0
	s_waitcnt lgkmcnt(0)
	s_cmp_lt_u32 s15, s16
	s_cselect_b32 s15, 12, 18
	s_delay_alu instid0(SALU_CYCLE_1) | instskip(SKIP_4) | instid1(VALU_DEP_1)
	s_add_u32 s10, s10, s15
	s_addc_u32 s11, s11, 0
	global_load_u16 v13, v1, s[10:11]
	s_waitcnt vmcnt(0)
	v_readfirstlane_b32 s10, v13
	s_lshl_b32 s10, s10, 3
	s_delay_alu instid0(SALU_CYCLE_1) | instskip(SKIP_1) | instid1(VALU_DEP_1)
	v_cvt_f32_u32_e32 v1, s10
	s_sub_i32 s15, 0, s10
	v_rcp_iflag_f32_e32 v1, v1
	s_waitcnt_depctr 0xfff
	v_mul_f32_e32 v1, 0x4f7ffffe, v1
	s_delay_alu instid0(VALU_DEP_1) | instskip(NEXT) | instid1(VALU_DEP_1)
	v_cvt_u32_f32_e32 v1, v1
	v_readfirstlane_b32 s11, v1
	s_delay_alu instid0(VALU_DEP_1) | instskip(NEXT) | instid1(SALU_CYCLE_1)
	s_mul_i32 s15, s15, s11
	s_mul_hi_u32 s15, s11, s15
	s_delay_alu instid0(SALU_CYCLE_1) | instskip(NEXT) | instid1(SALU_CYCLE_1)
	s_add_i32 s11, s11, s15
	s_mul_hi_u32 s11, s19, s11
	s_delay_alu instid0(SALU_CYCLE_1) | instskip(NEXT) | instid1(SALU_CYCLE_1)
	s_mul_i32 s11, s11, s10
	s_sub_i32 s11, s19, s11
	s_delay_alu instid0(SALU_CYCLE_1) | instskip(SKIP_2) | instid1(SALU_CYCLE_1)
	s_sub_i32 s15, s11, s10
	s_cmp_ge_u32 s11, s10
	s_cselect_b32 s11, s15, s11
	s_sub_i32 s15, s11, s10
	s_cmp_ge_u32 s11, s10
	s_cselect_b32 s10, s15, s11
	s_mov_b32 s15, 0
	s_sub_i32 s10, s19, s10
	s_mov_b32 s11, exec_lo
	v_cmpx_gt_i32_e64 s10, v11
	s_cbranch_execz .LBB509_31
; %bb.28:
	v_mov_b32_e32 v1, v0
.LBB509_29:                             ; =>This Inner Loop Header: Depth=1
	s_delay_alu instid0(VALU_DEP_1) | instskip(NEXT) | instid1(VALU_DEP_1)
	v_ashrrev_i32_e32 v2, 31, v1
	v_lshlrev_b64 v[14:15], 4, v[1:2]
	v_add_nc_u32_e32 v1, v1, v13
	s_delay_alu instid0(VALU_DEP_2) | instskip(NEXT) | instid1(VALU_DEP_3)
	v_add_co_u32 v14, vcc_lo, s4, v14
	v_add_co_ci_u32_e32 v15, vcc_lo, s5, v15, vcc_lo
	global_load_b128 v[14:17], v[14:15], off
	s_waitcnt vmcnt(0)
	v_and_b32_e32 v11, 0xffff0000, v14
	v_lshlrev_b32_e32 v2, 16, v14
	v_lshlrev_b32_e32 v14, 16, v15
	v_and_b32_e32 v15, 0xffff0000, v15
	s_delay_alu instid0(VALU_DEP_4) | instskip(NEXT) | instid1(VALU_DEP_4)
	v_sub_f32_e32 v11, v11, v8
	v_sub_f32_e32 v2, v2, v8
	s_delay_alu instid0(VALU_DEP_3) | instskip(NEXT) | instid1(VALU_DEP_3)
	v_sub_f32_e32 v15, v15, v8
	v_dual_sub_f32 v14, v14, v8 :: v_dual_mul_f32 v11, 0x3fb8aa3b, v11
	s_delay_alu instid0(VALU_DEP_3) | instskip(NEXT) | instid1(VALU_DEP_3)
	v_mul_f32_e32 v2, 0x3fb8aa3b, v2
	v_dual_mul_f32 v15, 0x3fb8aa3b, v15 :: v_dual_lshlrev_b32 v18, 16, v16
	v_and_b32_e32 v16, 0xffff0000, v16
	s_delay_alu instid0(VALU_DEP_4) | instskip(NEXT) | instid1(VALU_DEP_3)
	v_exp_f32_e32 v11, v11
	v_exp_f32_e32 v2, v2
	s_delay_alu instid0(VALU_DEP_2) | instskip(SKIP_2) | instid1(VALU_DEP_1)
	v_sub_f32_e32 v18, v18, v8
	v_exp_f32_e32 v15, v15
	v_sub_f32_e32 v16, v16, v8
	v_mul_f32_e32 v16, 0x3fb8aa3b, v16
	s_waitcnt_depctr 0xfff
	v_add_f32_e32 v2, v12, v2
	v_lshlrev_b32_e32 v12, 16, v17
	s_delay_alu instid0(VALU_DEP_2) | instskip(SKIP_2) | instid1(VALU_DEP_4)
	v_dual_add_f32 v2, v2, v11 :: v_dual_and_b32 v11, 0xffff0000, v17
	v_mul_f32_e32 v14, 0x3fb8aa3b, v14
	v_mul_f32_e32 v18, 0x3fb8aa3b, v18
	v_sub_f32_e32 v12, v12, v8
	s_delay_alu instid0(VALU_DEP_4) | instskip(NEXT) | instid1(VALU_DEP_4)
	v_sub_f32_e32 v11, v11, v8
	v_exp_f32_e32 v14, v14
	s_delay_alu instid0(VALU_DEP_3) | instskip(NEXT) | instid1(VALU_DEP_1)
	v_exp_f32_e32 v17, v18
	v_dual_mul_f32 v12, 0x3fb8aa3b, v12 :: v_dual_mul_f32 v11, 0x3fb8aa3b, v11
	s_delay_alu instid0(VALU_DEP_1) | instskip(NEXT) | instid1(VALU_DEP_1)
	v_exp_f32_e32 v12, v12
	v_exp_f32_e32 v11, v11
	v_add_f32_e32 v2, v2, v14
	v_exp_f32_e32 v14, v16
	s_delay_alu instid0(VALU_DEP_1) | instskip(NEXT) | instid1(VALU_DEP_1)
	v_add_f32_e32 v2, v2, v15
	v_add_f32_e32 v2, v2, v17
	s_waitcnt_depctr 0xfff
	v_add_f32_e32 v2, v2, v14
	v_lshlrev_b32_e32 v14, 3, v1
	s_delay_alu instid0(VALU_DEP_2) | instskip(NEXT) | instid1(VALU_DEP_2)
	v_add_f32_e32 v2, v2, v12
	v_cmp_le_i32_e32 vcc_lo, s10, v14
	s_delay_alu instid0(VALU_DEP_2) | instskip(SKIP_1) | instid1(SALU_CYCLE_1)
	v_add_f32_e32 v12, v2, v11
	s_or_b32 s15, vcc_lo, s15
	s_and_not1_b32 exec_lo, exec_lo, s15
	s_cbranch_execnz .LBB509_29
; %bb.30:
	s_or_b32 exec_lo, exec_lo, s15
.LBB509_31:
	s_delay_alu instid0(SALU_CYCLE_1) | instskip(SKIP_2) | instid1(VALU_DEP_1)
	s_or_b32 exec_lo, exec_lo, s11
	v_add_nc_u32_e32 v1, s10, v0
	s_mov_b32 s10, exec_lo
	v_cmpx_gt_i32_e64 s19, v1
	s_cbranch_execz .LBB509_35
; %bb.32:
	s_mov_b32 s11, 0
	.p2align	6
.LBB509_33:                             ; =>This Inner Loop Header: Depth=1
	v_ashrrev_i32_e32 v2, 31, v1
	s_waitcnt_depctr 0xfff
	v_lshlrev_b64 v[14:15], 1, v[1:2]
	v_add_nc_u32_e32 v1, v1, v13
	s_delay_alu instid0(VALU_DEP_2) | instskip(NEXT) | instid1(VALU_DEP_3)
	v_add_co_u32 v14, vcc_lo, s4, v14
	v_add_co_ci_u32_e32 v15, vcc_lo, s5, v15, vcc_lo
	s_delay_alu instid0(VALU_DEP_3) | instskip(SKIP_4) | instid1(VALU_DEP_1)
	v_cmp_le_i32_e32 vcc_lo, s19, v1
	global_load_u16 v2, v[14:15], off
	s_or_b32 s11, vcc_lo, s11
	s_waitcnt vmcnt(0)
	v_lshlrev_b32_e32 v2, 16, v2
	v_sub_f32_e32 v2, v2, v8
	s_delay_alu instid0(VALU_DEP_1) | instskip(NEXT) | instid1(VALU_DEP_1)
	v_mul_f32_e32 v2, 0x3fb8aa3b, v2
	v_exp_f32_e32 v2, v2
	s_waitcnt_depctr 0xfff
	v_add_f32_e32 v12, v12, v2
	s_and_not1_b32 exec_lo, exec_lo, s11
	s_cbranch_execnz .LBB509_33
; %bb.34:
	s_or_b32 exec_lo, exec_lo, s11
.LBB509_35:
	s_delay_alu instid0(SALU_CYCLE_1)
	s_or_b32 exec_lo, exec_lo, s10
	ds_bpermute_b32 v1, v3, v12
	s_waitcnt lgkmcnt(0)
	s_barrier
	buffer_gl0_inv
	v_add_f32_e32 v1, v12, v1
	ds_bpermute_b32 v2, v4, v1
	s_waitcnt lgkmcnt(0)
	v_add_f32_e32 v1, v1, v2
	ds_bpermute_b32 v2, v5, v1
	s_waitcnt lgkmcnt(0)
	;; [unrolled: 3-line block ×3, first 2 shown]
	v_add_f32_e32 v1, v1, v2
	ds_bpermute_b32 v2, v7, v1
	s_and_saveexec_b32 s4, s2
	s_cbranch_execz .LBB509_37
; %bb.36:
	v_add_nc_u32_e32 v9, 0, v9
	s_waitcnt lgkmcnt(0)
	v_add_f32_e32 v1, v1, v2
	ds_store_b32 v9, v1
.LBB509_37:
	s_or_b32 exec_lo, exec_lo, s4
	v_mov_b32_e32 v1, 0
	s_waitcnt lgkmcnt(0)
	s_barrier
	buffer_gl0_inv
	s_and_saveexec_b32 s2, s0
	s_cbranch_execnz .LBB509_45
; %bb.38:
	s_or_b32 exec_lo, exec_lo, s2
	s_and_saveexec_b32 s0, s1
	s_cbranch_execnz .LBB509_46
.LBB509_39:
	s_or_b32 exec_lo, exec_lo, s0
	s_and_saveexec_b32 s0, s3
	s_cbranch_execz .LBB509_41
.LBB509_40:
	s_waitcnt lgkmcnt(0)
	v_div_scale_f32 v2, null, v1, v1, 1.0
	v_div_scale_f32 v5, vcc_lo, 1.0, v1, 1.0
	s_delay_alu instid0(VALU_DEP_2) | instskip(SKIP_2) | instid1(VALU_DEP_1)
	v_rcp_f32_e32 v3, v2
	s_waitcnt_depctr 0xfff
	v_fma_f32 v4, -v2, v3, 1.0
	v_fmac_f32_e32 v3, v4, v3
	s_delay_alu instid0(VALU_DEP_1) | instskip(NEXT) | instid1(VALU_DEP_1)
	v_mul_f32_e32 v4, v5, v3
	v_fma_f32 v6, -v2, v4, v5
	s_delay_alu instid0(VALU_DEP_1) | instskip(NEXT) | instid1(VALU_DEP_1)
	v_fmac_f32_e32 v4, v6, v3
	v_fma_f32 v2, -v2, v4, v5
	s_delay_alu instid0(VALU_DEP_1) | instskip(NEXT) | instid1(VALU_DEP_1)
	v_div_fmas_f32 v2, v2, v3, v4
	v_div_fixup_f32 v1, v2, v1, 1.0
	v_mov_b32_e32 v2, 0
	ds_store_b32 v2, v1
.LBB509_41:
	s_or_b32 exec_lo, exec_lo, s0
	s_waitcnt lgkmcnt(0)
	s_barrier
	buffer_gl0_inv
	s_mov_b32 s0, exec_lo
	v_cmpx_gt_i32_e64 s14, v0
	s_cbranch_execz .LBB509_44
; %bb.42:
	v_mov_b32_e32 v1, 0
	s_lshl_b64 s[2:3], s[12:13], 2
	s_mov_b32 s1, 0
	s_add_u32 s2, s8, s2
	s_addc_u32 s3, s9, s3
	ds_load_b32 v2, v1
	.p2align	6
.LBB509_43:                             ; =>This Inner Loop Header: Depth=1
	v_ashrrev_i32_e32 v1, 31, v0
	s_delay_alu instid0(VALU_DEP_1) | instskip(NEXT) | instid1(VALU_DEP_1)
	v_lshlrev_b64 v[3:4], 1, v[0:1]
	v_add_co_u32 v3, vcc_lo, s6, v3
	s_delay_alu instid0(VALU_DEP_2) | instskip(SKIP_3) | instid1(VALU_DEP_1)
	v_add_co_ci_u32_e32 v4, vcc_lo, s7, v4, vcc_lo
	global_load_u16 v3, v[3:4], off
	s_waitcnt vmcnt(0)
	v_lshlrev_b32_e32 v3, 16, v3
	v_sub_f32_e32 v3, v3, v8
	s_delay_alu instid0(VALU_DEP_1) | instskip(NEXT) | instid1(VALU_DEP_1)
	v_mul_f32_e32 v3, 0x3fb8aa3b, v3
	v_exp_f32_e32 v5, v3
	v_lshlrev_b64 v[3:4], 2, v[0:1]
	v_add_nc_u32_e32 v0, s18, v0
	s_delay_alu instid0(VALU_DEP_1) | instskip(NEXT) | instid1(VALU_DEP_3)
	v_cmp_le_i32_e32 vcc_lo, s14, v0
	v_add_co_u32 v3, s0, s2, v3
	s_waitcnt lgkmcnt(0)
	s_waitcnt_depctr 0xfff
	v_mul_f32_e32 v1, v2, v5
	v_add_co_ci_u32_e64 v4, s0, s3, v4, s0
	s_or_b32 s1, vcc_lo, s1
	global_store_b32 v[3:4], v1, off
	s_and_not1_b32 exec_lo, exec_lo, s1
	s_cbranch_execnz .LBB509_43
.LBB509_44:
	s_nop 0
	s_sendmsg sendmsg(MSG_DEALLOC_VGPRS)
	s_endpgm
.LBB509_45:
	ds_load_b32 v1, v10
	s_or_b32 exec_lo, exec_lo, s2
	s_and_saveexec_b32 s0, s1
	s_cbranch_execz .LBB509_39
.LBB509_46:
	s_waitcnt lgkmcnt(0)
	ds_bpermute_b32 v2, v3, v1
	s_waitcnt lgkmcnt(0)
	v_add_f32_e32 v1, v1, v2
	ds_bpermute_b32 v2, v4, v1
	s_waitcnt lgkmcnt(0)
	v_add_f32_e32 v1, v1, v2
	;; [unrolled: 3-line block ×5, first 2 shown]
	s_or_b32 exec_lo, exec_lo, s0
	s_and_saveexec_b32 s0, s3
	s_cbranch_execnz .LBB509_40
	s_branch .LBB509_41
	.section	.rodata,"a",@progbits
	.p2align	6, 0x0
	.amdhsa_kernel _ZN2at6native12_GLOBAL__N_123cunn_SoftMaxForwardFastILi8EN3c108BFloat16EffNS1_29SoftMaxForwardWithMulEpilogueEEEvPT2_PKT0_i
		.amdhsa_group_segment_fixed_size 0
		.amdhsa_private_segment_fixed_size 0
		.amdhsa_kernarg_size 280
		.amdhsa_user_sgpr_count 15
		.amdhsa_user_sgpr_dispatch_ptr 0
		.amdhsa_user_sgpr_queue_ptr 0
		.amdhsa_user_sgpr_kernarg_segment_ptr 1
		.amdhsa_user_sgpr_dispatch_id 0
		.amdhsa_user_sgpr_private_segment_size 0
		.amdhsa_wavefront_size32 1
		.amdhsa_uses_dynamic_stack 0
		.amdhsa_enable_private_segment 0
		.amdhsa_system_sgpr_workgroup_id_x 1
		.amdhsa_system_sgpr_workgroup_id_y 0
		.amdhsa_system_sgpr_workgroup_id_z 0
		.amdhsa_system_sgpr_workgroup_info 0
		.amdhsa_system_vgpr_workitem_id 0
		.amdhsa_next_free_vgpr 19
		.amdhsa_next_free_sgpr 20
		.amdhsa_reserve_vcc 1
		.amdhsa_float_round_mode_32 0
		.amdhsa_float_round_mode_16_64 0
		.amdhsa_float_denorm_mode_32 3
		.amdhsa_float_denorm_mode_16_64 3
		.amdhsa_dx10_clamp 1
		.amdhsa_ieee_mode 1
		.amdhsa_fp16_overflow 0
		.amdhsa_workgroup_processor_mode 1
		.amdhsa_memory_ordered 1
		.amdhsa_forward_progress 0
		.amdhsa_shared_vgpr_count 0
		.amdhsa_exception_fp_ieee_invalid_op 0
		.amdhsa_exception_fp_denorm_src 0
		.amdhsa_exception_fp_ieee_div_zero 0
		.amdhsa_exception_fp_ieee_overflow 0
		.amdhsa_exception_fp_ieee_underflow 0
		.amdhsa_exception_fp_ieee_inexact 0
		.amdhsa_exception_int_div_zero 0
	.end_amdhsa_kernel
	.section	.text._ZN2at6native12_GLOBAL__N_123cunn_SoftMaxForwardFastILi8EN3c108BFloat16EffNS1_29SoftMaxForwardWithMulEpilogueEEEvPT2_PKT0_i,"axG",@progbits,_ZN2at6native12_GLOBAL__N_123cunn_SoftMaxForwardFastILi8EN3c108BFloat16EffNS1_29SoftMaxForwardWithMulEpilogueEEEvPT2_PKT0_i,comdat
.Lfunc_end509:
	.size	_ZN2at6native12_GLOBAL__N_123cunn_SoftMaxForwardFastILi8EN3c108BFloat16EffNS1_29SoftMaxForwardWithMulEpilogueEEEvPT2_PKT0_i, .Lfunc_end509-_ZN2at6native12_GLOBAL__N_123cunn_SoftMaxForwardFastILi8EN3c108BFloat16EffNS1_29SoftMaxForwardWithMulEpilogueEEEvPT2_PKT0_i
                                        ; -- End function
	.section	.AMDGPU.csdata,"",@progbits
; Kernel info:
; codeLenInByte = 2844
; NumSgprs: 22
; NumVgprs: 19
; ScratchSize: 0
; MemoryBound: 0
; FloatMode: 240
; IeeeMode: 1
; LDSByteSize: 0 bytes/workgroup (compile time only)
; SGPRBlocks: 2
; VGPRBlocks: 2
; NumSGPRsForWavesPerEU: 22
; NumVGPRsForWavesPerEU: 19
; Occupancy: 16
; WaveLimiterHint : 0
; COMPUTE_PGM_RSRC2:SCRATCH_EN: 0
; COMPUTE_PGM_RSRC2:USER_SGPR: 15
; COMPUTE_PGM_RSRC2:TRAP_HANDLER: 0
; COMPUTE_PGM_RSRC2:TGID_X_EN: 1
; COMPUTE_PGM_RSRC2:TGID_Y_EN: 0
; COMPUTE_PGM_RSRC2:TGID_Z_EN: 0
; COMPUTE_PGM_RSRC2:TIDIG_COMP_CNT: 0
	.section	.text._ZN2at6native12_GLOBAL__N_126cunn_SpatialSoftMaxForwardIdddiNS1_22SoftMaxForwardEpilogueEEEvPT1_PKT_T2_S9_S9_,"axG",@progbits,_ZN2at6native12_GLOBAL__N_126cunn_SpatialSoftMaxForwardIdddiNS1_22SoftMaxForwardEpilogueEEEvPT1_PKT_T2_S9_S9_,comdat
	.globl	_ZN2at6native12_GLOBAL__N_126cunn_SpatialSoftMaxForwardIdddiNS1_22SoftMaxForwardEpilogueEEEvPT1_PKT_T2_S9_S9_ ; -- Begin function _ZN2at6native12_GLOBAL__N_126cunn_SpatialSoftMaxForwardIdddiNS1_22SoftMaxForwardEpilogueEEEvPT1_PKT_T2_S9_S9_
	.p2align	8
	.type	_ZN2at6native12_GLOBAL__N_126cunn_SpatialSoftMaxForwardIdddiNS1_22SoftMaxForwardEpilogueEEEvPT1_PKT_T2_S9_S9_,@function
_ZN2at6native12_GLOBAL__N_126cunn_SpatialSoftMaxForwardIdddiNS1_22SoftMaxForwardEpilogueEEEvPT1_PKT_T2_S9_S9_: ; @_ZN2at6native12_GLOBAL__N_126cunn_SpatialSoftMaxForwardIdddiNS1_22SoftMaxForwardEpilogueEEEvPT1_PKT_T2_S9_S9_
; %bb.0:
	s_load_b128 s[4:7], s[0:1], 0x10
	s_waitcnt lgkmcnt(0)
	s_cmp_ge_i32 s14, s4
	s_cbranch_scc1 .LBB510_40
; %bb.1:
	s_load_b32 s2, s[0:1], 0x2c
	v_bfe_u32 v7, v0, 10, 10
	v_and_b32_e32 v0, 0x3ff, v0
	s_clause 0x1
	s_load_b128 s[8:11], s[0:1], 0x0
	s_load_b64 s[16:17], s[0:1], 0x20
	s_add_u32 s12, s0, 32
	s_addc_u32 s13, s1, 0
	s_mov_b32 s18, -1
	v_mad_u64_u32 v[1:2], null, s14, s5, v[0:1]
	v_cmp_gt_i32_e64 s0, s5, v0
	s_mov_b32 s20, 0x652b82fe
	s_mov_b32 s22, 0xfefa39ef
	;; [unrolled: 1-line block ×5, first 2 shown]
	s_delay_alu instid0(VALU_DEP_2)
	v_mul_lo_u32 v1, s6, v1
	s_mov_b32 s30, 0x623fde64
	s_mov_b32 s34, 0x7c89e6b0
	;; [unrolled: 1-line block ×4, first 2 shown]
	s_waitcnt lgkmcnt(0)
	s_lshr_b32 s2, s2, 16
	s_mov_b32 s40, 0x11122322
	s_mul_i32 s15, s15, s2
	s_mul_i32 s7, s16, s6
	v_add_nc_u32_e32 v8, s15, v7
	v_add3_u32 v9, v7, v1, s15
	s_mov_b32 s42, 0x555502a1
	s_mov_b32 s44, 0x55555511
	;; [unrolled: 1-line block ×3, first 2 shown]
	v_cmp_gt_i32_e64 s1, s6, v8
	s_mov_b32 s19, 0xffefffff
	s_mov_b32 s21, 0x3ff71547
	s_mov_b32 s23, 0xbfe62e42
	s_mov_b32 s25, 0xbc7abc9e
	s_mov_b32 s27, 0x3e928af3
	s_mov_b32 s29, 0x3e5ade15
	s_mov_b32 s31, 0x3ec71dee
	s_mov_b32 s35, 0x3efa0199
	s_mov_b32 s37, 0x3f2a01a0
	s_mov_b32 s39, 0x3f56c16c
	s_mov_b32 s41, 0x3f811111
	s_mov_b32 s43, 0x3fa55555
	s_mov_b32 s45, 0x3fc55555
	s_mov_b32 s47, 0x3fe00000
	s_mul_i32 s3, s17, s2
	s_mul_i32 s7, s7, s5
	s_branch .LBB510_3
.LBB510_2:                              ;   in Loop: Header=BB510_3 Depth=1
	s_or_b32 exec_lo, exec_lo, s15
	v_add_nc_u32_e32 v9, s7, v9
	s_add_i32 s14, s16, s14
	s_delay_alu instid0(SALU_CYCLE_1)
	s_cmp_ge_i32 s14, s4
	s_cbranch_scc1 .LBB510_40
.LBB510_3:                              ; =>This Loop Header: Depth=1
                                        ;     Child Loop BB510_7 Depth 2
                                        ;       Child Loop BB510_10 Depth 3
                                        ;       Child Loop BB510_14 Depth 3
                                        ;       Child Loop BB510_18 Depth 3
                                        ;       Child Loop BB510_23 Depth 3
                                        ;       Child Loop BB510_27 Depth 3
                                        ;       Child Loop BB510_31 Depth 3
                                        ;       Child Loop BB510_35 Depth 3
                                        ;       Child Loop BB510_39 Depth 3
	s_and_saveexec_b32 s15, s1
	s_cbranch_execz .LBB510_2
; %bb.4:                                ;   in Loop: Header=BB510_3 Depth=1
	s_load_b32 s2, s[12:13], 0xc
	v_mov_b32_e32 v11, v9
	v_mov_b32_e32 v13, v8
	s_mov_b32 s49, 0
	s_waitcnt lgkmcnt(0)
	s_and_b32 s17, s2, 0xffff
	s_delay_alu instid0(SALU_CYCLE_1) | instskip(SKIP_3) | instid1(VALU_DEP_1)
	v_mul_u32_u24_e32 v1, s17, v7
	s_cmp_lt_u32 s17, 2
	s_mul_i32 s48, s6, s17
	s_cselect_b32 s33, -1, 0
	v_lshl_add_u32 v10, v1, 3, 0
	s_delay_alu instid0(VALU_DEP_1)
	v_lshl_add_u32 v12, v0, 3, v10
	s_branch .LBB510_7
.LBB510_5:                              ;   in Loop: Header=BB510_7 Depth=2
	s_or_b32 exec_lo, exec_lo, s50
.LBB510_6:                              ;   in Loop: Header=BB510_7 Depth=2
	v_add_nc_u32_e32 v13, s3, v13
	v_add_nc_u32_e32 v11, s3, v11
	s_delay_alu instid0(VALU_DEP_2) | instskip(SKIP_1) | instid1(SALU_CYCLE_1)
	v_cmp_le_i32_e32 vcc_lo, s6, v13
	s_or_b32 s49, vcc_lo, s49
	s_and_not1_b32 exec_lo, exec_lo, s49
	s_cbranch_execz .LBB510_2
.LBB510_7:                              ;   Parent Loop BB510_3 Depth=1
                                        ; =>  This Loop Header: Depth=2
                                        ;       Child Loop BB510_10 Depth 3
                                        ;       Child Loop BB510_14 Depth 3
	;; [unrolled: 1-line block ×8, first 2 shown]
	s_and_b32 vcc_lo, exec_lo, s33
	s_mov_b32 s2, -1
	s_cbranch_vccz .LBB510_20
; %bb.8:                                ;   in Loop: Header=BB510_7 Depth=2
	v_dual_mov_b32 v1, s18 :: v_dual_mov_b32 v2, s19
	s_and_saveexec_b32 s50, s0
	s_cbranch_execz .LBB510_12
; %bb.9:                                ;   in Loop: Header=BB510_7 Depth=2
	v_dual_mov_b32 v1, s18 :: v_dual_mov_b32 v2, s19
	v_mov_b32_e32 v3, v11
	v_mov_b32_e32 v5, v0
	s_mov_b32 s51, 0
	.p2align	6
.LBB510_10:                             ;   Parent Loop BB510_3 Depth=1
                                        ;     Parent Loop BB510_7 Depth=2
                                        ; =>    This Inner Loop Header: Depth=3
	s_delay_alu instid0(VALU_DEP_2) | instskip(NEXT) | instid1(VALU_DEP_1)
	v_ashrrev_i32_e32 v4, 31, v3
	v_lshlrev_b64 v[14:15], 3, v[3:4]
	v_add_nc_u32_e32 v3, s48, v3
	s_delay_alu instid0(VALU_DEP_2) | instskip(NEXT) | instid1(VALU_DEP_3)
	v_add_co_u32 v14, vcc_lo, s10, v14
	v_add_co_ci_u32_e32 v15, vcc_lo, s11, v15, vcc_lo
	global_load_b64 v[14:15], v[14:15], off
	s_waitcnt vmcnt(0)
	v_cmp_lt_f64_e32 vcc_lo, v[1:2], v[14:15]
	v_dual_cndmask_b32 v2, v2, v15 :: v_dual_add_nc_u32 v5, s17, v5
	s_delay_alu instid0(VALU_DEP_1) | instskip(SKIP_1) | instid1(VALU_DEP_2)
	v_cmp_le_i32_e64 s2, s5, v5
	v_cndmask_b32_e32 v1, v1, v14, vcc_lo
	s_or_b32 s51, s2, s51
	s_delay_alu instid0(SALU_CYCLE_1)
	s_and_not1_b32 exec_lo, exec_lo, s51
	s_cbranch_execnz .LBB510_10
; %bb.11:                               ;   in Loop: Header=BB510_7 Depth=2
	s_or_b32 exec_lo, exec_lo, s51
.LBB510_12:                             ;   in Loop: Header=BB510_7 Depth=2
	s_delay_alu instid0(SALU_CYCLE_1)
	s_or_b32 exec_lo, exec_lo, s50
	v_mov_b32_e32 v3, 0
	v_mov_b32_e32 v4, 0
	s_and_saveexec_b32 s50, s0
	s_cbranch_execz .LBB510_16
; %bb.13:                               ;   in Loop: Header=BB510_7 Depth=2
	v_dual_mov_b32 v3, 0 :: v_dual_mov_b32 v14, v0
	v_dual_mov_b32 v4, 0 :: v_dual_mov_b32 v5, v11
	s_mov_b32 s51, 0
.LBB510_14:                             ;   Parent Loop BB510_3 Depth=1
                                        ;     Parent Loop BB510_7 Depth=2
                                        ; =>    This Inner Loop Header: Depth=3
	s_delay_alu instid0(VALU_DEP_1) | instskip(NEXT) | instid1(VALU_DEP_3)
	v_ashrrev_i32_e32 v6, 31, v5
	v_add_nc_u32_e32 v14, s17, v14
	s_delay_alu instid0(VALU_DEP_2) | instskip(SKIP_1) | instid1(VALU_DEP_2)
	v_lshlrev_b64 v[15:16], 3, v[5:6]
	v_add_nc_u32_e32 v5, s48, v5
	v_add_co_u32 v15, vcc_lo, s10, v15
	s_delay_alu instid0(VALU_DEP_3) | instskip(SKIP_3) | instid1(VALU_DEP_1)
	v_add_co_ci_u32_e32 v16, vcc_lo, s11, v16, vcc_lo
	global_load_b64 v[15:16], v[15:16], off
	s_waitcnt vmcnt(0)
	v_add_f64 v[15:16], v[15:16], -v[1:2]
	v_mul_f64 v[17:18], v[15:16], s[20:21]
	v_cmp_nlt_f64_e32 vcc_lo, 0x40900000, v[15:16]
	v_cmp_ngt_f64_e64 s2, 0xc090cc00, v[15:16]
	s_delay_alu instid0(VALU_DEP_3) | instskip(NEXT) | instid1(VALU_DEP_1)
	v_rndne_f64_e32 v[17:18], v[17:18]
	v_fma_f64 v[19:20], v[17:18], s[22:23], v[15:16]
	v_cvt_i32_f64_e32 v6, v[17:18]
	s_delay_alu instid0(VALU_DEP_2) | instskip(NEXT) | instid1(VALU_DEP_1)
	v_fma_f64 v[19:20], v[17:18], s[24:25], v[19:20]
	v_fma_f64 v[21:22], v[19:20], s[28:29], s[26:27]
	s_delay_alu instid0(VALU_DEP_1) | instskip(NEXT) | instid1(VALU_DEP_1)
	v_fma_f64 v[21:22], v[19:20], v[21:22], s[30:31]
	v_fma_f64 v[21:22], v[19:20], v[21:22], s[34:35]
	s_delay_alu instid0(VALU_DEP_1) | instskip(NEXT) | instid1(VALU_DEP_1)
	;; [unrolled: 3-line block ×5, first 2 shown]
	v_fma_f64 v[21:22], v[19:20], v[21:22], 1.0
	v_fma_f64 v[17:18], v[19:20], v[21:22], 1.0
	s_delay_alu instid0(VALU_DEP_1) | instskip(NEXT) | instid1(VALU_DEP_1)
	v_ldexp_f64 v[17:18], v[17:18], v6
	v_cndmask_b32_e32 v6, 0x7ff00000, v18, vcc_lo
	s_and_b32 vcc_lo, s2, vcc_lo
	s_delay_alu instid0(VALU_DEP_2) | instskip(SKIP_1) | instid1(VALU_DEP_3)
	v_cndmask_b32_e32 v15, 0, v17, vcc_lo
	v_cmp_le_i32_e32 vcc_lo, s5, v14
	v_cndmask_b32_e64 v16, 0, v6, s2
	s_or_b32 s51, vcc_lo, s51
	s_delay_alu instid0(VALU_DEP_1)
	v_add_f64 v[3:4], v[3:4], v[15:16]
	s_and_not1_b32 exec_lo, exec_lo, s51
	s_cbranch_execnz .LBB510_14
; %bb.15:                               ;   in Loop: Header=BB510_7 Depth=2
	s_or_b32 exec_lo, exec_lo, s51
.LBB510_16:                             ;   in Loop: Header=BB510_7 Depth=2
	s_delay_alu instid0(SALU_CYCLE_1)
	s_or_b32 exec_lo, exec_lo, s50
	s_and_saveexec_b32 s50, s0
	s_cbranch_execz .LBB510_19
; %bb.17:                               ;   in Loop: Header=BB510_7 Depth=2
	v_dual_mov_b32 v5, v11 :: v_dual_mov_b32 v14, v0
	s_mov_b32 s51, 0
.LBB510_18:                             ;   Parent Loop BB510_3 Depth=1
                                        ;     Parent Loop BB510_7 Depth=2
                                        ; =>    This Inner Loop Header: Depth=3
	s_delay_alu instid0(VALU_DEP_1) | instskip(NEXT) | instid1(VALU_DEP_2)
	v_ashrrev_i32_e32 v6, 31, v5
	v_add_nc_u32_e32 v14, s17, v14
	s_delay_alu instid0(VALU_DEP_2) | instskip(SKIP_1) | instid1(VALU_DEP_2)
	v_lshlrev_b64 v[15:16], 3, v[5:6]
	v_add_nc_u32_e32 v5, s48, v5
	v_add_co_u32 v17, vcc_lo, s10, v15
	s_delay_alu instid0(VALU_DEP_3) | instskip(SKIP_3) | instid1(VALU_DEP_1)
	v_add_co_ci_u32_e32 v18, vcc_lo, s11, v16, vcc_lo
	global_load_b64 v[17:18], v[17:18], off
	s_waitcnt vmcnt(0)
	v_add_f64 v[17:18], v[17:18], -v[1:2]
	v_mul_f64 v[19:20], v[17:18], s[20:21]
	v_cmp_nlt_f64_e32 vcc_lo, 0x40900000, v[17:18]
	v_cmp_ngt_f64_e64 s2, 0xc090cc00, v[17:18]
	s_delay_alu instid0(VALU_DEP_3) | instskip(NEXT) | instid1(VALU_DEP_1)
	v_rndne_f64_e32 v[19:20], v[19:20]
	v_fma_f64 v[21:22], v[19:20], s[22:23], v[17:18]
	v_cvt_i32_f64_e32 v6, v[19:20]
	s_delay_alu instid0(VALU_DEP_2) | instskip(NEXT) | instid1(VALU_DEP_1)
	v_fma_f64 v[21:22], v[19:20], s[24:25], v[21:22]
	v_fma_f64 v[23:24], v[21:22], s[28:29], s[26:27]
	s_delay_alu instid0(VALU_DEP_1) | instskip(NEXT) | instid1(VALU_DEP_1)
	v_fma_f64 v[23:24], v[21:22], v[23:24], s[30:31]
	v_fma_f64 v[23:24], v[21:22], v[23:24], s[34:35]
	s_delay_alu instid0(VALU_DEP_1) | instskip(NEXT) | instid1(VALU_DEP_1)
	;; [unrolled: 3-line block ×5, first 2 shown]
	v_fma_f64 v[23:24], v[21:22], v[23:24], 1.0
	v_fma_f64 v[19:20], v[21:22], v[23:24], 1.0
	s_delay_alu instid0(VALU_DEP_1) | instskip(NEXT) | instid1(VALU_DEP_1)
	v_ldexp_f64 v[19:20], v[19:20], v6
	v_cndmask_b32_e32 v6, 0x7ff00000, v20, vcc_lo
	s_and_b32 vcc_lo, s2, vcc_lo
	s_delay_alu instid0(VALU_DEP_2) | instskip(NEXT) | instid1(VALU_DEP_2)
	v_cndmask_b32_e32 v17, 0, v19, vcc_lo
	v_cndmask_b32_e64 v18, 0, v6, s2
	v_add_co_u32 v15, s2, s8, v15
	s_delay_alu instid0(VALU_DEP_1) | instskip(NEXT) | instid1(VALU_DEP_3)
	v_add_co_ci_u32_e64 v16, s2, s9, v16, s2
	v_div_scale_f64 v[19:20], null, v[3:4], v[3:4], v[17:18]
	s_delay_alu instid0(VALU_DEP_1) | instskip(SKIP_2) | instid1(VALU_DEP_1)
	v_rcp_f64_e32 v[21:22], v[19:20]
	s_waitcnt_depctr 0xfff
	v_fma_f64 v[23:24], -v[19:20], v[21:22], 1.0
	v_fma_f64 v[21:22], v[21:22], v[23:24], v[21:22]
	s_delay_alu instid0(VALU_DEP_1) | instskip(NEXT) | instid1(VALU_DEP_1)
	v_fma_f64 v[23:24], -v[19:20], v[21:22], 1.0
	v_fma_f64 v[21:22], v[21:22], v[23:24], v[21:22]
	v_div_scale_f64 v[23:24], vcc_lo, v[17:18], v[3:4], v[17:18]
	s_delay_alu instid0(VALU_DEP_1) | instskip(NEXT) | instid1(VALU_DEP_1)
	v_mul_f64 v[25:26], v[23:24], v[21:22]
	v_fma_f64 v[19:20], -v[19:20], v[25:26], v[23:24]
	s_delay_alu instid0(VALU_DEP_1) | instskip(SKIP_2) | instid1(VALU_DEP_2)
	v_div_fmas_f64 v[19:20], v[19:20], v[21:22], v[25:26]
	v_cmp_le_i32_e32 vcc_lo, s5, v14
	s_or_b32 s51, vcc_lo, s51
	v_div_fixup_f64 v[17:18], v[19:20], v[3:4], v[17:18]
	global_store_b64 v[15:16], v[17:18], off
	s_and_not1_b32 exec_lo, exec_lo, s51
	s_cbranch_execnz .LBB510_18
.LBB510_19:                             ;   in Loop: Header=BB510_7 Depth=2
	s_or_b32 exec_lo, exec_lo, s50
	s_mov_b32 s2, 0
.LBB510_20:                             ;   in Loop: Header=BB510_7 Depth=2
	s_delay_alu instid0(SALU_CYCLE_1)
	s_and_b32 vcc_lo, exec_lo, s2
	s_cbranch_vccz .LBB510_6
; %bb.21:                               ;   in Loop: Header=BB510_7 Depth=2
	v_dual_mov_b32 v1, s18 :: v_dual_mov_b32 v2, s19
	s_and_saveexec_b32 s50, s0
	s_cbranch_execz .LBB510_25
; %bb.22:                               ;   in Loop: Header=BB510_7 Depth=2
	v_dual_mov_b32 v1, s18 :: v_dual_mov_b32 v2, s19
	v_mov_b32_e32 v3, v11
	v_mov_b32_e32 v5, v0
	s_mov_b32 s51, 0
	.p2align	6
.LBB510_23:                             ;   Parent Loop BB510_3 Depth=1
                                        ;     Parent Loop BB510_7 Depth=2
                                        ; =>    This Inner Loop Header: Depth=3
	s_delay_alu instid0(VALU_DEP_2) | instskip(NEXT) | instid1(VALU_DEP_1)
	v_ashrrev_i32_e32 v4, 31, v3
	v_lshlrev_b64 v[14:15], 3, v[3:4]
	v_add_nc_u32_e32 v3, s48, v3
	s_delay_alu instid0(VALU_DEP_2) | instskip(NEXT) | instid1(VALU_DEP_3)
	v_add_co_u32 v14, vcc_lo, s10, v14
	v_add_co_ci_u32_e32 v15, vcc_lo, s11, v15, vcc_lo
	global_load_b64 v[14:15], v[14:15], off
	s_waitcnt vmcnt(0)
	v_cmp_lt_f64_e32 vcc_lo, v[1:2], v[14:15]
	v_dual_cndmask_b32 v2, v2, v15 :: v_dual_add_nc_u32 v5, s17, v5
	s_delay_alu instid0(VALU_DEP_1) | instskip(SKIP_1) | instid1(VALU_DEP_2)
	v_cmp_le_i32_e64 s2, s5, v5
	v_cndmask_b32_e32 v1, v1, v14, vcc_lo
	s_or_b32 s51, s2, s51
	s_delay_alu instid0(SALU_CYCLE_1)
	s_and_not1_b32 exec_lo, exec_lo, s51
	s_cbranch_execnz .LBB510_23
; %bb.24:                               ;   in Loop: Header=BB510_7 Depth=2
	s_or_b32 exec_lo, exec_lo, s51
.LBB510_25:                             ;   in Loop: Header=BB510_7 Depth=2
	s_delay_alu instid0(SALU_CYCLE_1)
	s_or_b32 exec_lo, exec_lo, s50
	s_mov_b32 s2, s17
	s_waitcnt_vscnt null, 0x0
	s_barrier
	buffer_gl0_inv
	ds_store_b64 v12, v[1:2]
	s_branch .LBB510_27
	.p2align	6
.LBB510_26:                             ;   in Loop: Header=BB510_27 Depth=3
	s_or_b32 exec_lo, exec_lo, s51
	s_cmp_gt_u32 s2, 3
	s_mov_b32 s2, s50
	s_cbranch_scc0 .LBB510_29
.LBB510_27:                             ;   Parent Loop BB510_3 Depth=1
                                        ;     Parent Loop BB510_7 Depth=2
                                        ; =>    This Inner Loop Header: Depth=3
	s_lshr_b32 s50, s2, 1
	s_mov_b32 s51, exec_lo
	s_waitcnt lgkmcnt(0)
	s_barrier
	buffer_gl0_inv
	v_cmpx_gt_u32_e64 s50, v0
	s_cbranch_execz .LBB510_26
; %bb.28:                               ;   in Loop: Header=BB510_27 Depth=3
	v_lshl_add_u32 v3, s50, 3, v12
	ds_load_b64 v[1:2], v12
	ds_load_b64 v[3:4], v3
	s_waitcnt lgkmcnt(0)
	v_cmp_lt_f64_e32 vcc_lo, v[1:2], v[3:4]
	v_dual_cndmask_b32 v2, v2, v4 :: v_dual_cndmask_b32 v1, v1, v3
	ds_store_b64 v12, v[1:2]
	s_branch .LBB510_26
.LBB510_29:                             ;   in Loop: Header=BB510_7 Depth=2
	s_waitcnt lgkmcnt(0)
	s_barrier
	buffer_gl0_inv
	ds_load_b64 v[1:2], v10
	v_mov_b32_e32 v3, 0
	v_mov_b32_e32 v4, 0
	s_and_saveexec_b32 s50, s0
	s_cbranch_execz .LBB510_33
; %bb.30:                               ;   in Loop: Header=BB510_7 Depth=2
	v_dual_mov_b32 v3, 0 :: v_dual_mov_b32 v14, v0
	v_dual_mov_b32 v4, 0 :: v_dual_mov_b32 v5, v11
	s_mov_b32 s51, 0
.LBB510_31:                             ;   Parent Loop BB510_3 Depth=1
                                        ;     Parent Loop BB510_7 Depth=2
                                        ; =>    This Inner Loop Header: Depth=3
	s_delay_alu instid0(VALU_DEP_1) | instskip(NEXT) | instid1(VALU_DEP_3)
	v_ashrrev_i32_e32 v6, 31, v5
	v_add_nc_u32_e32 v14, s17, v14
	s_delay_alu instid0(VALU_DEP_2) | instskip(SKIP_1) | instid1(VALU_DEP_2)
	v_lshlrev_b64 v[15:16], 3, v[5:6]
	v_add_nc_u32_e32 v5, s48, v5
	v_add_co_u32 v15, vcc_lo, s10, v15
	s_delay_alu instid0(VALU_DEP_3) | instskip(SKIP_3) | instid1(VALU_DEP_1)
	v_add_co_ci_u32_e32 v16, vcc_lo, s11, v16, vcc_lo
	global_load_b64 v[15:16], v[15:16], off
	s_waitcnt vmcnt(0) lgkmcnt(0)
	v_add_f64 v[15:16], v[15:16], -v[1:2]
	v_mul_f64 v[17:18], v[15:16], s[20:21]
	v_cmp_nlt_f64_e32 vcc_lo, 0x40900000, v[15:16]
	v_cmp_ngt_f64_e64 s2, 0xc090cc00, v[15:16]
	s_delay_alu instid0(VALU_DEP_3) | instskip(NEXT) | instid1(VALU_DEP_1)
	v_rndne_f64_e32 v[17:18], v[17:18]
	v_fma_f64 v[19:20], v[17:18], s[22:23], v[15:16]
	v_cvt_i32_f64_e32 v6, v[17:18]
	s_delay_alu instid0(VALU_DEP_2) | instskip(NEXT) | instid1(VALU_DEP_1)
	v_fma_f64 v[19:20], v[17:18], s[24:25], v[19:20]
	v_fma_f64 v[21:22], v[19:20], s[28:29], s[26:27]
	s_delay_alu instid0(VALU_DEP_1) | instskip(NEXT) | instid1(VALU_DEP_1)
	v_fma_f64 v[21:22], v[19:20], v[21:22], s[30:31]
	v_fma_f64 v[21:22], v[19:20], v[21:22], s[34:35]
	s_delay_alu instid0(VALU_DEP_1) | instskip(NEXT) | instid1(VALU_DEP_1)
	;; [unrolled: 3-line block ×5, first 2 shown]
	v_fma_f64 v[21:22], v[19:20], v[21:22], 1.0
	v_fma_f64 v[17:18], v[19:20], v[21:22], 1.0
	s_delay_alu instid0(VALU_DEP_1) | instskip(NEXT) | instid1(VALU_DEP_1)
	v_ldexp_f64 v[17:18], v[17:18], v6
	v_cndmask_b32_e32 v6, 0x7ff00000, v18, vcc_lo
	s_and_b32 vcc_lo, s2, vcc_lo
	s_delay_alu instid0(VALU_DEP_2) | instskip(SKIP_1) | instid1(VALU_DEP_3)
	v_cndmask_b32_e32 v15, 0, v17, vcc_lo
	v_cmp_le_i32_e32 vcc_lo, s5, v14
	v_cndmask_b32_e64 v16, 0, v6, s2
	s_or_b32 s51, vcc_lo, s51
	s_delay_alu instid0(VALU_DEP_1)
	v_add_f64 v[3:4], v[3:4], v[15:16]
	s_and_not1_b32 exec_lo, exec_lo, s51
	s_cbranch_execnz .LBB510_31
; %bb.32:                               ;   in Loop: Header=BB510_7 Depth=2
	s_or_b32 exec_lo, exec_lo, s51
.LBB510_33:                             ;   in Loop: Header=BB510_7 Depth=2
	s_delay_alu instid0(SALU_CYCLE_1)
	s_or_b32 exec_lo, exec_lo, s50
	s_mov_b32 s2, s17
	s_waitcnt lgkmcnt(0)
	s_barrier
	buffer_gl0_inv
	ds_store_b64 v12, v[3:4]
	s_branch .LBB510_35
	.p2align	6
.LBB510_34:                             ;   in Loop: Header=BB510_35 Depth=3
	s_or_b32 exec_lo, exec_lo, s51
	s_cmp_gt_u32 s2, 3
	s_mov_b32 s2, s50
	s_cbranch_scc0 .LBB510_37
.LBB510_35:                             ;   Parent Loop BB510_3 Depth=1
                                        ;     Parent Loop BB510_7 Depth=2
                                        ; =>    This Inner Loop Header: Depth=3
	s_lshr_b32 s50, s2, 1
	s_mov_b32 s51, exec_lo
	s_waitcnt lgkmcnt(0)
	s_barrier
	buffer_gl0_inv
	v_cmpx_gt_u32_e64 s50, v0
	s_cbranch_execz .LBB510_34
; %bb.36:                               ;   in Loop: Header=BB510_35 Depth=3
	v_lshl_add_u32 v5, s50, 3, v12
	ds_load_b64 v[3:4], v12
	ds_load_b64 v[5:6], v5
	s_waitcnt lgkmcnt(0)
	v_add_f64 v[3:4], v[3:4], v[5:6]
	ds_store_b64 v12, v[3:4]
	s_branch .LBB510_34
.LBB510_37:                             ;   in Loop: Header=BB510_7 Depth=2
	s_waitcnt lgkmcnt(0)
	s_barrier
	buffer_gl0_inv
	s_and_saveexec_b32 s50, s0
	s_cbranch_execz .LBB510_5
; %bb.38:                               ;   in Loop: Header=BB510_7 Depth=2
	ds_load_b64 v[3:4], v10
	v_dual_mov_b32 v5, v11 :: v_dual_mov_b32 v14, v0
	s_mov_b32 s51, 0
.LBB510_39:                             ;   Parent Loop BB510_3 Depth=1
                                        ;     Parent Loop BB510_7 Depth=2
                                        ; =>    This Inner Loop Header: Depth=3
	s_delay_alu instid0(VALU_DEP_1) | instskip(NEXT) | instid1(VALU_DEP_2)
	v_ashrrev_i32_e32 v6, 31, v5
	v_add_nc_u32_e32 v14, s17, v14
	s_delay_alu instid0(VALU_DEP_2) | instskip(SKIP_1) | instid1(VALU_DEP_2)
	v_lshlrev_b64 v[15:16], 3, v[5:6]
	v_add_nc_u32_e32 v5, s48, v5
	v_add_co_u32 v17, vcc_lo, s10, v15
	s_delay_alu instid0(VALU_DEP_3) | instskip(SKIP_3) | instid1(VALU_DEP_1)
	v_add_co_ci_u32_e32 v18, vcc_lo, s11, v16, vcc_lo
	global_load_b64 v[17:18], v[17:18], off
	s_waitcnt vmcnt(0)
	v_add_f64 v[17:18], v[17:18], -v[1:2]
	v_mul_f64 v[19:20], v[17:18], s[20:21]
	v_cmp_nlt_f64_e32 vcc_lo, 0x40900000, v[17:18]
	v_cmp_ngt_f64_e64 s2, 0xc090cc00, v[17:18]
	s_delay_alu instid0(VALU_DEP_3) | instskip(NEXT) | instid1(VALU_DEP_1)
	v_rndne_f64_e32 v[19:20], v[19:20]
	v_fma_f64 v[21:22], v[19:20], s[22:23], v[17:18]
	v_cvt_i32_f64_e32 v6, v[19:20]
	s_delay_alu instid0(VALU_DEP_2) | instskip(NEXT) | instid1(VALU_DEP_1)
	v_fma_f64 v[21:22], v[19:20], s[24:25], v[21:22]
	v_fma_f64 v[23:24], v[21:22], s[28:29], s[26:27]
	s_delay_alu instid0(VALU_DEP_1) | instskip(NEXT) | instid1(VALU_DEP_1)
	v_fma_f64 v[23:24], v[21:22], v[23:24], s[30:31]
	v_fma_f64 v[23:24], v[21:22], v[23:24], s[34:35]
	s_delay_alu instid0(VALU_DEP_1) | instskip(NEXT) | instid1(VALU_DEP_1)
	v_fma_f64 v[23:24], v[21:22], v[23:24], s[36:37]
	v_fma_f64 v[23:24], v[21:22], v[23:24], s[38:39]
	s_delay_alu instid0(VALU_DEP_1) | instskip(NEXT) | instid1(VALU_DEP_1)
	v_fma_f64 v[23:24], v[21:22], v[23:24], s[40:41]
	v_fma_f64 v[23:24], v[21:22], v[23:24], s[42:43]
	s_delay_alu instid0(VALU_DEP_1) | instskip(NEXT) | instid1(VALU_DEP_1)
	v_fma_f64 v[23:24], v[21:22], v[23:24], s[44:45]
	v_fma_f64 v[23:24], v[21:22], v[23:24], s[46:47]
	s_delay_alu instid0(VALU_DEP_1) | instskip(NEXT) | instid1(VALU_DEP_1)
	v_fma_f64 v[23:24], v[21:22], v[23:24], 1.0
	v_fma_f64 v[19:20], v[21:22], v[23:24], 1.0
	s_delay_alu instid0(VALU_DEP_1) | instskip(NEXT) | instid1(VALU_DEP_1)
	v_ldexp_f64 v[19:20], v[19:20], v6
	v_cndmask_b32_e32 v6, 0x7ff00000, v20, vcc_lo
	s_and_b32 vcc_lo, s2, vcc_lo
	s_delay_alu instid0(VALU_DEP_2) | instskip(NEXT) | instid1(VALU_DEP_2)
	v_cndmask_b32_e32 v17, 0, v19, vcc_lo
	v_cndmask_b32_e64 v18, 0, v6, s2
	v_add_co_u32 v15, s2, s8, v15
	s_delay_alu instid0(VALU_DEP_1) | instskip(SKIP_1) | instid1(VALU_DEP_3)
	v_add_co_ci_u32_e64 v16, s2, s9, v16, s2
	s_waitcnt lgkmcnt(0)
	v_div_scale_f64 v[19:20], null, v[3:4], v[3:4], v[17:18]
	s_delay_alu instid0(VALU_DEP_1) | instskip(SKIP_2) | instid1(VALU_DEP_1)
	v_rcp_f64_e32 v[21:22], v[19:20]
	s_waitcnt_depctr 0xfff
	v_fma_f64 v[23:24], -v[19:20], v[21:22], 1.0
	v_fma_f64 v[21:22], v[21:22], v[23:24], v[21:22]
	s_delay_alu instid0(VALU_DEP_1) | instskip(NEXT) | instid1(VALU_DEP_1)
	v_fma_f64 v[23:24], -v[19:20], v[21:22], 1.0
	v_fma_f64 v[21:22], v[21:22], v[23:24], v[21:22]
	v_div_scale_f64 v[23:24], vcc_lo, v[17:18], v[3:4], v[17:18]
	s_delay_alu instid0(VALU_DEP_1) | instskip(NEXT) | instid1(VALU_DEP_1)
	v_mul_f64 v[25:26], v[23:24], v[21:22]
	v_fma_f64 v[19:20], -v[19:20], v[25:26], v[23:24]
	s_delay_alu instid0(VALU_DEP_1) | instskip(SKIP_2) | instid1(VALU_DEP_2)
	v_div_fmas_f64 v[19:20], v[19:20], v[21:22], v[25:26]
	v_cmp_le_i32_e32 vcc_lo, s5, v14
	s_or_b32 s51, vcc_lo, s51
	v_div_fixup_f64 v[17:18], v[19:20], v[3:4], v[17:18]
	global_store_b64 v[15:16], v[17:18], off
	s_and_not1_b32 exec_lo, exec_lo, s51
	s_cbranch_execnz .LBB510_39
	s_branch .LBB510_5
.LBB510_40:
	s_nop 0
	s_sendmsg sendmsg(MSG_DEALLOC_VGPRS)
	s_endpgm
	.section	.rodata,"a",@progbits
	.p2align	6, 0x0
	.amdhsa_kernel _ZN2at6native12_GLOBAL__N_126cunn_SpatialSoftMaxForwardIdddiNS1_22SoftMaxForwardEpilogueEEEvPT1_PKT_T2_S9_S9_
		.amdhsa_group_segment_fixed_size 0
		.amdhsa_private_segment_fixed_size 0
		.amdhsa_kernarg_size 288
		.amdhsa_user_sgpr_count 14
		.amdhsa_user_sgpr_dispatch_ptr 0
		.amdhsa_user_sgpr_queue_ptr 0
		.amdhsa_user_sgpr_kernarg_segment_ptr 1
		.amdhsa_user_sgpr_dispatch_id 0
		.amdhsa_user_sgpr_private_segment_size 0
		.amdhsa_wavefront_size32 1
		.amdhsa_uses_dynamic_stack 0
		.amdhsa_enable_private_segment 0
		.amdhsa_system_sgpr_workgroup_id_x 1
		.amdhsa_system_sgpr_workgroup_id_y 1
		.amdhsa_system_sgpr_workgroup_id_z 0
		.amdhsa_system_sgpr_workgroup_info 0
		.amdhsa_system_vgpr_workitem_id 1
		.amdhsa_next_free_vgpr 27
		.amdhsa_next_free_sgpr 52
		.amdhsa_reserve_vcc 1
		.amdhsa_float_round_mode_32 0
		.amdhsa_float_round_mode_16_64 0
		.amdhsa_float_denorm_mode_32 3
		.amdhsa_float_denorm_mode_16_64 3
		.amdhsa_dx10_clamp 1
		.amdhsa_ieee_mode 1
		.amdhsa_fp16_overflow 0
		.amdhsa_workgroup_processor_mode 1
		.amdhsa_memory_ordered 1
		.amdhsa_forward_progress 0
		.amdhsa_shared_vgpr_count 0
		.amdhsa_exception_fp_ieee_invalid_op 0
		.amdhsa_exception_fp_denorm_src 0
		.amdhsa_exception_fp_ieee_div_zero 0
		.amdhsa_exception_fp_ieee_overflow 0
		.amdhsa_exception_fp_ieee_underflow 0
		.amdhsa_exception_fp_ieee_inexact 0
		.amdhsa_exception_int_div_zero 0
	.end_amdhsa_kernel
	.section	.text._ZN2at6native12_GLOBAL__N_126cunn_SpatialSoftMaxForwardIdddiNS1_22SoftMaxForwardEpilogueEEEvPT1_PKT_T2_S9_S9_,"axG",@progbits,_ZN2at6native12_GLOBAL__N_126cunn_SpatialSoftMaxForwardIdddiNS1_22SoftMaxForwardEpilogueEEEvPT1_PKT_T2_S9_S9_,comdat
.Lfunc_end510:
	.size	_ZN2at6native12_GLOBAL__N_126cunn_SpatialSoftMaxForwardIdddiNS1_22SoftMaxForwardEpilogueEEEvPT1_PKT_T2_S9_S9_, .Lfunc_end510-_ZN2at6native12_GLOBAL__N_126cunn_SpatialSoftMaxForwardIdddiNS1_22SoftMaxForwardEpilogueEEEvPT1_PKT_T2_S9_S9_
                                        ; -- End function
	.section	.AMDGPU.csdata,"",@progbits
; Kernel info:
; codeLenInByte = 2728
; NumSgprs: 54
; NumVgprs: 27
; ScratchSize: 0
; MemoryBound: 0
; FloatMode: 240
; IeeeMode: 1
; LDSByteSize: 0 bytes/workgroup (compile time only)
; SGPRBlocks: 6
; VGPRBlocks: 3
; NumSGPRsForWavesPerEU: 54
; NumVGPRsForWavesPerEU: 27
; Occupancy: 16
; WaveLimiterHint : 0
; COMPUTE_PGM_RSRC2:SCRATCH_EN: 0
; COMPUTE_PGM_RSRC2:USER_SGPR: 14
; COMPUTE_PGM_RSRC2:TRAP_HANDLER: 0
; COMPUTE_PGM_RSRC2:TGID_X_EN: 1
; COMPUTE_PGM_RSRC2:TGID_Y_EN: 1
; COMPUTE_PGM_RSRC2:TGID_Z_EN: 0
; COMPUTE_PGM_RSRC2:TIDIG_COMP_CNT: 1
	.section	.text._ZN2at6native12_GLOBAL__N_126cunn_SpatialSoftMaxForwardIdddlNS1_22SoftMaxForwardEpilogueEEEvPT1_PKT_T2_S9_S9_,"axG",@progbits,_ZN2at6native12_GLOBAL__N_126cunn_SpatialSoftMaxForwardIdddlNS1_22SoftMaxForwardEpilogueEEEvPT1_PKT_T2_S9_S9_,comdat
	.globl	_ZN2at6native12_GLOBAL__N_126cunn_SpatialSoftMaxForwardIdddlNS1_22SoftMaxForwardEpilogueEEEvPT1_PKT_T2_S9_S9_ ; -- Begin function _ZN2at6native12_GLOBAL__N_126cunn_SpatialSoftMaxForwardIdddlNS1_22SoftMaxForwardEpilogueEEEvPT1_PKT_T2_S9_S9_
	.p2align	8
	.type	_ZN2at6native12_GLOBAL__N_126cunn_SpatialSoftMaxForwardIdddlNS1_22SoftMaxForwardEpilogueEEEvPT1_PKT_T2_S9_S9_,@function
_ZN2at6native12_GLOBAL__N_126cunn_SpatialSoftMaxForwardIdddlNS1_22SoftMaxForwardEpilogueEEEvPT1_PKT_T2_S9_S9_: ; @_ZN2at6native12_GLOBAL__N_126cunn_SpatialSoftMaxForwardIdddlNS1_22SoftMaxForwardEpilogueEEEvPT1_PKT_T2_S9_S9_
; %bb.0:
	s_load_b256 s[4:11], s[0:1], 0x0
	s_mov_b32 s2, s15
	s_mov_b32 s15, 0
	s_waitcnt lgkmcnt(0)
	v_cmp_ge_i64_e64 s3, s[14:15], s[8:9]
	s_delay_alu instid0(VALU_DEP_1)
	s_and_b32 vcc_lo, exec_lo, s3
	s_cbranch_vccnz .LBB511_40
; %bb.1:
	s_clause 0x1
	s_load_b32 s3, s[0:1], 0x34
	s_load_b128 s[16:19], s[0:1], 0x20
	v_bfe_u32 v1, v0, 10, 10
	v_and_b32_e32 v2, 0x3ff, v0
	s_add_u32 s12, s0, 40
	s_addc_u32 s13, s1, 0
	s_mov_b32 s21, s15
	s_mov_b32 s22, -1
	s_mov_b32 s24, 0x652b82fe
	s_mov_b32 s26, 0xfefa39ef
	;; [unrolled: 1-line block ×12, first 2 shown]
	s_waitcnt lgkmcnt(0)
	s_lshr_b32 s0, s3, 16
	s_mul_i32 s1, s16, s10
	v_mad_u64_u32 v[4:5], null, s2, s0, v[1:2]
	v_mov_b32_e32 v5, 0
	v_mad_u64_u32 v[6:7], null, s16, v2, 0
	s_mul_i32 s2, s16, s11
	s_mul_hi_u32 s3, s16, s10
	s_delay_alu instid0(VALU_DEP_2) | instskip(NEXT) | instid1(VALU_DEP_4)
	v_mov_b32_e32 v3, v5
	v_mad_u64_u32 v[8:9], null, s1, s14, v[4:5]
	s_mul_i32 s20, s17, s10
	s_delay_alu instid0(VALU_DEP_3) | instskip(NEXT) | instid1(VALU_DEP_3)
	v_mov_b32_e32 v0, v7
	v_mad_u64_u32 v[10:11], null, s10, s14, v[2:3]
	s_add_i32 s2, s3, s2
	s_mov_b32 s23, 0xffefffff
	s_delay_alu instid0(VALU_DEP_3) | instskip(SKIP_2) | instid1(VALU_DEP_3)
	v_mov_b32_e32 v7, v9
	v_mad_u64_u32 v[12:13], null, s17, v2, v[0:1]
	s_add_i32 s3, s2, s20
	v_mov_b32_e32 v0, v11
	s_delay_alu instid0(VALU_DEP_3) | instskip(SKIP_2) | instid1(VALU_DEP_2)
	v_mad_u64_u32 v[13:14], null, s3, s14, v[7:8]
	s_mul_i32 s20, s19, s0
	s_mul_hi_u32 s0, s1, s18
	v_mad_u64_u32 v[14:15], null, s11, s14, v[0:1]
	s_delay_alu instid0(VALU_DEP_4) | instskip(SKIP_3) | instid1(VALU_DEP_4)
	v_mov_b32_e32 v7, v12
	v_mad_u64_u32 v[11:12], null, s16, v10, v[4:5]
	v_mul_lo_u32 v0, s17, v10
	v_mov_b32_e32 v9, v13
	v_lshlrev_b64 v[6:7], 3, v[6:7]
	v_mul_lo_u32 v10, s16, v14
	s_mul_i32 s3, s3, s18
	s_mul_i32 s2, s1, s18
	v_lshlrev_b64 v[8:9], 3, v[8:9]
	s_add_i32 s3, s0, s3
	v_cmp_gt_i64_e64 s0, s[16:17], v[4:5]
	v_cmp_gt_i64_e64 s1, s[10:11], v[2:3]
	s_mov_b32 s25, 0x3ff71547
	v_add3_u32 v12, v0, v12, v10
	v_add_co_u32 v0, vcc_lo, v6, v8
	v_add_co_ci_u32_e32 v7, vcc_lo, v7, v9, vcc_lo
	s_delay_alu instid0(VALU_DEP_3) | instskip(NEXT) | instid1(VALU_DEP_3)
	v_lshlrev_b64 v[10:11], 3, v[11:12]
	v_add_co_u32 v6, vcc_lo, s6, v0
	s_delay_alu instid0(VALU_DEP_3) | instskip(SKIP_1) | instid1(VALU_DEP_3)
	v_add_co_ci_u32_e32 v7, vcc_lo, s7, v7, vcc_lo
	s_mov_b32 s27, 0xbfe62e42
	v_add_co_u32 v8, vcc_lo, s6, v10
	s_delay_alu instid0(VALU_DEP_4)
	v_add_co_ci_u32_e32 v9, vcc_lo, s7, v11, vcc_lo
	v_add_co_u32 v10, vcc_lo, s4, v10
	v_add_co_ci_u32_e32 v11, vcc_lo, s5, v11, vcc_lo
	s_mov_b32 s6, 0x623fde64
	s_mov_b32 s29, 0xbc7abc9e
	;; [unrolled: 1-line block ×12, first 2 shown]
	s_lshl_b64 s[4:5], s[2:3], 3
	s_lshl_b64 s[50:51], s[20:21], 3
	;; [unrolled: 1-line block ×3, first 2 shown]
	s_branch .LBB511_3
.LBB511_2:                              ;   in Loop: Header=BB511_3 Depth=1
	s_or_b32 exec_lo, exec_lo, s19
	v_add_co_u32 v6, vcc_lo, v6, s4
	s_add_u32 s14, s14, s18
	v_add_co_ci_u32_e32 v7, vcc_lo, s5, v7, vcc_lo
	s_addc_u32 s15, s15, 0
	v_add_co_u32 v8, vcc_lo, v8, s4
	v_cmp_ge_i64_e64 s2, s[14:15], s[8:9]
	v_add_co_ci_u32_e32 v9, vcc_lo, s5, v9, vcc_lo
	v_add_co_u32 v10, vcc_lo, v10, s4
	v_add_co_ci_u32_e32 v11, vcc_lo, s5, v11, vcc_lo
	s_delay_alu instid0(VALU_DEP_4)
	s_and_b32 vcc_lo, exec_lo, s2
	s_cbranch_vccnz .LBB511_40
.LBB511_3:                              ; =>This Loop Header: Depth=1
                                        ;     Child Loop BB511_7 Depth 2
                                        ;       Child Loop BB511_10 Depth 3
                                        ;       Child Loop BB511_14 Depth 3
	;; [unrolled: 1-line block ×8, first 2 shown]
	s_and_saveexec_b32 s19, s0
	s_cbranch_execz .LBB511_2
; %bb.4:                                ;   in Loop: Header=BB511_3 Depth=1
	s_load_b32 s2, s[12:13], 0xc
	v_dual_mov_b32 v13, v11 :: v_dual_mov_b32 v12, v10
	v_dual_mov_b32 v15, v9 :: v_dual_mov_b32 v14, v8
	;; [unrolled: 1-line block ×4, first 2 shown]
	s_mov_b32 s58, 0
	s_waitcnt lgkmcnt(0)
	s_and_b32 s21, s2, 0xffff
	v_cmp_lt_u16_e64 s33, s2, 2
	v_mul_u32_u24_e32 v0, s21, v1
	s_mul_i32 s2, s53, s21
	s_mul_hi_u32 s3, s52, s21
	s_mul_i32 s57, s52, s21
	s_add_i32 s56, s3, s2
	v_lshl_add_u32 v0, v0, 3, 0
	s_delay_alu instid0(VALU_DEP_1)
	v_lshl_add_u32 v28, v2, 3, v0
	s_branch .LBB511_7
.LBB511_5:                              ;   in Loop: Header=BB511_7 Depth=2
	s_or_b32 exec_lo, exec_lo, s3
.LBB511_6:                              ;   in Loop: Header=BB511_7 Depth=2
	v_add_co_u32 v18, vcc_lo, v18, s20
	v_add_co_ci_u32_e32 v19, vcc_lo, 0, v19, vcc_lo
	v_add_co_u32 v16, vcc_lo, v16, s50
	v_add_co_ci_u32_e32 v17, vcc_lo, s51, v17, vcc_lo
	;; [unrolled: 2-line block ×3, first 2 shown]
	v_cmp_le_i64_e32 vcc_lo, s[16:17], v[18:19]
	v_add_co_u32 v12, s2, v12, s50
	s_delay_alu instid0(VALU_DEP_1) | instskip(SKIP_1) | instid1(SALU_CYCLE_1)
	v_add_co_ci_u32_e64 v13, s2, s51, v13, s2
	s_or_b32 s58, vcc_lo, s58
	s_and_not1_b32 exec_lo, exec_lo, s58
	s_cbranch_execz .LBB511_2
.LBB511_7:                              ;   Parent Loop BB511_3 Depth=1
                                        ; =>  This Loop Header: Depth=2
                                        ;       Child Loop BB511_10 Depth 3
                                        ;       Child Loop BB511_14 Depth 3
	;; [unrolled: 1-line block ×8, first 2 shown]
	s_and_b32 vcc_lo, exec_lo, s33
	s_mov_b32 s2, -1
	s_cbranch_vccz .LBB511_20
; %bb.8:                                ;   in Loop: Header=BB511_7 Depth=2
	v_dual_mov_b32 v20, s22 :: v_dual_mov_b32 v21, s23
	s_and_saveexec_b32 s54, s1
	s_cbranch_execz .LBB511_12
; %bb.9:                                ;   in Loop: Header=BB511_7 Depth=2
	v_dual_mov_b32 v20, s22 :: v_dual_mov_b32 v21, s23
	v_dual_mov_b32 v23, v17 :: v_dual_mov_b32 v22, v16
	;; [unrolled: 1-line block ×3, first 2 shown]
	s_mov_b32 s55, 0
	.p2align	6
.LBB511_10:                             ;   Parent Loop BB511_3 Depth=1
                                        ;     Parent Loop BB511_7 Depth=2
                                        ; =>    This Inner Loop Header: Depth=3
	global_load_b64 v[26:27], v[22:23], off
	v_add_co_u32 v24, s2, v24, s21
	s_delay_alu instid0(VALU_DEP_1) | instskip(SKIP_1) | instid1(VALU_DEP_1)
	v_add_co_ci_u32_e64 v25, s2, 0, v25, s2
	v_add_co_u32 v22, s2, v22, s57
	v_add_co_ci_u32_e64 v23, s2, s56, v23, s2
	s_delay_alu instid0(VALU_DEP_3) | instskip(NEXT) | instid1(VALU_DEP_1)
	v_cmp_le_i64_e64 s3, s[10:11], v[24:25]
	s_or_b32 s55, s3, s55
	s_waitcnt vmcnt(0)
	v_cmp_lt_f64_e32 vcc_lo, v[20:21], v[26:27]
	v_dual_cndmask_b32 v21, v21, v27 :: v_dual_cndmask_b32 v20, v20, v26
	s_and_not1_b32 exec_lo, exec_lo, s55
	s_cbranch_execnz .LBB511_10
; %bb.11:                               ;   in Loop: Header=BB511_7 Depth=2
	s_or_b32 exec_lo, exec_lo, s55
.LBB511_12:                             ;   in Loop: Header=BB511_7 Depth=2
	s_delay_alu instid0(SALU_CYCLE_1)
	s_or_b32 exec_lo, exec_lo, s54
	v_mov_b32_e32 v22, 0
	v_mov_b32_e32 v23, 0
	s_and_saveexec_b32 s3, s1
	s_cbranch_execz .LBB511_16
; %bb.13:                               ;   in Loop: Header=BB511_7 Depth=2
	v_dual_mov_b32 v22, 0 :: v_dual_mov_b32 v25, v17
	v_dual_mov_b32 v23, 0 :: v_dual_mov_b32 v24, v16
	;; [unrolled: 1-line block ×3, first 2 shown]
	s_mov_b32 s54, 0
.LBB511_14:                             ;   Parent Loop BB511_3 Depth=1
                                        ;     Parent Loop BB511_7 Depth=2
                                        ; =>    This Inner Loop Header: Depth=3
	global_load_b64 v[29:30], v[24:25], off
	s_waitcnt vmcnt(0)
	v_add_f64 v[29:30], v[29:30], -v[20:21]
	s_delay_alu instid0(VALU_DEP_1) | instskip(SKIP_2) | instid1(VALU_DEP_3)
	v_mul_f64 v[31:32], v[29:30], s[24:25]
	v_cmp_nlt_f64_e32 vcc_lo, 0x40900000, v[29:30]
	v_cmp_ngt_f64_e64 s2, 0xc090cc00, v[29:30]
	v_rndne_f64_e32 v[31:32], v[31:32]
	s_delay_alu instid0(VALU_DEP_1) | instskip(SKIP_1) | instid1(VALU_DEP_2)
	v_fma_f64 v[33:34], v[31:32], s[26:27], v[29:30]
	v_cvt_i32_f64_e32 v37, v[31:32]
	v_fma_f64 v[33:34], v[31:32], s[28:29], v[33:34]
	s_delay_alu instid0(VALU_DEP_1) | instskip(NEXT) | instid1(VALU_DEP_1)
	v_fma_f64 v[35:36], v[33:34], s[34:35], s[30:31]
	v_fma_f64 v[35:36], v[33:34], v[35:36], s[6:7]
	s_delay_alu instid0(VALU_DEP_1) | instskip(NEXT) | instid1(VALU_DEP_1)
	v_fma_f64 v[35:36], v[33:34], v[35:36], s[36:37]
	;; [unrolled: 3-line block ×5, first 2 shown]
	v_fma_f64 v[35:36], v[33:34], v[35:36], 1.0
	s_delay_alu instid0(VALU_DEP_1) | instskip(NEXT) | instid1(VALU_DEP_1)
	v_fma_f64 v[31:32], v[33:34], v[35:36], 1.0
	v_ldexp_f64 v[31:32], v[31:32], v37
	s_delay_alu instid0(VALU_DEP_1) | instskip(SKIP_1) | instid1(VALU_DEP_2)
	v_cndmask_b32_e32 v32, 0x7ff00000, v32, vcc_lo
	s_and_b32 vcc_lo, s2, vcc_lo
	v_cndmask_b32_e32 v29, 0, v31, vcc_lo
	v_add_co_u32 v26, vcc_lo, v26, s21
	s_delay_alu instid0(VALU_DEP_3) | instskip(SKIP_2) | instid1(VALU_DEP_3)
	v_cndmask_b32_e64 v30, 0, v32, s2
	v_add_co_ci_u32_e32 v27, vcc_lo, 0, v27, vcc_lo
	v_add_co_u32 v24, s2, v24, s57
	v_add_f64 v[22:23], v[22:23], v[29:30]
	s_delay_alu instid0(VALU_DEP_3) | instskip(SKIP_2) | instid1(SALU_CYCLE_1)
	v_cmp_le_i64_e32 vcc_lo, s[10:11], v[26:27]
	v_add_co_ci_u32_e64 v25, s2, s56, v25, s2
	s_or_b32 s54, vcc_lo, s54
	s_and_not1_b32 exec_lo, exec_lo, s54
	s_cbranch_execnz .LBB511_14
; %bb.15:                               ;   in Loop: Header=BB511_7 Depth=2
	s_or_b32 exec_lo, exec_lo, s54
.LBB511_16:                             ;   in Loop: Header=BB511_7 Depth=2
	s_delay_alu instid0(SALU_CYCLE_1)
	s_or_b32 exec_lo, exec_lo, s3
	s_and_saveexec_b32 s3, s1
	s_cbranch_execz .LBB511_19
; %bb.17:                               ;   in Loop: Header=BB511_7 Depth=2
	v_dual_mov_b32 v25, v3 :: v_dual_mov_b32 v24, v2
	s_mov_b64 s[54:55], 0
	s_mov_b32 s59, 0
.LBB511_18:                             ;   Parent Loop BB511_3 Depth=1
                                        ;     Parent Loop BB511_7 Depth=2
                                        ; =>    This Inner Loop Header: Depth=3
	v_add_co_u32 v26, vcc_lo, v14, s54
	v_add_co_ci_u32_e32 v27, vcc_lo, s55, v15, vcc_lo
	global_load_b64 v[26:27], v[26:27], off
	s_waitcnt vmcnt(0)
	v_add_f64 v[26:27], v[26:27], -v[20:21]
	s_delay_alu instid0(VALU_DEP_1) | instskip(SKIP_2) | instid1(VALU_DEP_3)
	v_mul_f64 v[29:30], v[26:27], s[24:25]
	v_cmp_nlt_f64_e32 vcc_lo, 0x40900000, v[26:27]
	v_cmp_ngt_f64_e64 s2, 0xc090cc00, v[26:27]
	v_rndne_f64_e32 v[29:30], v[29:30]
	s_delay_alu instid0(VALU_DEP_1) | instskip(SKIP_1) | instid1(VALU_DEP_2)
	v_fma_f64 v[31:32], v[29:30], s[26:27], v[26:27]
	v_cvt_i32_f64_e32 v35, v[29:30]
	v_fma_f64 v[31:32], v[29:30], s[28:29], v[31:32]
	s_delay_alu instid0(VALU_DEP_1) | instskip(NEXT) | instid1(VALU_DEP_1)
	v_fma_f64 v[33:34], v[31:32], s[34:35], s[30:31]
	v_fma_f64 v[33:34], v[31:32], v[33:34], s[6:7]
	s_delay_alu instid0(VALU_DEP_1) | instskip(NEXT) | instid1(VALU_DEP_1)
	v_fma_f64 v[33:34], v[31:32], v[33:34], s[36:37]
	;; [unrolled: 3-line block ×5, first 2 shown]
	v_fma_f64 v[33:34], v[31:32], v[33:34], 1.0
	s_delay_alu instid0(VALU_DEP_1) | instskip(NEXT) | instid1(VALU_DEP_1)
	v_fma_f64 v[29:30], v[31:32], v[33:34], 1.0
	v_ldexp_f64 v[29:30], v[29:30], v35
	s_delay_alu instid0(VALU_DEP_1) | instskip(SKIP_1) | instid1(VALU_DEP_2)
	v_cndmask_b32_e32 v30, 0x7ff00000, v30, vcc_lo
	s_and_b32 vcc_lo, s2, vcc_lo
	v_cndmask_b32_e32 v26, 0, v29, vcc_lo
	s_delay_alu instid0(VALU_DEP_2) | instskip(NEXT) | instid1(VALU_DEP_1)
	v_cndmask_b32_e64 v27, 0, v30, s2
	v_div_scale_f64 v[29:30], null, v[22:23], v[22:23], v[26:27]
	v_div_scale_f64 v[35:36], vcc_lo, v[26:27], v[22:23], v[26:27]
	s_delay_alu instid0(VALU_DEP_2) | instskip(SKIP_2) | instid1(VALU_DEP_1)
	v_rcp_f64_e32 v[31:32], v[29:30]
	s_waitcnt_depctr 0xfff
	v_fma_f64 v[33:34], -v[29:30], v[31:32], 1.0
	v_fma_f64 v[31:32], v[31:32], v[33:34], v[31:32]
	s_delay_alu instid0(VALU_DEP_1) | instskip(NEXT) | instid1(VALU_DEP_1)
	v_fma_f64 v[33:34], -v[29:30], v[31:32], 1.0
	v_fma_f64 v[31:32], v[31:32], v[33:34], v[31:32]
	s_delay_alu instid0(VALU_DEP_1) | instskip(NEXT) | instid1(VALU_DEP_1)
	v_mul_f64 v[33:34], v[35:36], v[31:32]
	v_fma_f64 v[29:30], -v[29:30], v[33:34], v[35:36]
	s_delay_alu instid0(VALU_DEP_1) | instskip(SKIP_2) | instid1(VALU_DEP_1)
	v_div_fmas_f64 v[29:30], v[29:30], v[31:32], v[33:34]
	v_add_co_u32 v24, vcc_lo, v24, s21
	v_add_co_ci_u32_e32 v25, vcc_lo, 0, v25, vcc_lo
	v_cmp_le_i64_e32 vcc_lo, s[10:11], v[24:25]
	s_delay_alu instid0(VALU_DEP_4) | instskip(SKIP_1) | instid1(VALU_DEP_1)
	v_div_fixup_f64 v[26:27], v[29:30], v[22:23], v[26:27]
	v_add_co_u32 v29, s2, v12, s54
	v_add_co_ci_u32_e64 v30, s2, s55, v13, s2
	s_add_u32 s54, s54, s57
	s_addc_u32 s55, s55, s56
	s_or_b32 s59, vcc_lo, s59
	global_store_b64 v[29:30], v[26:27], off
	s_and_not1_b32 exec_lo, exec_lo, s59
	s_cbranch_execnz .LBB511_18
.LBB511_19:                             ;   in Loop: Header=BB511_7 Depth=2
	s_or_b32 exec_lo, exec_lo, s3
	s_mov_b32 s2, 0
.LBB511_20:                             ;   in Loop: Header=BB511_7 Depth=2
	s_delay_alu instid0(SALU_CYCLE_1)
	s_and_b32 vcc_lo, exec_lo, s2
	s_cbranch_vccz .LBB511_6
; %bb.21:                               ;   in Loop: Header=BB511_7 Depth=2
	v_dual_mov_b32 v20, s22 :: v_dual_mov_b32 v21, s23
	s_and_saveexec_b32 s54, s1
	s_cbranch_execz .LBB511_25
; %bb.22:                               ;   in Loop: Header=BB511_7 Depth=2
	v_dual_mov_b32 v20, s22 :: v_dual_mov_b32 v21, s23
	v_dual_mov_b32 v23, v17 :: v_dual_mov_b32 v22, v16
	;; [unrolled: 1-line block ×3, first 2 shown]
	s_mov_b32 s55, 0
	.p2align	6
.LBB511_23:                             ;   Parent Loop BB511_3 Depth=1
                                        ;     Parent Loop BB511_7 Depth=2
                                        ; =>    This Inner Loop Header: Depth=3
	global_load_b64 v[26:27], v[22:23], off
	v_add_co_u32 v24, s2, v24, s21
	s_delay_alu instid0(VALU_DEP_1) | instskip(SKIP_1) | instid1(VALU_DEP_1)
	v_add_co_ci_u32_e64 v25, s2, 0, v25, s2
	v_add_co_u32 v22, s2, v22, s57
	v_add_co_ci_u32_e64 v23, s2, s56, v23, s2
	s_delay_alu instid0(VALU_DEP_3) | instskip(NEXT) | instid1(VALU_DEP_1)
	v_cmp_le_i64_e64 s3, s[10:11], v[24:25]
	s_or_b32 s55, s3, s55
	s_waitcnt vmcnt(0)
	v_cmp_lt_f64_e32 vcc_lo, v[20:21], v[26:27]
	v_dual_cndmask_b32 v21, v21, v27 :: v_dual_cndmask_b32 v20, v20, v26
	s_and_not1_b32 exec_lo, exec_lo, s55
	s_cbranch_execnz .LBB511_23
; %bb.24:                               ;   in Loop: Header=BB511_7 Depth=2
	s_or_b32 exec_lo, exec_lo, s55
.LBB511_25:                             ;   in Loop: Header=BB511_7 Depth=2
	s_delay_alu instid0(SALU_CYCLE_1)
	s_or_b32 exec_lo, exec_lo, s54
	s_mov_b32 s2, s21
	s_waitcnt_vscnt null, 0x0
	s_barrier
	buffer_gl0_inv
	ds_store_b64 v28, v[20:21]
	s_branch .LBB511_27
	.p2align	6
.LBB511_26:                             ;   in Loop: Header=BB511_27 Depth=3
	s_or_b32 exec_lo, exec_lo, s54
	s_cmp_gt_u32 s2, 3
	s_mov_b32 s2, s3
	s_cbranch_scc0 .LBB511_29
.LBB511_27:                             ;   Parent Loop BB511_3 Depth=1
                                        ;     Parent Loop BB511_7 Depth=2
                                        ; =>    This Inner Loop Header: Depth=3
	s_lshr_b32 s3, s2, 1
	s_mov_b32 s54, exec_lo
	s_waitcnt lgkmcnt(0)
	s_barrier
	buffer_gl0_inv
	v_cmpx_gt_u32_e64 s3, v2
	s_cbranch_execz .LBB511_26
; %bb.28:                               ;   in Loop: Header=BB511_27 Depth=3
	v_lshl_add_u32 v22, s3, 3, v28
	ds_load_b64 v[20:21], v28
	ds_load_b64 v[22:23], v22
	s_waitcnt lgkmcnt(0)
	v_cmp_lt_f64_e32 vcc_lo, v[20:21], v[22:23]
	v_dual_cndmask_b32 v21, v21, v23 :: v_dual_cndmask_b32 v20, v20, v22
	ds_store_b64 v28, v[20:21]
	s_branch .LBB511_26
.LBB511_29:                             ;   in Loop: Header=BB511_7 Depth=2
	s_waitcnt lgkmcnt(0)
	s_barrier
	buffer_gl0_inv
	ds_load_b64 v[20:21], v0
	v_mov_b32_e32 v22, 0
	v_mov_b32_e32 v23, 0
	s_and_saveexec_b32 s3, s1
	s_cbranch_execz .LBB511_33
; %bb.30:                               ;   in Loop: Header=BB511_7 Depth=2
	v_dual_mov_b32 v22, 0 :: v_dual_mov_b32 v25, v17
	v_dual_mov_b32 v23, 0 :: v_dual_mov_b32 v24, v16
	v_dual_mov_b32 v27, v3 :: v_dual_mov_b32 v26, v2
	s_mov_b32 s54, 0
.LBB511_31:                             ;   Parent Loop BB511_3 Depth=1
                                        ;     Parent Loop BB511_7 Depth=2
                                        ; =>    This Inner Loop Header: Depth=3
	global_load_b64 v[29:30], v[24:25], off
	s_waitcnt vmcnt(0) lgkmcnt(0)
	v_add_f64 v[29:30], v[29:30], -v[20:21]
	s_delay_alu instid0(VALU_DEP_1) | instskip(SKIP_2) | instid1(VALU_DEP_3)
	v_mul_f64 v[31:32], v[29:30], s[24:25]
	v_cmp_nlt_f64_e32 vcc_lo, 0x40900000, v[29:30]
	v_cmp_ngt_f64_e64 s2, 0xc090cc00, v[29:30]
	v_rndne_f64_e32 v[31:32], v[31:32]
	s_delay_alu instid0(VALU_DEP_1) | instskip(SKIP_1) | instid1(VALU_DEP_2)
	v_fma_f64 v[33:34], v[31:32], s[26:27], v[29:30]
	v_cvt_i32_f64_e32 v37, v[31:32]
	v_fma_f64 v[33:34], v[31:32], s[28:29], v[33:34]
	s_delay_alu instid0(VALU_DEP_1) | instskip(NEXT) | instid1(VALU_DEP_1)
	v_fma_f64 v[35:36], v[33:34], s[34:35], s[30:31]
	v_fma_f64 v[35:36], v[33:34], v[35:36], s[6:7]
	s_delay_alu instid0(VALU_DEP_1) | instskip(NEXT) | instid1(VALU_DEP_1)
	v_fma_f64 v[35:36], v[33:34], v[35:36], s[36:37]
	;; [unrolled: 3-line block ×5, first 2 shown]
	v_fma_f64 v[35:36], v[33:34], v[35:36], 1.0
	s_delay_alu instid0(VALU_DEP_1) | instskip(NEXT) | instid1(VALU_DEP_1)
	v_fma_f64 v[31:32], v[33:34], v[35:36], 1.0
	v_ldexp_f64 v[31:32], v[31:32], v37
	s_delay_alu instid0(VALU_DEP_1) | instskip(SKIP_1) | instid1(VALU_DEP_2)
	v_cndmask_b32_e32 v32, 0x7ff00000, v32, vcc_lo
	s_and_b32 vcc_lo, s2, vcc_lo
	v_cndmask_b32_e32 v29, 0, v31, vcc_lo
	v_add_co_u32 v26, vcc_lo, v26, s21
	s_delay_alu instid0(VALU_DEP_3) | instskip(SKIP_2) | instid1(VALU_DEP_3)
	v_cndmask_b32_e64 v30, 0, v32, s2
	v_add_co_ci_u32_e32 v27, vcc_lo, 0, v27, vcc_lo
	v_add_co_u32 v24, s2, v24, s57
	v_add_f64 v[22:23], v[22:23], v[29:30]
	s_delay_alu instid0(VALU_DEP_3) | instskip(SKIP_2) | instid1(SALU_CYCLE_1)
	v_cmp_le_i64_e32 vcc_lo, s[10:11], v[26:27]
	v_add_co_ci_u32_e64 v25, s2, s56, v25, s2
	s_or_b32 s54, vcc_lo, s54
	s_and_not1_b32 exec_lo, exec_lo, s54
	s_cbranch_execnz .LBB511_31
; %bb.32:                               ;   in Loop: Header=BB511_7 Depth=2
	s_or_b32 exec_lo, exec_lo, s54
.LBB511_33:                             ;   in Loop: Header=BB511_7 Depth=2
	s_delay_alu instid0(SALU_CYCLE_1)
	s_or_b32 exec_lo, exec_lo, s3
	s_mov_b32 s2, s21
	s_waitcnt lgkmcnt(0)
	s_barrier
	buffer_gl0_inv
	ds_store_b64 v28, v[22:23]
	s_branch .LBB511_35
	.p2align	6
.LBB511_34:                             ;   in Loop: Header=BB511_35 Depth=3
	s_or_b32 exec_lo, exec_lo, s54
	s_cmp_gt_u32 s2, 3
	s_mov_b32 s2, s3
	s_cbranch_scc0 .LBB511_37
.LBB511_35:                             ;   Parent Loop BB511_3 Depth=1
                                        ;     Parent Loop BB511_7 Depth=2
                                        ; =>    This Inner Loop Header: Depth=3
	s_lshr_b32 s3, s2, 1
	s_mov_b32 s54, exec_lo
	s_waitcnt lgkmcnt(0)
	s_barrier
	buffer_gl0_inv
	v_cmpx_gt_u32_e64 s3, v2
	s_cbranch_execz .LBB511_34
; %bb.36:                               ;   in Loop: Header=BB511_35 Depth=3
	v_lshl_add_u32 v24, s3, 3, v28
	ds_load_b64 v[22:23], v28
	ds_load_b64 v[24:25], v24
	s_waitcnt lgkmcnt(0)
	v_add_f64 v[22:23], v[22:23], v[24:25]
	ds_store_b64 v28, v[22:23]
	s_branch .LBB511_34
.LBB511_37:                             ;   in Loop: Header=BB511_7 Depth=2
	s_waitcnt lgkmcnt(0)
	s_barrier
	buffer_gl0_inv
	s_and_saveexec_b32 s3, s1
	s_cbranch_execz .LBB511_5
; %bb.38:                               ;   in Loop: Header=BB511_7 Depth=2
	ds_load_b64 v[22:23], v0
	v_dual_mov_b32 v25, v3 :: v_dual_mov_b32 v24, v2
	s_mov_b64 s[54:55], 0
	s_mov_b32 s59, 0
.LBB511_39:                             ;   Parent Loop BB511_3 Depth=1
                                        ;     Parent Loop BB511_7 Depth=2
                                        ; =>    This Inner Loop Header: Depth=3
	v_add_co_u32 v26, vcc_lo, v14, s54
	v_add_co_ci_u32_e32 v27, vcc_lo, s55, v15, vcc_lo
	global_load_b64 v[26:27], v[26:27], off
	s_waitcnt vmcnt(0)
	v_add_f64 v[26:27], v[26:27], -v[20:21]
	s_delay_alu instid0(VALU_DEP_1) | instskip(SKIP_2) | instid1(VALU_DEP_3)
	v_mul_f64 v[29:30], v[26:27], s[24:25]
	v_cmp_nlt_f64_e32 vcc_lo, 0x40900000, v[26:27]
	v_cmp_ngt_f64_e64 s2, 0xc090cc00, v[26:27]
	v_rndne_f64_e32 v[29:30], v[29:30]
	s_delay_alu instid0(VALU_DEP_1) | instskip(SKIP_1) | instid1(VALU_DEP_2)
	v_fma_f64 v[31:32], v[29:30], s[26:27], v[26:27]
	v_cvt_i32_f64_e32 v35, v[29:30]
	v_fma_f64 v[31:32], v[29:30], s[28:29], v[31:32]
	s_delay_alu instid0(VALU_DEP_1) | instskip(NEXT) | instid1(VALU_DEP_1)
	v_fma_f64 v[33:34], v[31:32], s[34:35], s[30:31]
	v_fma_f64 v[33:34], v[31:32], v[33:34], s[6:7]
	s_delay_alu instid0(VALU_DEP_1) | instskip(NEXT) | instid1(VALU_DEP_1)
	v_fma_f64 v[33:34], v[31:32], v[33:34], s[36:37]
	;; [unrolled: 3-line block ×5, first 2 shown]
	v_fma_f64 v[33:34], v[31:32], v[33:34], 1.0
	s_delay_alu instid0(VALU_DEP_1) | instskip(NEXT) | instid1(VALU_DEP_1)
	v_fma_f64 v[29:30], v[31:32], v[33:34], 1.0
	v_ldexp_f64 v[29:30], v[29:30], v35
	s_delay_alu instid0(VALU_DEP_1) | instskip(SKIP_1) | instid1(VALU_DEP_2)
	v_cndmask_b32_e32 v30, 0x7ff00000, v30, vcc_lo
	s_and_b32 vcc_lo, s2, vcc_lo
	v_cndmask_b32_e32 v26, 0, v29, vcc_lo
	s_delay_alu instid0(VALU_DEP_2) | instskip(SKIP_1) | instid1(VALU_DEP_1)
	v_cndmask_b32_e64 v27, 0, v30, s2
	s_waitcnt lgkmcnt(0)
	v_div_scale_f64 v[29:30], null, v[22:23], v[22:23], v[26:27]
	v_div_scale_f64 v[35:36], vcc_lo, v[26:27], v[22:23], v[26:27]
	s_delay_alu instid0(VALU_DEP_2) | instskip(SKIP_2) | instid1(VALU_DEP_1)
	v_rcp_f64_e32 v[31:32], v[29:30]
	s_waitcnt_depctr 0xfff
	v_fma_f64 v[33:34], -v[29:30], v[31:32], 1.0
	v_fma_f64 v[31:32], v[31:32], v[33:34], v[31:32]
	s_delay_alu instid0(VALU_DEP_1) | instskip(NEXT) | instid1(VALU_DEP_1)
	v_fma_f64 v[33:34], -v[29:30], v[31:32], 1.0
	v_fma_f64 v[31:32], v[31:32], v[33:34], v[31:32]
	s_delay_alu instid0(VALU_DEP_1) | instskip(NEXT) | instid1(VALU_DEP_1)
	v_mul_f64 v[33:34], v[35:36], v[31:32]
	v_fma_f64 v[29:30], -v[29:30], v[33:34], v[35:36]
	s_delay_alu instid0(VALU_DEP_1) | instskip(SKIP_2) | instid1(VALU_DEP_1)
	v_div_fmas_f64 v[29:30], v[29:30], v[31:32], v[33:34]
	v_add_co_u32 v24, vcc_lo, v24, s21
	v_add_co_ci_u32_e32 v25, vcc_lo, 0, v25, vcc_lo
	v_cmp_le_i64_e32 vcc_lo, s[10:11], v[24:25]
	s_delay_alu instid0(VALU_DEP_4) | instskip(SKIP_1) | instid1(VALU_DEP_1)
	v_div_fixup_f64 v[26:27], v[29:30], v[22:23], v[26:27]
	v_add_co_u32 v29, s2, v12, s54
	v_add_co_ci_u32_e64 v30, s2, s55, v13, s2
	s_add_u32 s54, s54, s57
	s_addc_u32 s55, s55, s56
	s_or_b32 s59, vcc_lo, s59
	global_store_b64 v[29:30], v[26:27], off
	s_and_not1_b32 exec_lo, exec_lo, s59
	s_cbranch_execnz .LBB511_39
	s_branch .LBB511_5
.LBB511_40:
	s_nop 0
	s_sendmsg sendmsg(MSG_DEALLOC_VGPRS)
	s_endpgm
	.section	.rodata,"a",@progbits
	.p2align	6, 0x0
	.amdhsa_kernel _ZN2at6native12_GLOBAL__N_126cunn_SpatialSoftMaxForwardIdddlNS1_22SoftMaxForwardEpilogueEEEvPT1_PKT_T2_S9_S9_
		.amdhsa_group_segment_fixed_size 0
		.amdhsa_private_segment_fixed_size 0
		.amdhsa_kernarg_size 296
		.amdhsa_user_sgpr_count 14
		.amdhsa_user_sgpr_dispatch_ptr 0
		.amdhsa_user_sgpr_queue_ptr 0
		.amdhsa_user_sgpr_kernarg_segment_ptr 1
		.amdhsa_user_sgpr_dispatch_id 0
		.amdhsa_user_sgpr_private_segment_size 0
		.amdhsa_wavefront_size32 1
		.amdhsa_uses_dynamic_stack 0
		.amdhsa_enable_private_segment 0
		.amdhsa_system_sgpr_workgroup_id_x 1
		.amdhsa_system_sgpr_workgroup_id_y 1
		.amdhsa_system_sgpr_workgroup_id_z 0
		.amdhsa_system_sgpr_workgroup_info 0
		.amdhsa_system_vgpr_workitem_id 1
		.amdhsa_next_free_vgpr 38
		.amdhsa_next_free_sgpr 60
		.amdhsa_reserve_vcc 1
		.amdhsa_float_round_mode_32 0
		.amdhsa_float_round_mode_16_64 0
		.amdhsa_float_denorm_mode_32 3
		.amdhsa_float_denorm_mode_16_64 3
		.amdhsa_dx10_clamp 1
		.amdhsa_ieee_mode 1
		.amdhsa_fp16_overflow 0
		.amdhsa_workgroup_processor_mode 1
		.amdhsa_memory_ordered 1
		.amdhsa_forward_progress 0
		.amdhsa_shared_vgpr_count 0
		.amdhsa_exception_fp_ieee_invalid_op 0
		.amdhsa_exception_fp_denorm_src 0
		.amdhsa_exception_fp_ieee_div_zero 0
		.amdhsa_exception_fp_ieee_overflow 0
		.amdhsa_exception_fp_ieee_underflow 0
		.amdhsa_exception_fp_ieee_inexact 0
		.amdhsa_exception_int_div_zero 0
	.end_amdhsa_kernel
	.section	.text._ZN2at6native12_GLOBAL__N_126cunn_SpatialSoftMaxForwardIdddlNS1_22SoftMaxForwardEpilogueEEEvPT1_PKT_T2_S9_S9_,"axG",@progbits,_ZN2at6native12_GLOBAL__N_126cunn_SpatialSoftMaxForwardIdddlNS1_22SoftMaxForwardEpilogueEEEvPT1_PKT_T2_S9_S9_,comdat
.Lfunc_end511:
	.size	_ZN2at6native12_GLOBAL__N_126cunn_SpatialSoftMaxForwardIdddlNS1_22SoftMaxForwardEpilogueEEEvPT1_PKT_T2_S9_S9_, .Lfunc_end511-_ZN2at6native12_GLOBAL__N_126cunn_SpatialSoftMaxForwardIdddlNS1_22SoftMaxForwardEpilogueEEEvPT1_PKT_T2_S9_S9_
                                        ; -- End function
	.section	.AMDGPU.csdata,"",@progbits
; Kernel info:
; codeLenInByte = 3076
; NumSgprs: 62
; NumVgprs: 38
; ScratchSize: 0
; MemoryBound: 0
; FloatMode: 240
; IeeeMode: 1
; LDSByteSize: 0 bytes/workgroup (compile time only)
; SGPRBlocks: 7
; VGPRBlocks: 4
; NumSGPRsForWavesPerEU: 62
; NumVGPRsForWavesPerEU: 38
; Occupancy: 16
; WaveLimiterHint : 0
; COMPUTE_PGM_RSRC2:SCRATCH_EN: 0
; COMPUTE_PGM_RSRC2:USER_SGPR: 14
; COMPUTE_PGM_RSRC2:TRAP_HANDLER: 0
; COMPUTE_PGM_RSRC2:TGID_X_EN: 1
; COMPUTE_PGM_RSRC2:TGID_Y_EN: 1
; COMPUTE_PGM_RSRC2:TGID_Z_EN: 0
; COMPUTE_PGM_RSRC2:TIDIG_COMP_CNT: 1
	.section	.text._ZN2at6native12_GLOBAL__N_126cunn_SpatialSoftMaxForwardIfffiNS1_22SoftMaxForwardEpilogueEEEvPT1_PKT_T2_S9_S9_,"axG",@progbits,_ZN2at6native12_GLOBAL__N_126cunn_SpatialSoftMaxForwardIfffiNS1_22SoftMaxForwardEpilogueEEEvPT1_PKT_T2_S9_S9_,comdat
	.globl	_ZN2at6native12_GLOBAL__N_126cunn_SpatialSoftMaxForwardIfffiNS1_22SoftMaxForwardEpilogueEEEvPT1_PKT_T2_S9_S9_ ; -- Begin function _ZN2at6native12_GLOBAL__N_126cunn_SpatialSoftMaxForwardIfffiNS1_22SoftMaxForwardEpilogueEEEvPT1_PKT_T2_S9_S9_
	.p2align	8
	.type	_ZN2at6native12_GLOBAL__N_126cunn_SpatialSoftMaxForwardIfffiNS1_22SoftMaxForwardEpilogueEEEvPT1_PKT_T2_S9_S9_,@function
_ZN2at6native12_GLOBAL__N_126cunn_SpatialSoftMaxForwardIfffiNS1_22SoftMaxForwardEpilogueEEEvPT1_PKT_T2_S9_S9_: ; @_ZN2at6native12_GLOBAL__N_126cunn_SpatialSoftMaxForwardIfffiNS1_22SoftMaxForwardEpilogueEEEvPT1_PKT_T2_S9_S9_
; %bb.0:
	s_load_b128 s[4:7], s[0:1], 0x10
	s_waitcnt lgkmcnt(0)
	s_cmp_ge_i32 s14, s4
	s_cbranch_scc1 .LBB512_40
; %bb.1:
	s_load_b32 s2, s[0:1], 0x2c
	v_and_b32_e32 v1, 0x3ff, v0
	s_clause 0x1
	s_load_b64 s[12:13], s[0:1], 0x20
	s_load_b128 s[8:11], s[0:1], 0x0
	s_add_u32 s16, s0, 32
	v_bfe_u32 v0, v0, 10, 10
	v_mad_u64_u32 v[2:3], null, s14, s5, v[1:2]
	s_addc_u32 s17, s1, 0
	v_cmp_gt_i32_e64 s0, s5, v1
	s_delay_alu instid0(VALU_DEP_2)
	v_mul_lo_u32 v2, s6, v2
	s_waitcnt lgkmcnt(0)
	s_lshr_b32 s2, s2, 16
	s_mul_i32 s7, s12, s6
	s_mul_i32 s15, s15, s2
	s_mul_i32 s3, s13, s2
	v_add_nc_u32_e32 v4, s15, v0
	s_delay_alu instid0(VALU_DEP_2) | instskip(SKIP_1) | instid1(VALU_DEP_2)
	v_add3_u32 v5, v0, v2, s15
	s_mul_i32 s7, s7, s5
	v_cmp_gt_i32_e64 s1, s6, v4
	s_branch .LBB512_3
.LBB512_2:                              ;   in Loop: Header=BB512_3 Depth=1
	s_or_b32 exec_lo, exec_lo, s13
	v_add_nc_u32_e32 v5, s7, v5
	s_add_i32 s14, s12, s14
	s_delay_alu instid0(SALU_CYCLE_1)
	s_cmp_ge_i32 s14, s4
	s_cbranch_scc1 .LBB512_40
.LBB512_3:                              ; =>This Loop Header: Depth=1
                                        ;     Child Loop BB512_7 Depth 2
                                        ;       Child Loop BB512_12 Depth 3
                                        ;       Child Loop BB512_15 Depth 3
	;; [unrolled: 1-line block ×8, first 2 shown]
	s_delay_alu instid0(VALU_DEP_1)
	s_and_saveexec_b32 s13, s1
	s_cbranch_execz .LBB512_2
; %bb.4:                                ;   in Loop: Header=BB512_3 Depth=1
	s_load_b32 s2, s[16:17], 0xc
	v_mov_b32_e32 v7, v5
	v_mov_b32_e32 v9, v4
	s_mov_b32 s20, 0
	s_waitcnt lgkmcnt(0)
	s_and_b32 s15, s2, 0xffff
	s_delay_alu instid0(SALU_CYCLE_1) | instskip(SKIP_3) | instid1(VALU_DEP_1)
	v_mul_u32_u24_e32 v2, s15, v0
	s_cmp_lt_u32 s15, 2
	s_mul_i32 s19, s6, s15
	s_cselect_b32 s18, -1, 0
	v_lshl_add_u32 v6, v2, 2, 0
	s_delay_alu instid0(VALU_DEP_1)
	v_lshl_add_u32 v8, v1, 2, v6
	s_branch .LBB512_7
.LBB512_5:                              ;   in Loop: Header=BB512_7 Depth=2
	s_or_b32 exec_lo, exec_lo, s21
.LBB512_6:                              ;   in Loop: Header=BB512_7 Depth=2
	v_add_nc_u32_e32 v9, s3, v9
	v_add_nc_u32_e32 v7, s3, v7
	s_delay_alu instid0(VALU_DEP_2) | instskip(SKIP_1) | instid1(SALU_CYCLE_1)
	v_cmp_le_i32_e32 vcc_lo, s6, v9
	s_or_b32 s20, vcc_lo, s20
	s_and_not1_b32 exec_lo, exec_lo, s20
	s_cbranch_execz .LBB512_2
.LBB512_7:                              ;   Parent Loop BB512_3 Depth=1
                                        ; =>  This Loop Header: Depth=2
                                        ;       Child Loop BB512_12 Depth 3
                                        ;       Child Loop BB512_15 Depth 3
	;; [unrolled: 1-line block ×8, first 2 shown]
	s_and_b32 vcc_lo, exec_lo, s18
	s_mov_b32 s2, -1
	s_cbranch_vccz .LBB512_20
; %bb.8:                                ;   in Loop: Header=BB512_7 Depth=2
	v_mov_b32_e32 v10, 0xff7fffff
	s_and_saveexec_b32 s21, s0
	s_cbranch_execnz .LBB512_11
; %bb.9:                                ;   in Loop: Header=BB512_7 Depth=2
	s_or_b32 exec_lo, exec_lo, s21
	v_mov_b32_e32 v11, 0
	s_and_saveexec_b32 s2, s0
	s_cbranch_execnz .LBB512_14
.LBB512_10:                             ;   in Loop: Header=BB512_7 Depth=2
	s_or_b32 exec_lo, exec_lo, s2
	s_and_saveexec_b32 s21, s0
	s_cbranch_execnz .LBB512_17
	s_branch .LBB512_19
.LBB512_11:                             ;   in Loop: Header=BB512_7 Depth=2
	v_dual_mov_b32 v10, 0xff7fffff :: v_dual_mov_b32 v11, v1
	v_mov_b32_e32 v2, v7
	s_mov_b32 s22, 0
	.p2align	6
.LBB512_12:                             ;   Parent Loop BB512_3 Depth=1
                                        ;     Parent Loop BB512_7 Depth=2
                                        ; =>    This Inner Loop Header: Depth=3
	s_delay_alu instid0(VALU_DEP_1) | instskip(NEXT) | instid1(VALU_DEP_3)
	v_ashrrev_i32_e32 v3, 31, v2
	v_add_nc_u32_e32 v11, s15, v11
	s_delay_alu instid0(VALU_DEP_2) | instskip(SKIP_1) | instid1(VALU_DEP_2)
	v_lshlrev_b64 v[12:13], 2, v[2:3]
	v_add_nc_u32_e32 v2, s19, v2
	v_add_co_u32 v12, vcc_lo, s10, v12
	s_delay_alu instid0(VALU_DEP_3)
	v_add_co_ci_u32_e32 v13, vcc_lo, s11, v13, vcc_lo
	v_cmp_le_i32_e32 vcc_lo, s5, v11
	global_load_b32 v3, v[12:13], off
	s_or_b32 s22, vcc_lo, s22
	s_waitcnt vmcnt(0)
	v_cmp_lt_f32_e64 s2, v10, v3
	s_delay_alu instid0(VALU_DEP_1)
	v_cndmask_b32_e64 v10, v10, v3, s2
	s_and_not1_b32 exec_lo, exec_lo, s22
	s_cbranch_execnz .LBB512_12
; %bb.13:                               ;   in Loop: Header=BB512_7 Depth=2
	s_or_b32 exec_lo, exec_lo, s22
	s_delay_alu instid0(SALU_CYCLE_1)
	s_or_b32 exec_lo, exec_lo, s21
	v_mov_b32_e32 v11, 0
	s_and_saveexec_b32 s2, s0
	s_cbranch_execz .LBB512_10
.LBB512_14:                             ;   in Loop: Header=BB512_7 Depth=2
	v_dual_mov_b32 v11, 0 :: v_dual_mov_b32 v2, v7
	v_mov_b32_e32 v12, v1
	s_mov_b32 s21, 0
	s_set_inst_prefetch_distance 0x1
	.p2align	6
.LBB512_15:                             ;   Parent Loop BB512_3 Depth=1
                                        ;     Parent Loop BB512_7 Depth=2
                                        ; =>    This Inner Loop Header: Depth=3
	s_delay_alu instid0(VALU_DEP_2) | instskip(NEXT) | instid1(VALU_DEP_2)
	v_ashrrev_i32_e32 v3, 31, v2
	v_add_nc_u32_e32 v12, s15, v12
	s_delay_alu instid0(VALU_DEP_2) | instskip(SKIP_1) | instid1(VALU_DEP_2)
	v_lshlrev_b64 v[13:14], 2, v[2:3]
	v_add_nc_u32_e32 v2, s19, v2
	v_add_co_u32 v13, vcc_lo, s10, v13
	s_delay_alu instid0(VALU_DEP_3) | instskip(SKIP_3) | instid1(VALU_DEP_1)
	v_add_co_ci_u32_e32 v14, vcc_lo, s11, v14, vcc_lo
	global_load_b32 v3, v[13:14], off
	s_waitcnt vmcnt(0)
	v_sub_f32_e32 v3, v3, v10
	v_mul_f32_e32 v13, 0x3fb8aa3b, v3
	v_cmp_ngt_f32_e32 vcc_lo, 0xc2ce8ed0, v3
	s_delay_alu instid0(VALU_DEP_2) | instskip(SKIP_1) | instid1(VALU_DEP_2)
	v_fma_f32 v14, 0x3fb8aa3b, v3, -v13
	v_rndne_f32_e32 v15, v13
	v_fmac_f32_e32 v14, 0x32a5705f, v3
	s_delay_alu instid0(VALU_DEP_2) | instskip(NEXT) | instid1(VALU_DEP_1)
	v_sub_f32_e32 v13, v13, v15
	v_add_f32_e32 v13, v13, v14
	v_cvt_i32_f32_e32 v14, v15
	s_delay_alu instid0(VALU_DEP_2) | instskip(SKIP_2) | instid1(VALU_DEP_1)
	v_exp_f32_e32 v13, v13
	s_waitcnt_depctr 0xfff
	v_ldexp_f32 v13, v13, v14
	v_cndmask_b32_e32 v13, 0, v13, vcc_lo
	v_cmp_nlt_f32_e32 vcc_lo, 0x42b17218, v3
	s_delay_alu instid0(VALU_DEP_2) | instskip(SKIP_1) | instid1(VALU_DEP_2)
	v_cndmask_b32_e32 v3, 0x7f800000, v13, vcc_lo
	v_cmp_le_i32_e32 vcc_lo, s5, v12
	v_add_f32_e32 v11, v11, v3
	s_or_b32 s21, vcc_lo, s21
	s_delay_alu instid0(SALU_CYCLE_1)
	s_and_not1_b32 exec_lo, exec_lo, s21
	s_cbranch_execnz .LBB512_15
; %bb.16:                               ;   in Loop: Header=BB512_7 Depth=2
	s_set_inst_prefetch_distance 0x2
	s_or_b32 exec_lo, exec_lo, s21
	s_delay_alu instid0(SALU_CYCLE_1)
	s_or_b32 exec_lo, exec_lo, s2
	s_and_saveexec_b32 s21, s0
	s_cbranch_execz .LBB512_19
.LBB512_17:                             ;   in Loop: Header=BB512_7 Depth=2
	v_mov_b32_e32 v2, v7
	v_mov_b32_e32 v12, v1
	s_mov_b32 s22, 0
.LBB512_18:                             ;   Parent Loop BB512_3 Depth=1
                                        ;     Parent Loop BB512_7 Depth=2
                                        ; =>    This Inner Loop Header: Depth=3
	s_delay_alu instid0(VALU_DEP_2) | instskip(NEXT) | instid1(VALU_DEP_2)
	v_ashrrev_i32_e32 v3, 31, v2
	v_add_nc_u32_e32 v12, s15, v12
	s_delay_alu instid0(VALU_DEP_2) | instskip(SKIP_1) | instid1(VALU_DEP_2)
	v_lshlrev_b64 v[13:14], 2, v[2:3]
	v_add_nc_u32_e32 v2, s19, v2
	v_add_co_u32 v15, vcc_lo, s10, v13
	s_delay_alu instid0(VALU_DEP_3) | instskip(SKIP_1) | instid1(VALU_DEP_1)
	v_add_co_ci_u32_e32 v16, vcc_lo, s11, v14, vcc_lo
	v_add_co_u32 v13, s2, s8, v13
	v_add_co_ci_u32_e64 v14, s2, s9, v14, s2
	global_load_b32 v3, v[15:16], off
	s_waitcnt vmcnt(0)
	v_sub_f32_e32 v3, v3, v10
	s_delay_alu instid0(VALU_DEP_1) | instskip(SKIP_1) | instid1(VALU_DEP_2)
	v_mul_f32_e32 v15, 0x3fb8aa3b, v3
	v_cmp_ngt_f32_e32 vcc_lo, 0xc2ce8ed0, v3
	v_fma_f32 v16, 0x3fb8aa3b, v3, -v15
	v_rndne_f32_e32 v17, v15
	s_delay_alu instid0(VALU_DEP_1) | instskip(NEXT) | instid1(VALU_DEP_1)
	v_dual_fmac_f32 v16, 0x32a5705f, v3 :: v_dual_sub_f32 v15, v15, v17
	v_add_f32_e32 v15, v15, v16
	v_cvt_i32_f32_e32 v16, v17
	s_delay_alu instid0(VALU_DEP_2) | instskip(SKIP_2) | instid1(VALU_DEP_1)
	v_exp_f32_e32 v15, v15
	s_waitcnt_depctr 0xfff
	v_ldexp_f32 v15, v15, v16
	v_cndmask_b32_e32 v15, 0, v15, vcc_lo
	v_cmp_nlt_f32_e32 vcc_lo, 0x42b17218, v3
	s_delay_alu instid0(VALU_DEP_2) | instskip(NEXT) | instid1(VALU_DEP_1)
	v_cndmask_b32_e32 v3, 0x7f800000, v15, vcc_lo
	v_div_scale_f32 v15, null, v11, v11, v3
	v_div_scale_f32 v18, vcc_lo, v3, v11, v3
	s_delay_alu instid0(VALU_DEP_2) | instskip(SKIP_2) | instid1(VALU_DEP_1)
	v_rcp_f32_e32 v16, v15
	s_waitcnt_depctr 0xfff
	v_fma_f32 v17, -v15, v16, 1.0
	v_fmac_f32_e32 v16, v17, v16
	s_delay_alu instid0(VALU_DEP_1) | instskip(NEXT) | instid1(VALU_DEP_1)
	v_mul_f32_e32 v17, v18, v16
	v_fma_f32 v19, -v15, v17, v18
	s_delay_alu instid0(VALU_DEP_1) | instskip(NEXT) | instid1(VALU_DEP_1)
	v_fmac_f32_e32 v17, v19, v16
	v_fma_f32 v15, -v15, v17, v18
	s_delay_alu instid0(VALU_DEP_1) | instskip(SKIP_1) | instid1(VALU_DEP_2)
	v_div_fmas_f32 v15, v15, v16, v17
	v_cmp_le_i32_e32 vcc_lo, s5, v12
	v_div_fixup_f32 v3, v15, v11, v3
	s_or_b32 s22, vcc_lo, s22
	global_store_b32 v[13:14], v3, off
	s_and_not1_b32 exec_lo, exec_lo, s22
	s_cbranch_execnz .LBB512_18
.LBB512_19:                             ;   in Loop: Header=BB512_7 Depth=2
	s_or_b32 exec_lo, exec_lo, s21
	s_mov_b32 s2, 0
.LBB512_20:                             ;   in Loop: Header=BB512_7 Depth=2
	s_delay_alu instid0(SALU_CYCLE_1)
	s_and_b32 vcc_lo, exec_lo, s2
	s_cbranch_vccz .LBB512_6
; %bb.21:                               ;   in Loop: Header=BB512_7 Depth=2
	v_mov_b32_e32 v10, 0xff7fffff
	s_and_saveexec_b32 s21, s0
	s_cbranch_execz .LBB512_25
; %bb.22:                               ;   in Loop: Header=BB512_7 Depth=2
	v_dual_mov_b32 v10, 0xff7fffff :: v_dual_mov_b32 v11, v1
	v_mov_b32_e32 v2, v7
	s_mov_b32 s22, 0
	.p2align	6
.LBB512_23:                             ;   Parent Loop BB512_3 Depth=1
                                        ;     Parent Loop BB512_7 Depth=2
                                        ; =>    This Inner Loop Header: Depth=3
	s_delay_alu instid0(VALU_DEP_1) | instskip(NEXT) | instid1(VALU_DEP_3)
	v_ashrrev_i32_e32 v3, 31, v2
	v_add_nc_u32_e32 v11, s15, v11
	s_delay_alu instid0(VALU_DEP_2) | instskip(SKIP_1) | instid1(VALU_DEP_2)
	v_lshlrev_b64 v[12:13], 2, v[2:3]
	v_add_nc_u32_e32 v2, s19, v2
	v_add_co_u32 v12, vcc_lo, s10, v12
	s_delay_alu instid0(VALU_DEP_3)
	v_add_co_ci_u32_e32 v13, vcc_lo, s11, v13, vcc_lo
	v_cmp_le_i32_e32 vcc_lo, s5, v11
	global_load_b32 v3, v[12:13], off
	s_or_b32 s22, vcc_lo, s22
	s_waitcnt vmcnt(0)
	v_cmp_lt_f32_e64 s2, v10, v3
	s_delay_alu instid0(VALU_DEP_1)
	v_cndmask_b32_e64 v10, v10, v3, s2
	s_and_not1_b32 exec_lo, exec_lo, s22
	s_cbranch_execnz .LBB512_23
; %bb.24:                               ;   in Loop: Header=BB512_7 Depth=2
	s_or_b32 exec_lo, exec_lo, s22
.LBB512_25:                             ;   in Loop: Header=BB512_7 Depth=2
	s_delay_alu instid0(SALU_CYCLE_1)
	s_or_b32 exec_lo, exec_lo, s21
	s_mov_b32 s2, s15
	s_waitcnt_vscnt null, 0x0
	s_barrier
	buffer_gl0_inv
	ds_store_b32 v8, v10
	s_branch .LBB512_27
	.p2align	6
.LBB512_26:                             ;   in Loop: Header=BB512_27 Depth=3
	s_or_b32 exec_lo, exec_lo, s22
	s_cmp_gt_u32 s2, 3
	s_mov_b32 s2, s21
	s_cbranch_scc0 .LBB512_29
.LBB512_27:                             ;   Parent Loop BB512_3 Depth=1
                                        ;     Parent Loop BB512_7 Depth=2
                                        ; =>    This Inner Loop Header: Depth=3
	s_lshr_b32 s21, s2, 1
	s_mov_b32 s22, exec_lo
	s_waitcnt lgkmcnt(0)
	s_barrier
	buffer_gl0_inv
	v_cmpx_gt_u32_e64 s21, v1
	s_cbranch_execz .LBB512_26
; %bb.28:                               ;   in Loop: Header=BB512_27 Depth=3
	v_lshl_add_u32 v2, s21, 2, v8
	ds_load_b32 v3, v8
	ds_load_b32 v2, v2
	s_waitcnt lgkmcnt(0)
	v_cmp_lt_f32_e32 vcc_lo, v3, v2
	v_cndmask_b32_e32 v2, v3, v2, vcc_lo
	ds_store_b32 v8, v2
	s_branch .LBB512_26
.LBB512_29:                             ;   in Loop: Header=BB512_7 Depth=2
	s_waitcnt lgkmcnt(0)
	s_barrier
	buffer_gl0_inv
	ds_load_b32 v10, v6
	v_mov_b32_e32 v11, 0
	s_and_saveexec_b32 s2, s0
	s_cbranch_execz .LBB512_33
; %bb.30:                               ;   in Loop: Header=BB512_7 Depth=2
	v_dual_mov_b32 v11, 0 :: v_dual_mov_b32 v2, v7
	v_mov_b32_e32 v12, v1
	s_mov_b32 s21, 0
	s_set_inst_prefetch_distance 0x1
	.p2align	6
.LBB512_31:                             ;   Parent Loop BB512_3 Depth=1
                                        ;     Parent Loop BB512_7 Depth=2
                                        ; =>    This Inner Loop Header: Depth=3
	s_delay_alu instid0(VALU_DEP_2) | instskip(NEXT) | instid1(VALU_DEP_2)
	v_ashrrev_i32_e32 v3, 31, v2
	v_add_nc_u32_e32 v12, s15, v12
	s_delay_alu instid0(VALU_DEP_2) | instskip(SKIP_1) | instid1(VALU_DEP_2)
	v_lshlrev_b64 v[13:14], 2, v[2:3]
	v_add_nc_u32_e32 v2, s19, v2
	v_add_co_u32 v13, vcc_lo, s10, v13
	s_delay_alu instid0(VALU_DEP_3) | instskip(SKIP_3) | instid1(VALU_DEP_1)
	v_add_co_ci_u32_e32 v14, vcc_lo, s11, v14, vcc_lo
	global_load_b32 v3, v[13:14], off
	s_waitcnt vmcnt(0) lgkmcnt(0)
	v_sub_f32_e32 v3, v3, v10
	v_mul_f32_e32 v13, 0x3fb8aa3b, v3
	v_cmp_ngt_f32_e32 vcc_lo, 0xc2ce8ed0, v3
	s_delay_alu instid0(VALU_DEP_2) | instskip(SKIP_1) | instid1(VALU_DEP_2)
	v_fma_f32 v14, 0x3fb8aa3b, v3, -v13
	v_rndne_f32_e32 v15, v13
	v_fmac_f32_e32 v14, 0x32a5705f, v3
	s_delay_alu instid0(VALU_DEP_2) | instskip(NEXT) | instid1(VALU_DEP_1)
	v_sub_f32_e32 v13, v13, v15
	v_add_f32_e32 v13, v13, v14
	v_cvt_i32_f32_e32 v14, v15
	s_delay_alu instid0(VALU_DEP_2) | instskip(SKIP_2) | instid1(VALU_DEP_1)
	v_exp_f32_e32 v13, v13
	s_waitcnt_depctr 0xfff
	v_ldexp_f32 v13, v13, v14
	v_cndmask_b32_e32 v13, 0, v13, vcc_lo
	v_cmp_nlt_f32_e32 vcc_lo, 0x42b17218, v3
	s_delay_alu instid0(VALU_DEP_2) | instskip(SKIP_1) | instid1(VALU_DEP_2)
	v_cndmask_b32_e32 v3, 0x7f800000, v13, vcc_lo
	v_cmp_le_i32_e32 vcc_lo, s5, v12
	v_add_f32_e32 v11, v11, v3
	s_or_b32 s21, vcc_lo, s21
	s_delay_alu instid0(SALU_CYCLE_1)
	s_and_not1_b32 exec_lo, exec_lo, s21
	s_cbranch_execnz .LBB512_31
; %bb.32:                               ;   in Loop: Header=BB512_7 Depth=2
	s_set_inst_prefetch_distance 0x2
	s_or_b32 exec_lo, exec_lo, s21
.LBB512_33:                             ;   in Loop: Header=BB512_7 Depth=2
	s_delay_alu instid0(SALU_CYCLE_1)
	s_or_b32 exec_lo, exec_lo, s2
	s_mov_b32 s2, s15
	s_waitcnt lgkmcnt(0)
	s_barrier
	buffer_gl0_inv
	ds_store_b32 v8, v11
	s_branch .LBB512_35
	.p2align	6
.LBB512_34:                             ;   in Loop: Header=BB512_35 Depth=3
	s_or_b32 exec_lo, exec_lo, s22
	s_cmp_gt_u32 s2, 3
	s_mov_b32 s2, s21
	s_cbranch_scc0 .LBB512_37
.LBB512_35:                             ;   Parent Loop BB512_3 Depth=1
                                        ;     Parent Loop BB512_7 Depth=2
                                        ; =>    This Inner Loop Header: Depth=3
	s_lshr_b32 s21, s2, 1
	s_mov_b32 s22, exec_lo
	s_waitcnt lgkmcnt(0)
	s_barrier
	buffer_gl0_inv
	v_cmpx_gt_u32_e64 s21, v1
	s_cbranch_execz .LBB512_34
; %bb.36:                               ;   in Loop: Header=BB512_35 Depth=3
	v_lshl_add_u32 v2, s21, 2, v8
	ds_load_b32 v3, v8
	ds_load_b32 v2, v2
	s_waitcnt lgkmcnt(0)
	v_add_f32_e32 v2, v3, v2
	ds_store_b32 v8, v2
	s_branch .LBB512_34
.LBB512_37:                             ;   in Loop: Header=BB512_7 Depth=2
	s_waitcnt lgkmcnt(0)
	s_barrier
	buffer_gl0_inv
	s_and_saveexec_b32 s21, s0
	s_cbranch_execz .LBB512_5
; %bb.38:                               ;   in Loop: Header=BB512_7 Depth=2
	ds_load_b32 v11, v6
	v_mov_b32_e32 v2, v7
	v_mov_b32_e32 v12, v1
	s_mov_b32 s22, 0
.LBB512_39:                             ;   Parent Loop BB512_3 Depth=1
                                        ;     Parent Loop BB512_7 Depth=2
                                        ; =>    This Inner Loop Header: Depth=3
	s_delay_alu instid0(VALU_DEP_2) | instskip(NEXT) | instid1(VALU_DEP_2)
	v_ashrrev_i32_e32 v3, 31, v2
	v_add_nc_u32_e32 v12, s15, v12
	s_delay_alu instid0(VALU_DEP_2) | instskip(SKIP_1) | instid1(VALU_DEP_2)
	v_lshlrev_b64 v[13:14], 2, v[2:3]
	v_add_nc_u32_e32 v2, s19, v2
	v_add_co_u32 v15, vcc_lo, s10, v13
	s_delay_alu instid0(VALU_DEP_3) | instskip(SKIP_1) | instid1(VALU_DEP_1)
	v_add_co_ci_u32_e32 v16, vcc_lo, s11, v14, vcc_lo
	v_add_co_u32 v13, s2, s8, v13
	v_add_co_ci_u32_e64 v14, s2, s9, v14, s2
	global_load_b32 v3, v[15:16], off
	s_waitcnt vmcnt(0)
	v_sub_f32_e32 v3, v3, v10
	s_delay_alu instid0(VALU_DEP_1) | instskip(SKIP_1) | instid1(VALU_DEP_2)
	v_mul_f32_e32 v15, 0x3fb8aa3b, v3
	v_cmp_ngt_f32_e32 vcc_lo, 0xc2ce8ed0, v3
	v_fma_f32 v16, 0x3fb8aa3b, v3, -v15
	v_rndne_f32_e32 v17, v15
	s_delay_alu instid0(VALU_DEP_1) | instskip(NEXT) | instid1(VALU_DEP_1)
	v_dual_fmac_f32 v16, 0x32a5705f, v3 :: v_dual_sub_f32 v15, v15, v17
	v_add_f32_e32 v15, v15, v16
	v_cvt_i32_f32_e32 v16, v17
	s_delay_alu instid0(VALU_DEP_2) | instskip(SKIP_2) | instid1(VALU_DEP_1)
	v_exp_f32_e32 v15, v15
	s_waitcnt_depctr 0xfff
	v_ldexp_f32 v15, v15, v16
	v_cndmask_b32_e32 v15, 0, v15, vcc_lo
	v_cmp_nlt_f32_e32 vcc_lo, 0x42b17218, v3
	s_delay_alu instid0(VALU_DEP_2) | instskip(SKIP_1) | instid1(VALU_DEP_1)
	v_cndmask_b32_e32 v3, 0x7f800000, v15, vcc_lo
	s_waitcnt lgkmcnt(0)
	v_div_scale_f32 v15, null, v11, v11, v3
	v_div_scale_f32 v18, vcc_lo, v3, v11, v3
	s_delay_alu instid0(VALU_DEP_2) | instskip(SKIP_2) | instid1(VALU_DEP_1)
	v_rcp_f32_e32 v16, v15
	s_waitcnt_depctr 0xfff
	v_fma_f32 v17, -v15, v16, 1.0
	v_fmac_f32_e32 v16, v17, v16
	s_delay_alu instid0(VALU_DEP_1) | instskip(NEXT) | instid1(VALU_DEP_1)
	v_mul_f32_e32 v17, v18, v16
	v_fma_f32 v19, -v15, v17, v18
	s_delay_alu instid0(VALU_DEP_1) | instskip(NEXT) | instid1(VALU_DEP_1)
	v_fmac_f32_e32 v17, v19, v16
	v_fma_f32 v15, -v15, v17, v18
	s_delay_alu instid0(VALU_DEP_1) | instskip(SKIP_1) | instid1(VALU_DEP_2)
	v_div_fmas_f32 v15, v15, v16, v17
	v_cmp_le_i32_e32 vcc_lo, s5, v12
	v_div_fixup_f32 v3, v15, v11, v3
	s_or_b32 s22, vcc_lo, s22
	global_store_b32 v[13:14], v3, off
	s_and_not1_b32 exec_lo, exec_lo, s22
	s_cbranch_execnz .LBB512_39
	s_branch .LBB512_5
.LBB512_40:
	s_nop 0
	s_sendmsg sendmsg(MSG_DEALLOC_VGPRS)
	s_endpgm
	.section	.rodata,"a",@progbits
	.p2align	6, 0x0
	.amdhsa_kernel _ZN2at6native12_GLOBAL__N_126cunn_SpatialSoftMaxForwardIfffiNS1_22SoftMaxForwardEpilogueEEEvPT1_PKT_T2_S9_S9_
		.amdhsa_group_segment_fixed_size 0
		.amdhsa_private_segment_fixed_size 0
		.amdhsa_kernarg_size 288
		.amdhsa_user_sgpr_count 14
		.amdhsa_user_sgpr_dispatch_ptr 0
		.amdhsa_user_sgpr_queue_ptr 0
		.amdhsa_user_sgpr_kernarg_segment_ptr 1
		.amdhsa_user_sgpr_dispatch_id 0
		.amdhsa_user_sgpr_private_segment_size 0
		.amdhsa_wavefront_size32 1
		.amdhsa_uses_dynamic_stack 0
		.amdhsa_enable_private_segment 0
		.amdhsa_system_sgpr_workgroup_id_x 1
		.amdhsa_system_sgpr_workgroup_id_y 1
		.amdhsa_system_sgpr_workgroup_id_z 0
		.amdhsa_system_sgpr_workgroup_info 0
		.amdhsa_system_vgpr_workitem_id 1
		.amdhsa_next_free_vgpr 20
		.amdhsa_next_free_sgpr 23
		.amdhsa_reserve_vcc 1
		.amdhsa_float_round_mode_32 0
		.amdhsa_float_round_mode_16_64 0
		.amdhsa_float_denorm_mode_32 3
		.amdhsa_float_denorm_mode_16_64 3
		.amdhsa_dx10_clamp 1
		.amdhsa_ieee_mode 1
		.amdhsa_fp16_overflow 0
		.amdhsa_workgroup_processor_mode 1
		.amdhsa_memory_ordered 1
		.amdhsa_forward_progress 0
		.amdhsa_shared_vgpr_count 0
		.amdhsa_exception_fp_ieee_invalid_op 0
		.amdhsa_exception_fp_denorm_src 0
		.amdhsa_exception_fp_ieee_div_zero 0
		.amdhsa_exception_fp_ieee_overflow 0
		.amdhsa_exception_fp_ieee_underflow 0
		.amdhsa_exception_fp_ieee_inexact 0
		.amdhsa_exception_int_div_zero 0
	.end_amdhsa_kernel
	.section	.text._ZN2at6native12_GLOBAL__N_126cunn_SpatialSoftMaxForwardIfffiNS1_22SoftMaxForwardEpilogueEEEvPT1_PKT_T2_S9_S9_,"axG",@progbits,_ZN2at6native12_GLOBAL__N_126cunn_SpatialSoftMaxForwardIfffiNS1_22SoftMaxForwardEpilogueEEEvPT1_PKT_T2_S9_S9_,comdat
.Lfunc_end512:
	.size	_ZN2at6native12_GLOBAL__N_126cunn_SpatialSoftMaxForwardIfffiNS1_22SoftMaxForwardEpilogueEEEvPT1_PKT_T2_S9_S9_, .Lfunc_end512-_ZN2at6native12_GLOBAL__N_126cunn_SpatialSoftMaxForwardIfffiNS1_22SoftMaxForwardEpilogueEEEvPT1_PKT_T2_S9_S9_
                                        ; -- End function
	.section	.AMDGPU.csdata,"",@progbits
; Kernel info:
; codeLenInByte = 2072
; NumSgprs: 25
; NumVgprs: 20
; ScratchSize: 0
; MemoryBound: 0
; FloatMode: 240
; IeeeMode: 1
; LDSByteSize: 0 bytes/workgroup (compile time only)
; SGPRBlocks: 3
; VGPRBlocks: 2
; NumSGPRsForWavesPerEU: 25
; NumVGPRsForWavesPerEU: 20
; Occupancy: 16
; WaveLimiterHint : 0
; COMPUTE_PGM_RSRC2:SCRATCH_EN: 0
; COMPUTE_PGM_RSRC2:USER_SGPR: 14
; COMPUTE_PGM_RSRC2:TRAP_HANDLER: 0
; COMPUTE_PGM_RSRC2:TGID_X_EN: 1
; COMPUTE_PGM_RSRC2:TGID_Y_EN: 1
; COMPUTE_PGM_RSRC2:TGID_Z_EN: 0
; COMPUTE_PGM_RSRC2:TIDIG_COMP_CNT: 1
	.section	.text._ZN2at6native12_GLOBAL__N_126cunn_SpatialSoftMaxForwardIffflNS1_22SoftMaxForwardEpilogueEEEvPT1_PKT_T2_S9_S9_,"axG",@progbits,_ZN2at6native12_GLOBAL__N_126cunn_SpatialSoftMaxForwardIffflNS1_22SoftMaxForwardEpilogueEEEvPT1_PKT_T2_S9_S9_,comdat
	.globl	_ZN2at6native12_GLOBAL__N_126cunn_SpatialSoftMaxForwardIffflNS1_22SoftMaxForwardEpilogueEEEvPT1_PKT_T2_S9_S9_ ; -- Begin function _ZN2at6native12_GLOBAL__N_126cunn_SpatialSoftMaxForwardIffflNS1_22SoftMaxForwardEpilogueEEEvPT1_PKT_T2_S9_S9_
	.p2align	8
	.type	_ZN2at6native12_GLOBAL__N_126cunn_SpatialSoftMaxForwardIffflNS1_22SoftMaxForwardEpilogueEEEvPT1_PKT_T2_S9_S9_,@function
_ZN2at6native12_GLOBAL__N_126cunn_SpatialSoftMaxForwardIffflNS1_22SoftMaxForwardEpilogueEEEvPT1_PKT_T2_S9_S9_: ; @_ZN2at6native12_GLOBAL__N_126cunn_SpatialSoftMaxForwardIffflNS1_22SoftMaxForwardEpilogueEEEvPT1_PKT_T2_S9_S9_
; %bb.0:
	s_load_b256 s[4:11], s[0:1], 0x0
	s_mov_b32 s2, s15
	s_mov_b32 s15, 0
	s_waitcnt lgkmcnt(0)
	v_cmp_ge_i64_e64 s3, s[14:15], s[8:9]
	s_delay_alu instid0(VALU_DEP_1)
	s_and_b32 vcc_lo, exec_lo, s3
	s_cbranch_vccnz .LBB513_40
; %bb.1:
	s_clause 0x1
	s_load_b32 s3, s[0:1], 0x34
	s_load_b128 s[16:19], s[0:1], 0x20
	v_bfe_u32 v1, v0, 10, 10
	v_and_b32_e32 v2, 0x3ff, v0
	s_add_u32 s12, s0, 40
	s_addc_u32 s13, s1, 0
	s_mov_b32 s21, s15
	s_waitcnt lgkmcnt(0)
	s_lshr_b32 s0, s3, 16
	s_mul_i32 s1, s16, s10
	v_mad_u64_u32 v[4:5], null, s2, s0, v[1:2]
	v_mov_b32_e32 v5, 0
	v_mad_u64_u32 v[6:7], null, s16, v2, 0
	s_mul_i32 s2, s16, s11
	s_mul_hi_u32 s3, s16, s10
	s_delay_alu instid0(VALU_DEP_2) | instskip(NEXT) | instid1(VALU_DEP_4)
	v_mov_b32_e32 v3, v5
	v_mad_u64_u32 v[8:9], null, s1, s14, v[4:5]
	s_mul_i32 s20, s17, s10
	s_delay_alu instid0(VALU_DEP_3) | instskip(NEXT) | instid1(VALU_DEP_3)
	v_mov_b32_e32 v0, v7
	v_mad_u64_u32 v[10:11], null, s10, s14, v[2:3]
	s_add_i32 s2, s3, s2
	s_lshl_b64 s[22:23], s[16:17], 2
	s_delay_alu instid0(VALU_DEP_3) | instskip(SKIP_2) | instid1(VALU_DEP_3)
	v_mov_b32_e32 v7, v9
	v_mad_u64_u32 v[12:13], null, s17, v2, v[0:1]
	s_add_i32 s3, s2, s20
	v_mov_b32_e32 v0, v11
	s_delay_alu instid0(VALU_DEP_3) | instskip(SKIP_2) | instid1(VALU_DEP_2)
	v_mad_u64_u32 v[13:14], null, s3, s14, v[7:8]
	s_mul_i32 s20, s19, s0
	s_mul_hi_u32 s0, s1, s18
	v_mad_u64_u32 v[14:15], null, s11, s14, v[0:1]
	s_delay_alu instid0(VALU_DEP_4) | instskip(SKIP_3) | instid1(VALU_DEP_4)
	v_mov_b32_e32 v7, v12
	v_mad_u64_u32 v[11:12], null, s16, v10, v[4:5]
	v_mul_lo_u32 v0, s17, v10
	v_mov_b32_e32 v9, v13
	v_lshlrev_b64 v[6:7], 2, v[6:7]
	v_mul_lo_u32 v10, s16, v14
	s_mul_i32 s3, s3, s18
	s_mul_i32 s2, s1, s18
	v_lshlrev_b64 v[8:9], 2, v[8:9]
	s_add_i32 s3, s0, s3
	v_cmp_gt_i64_e64 s0, s[16:17], v[4:5]
	v_cmp_gt_i64_e64 s1, s[10:11], v[2:3]
	s_delay_alu instid0(VALU_DEP_4) | instskip(NEXT) | instid1(VALU_DEP_4)
	v_add3_u32 v12, v0, v12, v10
	v_add_co_u32 v0, vcc_lo, v6, v8
	v_add_co_ci_u32_e32 v7, vcc_lo, v7, v9, vcc_lo
	s_delay_alu instid0(VALU_DEP_3) | instskip(NEXT) | instid1(VALU_DEP_3)
	v_lshlrev_b64 v[10:11], 2, v[11:12]
	v_add_co_u32 v6, vcc_lo, s6, v0
	s_delay_alu instid0(VALU_DEP_3) | instskip(NEXT) | instid1(VALU_DEP_3)
	v_add_co_ci_u32_e32 v7, vcc_lo, s7, v7, vcc_lo
	v_add_co_u32 v8, vcc_lo, s6, v10
	s_delay_alu instid0(VALU_DEP_4)
	v_add_co_ci_u32_e32 v9, vcc_lo, s7, v11, vcc_lo
	v_add_co_u32 v10, vcc_lo, s4, v10
	v_add_co_ci_u32_e32 v11, vcc_lo, s5, v11, vcc_lo
	s_lshl_b64 s[4:5], s[2:3], 2
	s_lshl_b64 s[6:7], s[20:21], 2
	s_branch .LBB513_3
.LBB513_2:                              ;   in Loop: Header=BB513_3 Depth=1
	s_or_b32 exec_lo, exec_lo, s3
	v_add_co_u32 v6, vcc_lo, v6, s4
	s_add_u32 s14, s14, s18
	v_add_co_ci_u32_e32 v7, vcc_lo, s5, v7, vcc_lo
	s_addc_u32 s15, s15, 0
	v_add_co_u32 v8, vcc_lo, v8, s4
	v_cmp_ge_i64_e64 s2, s[14:15], s[8:9]
	v_add_co_ci_u32_e32 v9, vcc_lo, s5, v9, vcc_lo
	v_add_co_u32 v10, vcc_lo, v10, s4
	v_add_co_ci_u32_e32 v11, vcc_lo, s5, v11, vcc_lo
	s_delay_alu instid0(VALU_DEP_4)
	s_and_b32 vcc_lo, exec_lo, s2
	s_cbranch_vccnz .LBB513_40
.LBB513_3:                              ; =>This Loop Header: Depth=1
                                        ;     Child Loop BB513_7 Depth 2
                                        ;       Child Loop BB513_12 Depth 3
                                        ;       Child Loop BB513_15 Depth 3
                                        ;       Child Loop BB513_18 Depth 3
                                        ;       Child Loop BB513_23 Depth 3
                                        ;       Child Loop BB513_27 Depth 3
                                        ;       Child Loop BB513_31 Depth 3
                                        ;       Child Loop BB513_35 Depth 3
                                        ;       Child Loop BB513_39 Depth 3
	s_and_saveexec_b32 s3, s0
	s_cbranch_execz .LBB513_2
; %bb.4:                                ;   in Loop: Header=BB513_3 Depth=1
	s_load_b32 s2, s[12:13], 0xc
	v_dual_mov_b32 v13, v11 :: v_dual_mov_b32 v12, v10
	v_dual_mov_b32 v15, v9 :: v_dual_mov_b32 v14, v8
	;; [unrolled: 1-line block ×4, first 2 shown]
	s_mov_b32 s28, 0
	s_waitcnt lgkmcnt(0)
	s_and_b32 s19, s2, 0xffff
	v_cmp_lt_u16_e64 s21, s2, 2
	v_mul_u32_u24_e32 v0, s19, v1
	s_mul_i32 s2, s23, s19
	s_mul_hi_u32 s24, s22, s19
	s_mul_i32 s27, s22, s19
	s_add_i32 s26, s24, s2
	v_lshl_add_u32 v0, v0, 2, 0
	s_delay_alu instid0(VALU_DEP_1)
	v_lshl_add_u32 v24, v2, 2, v0
	s_branch .LBB513_7
.LBB513_5:                              ;   in Loop: Header=BB513_7 Depth=2
	s_or_b32 exec_lo, exec_lo, s29
.LBB513_6:                              ;   in Loop: Header=BB513_7 Depth=2
	v_add_co_u32 v18, vcc_lo, v18, s20
	v_add_co_ci_u32_e32 v19, vcc_lo, 0, v19, vcc_lo
	v_add_co_u32 v16, vcc_lo, v16, s6
	v_add_co_ci_u32_e32 v17, vcc_lo, s7, v17, vcc_lo
	;; [unrolled: 2-line block ×3, first 2 shown]
	v_cmp_le_i64_e32 vcc_lo, s[16:17], v[18:19]
	v_add_co_u32 v12, s2, v12, s6
	s_delay_alu instid0(VALU_DEP_1) | instskip(SKIP_1) | instid1(SALU_CYCLE_1)
	v_add_co_ci_u32_e64 v13, s2, s7, v13, s2
	s_or_b32 s28, vcc_lo, s28
	s_and_not1_b32 exec_lo, exec_lo, s28
	s_cbranch_execz .LBB513_2
.LBB513_7:                              ;   Parent Loop BB513_3 Depth=1
                                        ; =>  This Loop Header: Depth=2
                                        ;       Child Loop BB513_12 Depth 3
                                        ;       Child Loop BB513_15 Depth 3
	;; [unrolled: 1-line block ×8, first 2 shown]
	s_and_b32 vcc_lo, exec_lo, s21
	s_mov_b32 s2, -1
	s_cbranch_vccz .LBB513_20
; %bb.8:                                ;   in Loop: Header=BB513_7 Depth=2
	v_mov_b32_e32 v25, 0xff7fffff
	s_and_saveexec_b32 s24, s1
	s_cbranch_execnz .LBB513_11
; %bb.9:                                ;   in Loop: Header=BB513_7 Depth=2
	s_or_b32 exec_lo, exec_lo, s24
	v_mov_b32_e32 v26, 0
	s_and_saveexec_b32 s24, s1
	s_cbranch_execnz .LBB513_14
.LBB513_10:                             ;   in Loop: Header=BB513_7 Depth=2
	s_or_b32 exec_lo, exec_lo, s24
	s_and_saveexec_b32 s29, s1
	s_cbranch_execnz .LBB513_17
	s_branch .LBB513_19
.LBB513_11:                             ;   in Loop: Header=BB513_7 Depth=2
	v_mov_b32_e32 v21, v17
	v_dual_mov_b32 v23, v3 :: v_dual_mov_b32 v22, v2
	v_dual_mov_b32 v25, 0xff7fffff :: v_dual_mov_b32 v20, v16
	s_mov_b32 s25, 0
.LBB513_12:                             ;   Parent Loop BB513_3 Depth=1
                                        ;     Parent Loop BB513_7 Depth=2
                                        ; =>    This Inner Loop Header: Depth=3
	global_load_b32 v26, v[20:21], off
	v_add_co_u32 v22, vcc_lo, v22, s19
	v_add_co_ci_u32_e32 v23, vcc_lo, 0, v23, vcc_lo
	v_add_co_u32 v20, vcc_lo, v20, s27
	v_add_co_ci_u32_e32 v21, vcc_lo, s26, v21, vcc_lo
	s_delay_alu instid0(VALU_DEP_3) | instskip(NEXT) | instid1(VALU_DEP_1)
	v_cmp_le_i64_e64 s2, s[10:11], v[22:23]
	s_or_b32 s25, s2, s25
	s_waitcnt vmcnt(0)
	v_cmp_lt_f32_e32 vcc_lo, v25, v26
	v_cndmask_b32_e32 v25, v25, v26, vcc_lo
	s_and_not1_b32 exec_lo, exec_lo, s25
	s_cbranch_execnz .LBB513_12
; %bb.13:                               ;   in Loop: Header=BB513_7 Depth=2
	s_or_b32 exec_lo, exec_lo, s25
	s_delay_alu instid0(SALU_CYCLE_1)
	s_or_b32 exec_lo, exec_lo, s24
	v_mov_b32_e32 v26, 0
	s_and_saveexec_b32 s24, s1
	s_cbranch_execz .LBB513_10
.LBB513_14:                             ;   in Loop: Header=BB513_7 Depth=2
	v_dual_mov_b32 v26, 0 :: v_dual_mov_b32 v21, v17
	v_dual_mov_b32 v20, v16 :: v_dual_mov_b32 v23, v3
	v_mov_b32_e32 v22, v2
	s_mov_b32 s25, 0
	s_set_inst_prefetch_distance 0x1
	.p2align	6
.LBB513_15:                             ;   Parent Loop BB513_3 Depth=1
                                        ;     Parent Loop BB513_7 Depth=2
                                        ; =>    This Inner Loop Header: Depth=3
	global_load_b32 v27, v[20:21], off
	v_add_co_u32 v22, vcc_lo, v22, s19
	v_add_co_ci_u32_e32 v23, vcc_lo, 0, v23, vcc_lo
	s_delay_alu instid0(VALU_DEP_1) | instskip(SKIP_3) | instid1(VALU_DEP_1)
	v_cmp_le_i64_e32 vcc_lo, s[10:11], v[22:23]
	s_or_b32 s25, vcc_lo, s25
	s_waitcnt vmcnt(0)
	v_sub_f32_e32 v27, v27, v25
	v_mul_f32_e32 v28, 0x3fb8aa3b, v27
	s_delay_alu instid0(VALU_DEP_1) | instskip(SKIP_1) | instid1(VALU_DEP_1)
	v_fma_f32 v29, 0x3fb8aa3b, v27, -v28
	v_rndne_f32_e32 v30, v28
	v_dual_sub_f32 v28, v28, v30 :: v_dual_fmac_f32 v29, 0x32a5705f, v27
	v_cmp_ngt_f32_e64 s2, 0xc2ce8ed0, v27
	s_delay_alu instid0(VALU_DEP_2) | instskip(SKIP_1) | instid1(VALU_DEP_2)
	v_add_f32_e32 v28, v28, v29
	v_cvt_i32_f32_e32 v29, v30
	v_exp_f32_e32 v28, v28
	s_waitcnt_depctr 0xfff
	v_ldexp_f32 v28, v28, v29
	s_delay_alu instid0(VALU_DEP_1) | instskip(SKIP_1) | instid1(VALU_DEP_1)
	v_cndmask_b32_e64 v28, 0, v28, s2
	v_cmp_nlt_f32_e64 s2, 0x42b17218, v27
	v_cndmask_b32_e64 v27, 0x7f800000, v28, s2
	v_add_co_u32 v20, s2, v20, s27
	s_delay_alu instid0(VALU_DEP_1) | instskip(NEXT) | instid1(VALU_DEP_3)
	v_add_co_ci_u32_e64 v21, s2, s26, v21, s2
	v_add_f32_e32 v26, v26, v27
	s_and_not1_b32 exec_lo, exec_lo, s25
	s_cbranch_execnz .LBB513_15
; %bb.16:                               ;   in Loop: Header=BB513_7 Depth=2
	s_set_inst_prefetch_distance 0x2
	s_or_b32 exec_lo, exec_lo, s25
	s_delay_alu instid0(SALU_CYCLE_1)
	s_or_b32 exec_lo, exec_lo, s24
	s_and_saveexec_b32 s29, s1
	s_cbranch_execz .LBB513_19
.LBB513_17:                             ;   in Loop: Header=BB513_7 Depth=2
	v_dual_mov_b32 v21, v3 :: v_dual_mov_b32 v20, v2
	s_mov_b64 s[24:25], 0
	s_mov_b32 s30, 0
.LBB513_18:                             ;   Parent Loop BB513_3 Depth=1
                                        ;     Parent Loop BB513_7 Depth=2
                                        ; =>    This Inner Loop Header: Depth=3
	v_add_co_u32 v22, vcc_lo, v14, s24
	v_add_co_ci_u32_e32 v23, vcc_lo, s25, v15, vcc_lo
	v_add_co_u32 v20, s2, v20, s19
	s_delay_alu instid0(VALU_DEP_1) | instskip(SKIP_4) | instid1(VALU_DEP_1)
	v_add_co_ci_u32_e64 v21, s2, 0, v21, s2
	global_load_b32 v22, v[22:23], off
	v_cmp_le_i64_e64 s2, s[10:11], v[20:21]
	s_waitcnt vmcnt(0)
	v_sub_f32_e32 v22, v22, v25
	v_mul_f32_e32 v23, 0x3fb8aa3b, v22
	s_delay_alu instid0(VALU_DEP_1) | instskip(SKIP_1) | instid1(VALU_DEP_1)
	v_fma_f32 v27, 0x3fb8aa3b, v22, -v23
	v_rndne_f32_e32 v28, v23
	v_sub_f32_e32 v23, v23, v28
	s_delay_alu instid0(VALU_DEP_3) | instskip(SKIP_1) | instid1(VALU_DEP_2)
	v_fmac_f32_e32 v27, 0x32a5705f, v22
	v_cmp_ngt_f32_e32 vcc_lo, 0xc2ce8ed0, v22
	v_add_f32_e32 v23, v23, v27
	v_cvt_i32_f32_e32 v27, v28
	s_delay_alu instid0(VALU_DEP_2) | instskip(SKIP_2) | instid1(VALU_DEP_1)
	v_exp_f32_e32 v23, v23
	s_waitcnt_depctr 0xfff
	v_ldexp_f32 v23, v23, v27
	v_cndmask_b32_e32 v23, 0, v23, vcc_lo
	v_cmp_nlt_f32_e32 vcc_lo, 0x42b17218, v22
	s_delay_alu instid0(VALU_DEP_2) | instskip(NEXT) | instid1(VALU_DEP_1)
	v_cndmask_b32_e32 v27, 0x7f800000, v23, vcc_lo
	v_div_scale_f32 v22, null, v26, v26, v27
	v_div_scale_f32 v29, vcc_lo, v27, v26, v27
	s_delay_alu instid0(VALU_DEP_2) | instskip(SKIP_2) | instid1(VALU_DEP_1)
	v_rcp_f32_e32 v23, v22
	s_waitcnt_depctr 0xfff
	v_fma_f32 v28, -v22, v23, 1.0
	v_fmac_f32_e32 v23, v28, v23
	s_delay_alu instid0(VALU_DEP_1) | instskip(NEXT) | instid1(VALU_DEP_1)
	v_mul_f32_e32 v28, v29, v23
	v_fma_f32 v30, -v22, v28, v29
	s_delay_alu instid0(VALU_DEP_1) | instskip(NEXT) | instid1(VALU_DEP_1)
	v_fmac_f32_e32 v28, v30, v23
	v_fma_f32 v22, -v22, v28, v29
	s_delay_alu instid0(VALU_DEP_1) | instskip(SKIP_2) | instid1(VALU_DEP_3)
	v_div_fmas_f32 v28, v22, v23, v28
	v_add_co_u32 v22, vcc_lo, v12, s24
	v_add_co_ci_u32_e32 v23, vcc_lo, s25, v13, vcc_lo
	v_div_fixup_f32 v27, v28, v26, v27
	s_add_u32 s24, s24, s27
	s_addc_u32 s25, s25, s26
	s_or_b32 s30, s2, s30
	global_store_b32 v[22:23], v27, off
	s_and_not1_b32 exec_lo, exec_lo, s30
	s_cbranch_execnz .LBB513_18
.LBB513_19:                             ;   in Loop: Header=BB513_7 Depth=2
	s_or_b32 exec_lo, exec_lo, s29
	s_mov_b32 s2, 0
.LBB513_20:                             ;   in Loop: Header=BB513_7 Depth=2
	s_delay_alu instid0(SALU_CYCLE_1)
	s_and_b32 vcc_lo, exec_lo, s2
	s_cbranch_vccz .LBB513_6
; %bb.21:                               ;   in Loop: Header=BB513_7 Depth=2
	v_mov_b32_e32 v25, 0xff7fffff
	s_and_saveexec_b32 s24, s1
	s_cbranch_execz .LBB513_25
; %bb.22:                               ;   in Loop: Header=BB513_7 Depth=2
	v_mov_b32_e32 v21, v17
	v_dual_mov_b32 v23, v3 :: v_dual_mov_b32 v22, v2
	v_dual_mov_b32 v25, 0xff7fffff :: v_dual_mov_b32 v20, v16
	s_mov_b32 s25, 0
.LBB513_23:                             ;   Parent Loop BB513_3 Depth=1
                                        ;     Parent Loop BB513_7 Depth=2
                                        ; =>    This Inner Loop Header: Depth=3
	global_load_b32 v26, v[20:21], off
	v_add_co_u32 v22, vcc_lo, v22, s19
	v_add_co_ci_u32_e32 v23, vcc_lo, 0, v23, vcc_lo
	v_add_co_u32 v20, vcc_lo, v20, s27
	v_add_co_ci_u32_e32 v21, vcc_lo, s26, v21, vcc_lo
	s_delay_alu instid0(VALU_DEP_3) | instskip(NEXT) | instid1(VALU_DEP_1)
	v_cmp_le_i64_e64 s2, s[10:11], v[22:23]
	s_or_b32 s25, s2, s25
	s_waitcnt vmcnt(0)
	v_cmp_lt_f32_e32 vcc_lo, v25, v26
	v_cndmask_b32_e32 v25, v25, v26, vcc_lo
	s_and_not1_b32 exec_lo, exec_lo, s25
	s_cbranch_execnz .LBB513_23
; %bb.24:                               ;   in Loop: Header=BB513_7 Depth=2
	s_or_b32 exec_lo, exec_lo, s25
.LBB513_25:                             ;   in Loop: Header=BB513_7 Depth=2
	s_delay_alu instid0(SALU_CYCLE_1)
	s_or_b32 exec_lo, exec_lo, s24
	s_mov_b32 s2, s19
	s_waitcnt_vscnt null, 0x0
	s_barrier
	buffer_gl0_inv
	ds_store_b32 v24, v25
	s_branch .LBB513_27
	.p2align	6
.LBB513_26:                             ;   in Loop: Header=BB513_27 Depth=3
	s_or_b32 exec_lo, exec_lo, s25
	s_cmp_gt_u32 s2, 3
	s_mov_b32 s2, s24
	s_cbranch_scc0 .LBB513_29
.LBB513_27:                             ;   Parent Loop BB513_3 Depth=1
                                        ;     Parent Loop BB513_7 Depth=2
                                        ; =>    This Inner Loop Header: Depth=3
	s_lshr_b32 s24, s2, 1
	s_mov_b32 s25, exec_lo
	s_waitcnt lgkmcnt(0)
	s_barrier
	buffer_gl0_inv
	v_cmpx_gt_u32_e64 s24, v2
	s_cbranch_execz .LBB513_26
; %bb.28:                               ;   in Loop: Header=BB513_27 Depth=3
	v_lshl_add_u32 v20, s24, 2, v24
	ds_load_b32 v21, v24
	ds_load_b32 v20, v20
	s_waitcnt lgkmcnt(0)
	v_cmp_lt_f32_e32 vcc_lo, v21, v20
	v_cndmask_b32_e32 v20, v21, v20, vcc_lo
	ds_store_b32 v24, v20
	s_branch .LBB513_26
.LBB513_29:                             ;   in Loop: Header=BB513_7 Depth=2
	s_waitcnt lgkmcnt(0)
	s_barrier
	buffer_gl0_inv
	ds_load_b32 v25, v0
	v_mov_b32_e32 v26, 0
	s_and_saveexec_b32 s24, s1
	s_cbranch_execz .LBB513_33
; %bb.30:                               ;   in Loop: Header=BB513_7 Depth=2
	v_dual_mov_b32 v26, 0 :: v_dual_mov_b32 v21, v17
	v_dual_mov_b32 v20, v16 :: v_dual_mov_b32 v23, v3
	v_mov_b32_e32 v22, v2
	s_mov_b32 s25, 0
	s_set_inst_prefetch_distance 0x1
	.p2align	6
.LBB513_31:                             ;   Parent Loop BB513_3 Depth=1
                                        ;     Parent Loop BB513_7 Depth=2
                                        ; =>    This Inner Loop Header: Depth=3
	global_load_b32 v27, v[20:21], off
	v_add_co_u32 v22, vcc_lo, v22, s19
	v_add_co_ci_u32_e32 v23, vcc_lo, 0, v23, vcc_lo
	s_delay_alu instid0(VALU_DEP_1) | instskip(SKIP_3) | instid1(VALU_DEP_1)
	v_cmp_le_i64_e32 vcc_lo, s[10:11], v[22:23]
	s_or_b32 s25, vcc_lo, s25
	s_waitcnt vmcnt(0) lgkmcnt(0)
	v_sub_f32_e32 v27, v27, v25
	v_mul_f32_e32 v28, 0x3fb8aa3b, v27
	s_delay_alu instid0(VALU_DEP_1) | instskip(SKIP_1) | instid1(VALU_DEP_1)
	v_fma_f32 v29, 0x3fb8aa3b, v27, -v28
	v_rndne_f32_e32 v30, v28
	v_dual_sub_f32 v28, v28, v30 :: v_dual_fmac_f32 v29, 0x32a5705f, v27
	v_cmp_ngt_f32_e64 s2, 0xc2ce8ed0, v27
	s_delay_alu instid0(VALU_DEP_2) | instskip(SKIP_1) | instid1(VALU_DEP_2)
	v_add_f32_e32 v28, v28, v29
	v_cvt_i32_f32_e32 v29, v30
	v_exp_f32_e32 v28, v28
	s_waitcnt_depctr 0xfff
	v_ldexp_f32 v28, v28, v29
	s_delay_alu instid0(VALU_DEP_1) | instskip(SKIP_1) | instid1(VALU_DEP_1)
	v_cndmask_b32_e64 v28, 0, v28, s2
	v_cmp_nlt_f32_e64 s2, 0x42b17218, v27
	v_cndmask_b32_e64 v27, 0x7f800000, v28, s2
	v_add_co_u32 v20, s2, v20, s27
	s_delay_alu instid0(VALU_DEP_1) | instskip(NEXT) | instid1(VALU_DEP_3)
	v_add_co_ci_u32_e64 v21, s2, s26, v21, s2
	v_add_f32_e32 v26, v26, v27
	s_and_not1_b32 exec_lo, exec_lo, s25
	s_cbranch_execnz .LBB513_31
; %bb.32:                               ;   in Loop: Header=BB513_7 Depth=2
	s_set_inst_prefetch_distance 0x2
	s_or_b32 exec_lo, exec_lo, s25
.LBB513_33:                             ;   in Loop: Header=BB513_7 Depth=2
	s_delay_alu instid0(SALU_CYCLE_1)
	s_or_b32 exec_lo, exec_lo, s24
	s_mov_b32 s2, s19
	s_waitcnt lgkmcnt(0)
	s_barrier
	buffer_gl0_inv
	ds_store_b32 v24, v26
	s_branch .LBB513_35
	.p2align	6
.LBB513_34:                             ;   in Loop: Header=BB513_35 Depth=3
	s_or_b32 exec_lo, exec_lo, s25
	s_cmp_gt_u32 s2, 3
	s_mov_b32 s2, s24
	s_cbranch_scc0 .LBB513_37
.LBB513_35:                             ;   Parent Loop BB513_3 Depth=1
                                        ;     Parent Loop BB513_7 Depth=2
                                        ; =>    This Inner Loop Header: Depth=3
	s_lshr_b32 s24, s2, 1
	s_mov_b32 s25, exec_lo
	s_waitcnt lgkmcnt(0)
	s_barrier
	buffer_gl0_inv
	v_cmpx_gt_u32_e64 s24, v2
	s_cbranch_execz .LBB513_34
; %bb.36:                               ;   in Loop: Header=BB513_35 Depth=3
	v_lshl_add_u32 v20, s24, 2, v24
	ds_load_b32 v21, v24
	ds_load_b32 v20, v20
	s_waitcnt lgkmcnt(0)
	v_add_f32_e32 v20, v21, v20
	ds_store_b32 v24, v20
	s_branch .LBB513_34
.LBB513_37:                             ;   in Loop: Header=BB513_7 Depth=2
	s_waitcnt lgkmcnt(0)
	s_barrier
	buffer_gl0_inv
	s_and_saveexec_b32 s29, s1
	s_cbranch_execz .LBB513_5
; %bb.38:                               ;   in Loop: Header=BB513_7 Depth=2
	ds_load_b32 v22, v0
	v_dual_mov_b32 v21, v3 :: v_dual_mov_b32 v20, v2
	s_mov_b64 s[24:25], 0
	s_mov_b32 s30, 0
.LBB513_39:                             ;   Parent Loop BB513_3 Depth=1
                                        ;     Parent Loop BB513_7 Depth=2
                                        ; =>    This Inner Loop Header: Depth=3
	v_add_co_u32 v26, vcc_lo, v14, s24
	v_add_co_ci_u32_e32 v27, vcc_lo, s25, v15, vcc_lo
	v_add_co_u32 v20, s2, v20, s19
	s_delay_alu instid0(VALU_DEP_1) | instskip(SKIP_4) | instid1(VALU_DEP_1)
	v_add_co_ci_u32_e64 v21, s2, 0, v21, s2
	global_load_b32 v23, v[26:27], off
	v_cmp_le_i64_e64 s2, s[10:11], v[20:21]
	s_waitcnt vmcnt(0)
	v_sub_f32_e32 v23, v23, v25
	v_mul_f32_e32 v26, 0x3fb8aa3b, v23
	s_delay_alu instid0(VALU_DEP_1) | instskip(SKIP_1) | instid1(VALU_DEP_1)
	v_fma_f32 v27, 0x3fb8aa3b, v23, -v26
	v_rndne_f32_e32 v28, v26
	v_sub_f32_e32 v26, v26, v28
	v_cmp_ngt_f32_e32 vcc_lo, 0xc2ce8ed0, v23
	s_delay_alu instid0(VALU_DEP_4) | instskip(NEXT) | instid1(VALU_DEP_1)
	v_fmac_f32_e32 v27, 0x32a5705f, v23
	v_add_f32_e32 v26, v26, v27
	v_cvt_i32_f32_e32 v27, v28
	s_delay_alu instid0(VALU_DEP_2) | instskip(SKIP_2) | instid1(VALU_DEP_1)
	v_exp_f32_e32 v26, v26
	s_waitcnt_depctr 0xfff
	v_ldexp_f32 v26, v26, v27
	v_cndmask_b32_e32 v26, 0, v26, vcc_lo
	v_cmp_nlt_f32_e32 vcc_lo, 0x42b17218, v23
	s_delay_alu instid0(VALU_DEP_2) | instskip(SKIP_1) | instid1(VALU_DEP_1)
	v_cndmask_b32_e32 v23, 0x7f800000, v26, vcc_lo
	s_waitcnt lgkmcnt(0)
	v_div_scale_f32 v26, null, v22, v22, v23
	v_div_scale_f32 v29, vcc_lo, v23, v22, v23
	s_delay_alu instid0(VALU_DEP_2) | instskip(SKIP_2) | instid1(VALU_DEP_1)
	v_rcp_f32_e32 v27, v26
	s_waitcnt_depctr 0xfff
	v_fma_f32 v28, -v26, v27, 1.0
	v_fmac_f32_e32 v27, v28, v27
	s_delay_alu instid0(VALU_DEP_1) | instskip(NEXT) | instid1(VALU_DEP_1)
	v_mul_f32_e32 v28, v29, v27
	v_fma_f32 v30, -v26, v28, v29
	s_delay_alu instid0(VALU_DEP_1) | instskip(NEXT) | instid1(VALU_DEP_1)
	v_fmac_f32_e32 v28, v30, v27
	v_fma_f32 v26, -v26, v28, v29
	s_delay_alu instid0(VALU_DEP_1) | instskip(SKIP_2) | instid1(VALU_DEP_3)
	v_div_fmas_f32 v28, v26, v27, v28
	v_add_co_u32 v26, vcc_lo, v12, s24
	v_add_co_ci_u32_e32 v27, vcc_lo, s25, v13, vcc_lo
	v_div_fixup_f32 v23, v28, v22, v23
	s_add_u32 s24, s24, s27
	s_addc_u32 s25, s25, s26
	s_or_b32 s30, s2, s30
	global_store_b32 v[26:27], v23, off
	s_and_not1_b32 exec_lo, exec_lo, s30
	s_cbranch_execnz .LBB513_39
	s_branch .LBB513_5
.LBB513_40:
	s_nop 0
	s_sendmsg sendmsg(MSG_DEALLOC_VGPRS)
	s_endpgm
	.section	.rodata,"a",@progbits
	.p2align	6, 0x0
	.amdhsa_kernel _ZN2at6native12_GLOBAL__N_126cunn_SpatialSoftMaxForwardIffflNS1_22SoftMaxForwardEpilogueEEEvPT1_PKT_T2_S9_S9_
		.amdhsa_group_segment_fixed_size 0
		.amdhsa_private_segment_fixed_size 0
		.amdhsa_kernarg_size 296
		.amdhsa_user_sgpr_count 14
		.amdhsa_user_sgpr_dispatch_ptr 0
		.amdhsa_user_sgpr_queue_ptr 0
		.amdhsa_user_sgpr_kernarg_segment_ptr 1
		.amdhsa_user_sgpr_dispatch_id 0
		.amdhsa_user_sgpr_private_segment_size 0
		.amdhsa_wavefront_size32 1
		.amdhsa_uses_dynamic_stack 0
		.amdhsa_enable_private_segment 0
		.amdhsa_system_sgpr_workgroup_id_x 1
		.amdhsa_system_sgpr_workgroup_id_y 1
		.amdhsa_system_sgpr_workgroup_id_z 0
		.amdhsa_system_sgpr_workgroup_info 0
		.amdhsa_system_vgpr_workitem_id 1
		.amdhsa_next_free_vgpr 31
		.amdhsa_next_free_sgpr 31
		.amdhsa_reserve_vcc 1
		.amdhsa_float_round_mode_32 0
		.amdhsa_float_round_mode_16_64 0
		.amdhsa_float_denorm_mode_32 3
		.amdhsa_float_denorm_mode_16_64 3
		.amdhsa_dx10_clamp 1
		.amdhsa_ieee_mode 1
		.amdhsa_fp16_overflow 0
		.amdhsa_workgroup_processor_mode 1
		.amdhsa_memory_ordered 1
		.amdhsa_forward_progress 0
		.amdhsa_shared_vgpr_count 0
		.amdhsa_exception_fp_ieee_invalid_op 0
		.amdhsa_exception_fp_denorm_src 0
		.amdhsa_exception_fp_ieee_div_zero 0
		.amdhsa_exception_fp_ieee_overflow 0
		.amdhsa_exception_fp_ieee_underflow 0
		.amdhsa_exception_fp_ieee_inexact 0
		.amdhsa_exception_int_div_zero 0
	.end_amdhsa_kernel
	.section	.text._ZN2at6native12_GLOBAL__N_126cunn_SpatialSoftMaxForwardIffflNS1_22SoftMaxForwardEpilogueEEEvPT1_PKT_T2_S9_S9_,"axG",@progbits,_ZN2at6native12_GLOBAL__N_126cunn_SpatialSoftMaxForwardIffflNS1_22SoftMaxForwardEpilogueEEEvPT1_PKT_T2_S9_S9_,comdat
.Lfunc_end513:
	.size	_ZN2at6native12_GLOBAL__N_126cunn_SpatialSoftMaxForwardIffflNS1_22SoftMaxForwardEpilogueEEEvPT1_PKT_T2_S9_S9_, .Lfunc_end513-_ZN2at6native12_GLOBAL__N_126cunn_SpatialSoftMaxForwardIffflNS1_22SoftMaxForwardEpilogueEEEvPT1_PKT_T2_S9_S9_
                                        ; -- End function
	.section	.AMDGPU.csdata,"",@progbits
; Kernel info:
; codeLenInByte = 2416
; NumSgprs: 33
; NumVgprs: 31
; ScratchSize: 0
; MemoryBound: 0
; FloatMode: 240
; IeeeMode: 1
; LDSByteSize: 0 bytes/workgroup (compile time only)
; SGPRBlocks: 4
; VGPRBlocks: 3
; NumSGPRsForWavesPerEU: 33
; NumVGPRsForWavesPerEU: 31
; Occupancy: 16
; WaveLimiterHint : 0
; COMPUTE_PGM_RSRC2:SCRATCH_EN: 0
; COMPUTE_PGM_RSRC2:USER_SGPR: 14
; COMPUTE_PGM_RSRC2:TRAP_HANDLER: 0
; COMPUTE_PGM_RSRC2:TGID_X_EN: 1
; COMPUTE_PGM_RSRC2:TGID_Y_EN: 1
; COMPUTE_PGM_RSRC2:TGID_Z_EN: 0
; COMPUTE_PGM_RSRC2:TIDIG_COMP_CNT: 1
	.section	.text._ZN2at6native12_GLOBAL__N_126cunn_SpatialSoftMaxForwardIN3c104HalfEfS4_iNS1_22SoftMaxForwardEpilogueEEEvPT1_PKT_T2_SB_SB_,"axG",@progbits,_ZN2at6native12_GLOBAL__N_126cunn_SpatialSoftMaxForwardIN3c104HalfEfS4_iNS1_22SoftMaxForwardEpilogueEEEvPT1_PKT_T2_SB_SB_,comdat
	.globl	_ZN2at6native12_GLOBAL__N_126cunn_SpatialSoftMaxForwardIN3c104HalfEfS4_iNS1_22SoftMaxForwardEpilogueEEEvPT1_PKT_T2_SB_SB_ ; -- Begin function _ZN2at6native12_GLOBAL__N_126cunn_SpatialSoftMaxForwardIN3c104HalfEfS4_iNS1_22SoftMaxForwardEpilogueEEEvPT1_PKT_T2_SB_SB_
	.p2align	8
	.type	_ZN2at6native12_GLOBAL__N_126cunn_SpatialSoftMaxForwardIN3c104HalfEfS4_iNS1_22SoftMaxForwardEpilogueEEEvPT1_PKT_T2_SB_SB_,@function
_ZN2at6native12_GLOBAL__N_126cunn_SpatialSoftMaxForwardIN3c104HalfEfS4_iNS1_22SoftMaxForwardEpilogueEEEvPT1_PKT_T2_SB_SB_: ; @_ZN2at6native12_GLOBAL__N_126cunn_SpatialSoftMaxForwardIN3c104HalfEfS4_iNS1_22SoftMaxForwardEpilogueEEEvPT1_PKT_T2_SB_SB_
; %bb.0:
	s_load_b128 s[4:7], s[0:1], 0x10
	s_waitcnt lgkmcnt(0)
	s_cmp_ge_i32 s14, s4
	s_cbranch_scc1 .LBB514_40
; %bb.1:
	s_load_b32 s2, s[0:1], 0x2c
	v_and_b32_e32 v1, 0x3ff, v0
	s_clause 0x1
	s_load_b64 s[12:13], s[0:1], 0x20
	s_load_b128 s[8:11], s[0:1], 0x0
	s_add_u32 s16, s0, 32
	v_bfe_u32 v0, v0, 10, 10
	v_mad_u64_u32 v[2:3], null, s14, s5, v[1:2]
	s_addc_u32 s17, s1, 0
	v_cmp_gt_i32_e64 s0, s5, v1
	s_delay_alu instid0(VALU_DEP_2)
	v_mul_lo_u32 v2, s6, v2
	s_waitcnt lgkmcnt(0)
	s_lshr_b32 s2, s2, 16
	s_mul_i32 s7, s12, s6
	s_mul_i32 s15, s15, s2
	;; [unrolled: 1-line block ×3, first 2 shown]
	v_add_nc_u32_e32 v4, s15, v0
	s_delay_alu instid0(VALU_DEP_2) | instskip(SKIP_1) | instid1(VALU_DEP_2)
	v_add3_u32 v5, v0, v2, s15
	s_mul_i32 s7, s7, s5
	v_cmp_gt_i32_e64 s1, s6, v4
	s_branch .LBB514_3
.LBB514_2:                              ;   in Loop: Header=BB514_3 Depth=1
	s_or_b32 exec_lo, exec_lo, s13
	v_add_nc_u32_e32 v5, s7, v5
	s_add_i32 s14, s12, s14
	s_delay_alu instid0(SALU_CYCLE_1)
	s_cmp_ge_i32 s14, s4
	s_cbranch_scc1 .LBB514_40
.LBB514_3:                              ; =>This Loop Header: Depth=1
                                        ;     Child Loop BB514_7 Depth 2
                                        ;       Child Loop BB514_12 Depth 3
                                        ;       Child Loop BB514_15 Depth 3
	;; [unrolled: 1-line block ×8, first 2 shown]
	s_delay_alu instid0(VALU_DEP_1)
	s_and_saveexec_b32 s13, s1
	s_cbranch_execz .LBB514_2
; %bb.4:                                ;   in Loop: Header=BB514_3 Depth=1
	s_load_b32 s2, s[16:17], 0xc
	v_mov_b32_e32 v7, v5
	v_mov_b32_e32 v9, v4
	s_mov_b32 s20, 0
	s_waitcnt lgkmcnt(0)
	s_and_b32 s15, s2, 0xffff
	s_delay_alu instid0(SALU_CYCLE_1) | instskip(SKIP_3) | instid1(VALU_DEP_1)
	v_mul_u32_u24_e32 v2, s15, v0
	s_cmp_lt_u32 s15, 2
	s_mul_i32 s19, s6, s15
	s_cselect_b32 s18, -1, 0
	v_lshl_add_u32 v6, v2, 2, 0
	s_delay_alu instid0(VALU_DEP_1)
	v_lshl_add_u32 v8, v1, 2, v6
	s_branch .LBB514_7
.LBB514_5:                              ;   in Loop: Header=BB514_7 Depth=2
	s_or_b32 exec_lo, exec_lo, s21
.LBB514_6:                              ;   in Loop: Header=BB514_7 Depth=2
	v_add_nc_u32_e32 v9, s3, v9
	v_add_nc_u32_e32 v7, s3, v7
	s_delay_alu instid0(VALU_DEP_2) | instskip(SKIP_1) | instid1(SALU_CYCLE_1)
	v_cmp_le_i32_e32 vcc_lo, s6, v9
	s_or_b32 s20, vcc_lo, s20
	s_and_not1_b32 exec_lo, exec_lo, s20
	s_cbranch_execz .LBB514_2
.LBB514_7:                              ;   Parent Loop BB514_3 Depth=1
                                        ; =>  This Loop Header: Depth=2
                                        ;       Child Loop BB514_12 Depth 3
                                        ;       Child Loop BB514_15 Depth 3
	;; [unrolled: 1-line block ×8, first 2 shown]
	s_and_b32 vcc_lo, exec_lo, s18
	s_mov_b32 s2, -1
	s_cbranch_vccz .LBB514_20
; %bb.8:                                ;   in Loop: Header=BB514_7 Depth=2
	v_mov_b32_e32 v10, 0xff7fffff
	s_and_saveexec_b32 s21, s0
	s_cbranch_execnz .LBB514_11
; %bb.9:                                ;   in Loop: Header=BB514_7 Depth=2
	s_or_b32 exec_lo, exec_lo, s21
	v_mov_b32_e32 v11, 0
	s_and_saveexec_b32 s2, s0
	s_cbranch_execnz .LBB514_14
.LBB514_10:                             ;   in Loop: Header=BB514_7 Depth=2
	s_or_b32 exec_lo, exec_lo, s2
	s_and_saveexec_b32 s21, s0
	s_cbranch_execnz .LBB514_17
	s_branch .LBB514_19
.LBB514_11:                             ;   in Loop: Header=BB514_7 Depth=2
	v_dual_mov_b32 v10, 0xff7fffff :: v_dual_mov_b32 v11, v1
	v_mov_b32_e32 v2, v7
	s_mov_b32 s22, 0
	.p2align	6
.LBB514_12:                             ;   Parent Loop BB514_3 Depth=1
                                        ;     Parent Loop BB514_7 Depth=2
                                        ; =>    This Inner Loop Header: Depth=3
	s_delay_alu instid0(VALU_DEP_1) | instskip(NEXT) | instid1(VALU_DEP_3)
	v_ashrrev_i32_e32 v3, 31, v2
	v_add_nc_u32_e32 v11, s15, v11
	s_delay_alu instid0(VALU_DEP_2) | instskip(SKIP_1) | instid1(VALU_DEP_2)
	v_lshlrev_b64 v[12:13], 1, v[2:3]
	v_add_nc_u32_e32 v2, s19, v2
	v_add_co_u32 v12, vcc_lo, s10, v12
	s_delay_alu instid0(VALU_DEP_3)
	v_add_co_ci_u32_e32 v13, vcc_lo, s11, v13, vcc_lo
	v_cmp_le_i32_e32 vcc_lo, s5, v11
	global_load_u16 v3, v[12:13], off
	s_or_b32 s22, vcc_lo, s22
	s_waitcnt vmcnt(0)
	v_cvt_f32_f16_e32 v3, v3
	s_delay_alu instid0(VALU_DEP_1) | instskip(NEXT) | instid1(VALU_DEP_1)
	v_cmp_lt_f32_e64 s2, v10, v3
	v_cndmask_b32_e64 v10, v10, v3, s2
	s_and_not1_b32 exec_lo, exec_lo, s22
	s_cbranch_execnz .LBB514_12
; %bb.13:                               ;   in Loop: Header=BB514_7 Depth=2
	s_or_b32 exec_lo, exec_lo, s22
	s_delay_alu instid0(SALU_CYCLE_1)
	s_or_b32 exec_lo, exec_lo, s21
	v_mov_b32_e32 v11, 0
	s_and_saveexec_b32 s2, s0
	s_cbranch_execz .LBB514_10
.LBB514_14:                             ;   in Loop: Header=BB514_7 Depth=2
	v_dual_mov_b32 v11, 0 :: v_dual_mov_b32 v2, v7
	v_mov_b32_e32 v12, v1
	s_mov_b32 s21, 0
	s_set_inst_prefetch_distance 0x1
	.p2align	6
.LBB514_15:                             ;   Parent Loop BB514_3 Depth=1
                                        ;     Parent Loop BB514_7 Depth=2
                                        ; =>    This Inner Loop Header: Depth=3
	s_delay_alu instid0(VALU_DEP_2) | instskip(NEXT) | instid1(VALU_DEP_2)
	v_ashrrev_i32_e32 v3, 31, v2
	v_add_nc_u32_e32 v12, s15, v12
	s_delay_alu instid0(VALU_DEP_2) | instskip(SKIP_1) | instid1(VALU_DEP_2)
	v_lshlrev_b64 v[13:14], 1, v[2:3]
	v_add_nc_u32_e32 v2, s19, v2
	v_add_co_u32 v13, vcc_lo, s10, v13
	s_delay_alu instid0(VALU_DEP_3) | instskip(SKIP_3) | instid1(VALU_DEP_1)
	v_add_co_ci_u32_e32 v14, vcc_lo, s11, v14, vcc_lo
	global_load_u16 v3, v[13:14], off
	s_waitcnt vmcnt(0)
	v_cvt_f32_f16_e32 v3, v3
	v_sub_f32_e32 v3, v3, v10
	s_delay_alu instid0(VALU_DEP_1) | instskip(SKIP_1) | instid1(VALU_DEP_2)
	v_mul_f32_e32 v13, 0x3fb8aa3b, v3
	v_cmp_ngt_f32_e32 vcc_lo, 0xc2ce8ed0, v3
	v_fma_f32 v14, 0x3fb8aa3b, v3, -v13
	v_rndne_f32_e32 v15, v13
	s_delay_alu instid0(VALU_DEP_2) | instskip(NEXT) | instid1(VALU_DEP_2)
	v_fmac_f32_e32 v14, 0x32a5705f, v3
	v_sub_f32_e32 v13, v13, v15
	s_delay_alu instid0(VALU_DEP_1) | instskip(SKIP_1) | instid1(VALU_DEP_2)
	v_add_f32_e32 v13, v13, v14
	v_cvt_i32_f32_e32 v14, v15
	v_exp_f32_e32 v13, v13
	s_waitcnt_depctr 0xfff
	v_ldexp_f32 v13, v13, v14
	s_delay_alu instid0(VALU_DEP_1) | instskip(SKIP_1) | instid1(VALU_DEP_2)
	v_cndmask_b32_e32 v13, 0, v13, vcc_lo
	v_cmp_nlt_f32_e32 vcc_lo, 0x42b17218, v3
	v_cndmask_b32_e32 v3, 0x7f800000, v13, vcc_lo
	v_cmp_le_i32_e32 vcc_lo, s5, v12
	s_delay_alu instid0(VALU_DEP_2) | instskip(SKIP_1) | instid1(SALU_CYCLE_1)
	v_add_f32_e32 v11, v11, v3
	s_or_b32 s21, vcc_lo, s21
	s_and_not1_b32 exec_lo, exec_lo, s21
	s_cbranch_execnz .LBB514_15
; %bb.16:                               ;   in Loop: Header=BB514_7 Depth=2
	s_set_inst_prefetch_distance 0x2
	s_or_b32 exec_lo, exec_lo, s21
	s_delay_alu instid0(SALU_CYCLE_1)
	s_or_b32 exec_lo, exec_lo, s2
	s_and_saveexec_b32 s21, s0
	s_cbranch_execz .LBB514_19
.LBB514_17:                             ;   in Loop: Header=BB514_7 Depth=2
	v_mov_b32_e32 v2, v7
	v_mov_b32_e32 v12, v1
	s_mov_b32 s22, 0
.LBB514_18:                             ;   Parent Loop BB514_3 Depth=1
                                        ;     Parent Loop BB514_7 Depth=2
                                        ; =>    This Inner Loop Header: Depth=3
	s_delay_alu instid0(VALU_DEP_2) | instskip(NEXT) | instid1(VALU_DEP_2)
	v_ashrrev_i32_e32 v3, 31, v2
	v_add_nc_u32_e32 v12, s15, v12
	s_delay_alu instid0(VALU_DEP_2) | instskip(SKIP_1) | instid1(VALU_DEP_2)
	v_lshlrev_b64 v[13:14], 1, v[2:3]
	v_add_nc_u32_e32 v2, s19, v2
	v_add_co_u32 v15, vcc_lo, s10, v13
	s_delay_alu instid0(VALU_DEP_3) | instskip(SKIP_1) | instid1(VALU_DEP_1)
	v_add_co_ci_u32_e32 v16, vcc_lo, s11, v14, vcc_lo
	v_add_co_u32 v13, s2, s8, v13
	v_add_co_ci_u32_e64 v14, s2, s9, v14, s2
	global_load_u16 v3, v[15:16], off
	s_waitcnt vmcnt(0)
	v_cvt_f32_f16_e32 v3, v3
	s_delay_alu instid0(VALU_DEP_1) | instskip(NEXT) | instid1(VALU_DEP_1)
	v_sub_f32_e32 v3, v3, v10
	v_mul_f32_e32 v15, 0x3fb8aa3b, v3
	v_cmp_ngt_f32_e32 vcc_lo, 0xc2ce8ed0, v3
	s_delay_alu instid0(VALU_DEP_2) | instskip(SKIP_1) | instid1(VALU_DEP_1)
	v_fma_f32 v16, 0x3fb8aa3b, v3, -v15
	v_rndne_f32_e32 v17, v15
	v_dual_fmac_f32 v16, 0x32a5705f, v3 :: v_dual_sub_f32 v15, v15, v17
	s_delay_alu instid0(VALU_DEP_1) | instskip(SKIP_1) | instid1(VALU_DEP_2)
	v_add_f32_e32 v15, v15, v16
	v_cvt_i32_f32_e32 v16, v17
	v_exp_f32_e32 v15, v15
	s_waitcnt_depctr 0xfff
	v_ldexp_f32 v15, v15, v16
	s_delay_alu instid0(VALU_DEP_1) | instskip(SKIP_1) | instid1(VALU_DEP_2)
	v_cndmask_b32_e32 v15, 0, v15, vcc_lo
	v_cmp_nlt_f32_e32 vcc_lo, 0x42b17218, v3
	v_cndmask_b32_e32 v3, 0x7f800000, v15, vcc_lo
	s_delay_alu instid0(VALU_DEP_1) | instskip(SKIP_1) | instid1(VALU_DEP_2)
	v_div_scale_f32 v15, null, v11, v11, v3
	v_div_scale_f32 v18, vcc_lo, v3, v11, v3
	v_rcp_f32_e32 v16, v15
	s_waitcnt_depctr 0xfff
	v_fma_f32 v17, -v15, v16, 1.0
	s_delay_alu instid0(VALU_DEP_1) | instskip(NEXT) | instid1(VALU_DEP_1)
	v_fmac_f32_e32 v16, v17, v16
	v_mul_f32_e32 v17, v18, v16
	s_delay_alu instid0(VALU_DEP_1) | instskip(NEXT) | instid1(VALU_DEP_1)
	v_fma_f32 v19, -v15, v17, v18
	v_fmac_f32_e32 v17, v19, v16
	s_delay_alu instid0(VALU_DEP_1) | instskip(NEXT) | instid1(VALU_DEP_1)
	v_fma_f32 v15, -v15, v17, v18
	v_div_fmas_f32 v15, v15, v16, v17
	v_cmp_le_i32_e32 vcc_lo, s5, v12
	s_delay_alu instid0(VALU_DEP_2) | instskip(SKIP_1) | instid1(VALU_DEP_1)
	v_div_fixup_f32 v3, v15, v11, v3
	s_or_b32 s22, vcc_lo, s22
	v_cvt_f16_f32_e32 v3, v3
	global_store_b16 v[13:14], v3, off
	s_and_not1_b32 exec_lo, exec_lo, s22
	s_cbranch_execnz .LBB514_18
.LBB514_19:                             ;   in Loop: Header=BB514_7 Depth=2
	s_or_b32 exec_lo, exec_lo, s21
	s_mov_b32 s2, 0
.LBB514_20:                             ;   in Loop: Header=BB514_7 Depth=2
	s_delay_alu instid0(SALU_CYCLE_1)
	s_and_b32 vcc_lo, exec_lo, s2
	s_cbranch_vccz .LBB514_6
; %bb.21:                               ;   in Loop: Header=BB514_7 Depth=2
	v_mov_b32_e32 v10, 0xff7fffff
	s_and_saveexec_b32 s21, s0
	s_cbranch_execz .LBB514_25
; %bb.22:                               ;   in Loop: Header=BB514_7 Depth=2
	v_dual_mov_b32 v10, 0xff7fffff :: v_dual_mov_b32 v11, v1
	v_mov_b32_e32 v2, v7
	s_mov_b32 s22, 0
	.p2align	6
.LBB514_23:                             ;   Parent Loop BB514_3 Depth=1
                                        ;     Parent Loop BB514_7 Depth=2
                                        ; =>    This Inner Loop Header: Depth=3
	s_delay_alu instid0(VALU_DEP_1) | instskip(NEXT) | instid1(VALU_DEP_3)
	v_ashrrev_i32_e32 v3, 31, v2
	v_add_nc_u32_e32 v11, s15, v11
	s_delay_alu instid0(VALU_DEP_2) | instskip(SKIP_1) | instid1(VALU_DEP_2)
	v_lshlrev_b64 v[12:13], 1, v[2:3]
	v_add_nc_u32_e32 v2, s19, v2
	v_add_co_u32 v12, vcc_lo, s10, v12
	s_delay_alu instid0(VALU_DEP_3)
	v_add_co_ci_u32_e32 v13, vcc_lo, s11, v13, vcc_lo
	v_cmp_le_i32_e32 vcc_lo, s5, v11
	global_load_u16 v3, v[12:13], off
	s_or_b32 s22, vcc_lo, s22
	s_waitcnt vmcnt(0)
	v_cvt_f32_f16_e32 v3, v3
	s_delay_alu instid0(VALU_DEP_1) | instskip(NEXT) | instid1(VALU_DEP_1)
	v_cmp_lt_f32_e64 s2, v10, v3
	v_cndmask_b32_e64 v10, v10, v3, s2
	s_and_not1_b32 exec_lo, exec_lo, s22
	s_cbranch_execnz .LBB514_23
; %bb.24:                               ;   in Loop: Header=BB514_7 Depth=2
	s_or_b32 exec_lo, exec_lo, s22
.LBB514_25:                             ;   in Loop: Header=BB514_7 Depth=2
	s_delay_alu instid0(SALU_CYCLE_1)
	s_or_b32 exec_lo, exec_lo, s21
	s_mov_b32 s2, s15
	s_waitcnt_vscnt null, 0x0
	s_barrier
	buffer_gl0_inv
	ds_store_b32 v8, v10
	s_branch .LBB514_27
	.p2align	6
.LBB514_26:                             ;   in Loop: Header=BB514_27 Depth=3
	s_or_b32 exec_lo, exec_lo, s22
	s_cmp_gt_u32 s2, 3
	s_mov_b32 s2, s21
	s_cbranch_scc0 .LBB514_29
.LBB514_27:                             ;   Parent Loop BB514_3 Depth=1
                                        ;     Parent Loop BB514_7 Depth=2
                                        ; =>    This Inner Loop Header: Depth=3
	s_lshr_b32 s21, s2, 1
	s_mov_b32 s22, exec_lo
	s_waitcnt lgkmcnt(0)
	s_barrier
	buffer_gl0_inv
	v_cmpx_gt_u32_e64 s21, v1
	s_cbranch_execz .LBB514_26
; %bb.28:                               ;   in Loop: Header=BB514_27 Depth=3
	v_lshl_add_u32 v2, s21, 2, v8
	ds_load_b32 v3, v8
	ds_load_b32 v2, v2
	s_waitcnt lgkmcnt(0)
	v_cmp_lt_f32_e32 vcc_lo, v3, v2
	v_cndmask_b32_e32 v2, v3, v2, vcc_lo
	ds_store_b32 v8, v2
	s_branch .LBB514_26
.LBB514_29:                             ;   in Loop: Header=BB514_7 Depth=2
	s_waitcnt lgkmcnt(0)
	s_barrier
	buffer_gl0_inv
	ds_load_b32 v10, v6
	v_mov_b32_e32 v11, 0
	s_and_saveexec_b32 s2, s0
	s_cbranch_execz .LBB514_33
; %bb.30:                               ;   in Loop: Header=BB514_7 Depth=2
	v_dual_mov_b32 v11, 0 :: v_dual_mov_b32 v2, v7
	v_mov_b32_e32 v12, v1
	s_mov_b32 s21, 0
	s_set_inst_prefetch_distance 0x1
	.p2align	6
.LBB514_31:                             ;   Parent Loop BB514_3 Depth=1
                                        ;     Parent Loop BB514_7 Depth=2
                                        ; =>    This Inner Loop Header: Depth=3
	s_delay_alu instid0(VALU_DEP_2) | instskip(NEXT) | instid1(VALU_DEP_2)
	v_ashrrev_i32_e32 v3, 31, v2
	v_add_nc_u32_e32 v12, s15, v12
	s_delay_alu instid0(VALU_DEP_2) | instskip(SKIP_1) | instid1(VALU_DEP_2)
	v_lshlrev_b64 v[13:14], 1, v[2:3]
	v_add_nc_u32_e32 v2, s19, v2
	v_add_co_u32 v13, vcc_lo, s10, v13
	s_delay_alu instid0(VALU_DEP_3) | instskip(SKIP_4) | instid1(VALU_DEP_1)
	v_add_co_ci_u32_e32 v14, vcc_lo, s11, v14, vcc_lo
	global_load_u16 v3, v[13:14], off
	s_waitcnt vmcnt(0)
	v_cvt_f32_f16_e32 v3, v3
	s_waitcnt lgkmcnt(0)
	v_sub_f32_e32 v3, v3, v10
	s_delay_alu instid0(VALU_DEP_1) | instskip(SKIP_1) | instid1(VALU_DEP_2)
	v_mul_f32_e32 v13, 0x3fb8aa3b, v3
	v_cmp_ngt_f32_e32 vcc_lo, 0xc2ce8ed0, v3
	v_fma_f32 v14, 0x3fb8aa3b, v3, -v13
	v_rndne_f32_e32 v15, v13
	s_delay_alu instid0(VALU_DEP_2) | instskip(NEXT) | instid1(VALU_DEP_2)
	v_fmac_f32_e32 v14, 0x32a5705f, v3
	v_sub_f32_e32 v13, v13, v15
	s_delay_alu instid0(VALU_DEP_1) | instskip(SKIP_1) | instid1(VALU_DEP_2)
	v_add_f32_e32 v13, v13, v14
	v_cvt_i32_f32_e32 v14, v15
	v_exp_f32_e32 v13, v13
	s_waitcnt_depctr 0xfff
	v_ldexp_f32 v13, v13, v14
	s_delay_alu instid0(VALU_DEP_1) | instskip(SKIP_1) | instid1(VALU_DEP_2)
	v_cndmask_b32_e32 v13, 0, v13, vcc_lo
	v_cmp_nlt_f32_e32 vcc_lo, 0x42b17218, v3
	v_cndmask_b32_e32 v3, 0x7f800000, v13, vcc_lo
	v_cmp_le_i32_e32 vcc_lo, s5, v12
	s_delay_alu instid0(VALU_DEP_2) | instskip(SKIP_1) | instid1(SALU_CYCLE_1)
	v_add_f32_e32 v11, v11, v3
	s_or_b32 s21, vcc_lo, s21
	s_and_not1_b32 exec_lo, exec_lo, s21
	s_cbranch_execnz .LBB514_31
; %bb.32:                               ;   in Loop: Header=BB514_7 Depth=2
	s_set_inst_prefetch_distance 0x2
	s_or_b32 exec_lo, exec_lo, s21
.LBB514_33:                             ;   in Loop: Header=BB514_7 Depth=2
	s_delay_alu instid0(SALU_CYCLE_1)
	s_or_b32 exec_lo, exec_lo, s2
	s_mov_b32 s2, s15
	s_waitcnt lgkmcnt(0)
	s_barrier
	buffer_gl0_inv
	ds_store_b32 v8, v11
	s_branch .LBB514_35
	.p2align	6
.LBB514_34:                             ;   in Loop: Header=BB514_35 Depth=3
	s_or_b32 exec_lo, exec_lo, s22
	s_cmp_gt_u32 s2, 3
	s_mov_b32 s2, s21
	s_cbranch_scc0 .LBB514_37
.LBB514_35:                             ;   Parent Loop BB514_3 Depth=1
                                        ;     Parent Loop BB514_7 Depth=2
                                        ; =>    This Inner Loop Header: Depth=3
	s_lshr_b32 s21, s2, 1
	s_mov_b32 s22, exec_lo
	s_waitcnt lgkmcnt(0)
	s_barrier
	buffer_gl0_inv
	v_cmpx_gt_u32_e64 s21, v1
	s_cbranch_execz .LBB514_34
; %bb.36:                               ;   in Loop: Header=BB514_35 Depth=3
	v_lshl_add_u32 v2, s21, 2, v8
	ds_load_b32 v3, v8
	ds_load_b32 v2, v2
	s_waitcnt lgkmcnt(0)
	v_add_f32_e32 v2, v3, v2
	ds_store_b32 v8, v2
	s_branch .LBB514_34
.LBB514_37:                             ;   in Loop: Header=BB514_7 Depth=2
	s_waitcnt lgkmcnt(0)
	s_barrier
	buffer_gl0_inv
	s_and_saveexec_b32 s21, s0
	s_cbranch_execz .LBB514_5
; %bb.38:                               ;   in Loop: Header=BB514_7 Depth=2
	ds_load_b32 v11, v6
	v_mov_b32_e32 v2, v7
	v_mov_b32_e32 v12, v1
	s_mov_b32 s22, 0
.LBB514_39:                             ;   Parent Loop BB514_3 Depth=1
                                        ;     Parent Loop BB514_7 Depth=2
                                        ; =>    This Inner Loop Header: Depth=3
	s_delay_alu instid0(VALU_DEP_2) | instskip(NEXT) | instid1(VALU_DEP_2)
	v_ashrrev_i32_e32 v3, 31, v2
	v_add_nc_u32_e32 v12, s15, v12
	s_delay_alu instid0(VALU_DEP_2) | instskip(SKIP_1) | instid1(VALU_DEP_2)
	v_lshlrev_b64 v[13:14], 1, v[2:3]
	v_add_nc_u32_e32 v2, s19, v2
	v_add_co_u32 v15, vcc_lo, s10, v13
	s_delay_alu instid0(VALU_DEP_3) | instskip(SKIP_1) | instid1(VALU_DEP_1)
	v_add_co_ci_u32_e32 v16, vcc_lo, s11, v14, vcc_lo
	v_add_co_u32 v13, s2, s8, v13
	v_add_co_ci_u32_e64 v14, s2, s9, v14, s2
	global_load_u16 v3, v[15:16], off
	s_waitcnt vmcnt(0)
	v_cvt_f32_f16_e32 v3, v3
	s_delay_alu instid0(VALU_DEP_1) | instskip(NEXT) | instid1(VALU_DEP_1)
	v_sub_f32_e32 v3, v3, v10
	v_mul_f32_e32 v15, 0x3fb8aa3b, v3
	v_cmp_ngt_f32_e32 vcc_lo, 0xc2ce8ed0, v3
	s_delay_alu instid0(VALU_DEP_2) | instskip(SKIP_1) | instid1(VALU_DEP_1)
	v_fma_f32 v16, 0x3fb8aa3b, v3, -v15
	v_rndne_f32_e32 v17, v15
	v_dual_fmac_f32 v16, 0x32a5705f, v3 :: v_dual_sub_f32 v15, v15, v17
	s_delay_alu instid0(VALU_DEP_1) | instskip(SKIP_1) | instid1(VALU_DEP_2)
	v_add_f32_e32 v15, v15, v16
	v_cvt_i32_f32_e32 v16, v17
	v_exp_f32_e32 v15, v15
	s_waitcnt_depctr 0xfff
	v_ldexp_f32 v15, v15, v16
	s_delay_alu instid0(VALU_DEP_1) | instskip(SKIP_1) | instid1(VALU_DEP_2)
	v_cndmask_b32_e32 v15, 0, v15, vcc_lo
	v_cmp_nlt_f32_e32 vcc_lo, 0x42b17218, v3
	v_cndmask_b32_e32 v3, 0x7f800000, v15, vcc_lo
	s_waitcnt lgkmcnt(0)
	s_delay_alu instid0(VALU_DEP_1) | instskip(SKIP_1) | instid1(VALU_DEP_2)
	v_div_scale_f32 v15, null, v11, v11, v3
	v_div_scale_f32 v18, vcc_lo, v3, v11, v3
	v_rcp_f32_e32 v16, v15
	s_waitcnt_depctr 0xfff
	v_fma_f32 v17, -v15, v16, 1.0
	s_delay_alu instid0(VALU_DEP_1) | instskip(NEXT) | instid1(VALU_DEP_1)
	v_fmac_f32_e32 v16, v17, v16
	v_mul_f32_e32 v17, v18, v16
	s_delay_alu instid0(VALU_DEP_1) | instskip(NEXT) | instid1(VALU_DEP_1)
	v_fma_f32 v19, -v15, v17, v18
	v_fmac_f32_e32 v17, v19, v16
	s_delay_alu instid0(VALU_DEP_1) | instskip(NEXT) | instid1(VALU_DEP_1)
	v_fma_f32 v15, -v15, v17, v18
	v_div_fmas_f32 v15, v15, v16, v17
	v_cmp_le_i32_e32 vcc_lo, s5, v12
	s_delay_alu instid0(VALU_DEP_2) | instskip(SKIP_1) | instid1(VALU_DEP_1)
	v_div_fixup_f32 v3, v15, v11, v3
	s_or_b32 s22, vcc_lo, s22
	v_cvt_f16_f32_e32 v3, v3
	global_store_b16 v[13:14], v3, off
	s_and_not1_b32 exec_lo, exec_lo, s22
	s_cbranch_execnz .LBB514_39
	s_branch .LBB514_5
.LBB514_40:
	s_nop 0
	s_sendmsg sendmsg(MSG_DEALLOC_VGPRS)
	s_endpgm
	.section	.rodata,"a",@progbits
	.p2align	6, 0x0
	.amdhsa_kernel _ZN2at6native12_GLOBAL__N_126cunn_SpatialSoftMaxForwardIN3c104HalfEfS4_iNS1_22SoftMaxForwardEpilogueEEEvPT1_PKT_T2_SB_SB_
		.amdhsa_group_segment_fixed_size 0
		.amdhsa_private_segment_fixed_size 0
		.amdhsa_kernarg_size 288
		.amdhsa_user_sgpr_count 14
		.amdhsa_user_sgpr_dispatch_ptr 0
		.amdhsa_user_sgpr_queue_ptr 0
		.amdhsa_user_sgpr_kernarg_segment_ptr 1
		.amdhsa_user_sgpr_dispatch_id 0
		.amdhsa_user_sgpr_private_segment_size 0
		.amdhsa_wavefront_size32 1
		.amdhsa_uses_dynamic_stack 0
		.amdhsa_enable_private_segment 0
		.amdhsa_system_sgpr_workgroup_id_x 1
		.amdhsa_system_sgpr_workgroup_id_y 1
		.amdhsa_system_sgpr_workgroup_id_z 0
		.amdhsa_system_sgpr_workgroup_info 0
		.amdhsa_system_vgpr_workitem_id 1
		.amdhsa_next_free_vgpr 20
		.amdhsa_next_free_sgpr 23
		.amdhsa_reserve_vcc 1
		.amdhsa_float_round_mode_32 0
		.amdhsa_float_round_mode_16_64 0
		.amdhsa_float_denorm_mode_32 3
		.amdhsa_float_denorm_mode_16_64 3
		.amdhsa_dx10_clamp 1
		.amdhsa_ieee_mode 1
		.amdhsa_fp16_overflow 0
		.amdhsa_workgroup_processor_mode 1
		.amdhsa_memory_ordered 1
		.amdhsa_forward_progress 0
		.amdhsa_shared_vgpr_count 0
		.amdhsa_exception_fp_ieee_invalid_op 0
		.amdhsa_exception_fp_denorm_src 0
		.amdhsa_exception_fp_ieee_div_zero 0
		.amdhsa_exception_fp_ieee_overflow 0
		.amdhsa_exception_fp_ieee_underflow 0
		.amdhsa_exception_fp_ieee_inexact 0
		.amdhsa_exception_int_div_zero 0
	.end_amdhsa_kernel
	.section	.text._ZN2at6native12_GLOBAL__N_126cunn_SpatialSoftMaxForwardIN3c104HalfEfS4_iNS1_22SoftMaxForwardEpilogueEEEvPT1_PKT_T2_SB_SB_,"axG",@progbits,_ZN2at6native12_GLOBAL__N_126cunn_SpatialSoftMaxForwardIN3c104HalfEfS4_iNS1_22SoftMaxForwardEpilogueEEEvPT1_PKT_T2_SB_SB_,comdat
.Lfunc_end514:
	.size	_ZN2at6native12_GLOBAL__N_126cunn_SpatialSoftMaxForwardIN3c104HalfEfS4_iNS1_22SoftMaxForwardEpilogueEEEvPT1_PKT_T2_SB_SB_, .Lfunc_end514-_ZN2at6native12_GLOBAL__N_126cunn_SpatialSoftMaxForwardIN3c104HalfEfS4_iNS1_22SoftMaxForwardEpilogueEEEvPT1_PKT_T2_SB_SB_
                                        ; -- End function
	.section	.AMDGPU.csdata,"",@progbits
; Kernel info:
; codeLenInByte = 2116
; NumSgprs: 25
; NumVgprs: 20
; ScratchSize: 0
; MemoryBound: 0
; FloatMode: 240
; IeeeMode: 1
; LDSByteSize: 0 bytes/workgroup (compile time only)
; SGPRBlocks: 3
; VGPRBlocks: 2
; NumSGPRsForWavesPerEU: 25
; NumVGPRsForWavesPerEU: 20
; Occupancy: 16
; WaveLimiterHint : 0
; COMPUTE_PGM_RSRC2:SCRATCH_EN: 0
; COMPUTE_PGM_RSRC2:USER_SGPR: 14
; COMPUTE_PGM_RSRC2:TRAP_HANDLER: 0
; COMPUTE_PGM_RSRC2:TGID_X_EN: 1
; COMPUTE_PGM_RSRC2:TGID_Y_EN: 1
; COMPUTE_PGM_RSRC2:TGID_Z_EN: 0
; COMPUTE_PGM_RSRC2:TIDIG_COMP_CNT: 1
	.section	.text._ZN2at6native12_GLOBAL__N_126cunn_SpatialSoftMaxForwardIN3c104HalfEffiNS1_22SoftMaxForwardEpilogueEEEvPT1_PKT_T2_SB_SB_,"axG",@progbits,_ZN2at6native12_GLOBAL__N_126cunn_SpatialSoftMaxForwardIN3c104HalfEffiNS1_22SoftMaxForwardEpilogueEEEvPT1_PKT_T2_SB_SB_,comdat
	.globl	_ZN2at6native12_GLOBAL__N_126cunn_SpatialSoftMaxForwardIN3c104HalfEffiNS1_22SoftMaxForwardEpilogueEEEvPT1_PKT_T2_SB_SB_ ; -- Begin function _ZN2at6native12_GLOBAL__N_126cunn_SpatialSoftMaxForwardIN3c104HalfEffiNS1_22SoftMaxForwardEpilogueEEEvPT1_PKT_T2_SB_SB_
	.p2align	8
	.type	_ZN2at6native12_GLOBAL__N_126cunn_SpatialSoftMaxForwardIN3c104HalfEffiNS1_22SoftMaxForwardEpilogueEEEvPT1_PKT_T2_SB_SB_,@function
_ZN2at6native12_GLOBAL__N_126cunn_SpatialSoftMaxForwardIN3c104HalfEffiNS1_22SoftMaxForwardEpilogueEEEvPT1_PKT_T2_SB_SB_: ; @_ZN2at6native12_GLOBAL__N_126cunn_SpatialSoftMaxForwardIN3c104HalfEffiNS1_22SoftMaxForwardEpilogueEEEvPT1_PKT_T2_SB_SB_
; %bb.0:
	s_load_b128 s[4:7], s[0:1], 0x10
	s_waitcnt lgkmcnt(0)
	s_cmp_ge_i32 s14, s4
	s_cbranch_scc1 .LBB515_40
; %bb.1:
	s_load_b32 s2, s[0:1], 0x2c
	v_and_b32_e32 v1, 0x3ff, v0
	s_clause 0x1
	s_load_b64 s[12:13], s[0:1], 0x20
	s_load_b128 s[8:11], s[0:1], 0x0
	s_add_u32 s16, s0, 32
	v_bfe_u32 v0, v0, 10, 10
	v_mad_u64_u32 v[2:3], null, s14, s5, v[1:2]
	s_addc_u32 s17, s1, 0
	v_cmp_gt_i32_e64 s0, s5, v1
	s_delay_alu instid0(VALU_DEP_2)
	v_mul_lo_u32 v2, s6, v2
	s_waitcnt lgkmcnt(0)
	s_lshr_b32 s2, s2, 16
	s_mul_i32 s7, s12, s6
	s_mul_i32 s15, s15, s2
	;; [unrolled: 1-line block ×3, first 2 shown]
	v_add_nc_u32_e32 v4, s15, v0
	s_delay_alu instid0(VALU_DEP_2) | instskip(SKIP_1) | instid1(VALU_DEP_2)
	v_add3_u32 v5, v0, v2, s15
	s_mul_i32 s7, s7, s5
	v_cmp_gt_i32_e64 s1, s6, v4
	s_branch .LBB515_3
.LBB515_2:                              ;   in Loop: Header=BB515_3 Depth=1
	s_or_b32 exec_lo, exec_lo, s13
	v_add_nc_u32_e32 v5, s7, v5
	s_add_i32 s14, s12, s14
	s_delay_alu instid0(SALU_CYCLE_1)
	s_cmp_ge_i32 s14, s4
	s_cbranch_scc1 .LBB515_40
.LBB515_3:                              ; =>This Loop Header: Depth=1
                                        ;     Child Loop BB515_7 Depth 2
                                        ;       Child Loop BB515_12 Depth 3
                                        ;       Child Loop BB515_15 Depth 3
	;; [unrolled: 1-line block ×8, first 2 shown]
	s_delay_alu instid0(VALU_DEP_1)
	s_and_saveexec_b32 s13, s1
	s_cbranch_execz .LBB515_2
; %bb.4:                                ;   in Loop: Header=BB515_3 Depth=1
	s_load_b32 s2, s[16:17], 0xc
	v_mov_b32_e32 v7, v5
	v_mov_b32_e32 v9, v4
	s_mov_b32 s20, 0
	s_waitcnt lgkmcnt(0)
	s_and_b32 s15, s2, 0xffff
	s_delay_alu instid0(SALU_CYCLE_1) | instskip(SKIP_3) | instid1(VALU_DEP_1)
	v_mul_u32_u24_e32 v2, s15, v0
	s_cmp_lt_u32 s15, 2
	s_mul_i32 s19, s6, s15
	s_cselect_b32 s18, -1, 0
	v_lshl_add_u32 v6, v2, 2, 0
	s_delay_alu instid0(VALU_DEP_1)
	v_lshl_add_u32 v8, v1, 2, v6
	s_branch .LBB515_7
.LBB515_5:                              ;   in Loop: Header=BB515_7 Depth=2
	s_or_b32 exec_lo, exec_lo, s21
.LBB515_6:                              ;   in Loop: Header=BB515_7 Depth=2
	v_add_nc_u32_e32 v9, s3, v9
	v_add_nc_u32_e32 v7, s3, v7
	s_delay_alu instid0(VALU_DEP_2) | instskip(SKIP_1) | instid1(SALU_CYCLE_1)
	v_cmp_le_i32_e32 vcc_lo, s6, v9
	s_or_b32 s20, vcc_lo, s20
	s_and_not1_b32 exec_lo, exec_lo, s20
	s_cbranch_execz .LBB515_2
.LBB515_7:                              ;   Parent Loop BB515_3 Depth=1
                                        ; =>  This Loop Header: Depth=2
                                        ;       Child Loop BB515_12 Depth 3
                                        ;       Child Loop BB515_15 Depth 3
	;; [unrolled: 1-line block ×8, first 2 shown]
	s_and_b32 vcc_lo, exec_lo, s18
	s_mov_b32 s2, -1
	s_cbranch_vccz .LBB515_20
; %bb.8:                                ;   in Loop: Header=BB515_7 Depth=2
	v_mov_b32_e32 v10, 0xff7fffff
	s_and_saveexec_b32 s21, s0
	s_cbranch_execnz .LBB515_11
; %bb.9:                                ;   in Loop: Header=BB515_7 Depth=2
	s_or_b32 exec_lo, exec_lo, s21
	v_mov_b32_e32 v11, 0
	s_and_saveexec_b32 s2, s0
	s_cbranch_execnz .LBB515_14
.LBB515_10:                             ;   in Loop: Header=BB515_7 Depth=2
	s_or_b32 exec_lo, exec_lo, s2
	s_and_saveexec_b32 s21, s0
	s_cbranch_execnz .LBB515_17
	s_branch .LBB515_19
.LBB515_11:                             ;   in Loop: Header=BB515_7 Depth=2
	v_dual_mov_b32 v10, 0xff7fffff :: v_dual_mov_b32 v11, v1
	v_mov_b32_e32 v2, v7
	s_mov_b32 s22, 0
	.p2align	6
.LBB515_12:                             ;   Parent Loop BB515_3 Depth=1
                                        ;     Parent Loop BB515_7 Depth=2
                                        ; =>    This Inner Loop Header: Depth=3
	s_delay_alu instid0(VALU_DEP_1) | instskip(NEXT) | instid1(VALU_DEP_3)
	v_ashrrev_i32_e32 v3, 31, v2
	v_add_nc_u32_e32 v11, s15, v11
	s_delay_alu instid0(VALU_DEP_2) | instskip(SKIP_1) | instid1(VALU_DEP_2)
	v_lshlrev_b64 v[12:13], 1, v[2:3]
	v_add_nc_u32_e32 v2, s19, v2
	v_add_co_u32 v12, vcc_lo, s10, v12
	s_delay_alu instid0(VALU_DEP_3)
	v_add_co_ci_u32_e32 v13, vcc_lo, s11, v13, vcc_lo
	v_cmp_le_i32_e32 vcc_lo, s5, v11
	global_load_u16 v3, v[12:13], off
	s_or_b32 s22, vcc_lo, s22
	s_waitcnt vmcnt(0)
	v_cvt_f32_f16_e32 v3, v3
	s_delay_alu instid0(VALU_DEP_1) | instskip(NEXT) | instid1(VALU_DEP_1)
	v_cmp_lt_f32_e64 s2, v10, v3
	v_cndmask_b32_e64 v10, v10, v3, s2
	s_and_not1_b32 exec_lo, exec_lo, s22
	s_cbranch_execnz .LBB515_12
; %bb.13:                               ;   in Loop: Header=BB515_7 Depth=2
	s_or_b32 exec_lo, exec_lo, s22
	s_delay_alu instid0(SALU_CYCLE_1)
	s_or_b32 exec_lo, exec_lo, s21
	v_mov_b32_e32 v11, 0
	s_and_saveexec_b32 s2, s0
	s_cbranch_execz .LBB515_10
.LBB515_14:                             ;   in Loop: Header=BB515_7 Depth=2
	v_dual_mov_b32 v11, 0 :: v_dual_mov_b32 v2, v7
	v_mov_b32_e32 v12, v1
	s_mov_b32 s21, 0
	s_set_inst_prefetch_distance 0x1
	.p2align	6
.LBB515_15:                             ;   Parent Loop BB515_3 Depth=1
                                        ;     Parent Loop BB515_7 Depth=2
                                        ; =>    This Inner Loop Header: Depth=3
	s_delay_alu instid0(VALU_DEP_2) | instskip(NEXT) | instid1(VALU_DEP_2)
	v_ashrrev_i32_e32 v3, 31, v2
	v_add_nc_u32_e32 v12, s15, v12
	s_delay_alu instid0(VALU_DEP_2) | instskip(SKIP_1) | instid1(VALU_DEP_2)
	v_lshlrev_b64 v[13:14], 1, v[2:3]
	v_add_nc_u32_e32 v2, s19, v2
	v_add_co_u32 v13, vcc_lo, s10, v13
	s_delay_alu instid0(VALU_DEP_3) | instskip(SKIP_3) | instid1(VALU_DEP_1)
	v_add_co_ci_u32_e32 v14, vcc_lo, s11, v14, vcc_lo
	global_load_u16 v3, v[13:14], off
	s_waitcnt vmcnt(0)
	v_cvt_f32_f16_e32 v3, v3
	v_sub_f32_e32 v3, v3, v10
	s_delay_alu instid0(VALU_DEP_1) | instskip(SKIP_1) | instid1(VALU_DEP_2)
	v_mul_f32_e32 v13, 0x3fb8aa3b, v3
	v_cmp_ngt_f32_e32 vcc_lo, 0xc2ce8ed0, v3
	v_fma_f32 v14, 0x3fb8aa3b, v3, -v13
	v_rndne_f32_e32 v15, v13
	s_delay_alu instid0(VALU_DEP_2) | instskip(NEXT) | instid1(VALU_DEP_2)
	v_fmac_f32_e32 v14, 0x32a5705f, v3
	v_sub_f32_e32 v13, v13, v15
	s_delay_alu instid0(VALU_DEP_1) | instskip(SKIP_1) | instid1(VALU_DEP_2)
	v_add_f32_e32 v13, v13, v14
	v_cvt_i32_f32_e32 v14, v15
	v_exp_f32_e32 v13, v13
	s_waitcnt_depctr 0xfff
	v_ldexp_f32 v13, v13, v14
	s_delay_alu instid0(VALU_DEP_1) | instskip(SKIP_1) | instid1(VALU_DEP_2)
	v_cndmask_b32_e32 v13, 0, v13, vcc_lo
	v_cmp_nlt_f32_e32 vcc_lo, 0x42b17218, v3
	v_cndmask_b32_e32 v3, 0x7f800000, v13, vcc_lo
	v_cmp_le_i32_e32 vcc_lo, s5, v12
	s_delay_alu instid0(VALU_DEP_2) | instskip(SKIP_1) | instid1(SALU_CYCLE_1)
	v_add_f32_e32 v11, v11, v3
	s_or_b32 s21, vcc_lo, s21
	s_and_not1_b32 exec_lo, exec_lo, s21
	s_cbranch_execnz .LBB515_15
; %bb.16:                               ;   in Loop: Header=BB515_7 Depth=2
	s_set_inst_prefetch_distance 0x2
	s_or_b32 exec_lo, exec_lo, s21
	s_delay_alu instid0(SALU_CYCLE_1)
	s_or_b32 exec_lo, exec_lo, s2
	s_and_saveexec_b32 s21, s0
	s_cbranch_execz .LBB515_19
.LBB515_17:                             ;   in Loop: Header=BB515_7 Depth=2
	v_mov_b32_e32 v2, v7
	v_mov_b32_e32 v12, v1
	s_mov_b32 s22, 0
.LBB515_18:                             ;   Parent Loop BB515_3 Depth=1
                                        ;     Parent Loop BB515_7 Depth=2
                                        ; =>    This Inner Loop Header: Depth=3
	s_delay_alu instid0(VALU_DEP_2) | instskip(NEXT) | instid1(VALU_DEP_2)
	v_ashrrev_i32_e32 v3, 31, v2
	v_add_nc_u32_e32 v12, s15, v12
	s_delay_alu instid0(VALU_DEP_2) | instskip(NEXT) | instid1(VALU_DEP_1)
	v_lshlrev_b64 v[13:14], 1, v[2:3]
	v_add_co_u32 v13, vcc_lo, s10, v13
	s_delay_alu instid0(VALU_DEP_2) | instskip(SKIP_3) | instid1(VALU_DEP_1)
	v_add_co_ci_u32_e32 v14, vcc_lo, s11, v14, vcc_lo
	global_load_u16 v13, v[13:14], off
	s_waitcnt vmcnt(0)
	v_cvt_f32_f16_e32 v13, v13
	v_sub_f32_e32 v13, v13, v10
	s_delay_alu instid0(VALU_DEP_1) | instskip(NEXT) | instid1(VALU_DEP_1)
	v_mul_f32_e32 v14, 0x3fb8aa3b, v13
	v_fma_f32 v15, 0x3fb8aa3b, v13, -v14
	v_rndne_f32_e32 v16, v14
	s_delay_alu instid0(VALU_DEP_1) | instskip(SKIP_1) | instid1(VALU_DEP_4)
	v_sub_f32_e32 v14, v14, v16
	v_cmp_ngt_f32_e32 vcc_lo, 0xc2ce8ed0, v13
	v_fmac_f32_e32 v15, 0x32a5705f, v13
	s_delay_alu instid0(VALU_DEP_1) | instskip(SKIP_1) | instid1(VALU_DEP_2)
	v_add_f32_e32 v14, v14, v15
	v_cvt_i32_f32_e32 v15, v16
	v_exp_f32_e32 v14, v14
	s_waitcnt_depctr 0xfff
	v_ldexp_f32 v14, v14, v15
	s_delay_alu instid0(VALU_DEP_1) | instskip(SKIP_1) | instid1(VALU_DEP_2)
	v_cndmask_b32_e32 v14, 0, v14, vcc_lo
	v_cmp_nlt_f32_e32 vcc_lo, 0x42b17218, v13
	v_cndmask_b32_e32 v15, 0x7f800000, v14, vcc_lo
	s_delay_alu instid0(VALU_DEP_1) | instskip(SKIP_1) | instid1(VALU_DEP_2)
	v_div_scale_f32 v13, null, v11, v11, v15
	v_div_scale_f32 v17, vcc_lo, v15, v11, v15
	v_rcp_f32_e32 v14, v13
	s_waitcnt_depctr 0xfff
	v_fma_f32 v16, -v13, v14, 1.0
	s_delay_alu instid0(VALU_DEP_1) | instskip(NEXT) | instid1(VALU_DEP_1)
	v_fmac_f32_e32 v14, v16, v14
	v_mul_f32_e32 v16, v17, v14
	s_delay_alu instid0(VALU_DEP_1) | instskip(NEXT) | instid1(VALU_DEP_1)
	v_fma_f32 v18, -v13, v16, v17
	v_fmac_f32_e32 v16, v18, v14
	s_delay_alu instid0(VALU_DEP_1) | instskip(NEXT) | instid1(VALU_DEP_1)
	v_fma_f32 v13, -v13, v16, v17
	v_div_fmas_f32 v16, v13, v14, v16
	v_lshlrev_b64 v[13:14], 2, v[2:3]
	v_cmp_le_i32_e32 vcc_lo, s5, v12
	v_add_nc_u32_e32 v2, s19, v2
	s_delay_alu instid0(VALU_DEP_4) | instskip(NEXT) | instid1(VALU_DEP_4)
	v_div_fixup_f32 v3, v16, v11, v15
	v_add_co_u32 v13, s2, s8, v13
	s_delay_alu instid0(VALU_DEP_1)
	v_add_co_ci_u32_e64 v14, s2, s9, v14, s2
	s_or_b32 s22, vcc_lo, s22
	global_store_b32 v[13:14], v3, off
	s_and_not1_b32 exec_lo, exec_lo, s22
	s_cbranch_execnz .LBB515_18
.LBB515_19:                             ;   in Loop: Header=BB515_7 Depth=2
	s_or_b32 exec_lo, exec_lo, s21
	s_mov_b32 s2, 0
.LBB515_20:                             ;   in Loop: Header=BB515_7 Depth=2
	s_delay_alu instid0(SALU_CYCLE_1)
	s_and_b32 vcc_lo, exec_lo, s2
	s_cbranch_vccz .LBB515_6
; %bb.21:                               ;   in Loop: Header=BB515_7 Depth=2
	v_mov_b32_e32 v10, 0xff7fffff
	s_and_saveexec_b32 s21, s0
	s_cbranch_execz .LBB515_25
; %bb.22:                               ;   in Loop: Header=BB515_7 Depth=2
	v_dual_mov_b32 v10, 0xff7fffff :: v_dual_mov_b32 v11, v1
	v_mov_b32_e32 v2, v7
	s_mov_b32 s22, 0
	.p2align	6
.LBB515_23:                             ;   Parent Loop BB515_3 Depth=1
                                        ;     Parent Loop BB515_7 Depth=2
                                        ; =>    This Inner Loop Header: Depth=3
	s_delay_alu instid0(VALU_DEP_1) | instskip(NEXT) | instid1(VALU_DEP_3)
	v_ashrrev_i32_e32 v3, 31, v2
	v_add_nc_u32_e32 v11, s15, v11
	s_delay_alu instid0(VALU_DEP_2) | instskip(SKIP_1) | instid1(VALU_DEP_2)
	v_lshlrev_b64 v[12:13], 1, v[2:3]
	v_add_nc_u32_e32 v2, s19, v2
	v_add_co_u32 v12, vcc_lo, s10, v12
	s_delay_alu instid0(VALU_DEP_3)
	v_add_co_ci_u32_e32 v13, vcc_lo, s11, v13, vcc_lo
	v_cmp_le_i32_e32 vcc_lo, s5, v11
	global_load_u16 v3, v[12:13], off
	s_or_b32 s22, vcc_lo, s22
	s_waitcnt vmcnt(0)
	v_cvt_f32_f16_e32 v3, v3
	s_delay_alu instid0(VALU_DEP_1) | instskip(NEXT) | instid1(VALU_DEP_1)
	v_cmp_lt_f32_e64 s2, v10, v3
	v_cndmask_b32_e64 v10, v10, v3, s2
	s_and_not1_b32 exec_lo, exec_lo, s22
	s_cbranch_execnz .LBB515_23
; %bb.24:                               ;   in Loop: Header=BB515_7 Depth=2
	s_or_b32 exec_lo, exec_lo, s22
.LBB515_25:                             ;   in Loop: Header=BB515_7 Depth=2
	s_delay_alu instid0(SALU_CYCLE_1)
	s_or_b32 exec_lo, exec_lo, s21
	s_mov_b32 s2, s15
	s_waitcnt_vscnt null, 0x0
	s_barrier
	buffer_gl0_inv
	ds_store_b32 v8, v10
	s_branch .LBB515_27
	.p2align	6
.LBB515_26:                             ;   in Loop: Header=BB515_27 Depth=3
	s_or_b32 exec_lo, exec_lo, s22
	s_cmp_gt_u32 s2, 3
	s_mov_b32 s2, s21
	s_cbranch_scc0 .LBB515_29
.LBB515_27:                             ;   Parent Loop BB515_3 Depth=1
                                        ;     Parent Loop BB515_7 Depth=2
                                        ; =>    This Inner Loop Header: Depth=3
	s_lshr_b32 s21, s2, 1
	s_mov_b32 s22, exec_lo
	s_waitcnt lgkmcnt(0)
	s_barrier
	buffer_gl0_inv
	v_cmpx_gt_u32_e64 s21, v1
	s_cbranch_execz .LBB515_26
; %bb.28:                               ;   in Loop: Header=BB515_27 Depth=3
	v_lshl_add_u32 v2, s21, 2, v8
	ds_load_b32 v3, v8
	ds_load_b32 v2, v2
	s_waitcnt lgkmcnt(0)
	v_cmp_lt_f32_e32 vcc_lo, v3, v2
	v_cndmask_b32_e32 v2, v3, v2, vcc_lo
	ds_store_b32 v8, v2
	s_branch .LBB515_26
.LBB515_29:                             ;   in Loop: Header=BB515_7 Depth=2
	s_waitcnt lgkmcnt(0)
	s_barrier
	buffer_gl0_inv
	ds_load_b32 v10, v6
	v_mov_b32_e32 v11, 0
	s_and_saveexec_b32 s2, s0
	s_cbranch_execz .LBB515_33
; %bb.30:                               ;   in Loop: Header=BB515_7 Depth=2
	v_dual_mov_b32 v11, 0 :: v_dual_mov_b32 v2, v7
	v_mov_b32_e32 v12, v1
	s_mov_b32 s21, 0
	s_set_inst_prefetch_distance 0x1
	.p2align	6
.LBB515_31:                             ;   Parent Loop BB515_3 Depth=1
                                        ;     Parent Loop BB515_7 Depth=2
                                        ; =>    This Inner Loop Header: Depth=3
	s_delay_alu instid0(VALU_DEP_2) | instskip(NEXT) | instid1(VALU_DEP_2)
	v_ashrrev_i32_e32 v3, 31, v2
	v_add_nc_u32_e32 v12, s15, v12
	s_delay_alu instid0(VALU_DEP_2) | instskip(SKIP_1) | instid1(VALU_DEP_2)
	v_lshlrev_b64 v[13:14], 1, v[2:3]
	v_add_nc_u32_e32 v2, s19, v2
	v_add_co_u32 v13, vcc_lo, s10, v13
	s_delay_alu instid0(VALU_DEP_3) | instskip(SKIP_4) | instid1(VALU_DEP_1)
	v_add_co_ci_u32_e32 v14, vcc_lo, s11, v14, vcc_lo
	global_load_u16 v3, v[13:14], off
	s_waitcnt vmcnt(0)
	v_cvt_f32_f16_e32 v3, v3
	s_waitcnt lgkmcnt(0)
	v_sub_f32_e32 v3, v3, v10
	s_delay_alu instid0(VALU_DEP_1) | instskip(SKIP_1) | instid1(VALU_DEP_2)
	v_mul_f32_e32 v13, 0x3fb8aa3b, v3
	v_cmp_ngt_f32_e32 vcc_lo, 0xc2ce8ed0, v3
	v_fma_f32 v14, 0x3fb8aa3b, v3, -v13
	v_rndne_f32_e32 v15, v13
	s_delay_alu instid0(VALU_DEP_2) | instskip(NEXT) | instid1(VALU_DEP_2)
	v_fmac_f32_e32 v14, 0x32a5705f, v3
	v_sub_f32_e32 v13, v13, v15
	s_delay_alu instid0(VALU_DEP_1) | instskip(SKIP_1) | instid1(VALU_DEP_2)
	v_add_f32_e32 v13, v13, v14
	v_cvt_i32_f32_e32 v14, v15
	v_exp_f32_e32 v13, v13
	s_waitcnt_depctr 0xfff
	v_ldexp_f32 v13, v13, v14
	s_delay_alu instid0(VALU_DEP_1) | instskip(SKIP_1) | instid1(VALU_DEP_2)
	v_cndmask_b32_e32 v13, 0, v13, vcc_lo
	v_cmp_nlt_f32_e32 vcc_lo, 0x42b17218, v3
	v_cndmask_b32_e32 v3, 0x7f800000, v13, vcc_lo
	v_cmp_le_i32_e32 vcc_lo, s5, v12
	s_delay_alu instid0(VALU_DEP_2) | instskip(SKIP_1) | instid1(SALU_CYCLE_1)
	v_add_f32_e32 v11, v11, v3
	s_or_b32 s21, vcc_lo, s21
	s_and_not1_b32 exec_lo, exec_lo, s21
	s_cbranch_execnz .LBB515_31
; %bb.32:                               ;   in Loop: Header=BB515_7 Depth=2
	s_set_inst_prefetch_distance 0x2
	s_or_b32 exec_lo, exec_lo, s21
.LBB515_33:                             ;   in Loop: Header=BB515_7 Depth=2
	s_delay_alu instid0(SALU_CYCLE_1)
	s_or_b32 exec_lo, exec_lo, s2
	s_mov_b32 s2, s15
	s_waitcnt lgkmcnt(0)
	s_barrier
	buffer_gl0_inv
	ds_store_b32 v8, v11
	s_branch .LBB515_35
	.p2align	6
.LBB515_34:                             ;   in Loop: Header=BB515_35 Depth=3
	s_or_b32 exec_lo, exec_lo, s22
	s_cmp_gt_u32 s2, 3
	s_mov_b32 s2, s21
	s_cbranch_scc0 .LBB515_37
.LBB515_35:                             ;   Parent Loop BB515_3 Depth=1
                                        ;     Parent Loop BB515_7 Depth=2
                                        ; =>    This Inner Loop Header: Depth=3
	s_lshr_b32 s21, s2, 1
	s_mov_b32 s22, exec_lo
	s_waitcnt lgkmcnt(0)
	s_barrier
	buffer_gl0_inv
	v_cmpx_gt_u32_e64 s21, v1
	s_cbranch_execz .LBB515_34
; %bb.36:                               ;   in Loop: Header=BB515_35 Depth=3
	v_lshl_add_u32 v2, s21, 2, v8
	ds_load_b32 v3, v8
	ds_load_b32 v2, v2
	s_waitcnt lgkmcnt(0)
	v_add_f32_e32 v2, v3, v2
	ds_store_b32 v8, v2
	s_branch .LBB515_34
.LBB515_37:                             ;   in Loop: Header=BB515_7 Depth=2
	s_waitcnt lgkmcnt(0)
	s_barrier
	buffer_gl0_inv
	s_and_saveexec_b32 s21, s0
	s_cbranch_execz .LBB515_5
; %bb.38:                               ;   in Loop: Header=BB515_7 Depth=2
	ds_load_b32 v11, v6
	v_mov_b32_e32 v2, v7
	v_mov_b32_e32 v12, v1
	s_mov_b32 s22, 0
.LBB515_39:                             ;   Parent Loop BB515_3 Depth=1
                                        ;     Parent Loop BB515_7 Depth=2
                                        ; =>    This Inner Loop Header: Depth=3
	s_delay_alu instid0(VALU_DEP_2) | instskip(NEXT) | instid1(VALU_DEP_2)
	v_ashrrev_i32_e32 v3, 31, v2
	v_add_nc_u32_e32 v12, s15, v12
	s_delay_alu instid0(VALU_DEP_2) | instskip(NEXT) | instid1(VALU_DEP_1)
	v_lshlrev_b64 v[13:14], 1, v[2:3]
	v_add_co_u32 v13, vcc_lo, s10, v13
	s_delay_alu instid0(VALU_DEP_2) | instskip(SKIP_3) | instid1(VALU_DEP_1)
	v_add_co_ci_u32_e32 v14, vcc_lo, s11, v14, vcc_lo
	global_load_u16 v13, v[13:14], off
	s_waitcnt vmcnt(0)
	v_cvt_f32_f16_e32 v13, v13
	v_sub_f32_e32 v13, v13, v10
	s_delay_alu instid0(VALU_DEP_1) | instskip(NEXT) | instid1(VALU_DEP_1)
	v_mul_f32_e32 v14, 0x3fb8aa3b, v13
	v_fma_f32 v15, 0x3fb8aa3b, v13, -v14
	v_rndne_f32_e32 v16, v14
	s_delay_alu instid0(VALU_DEP_1) | instskip(SKIP_1) | instid1(VALU_DEP_4)
	v_sub_f32_e32 v14, v14, v16
	v_cmp_ngt_f32_e32 vcc_lo, 0xc2ce8ed0, v13
	v_fmac_f32_e32 v15, 0x32a5705f, v13
	s_delay_alu instid0(VALU_DEP_1) | instskip(SKIP_1) | instid1(VALU_DEP_2)
	v_add_f32_e32 v14, v14, v15
	v_cvt_i32_f32_e32 v15, v16
	v_exp_f32_e32 v14, v14
	s_waitcnt_depctr 0xfff
	v_ldexp_f32 v14, v14, v15
	s_delay_alu instid0(VALU_DEP_1) | instskip(SKIP_1) | instid1(VALU_DEP_2)
	v_cndmask_b32_e32 v14, 0, v14, vcc_lo
	v_cmp_nlt_f32_e32 vcc_lo, 0x42b17218, v13
	v_cndmask_b32_e32 v15, 0x7f800000, v14, vcc_lo
	s_waitcnt lgkmcnt(0)
	s_delay_alu instid0(VALU_DEP_1) | instskip(SKIP_1) | instid1(VALU_DEP_2)
	v_div_scale_f32 v13, null, v11, v11, v15
	v_div_scale_f32 v17, vcc_lo, v15, v11, v15
	v_rcp_f32_e32 v14, v13
	s_waitcnt_depctr 0xfff
	v_fma_f32 v16, -v13, v14, 1.0
	s_delay_alu instid0(VALU_DEP_1) | instskip(NEXT) | instid1(VALU_DEP_1)
	v_fmac_f32_e32 v14, v16, v14
	v_mul_f32_e32 v16, v17, v14
	s_delay_alu instid0(VALU_DEP_1) | instskip(NEXT) | instid1(VALU_DEP_1)
	v_fma_f32 v18, -v13, v16, v17
	v_fmac_f32_e32 v16, v18, v14
	s_delay_alu instid0(VALU_DEP_1) | instskip(NEXT) | instid1(VALU_DEP_1)
	v_fma_f32 v13, -v13, v16, v17
	v_div_fmas_f32 v16, v13, v14, v16
	v_lshlrev_b64 v[13:14], 2, v[2:3]
	v_cmp_le_i32_e32 vcc_lo, s5, v12
	v_add_nc_u32_e32 v2, s19, v2
	s_delay_alu instid0(VALU_DEP_4) | instskip(NEXT) | instid1(VALU_DEP_4)
	v_div_fixup_f32 v3, v16, v11, v15
	v_add_co_u32 v13, s2, s8, v13
	s_delay_alu instid0(VALU_DEP_1)
	v_add_co_ci_u32_e64 v14, s2, s9, v14, s2
	s_or_b32 s22, vcc_lo, s22
	global_store_b32 v[13:14], v3, off
	s_and_not1_b32 exec_lo, exec_lo, s22
	s_cbranch_execnz .LBB515_39
	s_branch .LBB515_5
.LBB515_40:
	s_nop 0
	s_sendmsg sendmsg(MSG_DEALLOC_VGPRS)
	s_endpgm
	.section	.rodata,"a",@progbits
	.p2align	6, 0x0
	.amdhsa_kernel _ZN2at6native12_GLOBAL__N_126cunn_SpatialSoftMaxForwardIN3c104HalfEffiNS1_22SoftMaxForwardEpilogueEEEvPT1_PKT_T2_SB_SB_
		.amdhsa_group_segment_fixed_size 0
		.amdhsa_private_segment_fixed_size 0
		.amdhsa_kernarg_size 288
		.amdhsa_user_sgpr_count 14
		.amdhsa_user_sgpr_dispatch_ptr 0
		.amdhsa_user_sgpr_queue_ptr 0
		.amdhsa_user_sgpr_kernarg_segment_ptr 1
		.amdhsa_user_sgpr_dispatch_id 0
		.amdhsa_user_sgpr_private_segment_size 0
		.amdhsa_wavefront_size32 1
		.amdhsa_uses_dynamic_stack 0
		.amdhsa_enable_private_segment 0
		.amdhsa_system_sgpr_workgroup_id_x 1
		.amdhsa_system_sgpr_workgroup_id_y 1
		.amdhsa_system_sgpr_workgroup_id_z 0
		.amdhsa_system_sgpr_workgroup_info 0
		.amdhsa_system_vgpr_workitem_id 1
		.amdhsa_next_free_vgpr 19
		.amdhsa_next_free_sgpr 23
		.amdhsa_reserve_vcc 1
		.amdhsa_float_round_mode_32 0
		.amdhsa_float_round_mode_16_64 0
		.amdhsa_float_denorm_mode_32 3
		.amdhsa_float_denorm_mode_16_64 3
		.amdhsa_dx10_clamp 1
		.amdhsa_ieee_mode 1
		.amdhsa_fp16_overflow 0
		.amdhsa_workgroup_processor_mode 1
		.amdhsa_memory_ordered 1
		.amdhsa_forward_progress 0
		.amdhsa_shared_vgpr_count 0
		.amdhsa_exception_fp_ieee_invalid_op 0
		.amdhsa_exception_fp_denorm_src 0
		.amdhsa_exception_fp_ieee_div_zero 0
		.amdhsa_exception_fp_ieee_overflow 0
		.amdhsa_exception_fp_ieee_underflow 0
		.amdhsa_exception_fp_ieee_inexact 0
		.amdhsa_exception_int_div_zero 0
	.end_amdhsa_kernel
	.section	.text._ZN2at6native12_GLOBAL__N_126cunn_SpatialSoftMaxForwardIN3c104HalfEffiNS1_22SoftMaxForwardEpilogueEEEvPT1_PKT_T2_SB_SB_,"axG",@progbits,_ZN2at6native12_GLOBAL__N_126cunn_SpatialSoftMaxForwardIN3c104HalfEffiNS1_22SoftMaxForwardEpilogueEEEvPT1_PKT_T2_SB_SB_,comdat
.Lfunc_end515:
	.size	_ZN2at6native12_GLOBAL__N_126cunn_SpatialSoftMaxForwardIN3c104HalfEffiNS1_22SoftMaxForwardEpilogueEEEvPT1_PKT_T2_SB_SB_, .Lfunc_end515-_ZN2at6native12_GLOBAL__N_126cunn_SpatialSoftMaxForwardIN3c104HalfEffiNS1_22SoftMaxForwardEpilogueEEEvPT1_PKT_T2_SB_SB_
                                        ; -- End function
	.section	.AMDGPU.csdata,"",@progbits
; Kernel info:
; codeLenInByte = 2132
; NumSgprs: 25
; NumVgprs: 19
; ScratchSize: 0
; MemoryBound: 0
; FloatMode: 240
; IeeeMode: 1
; LDSByteSize: 0 bytes/workgroup (compile time only)
; SGPRBlocks: 3
; VGPRBlocks: 2
; NumSGPRsForWavesPerEU: 25
; NumVGPRsForWavesPerEU: 19
; Occupancy: 16
; WaveLimiterHint : 0
; COMPUTE_PGM_RSRC2:SCRATCH_EN: 0
; COMPUTE_PGM_RSRC2:USER_SGPR: 14
; COMPUTE_PGM_RSRC2:TRAP_HANDLER: 0
; COMPUTE_PGM_RSRC2:TGID_X_EN: 1
; COMPUTE_PGM_RSRC2:TGID_Y_EN: 1
; COMPUTE_PGM_RSRC2:TGID_Z_EN: 0
; COMPUTE_PGM_RSRC2:TIDIG_COMP_CNT: 1
	.section	.text._ZN2at6native12_GLOBAL__N_126cunn_SpatialSoftMaxForwardIN3c104HalfEfS4_lNS1_22SoftMaxForwardEpilogueEEEvPT1_PKT_T2_SB_SB_,"axG",@progbits,_ZN2at6native12_GLOBAL__N_126cunn_SpatialSoftMaxForwardIN3c104HalfEfS4_lNS1_22SoftMaxForwardEpilogueEEEvPT1_PKT_T2_SB_SB_,comdat
	.globl	_ZN2at6native12_GLOBAL__N_126cunn_SpatialSoftMaxForwardIN3c104HalfEfS4_lNS1_22SoftMaxForwardEpilogueEEEvPT1_PKT_T2_SB_SB_ ; -- Begin function _ZN2at6native12_GLOBAL__N_126cunn_SpatialSoftMaxForwardIN3c104HalfEfS4_lNS1_22SoftMaxForwardEpilogueEEEvPT1_PKT_T2_SB_SB_
	.p2align	8
	.type	_ZN2at6native12_GLOBAL__N_126cunn_SpatialSoftMaxForwardIN3c104HalfEfS4_lNS1_22SoftMaxForwardEpilogueEEEvPT1_PKT_T2_SB_SB_,@function
_ZN2at6native12_GLOBAL__N_126cunn_SpatialSoftMaxForwardIN3c104HalfEfS4_lNS1_22SoftMaxForwardEpilogueEEEvPT1_PKT_T2_SB_SB_: ; @_ZN2at6native12_GLOBAL__N_126cunn_SpatialSoftMaxForwardIN3c104HalfEfS4_lNS1_22SoftMaxForwardEpilogueEEEvPT1_PKT_T2_SB_SB_
; %bb.0:
	s_load_b256 s[4:11], s[0:1], 0x0
	s_mov_b32 s2, s15
	s_mov_b32 s15, 0
	s_waitcnt lgkmcnt(0)
	v_cmp_ge_i64_e64 s3, s[14:15], s[8:9]
	s_delay_alu instid0(VALU_DEP_1)
	s_and_b32 vcc_lo, exec_lo, s3
	s_cbranch_vccnz .LBB516_40
; %bb.1:
	s_clause 0x1
	s_load_b32 s3, s[0:1], 0x34
	s_load_b128 s[16:19], s[0:1], 0x20
	v_bfe_u32 v1, v0, 10, 10
	v_and_b32_e32 v2, 0x3ff, v0
	s_add_u32 s12, s0, 40
	s_addc_u32 s13, s1, 0
	s_mov_b32 s21, s15
	s_waitcnt lgkmcnt(0)
	s_lshr_b32 s0, s3, 16
	s_mul_i32 s1, s16, s10
	v_mad_u64_u32 v[4:5], null, s2, s0, v[1:2]
	v_mov_b32_e32 v5, 0
	v_mad_u64_u32 v[6:7], null, s16, v2, 0
	s_mul_i32 s2, s16, s11
	s_mul_hi_u32 s3, s16, s10
	s_delay_alu instid0(VALU_DEP_2) | instskip(NEXT) | instid1(VALU_DEP_4)
	v_mov_b32_e32 v3, v5
	v_mad_u64_u32 v[8:9], null, s1, s14, v[4:5]
	s_mul_i32 s20, s17, s10
	s_delay_alu instid0(VALU_DEP_3) | instskip(NEXT) | instid1(VALU_DEP_3)
	v_mov_b32_e32 v0, v7
	v_mad_u64_u32 v[10:11], null, s10, s14, v[2:3]
	s_add_i32 s2, s3, s2
	s_lshl_b64 s[22:23], s[16:17], 1
	s_delay_alu instid0(VALU_DEP_3) | instskip(SKIP_2) | instid1(VALU_DEP_3)
	v_mov_b32_e32 v7, v9
	v_mad_u64_u32 v[12:13], null, s17, v2, v[0:1]
	s_add_i32 s3, s2, s20
	v_mov_b32_e32 v0, v11
	s_delay_alu instid0(VALU_DEP_3) | instskip(SKIP_2) | instid1(VALU_DEP_2)
	v_mad_u64_u32 v[13:14], null, s3, s14, v[7:8]
	s_mul_i32 s20, s19, s0
	s_mul_hi_u32 s0, s1, s18
	v_mad_u64_u32 v[14:15], null, s11, s14, v[0:1]
	s_delay_alu instid0(VALU_DEP_4) | instskip(SKIP_3) | instid1(VALU_DEP_4)
	v_mov_b32_e32 v7, v12
	v_mad_u64_u32 v[11:12], null, s16, v10, v[4:5]
	v_mul_lo_u32 v0, s17, v10
	v_mov_b32_e32 v9, v13
	v_lshlrev_b64 v[6:7], 1, v[6:7]
	v_mul_lo_u32 v10, s16, v14
	s_mul_i32 s3, s3, s18
	s_mul_i32 s2, s1, s18
	v_lshlrev_b64 v[8:9], 1, v[8:9]
	s_add_i32 s3, s0, s3
	v_cmp_gt_i64_e64 s0, s[16:17], v[4:5]
	v_cmp_gt_i64_e64 s1, s[10:11], v[2:3]
	s_delay_alu instid0(VALU_DEP_4) | instskip(NEXT) | instid1(VALU_DEP_4)
	v_add3_u32 v12, v0, v12, v10
	v_add_co_u32 v0, vcc_lo, v6, v8
	v_add_co_ci_u32_e32 v7, vcc_lo, v7, v9, vcc_lo
	s_delay_alu instid0(VALU_DEP_3) | instskip(NEXT) | instid1(VALU_DEP_3)
	v_lshlrev_b64 v[10:11], 1, v[11:12]
	v_add_co_u32 v6, vcc_lo, s6, v0
	s_delay_alu instid0(VALU_DEP_3) | instskip(NEXT) | instid1(VALU_DEP_3)
	v_add_co_ci_u32_e32 v7, vcc_lo, s7, v7, vcc_lo
	v_add_co_u32 v8, vcc_lo, s6, v10
	s_delay_alu instid0(VALU_DEP_4)
	v_add_co_ci_u32_e32 v9, vcc_lo, s7, v11, vcc_lo
	v_add_co_u32 v10, vcc_lo, s4, v10
	v_add_co_ci_u32_e32 v11, vcc_lo, s5, v11, vcc_lo
	s_lshl_b64 s[4:5], s[2:3], 1
	s_lshl_b64 s[6:7], s[20:21], 1
	s_branch .LBB516_3
.LBB516_2:                              ;   in Loop: Header=BB516_3 Depth=1
	s_or_b32 exec_lo, exec_lo, s3
	v_add_co_u32 v6, vcc_lo, v6, s4
	s_add_u32 s14, s14, s18
	v_add_co_ci_u32_e32 v7, vcc_lo, s5, v7, vcc_lo
	s_addc_u32 s15, s15, 0
	v_add_co_u32 v8, vcc_lo, v8, s4
	v_cmp_ge_i64_e64 s2, s[14:15], s[8:9]
	v_add_co_ci_u32_e32 v9, vcc_lo, s5, v9, vcc_lo
	v_add_co_u32 v10, vcc_lo, v10, s4
	v_add_co_ci_u32_e32 v11, vcc_lo, s5, v11, vcc_lo
	s_delay_alu instid0(VALU_DEP_4)
	s_and_b32 vcc_lo, exec_lo, s2
	s_cbranch_vccnz .LBB516_40
.LBB516_3:                              ; =>This Loop Header: Depth=1
                                        ;     Child Loop BB516_7 Depth 2
                                        ;       Child Loop BB516_12 Depth 3
                                        ;       Child Loop BB516_15 Depth 3
	;; [unrolled: 1-line block ×8, first 2 shown]
	s_and_saveexec_b32 s3, s0
	s_cbranch_execz .LBB516_2
; %bb.4:                                ;   in Loop: Header=BB516_3 Depth=1
	s_load_b32 s2, s[12:13], 0xc
	v_dual_mov_b32 v13, v11 :: v_dual_mov_b32 v12, v10
	v_dual_mov_b32 v15, v9 :: v_dual_mov_b32 v14, v8
	;; [unrolled: 1-line block ×4, first 2 shown]
	s_mov_b32 s28, 0
	s_waitcnt lgkmcnt(0)
	s_and_b32 s19, s2, 0xffff
	v_cmp_lt_u16_e64 s21, s2, 2
	v_mul_u32_u24_e32 v0, s19, v1
	s_mul_i32 s2, s23, s19
	s_mul_hi_u32 s24, s22, s19
	s_mul_i32 s27, s22, s19
	s_add_i32 s26, s24, s2
	v_lshl_add_u32 v0, v0, 2, 0
	s_delay_alu instid0(VALU_DEP_1)
	v_lshl_add_u32 v24, v2, 2, v0
	s_branch .LBB516_7
.LBB516_5:                              ;   in Loop: Header=BB516_7 Depth=2
	s_or_b32 exec_lo, exec_lo, s29
.LBB516_6:                              ;   in Loop: Header=BB516_7 Depth=2
	v_add_co_u32 v18, vcc_lo, v18, s20
	v_add_co_ci_u32_e32 v19, vcc_lo, 0, v19, vcc_lo
	v_add_co_u32 v16, vcc_lo, v16, s6
	v_add_co_ci_u32_e32 v17, vcc_lo, s7, v17, vcc_lo
	v_add_co_u32 v14, vcc_lo, v14, s6
	v_add_co_ci_u32_e32 v15, vcc_lo, s7, v15, vcc_lo
	v_cmp_le_i64_e32 vcc_lo, s[16:17], v[18:19]
	v_add_co_u32 v12, s2, v12, s6
	s_delay_alu instid0(VALU_DEP_1) | instskip(SKIP_1) | instid1(SALU_CYCLE_1)
	v_add_co_ci_u32_e64 v13, s2, s7, v13, s2
	s_or_b32 s28, vcc_lo, s28
	s_and_not1_b32 exec_lo, exec_lo, s28
	s_cbranch_execz .LBB516_2
.LBB516_7:                              ;   Parent Loop BB516_3 Depth=1
                                        ; =>  This Loop Header: Depth=2
                                        ;       Child Loop BB516_12 Depth 3
                                        ;       Child Loop BB516_15 Depth 3
                                        ;       Child Loop BB516_18 Depth 3
                                        ;       Child Loop BB516_23 Depth 3
                                        ;       Child Loop BB516_27 Depth 3
                                        ;       Child Loop BB516_31 Depth 3
                                        ;       Child Loop BB516_35 Depth 3
                                        ;       Child Loop BB516_39 Depth 3
	s_and_b32 vcc_lo, exec_lo, s21
	s_mov_b32 s2, -1
	s_cbranch_vccz .LBB516_20
; %bb.8:                                ;   in Loop: Header=BB516_7 Depth=2
	v_mov_b32_e32 v25, 0xff7fffff
	s_and_saveexec_b32 s24, s1
	s_cbranch_execnz .LBB516_11
; %bb.9:                                ;   in Loop: Header=BB516_7 Depth=2
	s_or_b32 exec_lo, exec_lo, s24
	v_mov_b32_e32 v26, 0
	s_and_saveexec_b32 s24, s1
	s_cbranch_execnz .LBB516_14
.LBB516_10:                             ;   in Loop: Header=BB516_7 Depth=2
	s_or_b32 exec_lo, exec_lo, s24
	s_and_saveexec_b32 s29, s1
	s_cbranch_execnz .LBB516_17
	s_branch .LBB516_19
.LBB516_11:                             ;   in Loop: Header=BB516_7 Depth=2
	v_mov_b32_e32 v21, v17
	v_dual_mov_b32 v23, v3 :: v_dual_mov_b32 v22, v2
	v_dual_mov_b32 v25, 0xff7fffff :: v_dual_mov_b32 v20, v16
	s_mov_b32 s25, 0
.LBB516_12:                             ;   Parent Loop BB516_3 Depth=1
                                        ;     Parent Loop BB516_7 Depth=2
                                        ; =>    This Inner Loop Header: Depth=3
	global_load_u16 v26, v[20:21], off
	v_add_co_u32 v22, vcc_lo, v22, s19
	v_add_co_ci_u32_e32 v23, vcc_lo, 0, v23, vcc_lo
	v_add_co_u32 v20, vcc_lo, v20, s27
	v_add_co_ci_u32_e32 v21, vcc_lo, s26, v21, vcc_lo
	s_delay_alu instid0(VALU_DEP_3) | instskip(NEXT) | instid1(VALU_DEP_1)
	v_cmp_le_i64_e64 s2, s[10:11], v[22:23]
	s_or_b32 s25, s2, s25
	s_waitcnt vmcnt(0)
	v_cvt_f32_f16_e32 v26, v26
	s_delay_alu instid0(VALU_DEP_1)
	v_cmp_lt_f32_e32 vcc_lo, v25, v26
	v_cndmask_b32_e32 v25, v25, v26, vcc_lo
	s_and_not1_b32 exec_lo, exec_lo, s25
	s_cbranch_execnz .LBB516_12
; %bb.13:                               ;   in Loop: Header=BB516_7 Depth=2
	s_or_b32 exec_lo, exec_lo, s25
	s_delay_alu instid0(SALU_CYCLE_1)
	s_or_b32 exec_lo, exec_lo, s24
	v_mov_b32_e32 v26, 0
	s_and_saveexec_b32 s24, s1
	s_cbranch_execz .LBB516_10
.LBB516_14:                             ;   in Loop: Header=BB516_7 Depth=2
	v_dual_mov_b32 v26, 0 :: v_dual_mov_b32 v21, v17
	v_dual_mov_b32 v20, v16 :: v_dual_mov_b32 v23, v3
	v_mov_b32_e32 v22, v2
	s_mov_b32 s25, 0
	s_set_inst_prefetch_distance 0x1
	.p2align	6
.LBB516_15:                             ;   Parent Loop BB516_3 Depth=1
                                        ;     Parent Loop BB516_7 Depth=2
                                        ; =>    This Inner Loop Header: Depth=3
	global_load_u16 v27, v[20:21], off
	v_add_co_u32 v22, vcc_lo, v22, s19
	v_add_co_ci_u32_e32 v23, vcc_lo, 0, v23, vcc_lo
	s_delay_alu instid0(VALU_DEP_1) | instskip(SKIP_3) | instid1(VALU_DEP_1)
	v_cmp_le_i64_e32 vcc_lo, s[10:11], v[22:23]
	s_or_b32 s25, vcc_lo, s25
	s_waitcnt vmcnt(0)
	v_cvt_f32_f16_e32 v27, v27
	v_sub_f32_e32 v27, v27, v25
	s_delay_alu instid0(VALU_DEP_1) | instskip(NEXT) | instid1(VALU_DEP_1)
	v_mul_f32_e32 v28, 0x3fb8aa3b, v27
	v_fma_f32 v29, 0x3fb8aa3b, v27, -v28
	v_rndne_f32_e32 v30, v28
	s_delay_alu instid0(VALU_DEP_1) | instskip(SKIP_1) | instid1(VALU_DEP_2)
	v_dual_sub_f32 v28, v28, v30 :: v_dual_fmac_f32 v29, 0x32a5705f, v27
	v_cmp_ngt_f32_e64 s2, 0xc2ce8ed0, v27
	v_add_f32_e32 v28, v28, v29
	v_cvt_i32_f32_e32 v29, v30
	s_delay_alu instid0(VALU_DEP_2) | instskip(SKIP_2) | instid1(VALU_DEP_1)
	v_exp_f32_e32 v28, v28
	s_waitcnt_depctr 0xfff
	v_ldexp_f32 v28, v28, v29
	v_cndmask_b32_e64 v28, 0, v28, s2
	v_cmp_nlt_f32_e64 s2, 0x42b17218, v27
	s_delay_alu instid0(VALU_DEP_1) | instskip(SKIP_1) | instid1(VALU_DEP_1)
	v_cndmask_b32_e64 v27, 0x7f800000, v28, s2
	v_add_co_u32 v20, s2, v20, s27
	v_add_co_ci_u32_e64 v21, s2, s26, v21, s2
	s_delay_alu instid0(VALU_DEP_3)
	v_add_f32_e32 v26, v26, v27
	s_and_not1_b32 exec_lo, exec_lo, s25
	s_cbranch_execnz .LBB516_15
; %bb.16:                               ;   in Loop: Header=BB516_7 Depth=2
	s_set_inst_prefetch_distance 0x2
	s_or_b32 exec_lo, exec_lo, s25
	s_delay_alu instid0(SALU_CYCLE_1)
	s_or_b32 exec_lo, exec_lo, s24
	s_and_saveexec_b32 s29, s1
	s_cbranch_execz .LBB516_19
.LBB516_17:                             ;   in Loop: Header=BB516_7 Depth=2
	v_dual_mov_b32 v21, v3 :: v_dual_mov_b32 v20, v2
	s_mov_b64 s[24:25], 0
	s_mov_b32 s30, 0
.LBB516_18:                             ;   Parent Loop BB516_3 Depth=1
                                        ;     Parent Loop BB516_7 Depth=2
                                        ; =>    This Inner Loop Header: Depth=3
	v_add_co_u32 v22, vcc_lo, v14, s24
	v_add_co_ci_u32_e32 v23, vcc_lo, s25, v15, vcc_lo
	v_add_co_u32 v20, s2, v20, s19
	global_load_u16 v22, v[22:23], off
	s_waitcnt vmcnt(0)
	v_cvt_f32_f16_e32 v22, v22
	s_delay_alu instid0(VALU_DEP_1) | instskip(NEXT) | instid1(VALU_DEP_1)
	v_sub_f32_e32 v22, v22, v25
	v_mul_f32_e32 v23, 0x3fb8aa3b, v22
	s_delay_alu instid0(VALU_DEP_1) | instskip(SKIP_1) | instid1(VALU_DEP_1)
	v_fma_f32 v27, 0x3fb8aa3b, v22, -v23
	v_rndne_f32_e32 v28, v23
	v_sub_f32_e32 v23, v23, v28
	s_delay_alu instid0(VALU_DEP_3) | instskip(SKIP_1) | instid1(VALU_DEP_2)
	v_fmac_f32_e32 v27, 0x32a5705f, v22
	v_cmp_ngt_f32_e32 vcc_lo, 0xc2ce8ed0, v22
	v_add_f32_e32 v23, v23, v27
	v_cvt_i32_f32_e32 v27, v28
	s_delay_alu instid0(VALU_DEP_2) | instskip(SKIP_2) | instid1(VALU_DEP_1)
	v_exp_f32_e32 v23, v23
	s_waitcnt_depctr 0xfff
	v_ldexp_f32 v23, v23, v27
	v_cndmask_b32_e32 v23, 0, v23, vcc_lo
	v_cmp_nlt_f32_e32 vcc_lo, 0x42b17218, v22
	s_delay_alu instid0(VALU_DEP_2) | instskip(NEXT) | instid1(VALU_DEP_1)
	v_cndmask_b32_e32 v22, 0x7f800000, v23, vcc_lo
	v_div_scale_f32 v23, null, v26, v26, v22
	v_div_scale_f32 v29, vcc_lo, v22, v26, v22
	s_delay_alu instid0(VALU_DEP_2) | instskip(SKIP_2) | instid1(VALU_DEP_1)
	v_rcp_f32_e32 v27, v23
	s_waitcnt_depctr 0xfff
	v_fma_f32 v28, -v23, v27, 1.0
	v_fmac_f32_e32 v27, v28, v27
	s_delay_alu instid0(VALU_DEP_1) | instskip(NEXT) | instid1(VALU_DEP_1)
	v_mul_f32_e32 v28, v29, v27
	v_fma_f32 v30, -v23, v28, v29
	s_delay_alu instid0(VALU_DEP_1) | instskip(NEXT) | instid1(VALU_DEP_1)
	v_fmac_f32_e32 v28, v30, v27
	v_fma_f32 v23, -v23, v28, v29
	s_delay_alu instid0(VALU_DEP_1) | instskip(SKIP_1) | instid1(VALU_DEP_2)
	v_div_fmas_f32 v23, v23, v27, v28
	v_add_co_ci_u32_e64 v21, vcc_lo, 0, v21, s2
	v_div_fixup_f32 v27, v23, v26, v22
	s_delay_alu instid0(VALU_DEP_2) | instskip(SKIP_2) | instid1(VALU_DEP_4)
	v_cmp_le_i64_e64 s2, s[10:11], v[20:21]
	v_add_co_u32 v22, vcc_lo, v12, s24
	v_add_co_ci_u32_e32 v23, vcc_lo, s25, v13, vcc_lo
	v_cvt_f16_f32_e32 v27, v27
	s_add_u32 s24, s24, s27
	s_addc_u32 s25, s25, s26
	s_or_b32 s30, s2, s30
	global_store_b16 v[22:23], v27, off
	s_and_not1_b32 exec_lo, exec_lo, s30
	s_cbranch_execnz .LBB516_18
.LBB516_19:                             ;   in Loop: Header=BB516_7 Depth=2
	s_or_b32 exec_lo, exec_lo, s29
	s_mov_b32 s2, 0
.LBB516_20:                             ;   in Loop: Header=BB516_7 Depth=2
	s_delay_alu instid0(SALU_CYCLE_1)
	s_and_b32 vcc_lo, exec_lo, s2
	s_cbranch_vccz .LBB516_6
; %bb.21:                               ;   in Loop: Header=BB516_7 Depth=2
	v_mov_b32_e32 v25, 0xff7fffff
	s_and_saveexec_b32 s24, s1
	s_cbranch_execz .LBB516_25
; %bb.22:                               ;   in Loop: Header=BB516_7 Depth=2
	v_mov_b32_e32 v21, v17
	v_dual_mov_b32 v23, v3 :: v_dual_mov_b32 v22, v2
	v_dual_mov_b32 v25, 0xff7fffff :: v_dual_mov_b32 v20, v16
	s_mov_b32 s25, 0
.LBB516_23:                             ;   Parent Loop BB516_3 Depth=1
                                        ;     Parent Loop BB516_7 Depth=2
                                        ; =>    This Inner Loop Header: Depth=3
	global_load_u16 v26, v[20:21], off
	v_add_co_u32 v22, vcc_lo, v22, s19
	v_add_co_ci_u32_e32 v23, vcc_lo, 0, v23, vcc_lo
	v_add_co_u32 v20, vcc_lo, v20, s27
	v_add_co_ci_u32_e32 v21, vcc_lo, s26, v21, vcc_lo
	s_delay_alu instid0(VALU_DEP_3) | instskip(NEXT) | instid1(VALU_DEP_1)
	v_cmp_le_i64_e64 s2, s[10:11], v[22:23]
	s_or_b32 s25, s2, s25
	s_waitcnt vmcnt(0)
	v_cvt_f32_f16_e32 v26, v26
	s_delay_alu instid0(VALU_DEP_1)
	v_cmp_lt_f32_e32 vcc_lo, v25, v26
	v_cndmask_b32_e32 v25, v25, v26, vcc_lo
	s_and_not1_b32 exec_lo, exec_lo, s25
	s_cbranch_execnz .LBB516_23
; %bb.24:                               ;   in Loop: Header=BB516_7 Depth=2
	s_or_b32 exec_lo, exec_lo, s25
.LBB516_25:                             ;   in Loop: Header=BB516_7 Depth=2
	s_delay_alu instid0(SALU_CYCLE_1)
	s_or_b32 exec_lo, exec_lo, s24
	s_mov_b32 s2, s19
	s_waitcnt_vscnt null, 0x0
	s_barrier
	buffer_gl0_inv
	ds_store_b32 v24, v25
	s_branch .LBB516_27
	.p2align	6
.LBB516_26:                             ;   in Loop: Header=BB516_27 Depth=3
	s_or_b32 exec_lo, exec_lo, s25
	s_cmp_gt_u32 s2, 3
	s_mov_b32 s2, s24
	s_cbranch_scc0 .LBB516_29
.LBB516_27:                             ;   Parent Loop BB516_3 Depth=1
                                        ;     Parent Loop BB516_7 Depth=2
                                        ; =>    This Inner Loop Header: Depth=3
	s_lshr_b32 s24, s2, 1
	s_mov_b32 s25, exec_lo
	s_waitcnt lgkmcnt(0)
	s_barrier
	buffer_gl0_inv
	v_cmpx_gt_u32_e64 s24, v2
	s_cbranch_execz .LBB516_26
; %bb.28:                               ;   in Loop: Header=BB516_27 Depth=3
	v_lshl_add_u32 v20, s24, 2, v24
	ds_load_b32 v21, v24
	ds_load_b32 v20, v20
	s_waitcnt lgkmcnt(0)
	v_cmp_lt_f32_e32 vcc_lo, v21, v20
	v_cndmask_b32_e32 v20, v21, v20, vcc_lo
	ds_store_b32 v24, v20
	s_branch .LBB516_26
.LBB516_29:                             ;   in Loop: Header=BB516_7 Depth=2
	s_waitcnt lgkmcnt(0)
	s_barrier
	buffer_gl0_inv
	ds_load_b32 v25, v0
	v_mov_b32_e32 v26, 0
	s_and_saveexec_b32 s24, s1
	s_cbranch_execz .LBB516_33
; %bb.30:                               ;   in Loop: Header=BB516_7 Depth=2
	v_dual_mov_b32 v26, 0 :: v_dual_mov_b32 v21, v17
	v_dual_mov_b32 v20, v16 :: v_dual_mov_b32 v23, v3
	v_mov_b32_e32 v22, v2
	s_mov_b32 s25, 0
	s_set_inst_prefetch_distance 0x1
	.p2align	6
.LBB516_31:                             ;   Parent Loop BB516_3 Depth=1
                                        ;     Parent Loop BB516_7 Depth=2
                                        ; =>    This Inner Loop Header: Depth=3
	global_load_u16 v27, v[20:21], off
	v_add_co_u32 v22, vcc_lo, v22, s19
	v_add_co_ci_u32_e32 v23, vcc_lo, 0, v23, vcc_lo
	s_delay_alu instid0(VALU_DEP_1) | instskip(SKIP_4) | instid1(VALU_DEP_1)
	v_cmp_le_i64_e32 vcc_lo, s[10:11], v[22:23]
	s_or_b32 s25, vcc_lo, s25
	s_waitcnt vmcnt(0)
	v_cvt_f32_f16_e32 v27, v27
	s_waitcnt lgkmcnt(0)
	v_sub_f32_e32 v27, v27, v25
	s_delay_alu instid0(VALU_DEP_1) | instskip(NEXT) | instid1(VALU_DEP_1)
	v_mul_f32_e32 v28, 0x3fb8aa3b, v27
	v_fma_f32 v29, 0x3fb8aa3b, v27, -v28
	v_rndne_f32_e32 v30, v28
	s_delay_alu instid0(VALU_DEP_1) | instskip(SKIP_1) | instid1(VALU_DEP_2)
	v_dual_sub_f32 v28, v28, v30 :: v_dual_fmac_f32 v29, 0x32a5705f, v27
	v_cmp_ngt_f32_e64 s2, 0xc2ce8ed0, v27
	v_add_f32_e32 v28, v28, v29
	v_cvt_i32_f32_e32 v29, v30
	s_delay_alu instid0(VALU_DEP_2) | instskip(SKIP_2) | instid1(VALU_DEP_1)
	v_exp_f32_e32 v28, v28
	s_waitcnt_depctr 0xfff
	v_ldexp_f32 v28, v28, v29
	v_cndmask_b32_e64 v28, 0, v28, s2
	v_cmp_nlt_f32_e64 s2, 0x42b17218, v27
	s_delay_alu instid0(VALU_DEP_1) | instskip(SKIP_1) | instid1(VALU_DEP_1)
	v_cndmask_b32_e64 v27, 0x7f800000, v28, s2
	v_add_co_u32 v20, s2, v20, s27
	v_add_co_ci_u32_e64 v21, s2, s26, v21, s2
	s_delay_alu instid0(VALU_DEP_3)
	v_add_f32_e32 v26, v26, v27
	s_and_not1_b32 exec_lo, exec_lo, s25
	s_cbranch_execnz .LBB516_31
; %bb.32:                               ;   in Loop: Header=BB516_7 Depth=2
	s_set_inst_prefetch_distance 0x2
	s_or_b32 exec_lo, exec_lo, s25
.LBB516_33:                             ;   in Loop: Header=BB516_7 Depth=2
	s_delay_alu instid0(SALU_CYCLE_1)
	s_or_b32 exec_lo, exec_lo, s24
	s_mov_b32 s2, s19
	s_waitcnt lgkmcnt(0)
	s_barrier
	buffer_gl0_inv
	ds_store_b32 v24, v26
	s_branch .LBB516_35
	.p2align	6
.LBB516_34:                             ;   in Loop: Header=BB516_35 Depth=3
	s_or_b32 exec_lo, exec_lo, s25
	s_cmp_gt_u32 s2, 3
	s_mov_b32 s2, s24
	s_cbranch_scc0 .LBB516_37
.LBB516_35:                             ;   Parent Loop BB516_3 Depth=1
                                        ;     Parent Loop BB516_7 Depth=2
                                        ; =>    This Inner Loop Header: Depth=3
	s_lshr_b32 s24, s2, 1
	s_mov_b32 s25, exec_lo
	s_waitcnt lgkmcnt(0)
	s_barrier
	buffer_gl0_inv
	v_cmpx_gt_u32_e64 s24, v2
	s_cbranch_execz .LBB516_34
; %bb.36:                               ;   in Loop: Header=BB516_35 Depth=3
	v_lshl_add_u32 v20, s24, 2, v24
	ds_load_b32 v21, v24
	ds_load_b32 v20, v20
	s_waitcnt lgkmcnt(0)
	v_add_f32_e32 v20, v21, v20
	ds_store_b32 v24, v20
	s_branch .LBB516_34
.LBB516_37:                             ;   in Loop: Header=BB516_7 Depth=2
	s_waitcnt lgkmcnt(0)
	s_barrier
	buffer_gl0_inv
	s_and_saveexec_b32 s29, s1
	s_cbranch_execz .LBB516_5
; %bb.38:                               ;   in Loop: Header=BB516_7 Depth=2
	ds_load_b32 v22, v0
	v_dual_mov_b32 v21, v3 :: v_dual_mov_b32 v20, v2
	s_mov_b64 s[24:25], 0
	s_mov_b32 s30, 0
.LBB516_39:                             ;   Parent Loop BB516_3 Depth=1
                                        ;     Parent Loop BB516_7 Depth=2
                                        ; =>    This Inner Loop Header: Depth=3
	v_add_co_u32 v26, vcc_lo, v14, s24
	v_add_co_ci_u32_e32 v27, vcc_lo, s25, v15, vcc_lo
	v_add_co_u32 v20, s2, v20, s19
	global_load_u16 v23, v[26:27], off
	s_waitcnt vmcnt(0)
	v_cvt_f32_f16_e32 v23, v23
	s_delay_alu instid0(VALU_DEP_1) | instskip(NEXT) | instid1(VALU_DEP_1)
	v_sub_f32_e32 v23, v23, v25
	v_mul_f32_e32 v26, 0x3fb8aa3b, v23
	s_delay_alu instid0(VALU_DEP_1) | instskip(SKIP_1) | instid1(VALU_DEP_1)
	v_fma_f32 v27, 0x3fb8aa3b, v23, -v26
	v_rndne_f32_e32 v28, v26
	v_sub_f32_e32 v26, v26, v28
	v_cmp_ngt_f32_e32 vcc_lo, 0xc2ce8ed0, v23
	s_delay_alu instid0(VALU_DEP_4) | instskip(NEXT) | instid1(VALU_DEP_1)
	v_fmac_f32_e32 v27, 0x32a5705f, v23
	v_add_f32_e32 v26, v26, v27
	v_cvt_i32_f32_e32 v27, v28
	s_delay_alu instid0(VALU_DEP_2) | instskip(SKIP_2) | instid1(VALU_DEP_1)
	v_exp_f32_e32 v26, v26
	s_waitcnt_depctr 0xfff
	v_ldexp_f32 v26, v26, v27
	v_cndmask_b32_e32 v26, 0, v26, vcc_lo
	v_cmp_nlt_f32_e32 vcc_lo, 0x42b17218, v23
	s_delay_alu instid0(VALU_DEP_2) | instskip(SKIP_1) | instid1(VALU_DEP_1)
	v_cndmask_b32_e32 v23, 0x7f800000, v26, vcc_lo
	s_waitcnt lgkmcnt(0)
	v_div_scale_f32 v26, null, v22, v22, v23
	v_div_scale_f32 v29, vcc_lo, v23, v22, v23
	s_delay_alu instid0(VALU_DEP_2) | instskip(SKIP_2) | instid1(VALU_DEP_1)
	v_rcp_f32_e32 v27, v26
	s_waitcnt_depctr 0xfff
	v_fma_f32 v28, -v26, v27, 1.0
	v_fmac_f32_e32 v27, v28, v27
	s_delay_alu instid0(VALU_DEP_1) | instskip(NEXT) | instid1(VALU_DEP_1)
	v_mul_f32_e32 v28, v29, v27
	v_fma_f32 v30, -v26, v28, v29
	s_delay_alu instid0(VALU_DEP_1) | instskip(NEXT) | instid1(VALU_DEP_1)
	v_fmac_f32_e32 v28, v30, v27
	v_fma_f32 v26, -v26, v28, v29
	s_delay_alu instid0(VALU_DEP_1) | instskip(SKIP_1) | instid1(VALU_DEP_2)
	v_div_fmas_f32 v26, v26, v27, v28
	v_add_co_ci_u32_e64 v21, vcc_lo, 0, v21, s2
	v_div_fixup_f32 v23, v26, v22, v23
	s_delay_alu instid0(VALU_DEP_2) | instskip(SKIP_2) | instid1(VALU_DEP_4)
	v_cmp_le_i64_e64 s2, s[10:11], v[20:21]
	v_add_co_u32 v26, vcc_lo, v12, s24
	v_add_co_ci_u32_e32 v27, vcc_lo, s25, v13, vcc_lo
	v_cvt_f16_f32_e32 v23, v23
	s_add_u32 s24, s24, s27
	s_addc_u32 s25, s25, s26
	s_or_b32 s30, s2, s30
	global_store_b16 v[26:27], v23, off
	s_and_not1_b32 exec_lo, exec_lo, s30
	s_cbranch_execnz .LBB516_39
	s_branch .LBB516_5
.LBB516_40:
	s_nop 0
	s_sendmsg sendmsg(MSG_DEALLOC_VGPRS)
	s_endpgm
	.section	.rodata,"a",@progbits
	.p2align	6, 0x0
	.amdhsa_kernel _ZN2at6native12_GLOBAL__N_126cunn_SpatialSoftMaxForwardIN3c104HalfEfS4_lNS1_22SoftMaxForwardEpilogueEEEvPT1_PKT_T2_SB_SB_
		.amdhsa_group_segment_fixed_size 0
		.amdhsa_private_segment_fixed_size 0
		.amdhsa_kernarg_size 296
		.amdhsa_user_sgpr_count 14
		.amdhsa_user_sgpr_dispatch_ptr 0
		.amdhsa_user_sgpr_queue_ptr 0
		.amdhsa_user_sgpr_kernarg_segment_ptr 1
		.amdhsa_user_sgpr_dispatch_id 0
		.amdhsa_user_sgpr_private_segment_size 0
		.amdhsa_wavefront_size32 1
		.amdhsa_uses_dynamic_stack 0
		.amdhsa_enable_private_segment 0
		.amdhsa_system_sgpr_workgroup_id_x 1
		.amdhsa_system_sgpr_workgroup_id_y 1
		.amdhsa_system_sgpr_workgroup_id_z 0
		.amdhsa_system_sgpr_workgroup_info 0
		.amdhsa_system_vgpr_workitem_id 1
		.amdhsa_next_free_vgpr 31
		.amdhsa_next_free_sgpr 31
		.amdhsa_reserve_vcc 1
		.amdhsa_float_round_mode_32 0
		.amdhsa_float_round_mode_16_64 0
		.amdhsa_float_denorm_mode_32 3
		.amdhsa_float_denorm_mode_16_64 3
		.amdhsa_dx10_clamp 1
		.amdhsa_ieee_mode 1
		.amdhsa_fp16_overflow 0
		.amdhsa_workgroup_processor_mode 1
		.amdhsa_memory_ordered 1
		.amdhsa_forward_progress 0
		.amdhsa_shared_vgpr_count 0
		.amdhsa_exception_fp_ieee_invalid_op 0
		.amdhsa_exception_fp_denorm_src 0
		.amdhsa_exception_fp_ieee_div_zero 0
		.amdhsa_exception_fp_ieee_overflow 0
		.amdhsa_exception_fp_ieee_underflow 0
		.amdhsa_exception_fp_ieee_inexact 0
		.amdhsa_exception_int_div_zero 0
	.end_amdhsa_kernel
	.section	.text._ZN2at6native12_GLOBAL__N_126cunn_SpatialSoftMaxForwardIN3c104HalfEfS4_lNS1_22SoftMaxForwardEpilogueEEEvPT1_PKT_T2_SB_SB_,"axG",@progbits,_ZN2at6native12_GLOBAL__N_126cunn_SpatialSoftMaxForwardIN3c104HalfEfS4_lNS1_22SoftMaxForwardEpilogueEEEvPT1_PKT_T2_SB_SB_,comdat
.Lfunc_end516:
	.size	_ZN2at6native12_GLOBAL__N_126cunn_SpatialSoftMaxForwardIN3c104HalfEfS4_lNS1_22SoftMaxForwardEpilogueEEEvPT1_PKT_T2_SB_SB_, .Lfunc_end516-_ZN2at6native12_GLOBAL__N_126cunn_SpatialSoftMaxForwardIN3c104HalfEfS4_lNS1_22SoftMaxForwardEpilogueEEEvPT1_PKT_T2_SB_SB_
                                        ; -- End function
	.section	.AMDGPU.csdata,"",@progbits
; Kernel info:
; codeLenInByte = 2476
; NumSgprs: 33
; NumVgprs: 31
; ScratchSize: 0
; MemoryBound: 0
; FloatMode: 240
; IeeeMode: 1
; LDSByteSize: 0 bytes/workgroup (compile time only)
; SGPRBlocks: 4
; VGPRBlocks: 3
; NumSGPRsForWavesPerEU: 33
; NumVGPRsForWavesPerEU: 31
; Occupancy: 16
; WaveLimiterHint : 0
; COMPUTE_PGM_RSRC2:SCRATCH_EN: 0
; COMPUTE_PGM_RSRC2:USER_SGPR: 14
; COMPUTE_PGM_RSRC2:TRAP_HANDLER: 0
; COMPUTE_PGM_RSRC2:TGID_X_EN: 1
; COMPUTE_PGM_RSRC2:TGID_Y_EN: 1
; COMPUTE_PGM_RSRC2:TGID_Z_EN: 0
; COMPUTE_PGM_RSRC2:TIDIG_COMP_CNT: 1
	.section	.text._ZN2at6native12_GLOBAL__N_126cunn_SpatialSoftMaxForwardIN3c104HalfEfflNS1_22SoftMaxForwardEpilogueEEEvPT1_PKT_T2_SB_SB_,"axG",@progbits,_ZN2at6native12_GLOBAL__N_126cunn_SpatialSoftMaxForwardIN3c104HalfEfflNS1_22SoftMaxForwardEpilogueEEEvPT1_PKT_T2_SB_SB_,comdat
	.globl	_ZN2at6native12_GLOBAL__N_126cunn_SpatialSoftMaxForwardIN3c104HalfEfflNS1_22SoftMaxForwardEpilogueEEEvPT1_PKT_T2_SB_SB_ ; -- Begin function _ZN2at6native12_GLOBAL__N_126cunn_SpatialSoftMaxForwardIN3c104HalfEfflNS1_22SoftMaxForwardEpilogueEEEvPT1_PKT_T2_SB_SB_
	.p2align	8
	.type	_ZN2at6native12_GLOBAL__N_126cunn_SpatialSoftMaxForwardIN3c104HalfEfflNS1_22SoftMaxForwardEpilogueEEEvPT1_PKT_T2_SB_SB_,@function
_ZN2at6native12_GLOBAL__N_126cunn_SpatialSoftMaxForwardIN3c104HalfEfflNS1_22SoftMaxForwardEpilogueEEEvPT1_PKT_T2_SB_SB_: ; @_ZN2at6native12_GLOBAL__N_126cunn_SpatialSoftMaxForwardIN3c104HalfEfflNS1_22SoftMaxForwardEpilogueEEEvPT1_PKT_T2_SB_SB_
; %bb.0:
	s_load_b256 s[4:11], s[0:1], 0x0
	s_mov_b32 s2, s15
	s_mov_b32 s15, 0
	s_waitcnt lgkmcnt(0)
	v_cmp_ge_i64_e64 s3, s[14:15], s[8:9]
	s_delay_alu instid0(VALU_DEP_1)
	s_and_b32 vcc_lo, exec_lo, s3
	s_cbranch_vccnz .LBB517_40
; %bb.1:
	s_clause 0x1
	s_load_b32 s3, s[0:1], 0x34
	s_load_b128 s[16:19], s[0:1], 0x20
	v_bfe_u32 v1, v0, 10, 10
	v_and_b32_e32 v2, 0x3ff, v0
	s_add_u32 s12, s0, 40
	s_addc_u32 s13, s1, 0
	s_mov_b32 s21, s15
	s_waitcnt lgkmcnt(0)
	s_lshr_b32 s0, s3, 16
	s_mul_i32 s24, s16, s10
	v_mad_u64_u32 v[4:5], null, s2, s0, v[1:2]
	v_mov_b32_e32 v5, 0
	v_mad_u64_u32 v[6:7], null, s16, v2, 0
	s_mul_i32 s1, s16, s11
	s_mul_hi_u32 s2, s16, s10
	s_delay_alu instid0(VALU_DEP_2) | instskip(NEXT) | instid1(VALU_DEP_4)
	v_mov_b32_e32 v3, v5
	v_mad_u64_u32 v[8:9], null, s24, s14, v[4:5]
	s_mul_i32 s3, s17, s10
	s_delay_alu instid0(VALU_DEP_3) | instskip(NEXT) | instid1(VALU_DEP_3)
	v_mov_b32_e32 v0, v7
	v_mad_u64_u32 v[10:11], null, s10, s14, v[2:3]
	s_mul_i32 s20, s19, s0
	s_add_i32 s0, s2, s1
	s_delay_alu instid0(VALU_DEP_3) | instskip(SKIP_2) | instid1(VALU_DEP_3)
	v_mov_b32_e32 v7, v9
	v_mad_u64_u32 v[12:13], null, s17, v2, v[0:1]
	s_add_i32 s0, s0, s3
	v_mov_b32_e32 v0, v11
	s_delay_alu instid0(VALU_DEP_3) | instskip(SKIP_2) | instid1(VALU_DEP_2)
	v_mad_u64_u32 v[13:14], null, s0, s14, v[7:8]
	s_mul_hi_u32 s1, s24, s18
	s_mul_i32 s0, s0, s18
	v_mad_u64_u32 v[14:15], null, s11, s14, v[0:1]
	s_delay_alu instid0(VALU_DEP_4) | instskip(SKIP_3) | instid1(VALU_DEP_4)
	v_mov_b32_e32 v7, v12
	v_mad_u64_u32 v[11:12], null, s16, v10, v[4:5]
	v_mul_lo_u32 v0, s17, v10
	v_mov_b32_e32 v9, v13
	v_lshlrev_b64 v[6:7], 1, v[6:7]
	v_mul_lo_u32 v10, s16, v14
	s_add_i32 s3, s1, s0
	v_cmp_gt_i64_e64 s0, s[16:17], v[4:5]
	v_lshlrev_b64 v[8:9], 1, v[8:9]
	v_cmp_gt_i64_e64 s1, s[10:11], v[2:3]
	s_mul_i32 s2, s24, s18
	s_lshl_b64 s[22:23], s[16:17], 1
	s_lshl_b64 s[24:25], s[20:21], 1
	v_add3_u32 v12, v0, v12, v10
	v_add_co_u32 v0, vcc_lo, v6, v8
	v_add_co_ci_u32_e32 v7, vcc_lo, v7, v9, vcc_lo
	s_delay_alu instid0(VALU_DEP_3) | instskip(NEXT) | instid1(VALU_DEP_3)
	v_lshlrev_b64 v[8:9], 1, v[11:12]
	v_add_co_u32 v6, vcc_lo, s6, v0
	v_lshlrev_b64 v[10:11], 2, v[11:12]
	s_delay_alu instid0(VALU_DEP_4) | instskip(NEXT) | instid1(VALU_DEP_4)
	v_add_co_ci_u32_e32 v7, vcc_lo, s7, v7, vcc_lo
	v_add_co_u32 v8, vcc_lo, s6, v8
	v_add_co_ci_u32_e32 v9, vcc_lo, s7, v9, vcc_lo
	s_delay_alu instid0(VALU_DEP_4)
	v_add_co_u32 v10, vcc_lo, s4, v10
	v_add_co_ci_u32_e32 v11, vcc_lo, s5, v11, vcc_lo
	s_lshl_b64 s[26:27], s[2:3], 1
	s_lshl_b64 s[4:5], s[2:3], 2
	;; [unrolled: 1-line block ×4, first 2 shown]
	s_branch .LBB517_3
.LBB517_2:                              ;   in Loop: Header=BB517_3 Depth=1
	s_or_b32 exec_lo, exec_lo, s3
	v_add_co_u32 v6, vcc_lo, v6, s26
	s_add_u32 s14, s14, s18
	v_add_co_ci_u32_e32 v7, vcc_lo, s27, v7, vcc_lo
	s_addc_u32 s15, s15, 0
	v_add_co_u32 v8, vcc_lo, v8, s26
	v_cmp_ge_i64_e64 s2, s[14:15], s[8:9]
	v_add_co_ci_u32_e32 v9, vcc_lo, s27, v9, vcc_lo
	v_add_co_u32 v10, vcc_lo, v10, s4
	v_add_co_ci_u32_e32 v11, vcc_lo, s5, v11, vcc_lo
	s_delay_alu instid0(VALU_DEP_4)
	s_and_b32 vcc_lo, exec_lo, s2
	s_cbranch_vccnz .LBB517_40
.LBB517_3:                              ; =>This Loop Header: Depth=1
                                        ;     Child Loop BB517_7 Depth 2
                                        ;       Child Loop BB517_12 Depth 3
                                        ;       Child Loop BB517_15 Depth 3
                                        ;       Child Loop BB517_18 Depth 3
                                        ;       Child Loop BB517_23 Depth 3
                                        ;       Child Loop BB517_27 Depth 3
                                        ;       Child Loop BB517_31 Depth 3
                                        ;       Child Loop BB517_35 Depth 3
                                        ;       Child Loop BB517_39 Depth 3
	s_and_saveexec_b32 s3, s0
	s_cbranch_execz .LBB517_2
; %bb.4:                                ;   in Loop: Header=BB517_3 Depth=1
	s_load_b32 s2, s[12:13], 0xc
	v_dual_mov_b32 v13, v11 :: v_dual_mov_b32 v12, v10
	v_dual_mov_b32 v15, v9 :: v_dual_mov_b32 v14, v8
	v_dual_mov_b32 v17, v7 :: v_dual_mov_b32 v16, v6
	v_dual_mov_b32 v19, v5 :: v_dual_mov_b32 v18, v4
	s_mov_b32 s35, 0
	s_waitcnt lgkmcnt(0)
	s_and_b32 s19, s2, 0xffff
	v_cmp_lt_u16_e64 s21, s2, 2
	v_mul_u32_u24_e32 v0, s19, v1
	s_mul_i32 s2, s23, s19
	s_mul_hi_u32 s31, s22, s19
	s_mul_i32 s33, s29, s19
	s_mul_hi_u32 s34, s28, s19
	v_lshl_add_u32 v0, v0, 2, 0
	s_mul_i32 s30, s22, s19
	s_add_i32 s31, s31, s2
	s_add_i32 s33, s34, s33
	s_mul_i32 s34, s28, s19
	v_lshl_add_u32 v26, v2, 2, v0
	s_branch .LBB517_7
.LBB517_5:                              ;   in Loop: Header=BB517_7 Depth=2
	s_or_b32 exec_lo, exec_lo, s36
.LBB517_6:                              ;   in Loop: Header=BB517_7 Depth=2
	v_add_co_u32 v18, vcc_lo, v18, s20
	v_add_co_ci_u32_e32 v19, vcc_lo, 0, v19, vcc_lo
	v_add_co_u32 v16, vcc_lo, v16, s24
	v_add_co_ci_u32_e32 v17, vcc_lo, s25, v17, vcc_lo
	;; [unrolled: 2-line block ×3, first 2 shown]
	v_cmp_le_i64_e32 vcc_lo, s[16:17], v[18:19]
	v_add_co_u32 v12, s2, v12, s6
	s_delay_alu instid0(VALU_DEP_1) | instskip(SKIP_1) | instid1(SALU_CYCLE_1)
	v_add_co_ci_u32_e64 v13, s2, s7, v13, s2
	s_or_b32 s35, vcc_lo, s35
	s_and_not1_b32 exec_lo, exec_lo, s35
	s_cbranch_execz .LBB517_2
.LBB517_7:                              ;   Parent Loop BB517_3 Depth=1
                                        ; =>  This Loop Header: Depth=2
                                        ;       Child Loop BB517_12 Depth 3
                                        ;       Child Loop BB517_15 Depth 3
	;; [unrolled: 1-line block ×8, first 2 shown]
	s_and_b32 vcc_lo, exec_lo, s21
	s_mov_b32 s2, -1
	s_cbranch_vccz .LBB517_20
; %bb.8:                                ;   in Loop: Header=BB517_7 Depth=2
	v_mov_b32_e32 v27, 0xff7fffff
	s_and_saveexec_b32 s36, s1
	s_cbranch_execnz .LBB517_11
; %bb.9:                                ;   in Loop: Header=BB517_7 Depth=2
	s_or_b32 exec_lo, exec_lo, s36
	v_mov_b32_e32 v28, 0
	s_and_saveexec_b32 s36, s1
	s_cbranch_execnz .LBB517_14
.LBB517_10:                             ;   in Loop: Header=BB517_7 Depth=2
	s_or_b32 exec_lo, exec_lo, s36
	s_and_saveexec_b32 s36, s1
	s_cbranch_execnz .LBB517_17
	s_branch .LBB517_19
.LBB517_11:                             ;   in Loop: Header=BB517_7 Depth=2
	v_mov_b32_e32 v21, v17
	v_dual_mov_b32 v23, v3 :: v_dual_mov_b32 v22, v2
	v_dual_mov_b32 v27, 0xff7fffff :: v_dual_mov_b32 v20, v16
	s_mov_b32 s37, 0
.LBB517_12:                             ;   Parent Loop BB517_3 Depth=1
                                        ;     Parent Loop BB517_7 Depth=2
                                        ; =>    This Inner Loop Header: Depth=3
	global_load_u16 v24, v[20:21], off
	v_add_co_u32 v22, vcc_lo, v22, s19
	v_add_co_ci_u32_e32 v23, vcc_lo, 0, v23, vcc_lo
	v_add_co_u32 v20, vcc_lo, v20, s30
	v_add_co_ci_u32_e32 v21, vcc_lo, s31, v21, vcc_lo
	s_delay_alu instid0(VALU_DEP_3) | instskip(NEXT) | instid1(VALU_DEP_1)
	v_cmp_le_i64_e64 s2, s[10:11], v[22:23]
	s_or_b32 s37, s2, s37
	s_waitcnt vmcnt(0)
	v_cvt_f32_f16_e32 v24, v24
	s_delay_alu instid0(VALU_DEP_1)
	v_cmp_lt_f32_e32 vcc_lo, v27, v24
	v_cndmask_b32_e32 v27, v27, v24, vcc_lo
	s_and_not1_b32 exec_lo, exec_lo, s37
	s_cbranch_execnz .LBB517_12
; %bb.13:                               ;   in Loop: Header=BB517_7 Depth=2
	s_or_b32 exec_lo, exec_lo, s37
	s_delay_alu instid0(SALU_CYCLE_1)
	s_or_b32 exec_lo, exec_lo, s36
	v_mov_b32_e32 v28, 0
	s_and_saveexec_b32 s36, s1
	s_cbranch_execz .LBB517_10
.LBB517_14:                             ;   in Loop: Header=BB517_7 Depth=2
	v_dual_mov_b32 v28, 0 :: v_dual_mov_b32 v21, v17
	v_dual_mov_b32 v20, v16 :: v_dual_mov_b32 v23, v3
	v_mov_b32_e32 v22, v2
	s_mov_b32 s37, 0
	s_set_inst_prefetch_distance 0x1
	.p2align	6
.LBB517_15:                             ;   Parent Loop BB517_3 Depth=1
                                        ;     Parent Loop BB517_7 Depth=2
                                        ; =>    This Inner Loop Header: Depth=3
	global_load_u16 v24, v[20:21], off
	v_add_co_u32 v22, vcc_lo, v22, s19
	v_add_co_ci_u32_e32 v23, vcc_lo, 0, v23, vcc_lo
	s_delay_alu instid0(VALU_DEP_1) | instskip(SKIP_3) | instid1(VALU_DEP_1)
	v_cmp_le_i64_e32 vcc_lo, s[10:11], v[22:23]
	s_or_b32 s37, vcc_lo, s37
	s_waitcnt vmcnt(0)
	v_cvt_f32_f16_e32 v24, v24
	v_sub_f32_e32 v24, v24, v27
	s_delay_alu instid0(VALU_DEP_1) | instskip(NEXT) | instid1(VALU_DEP_1)
	v_mul_f32_e32 v25, 0x3fb8aa3b, v24
	v_fma_f32 v29, 0x3fb8aa3b, v24, -v25
	v_rndne_f32_e32 v30, v25
	s_delay_alu instid0(VALU_DEP_1) | instskip(NEXT) | instid1(VALU_DEP_3)
	v_sub_f32_e32 v25, v25, v30
	v_fmac_f32_e32 v29, 0x32a5705f, v24
	v_cmp_ngt_f32_e64 s2, 0xc2ce8ed0, v24
	s_delay_alu instid0(VALU_DEP_2) | instskip(SKIP_1) | instid1(VALU_DEP_2)
	v_add_f32_e32 v25, v25, v29
	v_cvt_i32_f32_e32 v29, v30
	v_exp_f32_e32 v25, v25
	s_waitcnt_depctr 0xfff
	v_ldexp_f32 v25, v25, v29
	s_delay_alu instid0(VALU_DEP_1) | instskip(SKIP_1) | instid1(VALU_DEP_1)
	v_cndmask_b32_e64 v25, 0, v25, s2
	v_cmp_nlt_f32_e64 s2, 0x42b17218, v24
	v_cndmask_b32_e64 v24, 0x7f800000, v25, s2
	v_add_co_u32 v20, s2, v20, s30
	s_delay_alu instid0(VALU_DEP_1) | instskip(NEXT) | instid1(VALU_DEP_3)
	v_add_co_ci_u32_e64 v21, s2, s31, v21, s2
	v_add_f32_e32 v28, v28, v24
	s_and_not1_b32 exec_lo, exec_lo, s37
	s_cbranch_execnz .LBB517_15
; %bb.16:                               ;   in Loop: Header=BB517_7 Depth=2
	s_set_inst_prefetch_distance 0x2
	s_or_b32 exec_lo, exec_lo, s37
	s_delay_alu instid0(SALU_CYCLE_1)
	s_or_b32 exec_lo, exec_lo, s36
	s_and_saveexec_b32 s36, s1
	s_cbranch_execz .LBB517_19
.LBB517_17:                             ;   in Loop: Header=BB517_7 Depth=2
	v_dual_mov_b32 v21, v13 :: v_dual_mov_b32 v20, v12
	v_dual_mov_b32 v23, v15 :: v_dual_mov_b32 v22, v14
	;; [unrolled: 1-line block ×3, first 2 shown]
	s_mov_b32 s37, 0
.LBB517_18:                             ;   Parent Loop BB517_3 Depth=1
                                        ;     Parent Loop BB517_7 Depth=2
                                        ; =>    This Inner Loop Header: Depth=3
	global_load_u16 v29, v[22:23], off
	v_add_co_u32 v24, vcc_lo, v24, s19
	v_add_co_ci_u32_e32 v25, vcc_lo, 0, v25, vcc_lo
	v_add_co_u32 v22, vcc_lo, v22, s30
	v_add_co_ci_u32_e32 v23, vcc_lo, s31, v23, vcc_lo
	s_waitcnt vmcnt(0)
	v_cvt_f32_f16_e32 v29, v29
	s_delay_alu instid0(VALU_DEP_1) | instskip(NEXT) | instid1(VALU_DEP_1)
	v_sub_f32_e32 v29, v29, v27
	v_mul_f32_e32 v30, 0x3fb8aa3b, v29
	s_delay_alu instid0(VALU_DEP_1) | instskip(SKIP_1) | instid1(VALU_DEP_1)
	v_fma_f32 v31, 0x3fb8aa3b, v29, -v30
	v_rndne_f32_e32 v32, v30
	v_dual_sub_f32 v30, v30, v32 :: v_dual_fmac_f32 v31, 0x32a5705f, v29
	v_cmp_ngt_f32_e64 s2, 0xc2ce8ed0, v29
	s_delay_alu instid0(VALU_DEP_2) | instskip(SKIP_1) | instid1(VALU_DEP_2)
	v_add_f32_e32 v30, v30, v31
	v_cvt_i32_f32_e32 v31, v32
	v_exp_f32_e32 v30, v30
	s_waitcnt_depctr 0xfff
	v_ldexp_f32 v30, v30, v31
	s_delay_alu instid0(VALU_DEP_1) | instskip(SKIP_1) | instid1(VALU_DEP_1)
	v_cndmask_b32_e64 v30, 0, v30, s2
	v_cmp_nlt_f32_e64 s2, 0x42b17218, v29
	v_cndmask_b32_e64 v29, 0x7f800000, v30, s2
	v_cmp_le_i64_e64 s2, s[10:11], v[24:25]
	s_delay_alu instid0(VALU_DEP_2) | instskip(SKIP_1) | instid1(VALU_DEP_3)
	v_div_scale_f32 v30, null, v28, v28, v29
	v_div_scale_f32 v32, vcc_lo, v29, v28, v29
	s_or_b32 s37, s2, s37
	s_delay_alu instid0(VALU_DEP_2) | instskip(SKIP_2) | instid1(VALU_DEP_1)
	v_rcp_f32_e32 v31, v30
	s_waitcnt_depctr 0xfff
	v_fma_f32 v33, -v30, v31, 1.0
	v_fmac_f32_e32 v31, v33, v31
	s_delay_alu instid0(VALU_DEP_1) | instskip(NEXT) | instid1(VALU_DEP_1)
	v_mul_f32_e32 v33, v32, v31
	v_fma_f32 v34, -v30, v33, v32
	s_delay_alu instid0(VALU_DEP_1) | instskip(NEXT) | instid1(VALU_DEP_1)
	v_fmac_f32_e32 v33, v34, v31
	v_fma_f32 v30, -v30, v33, v32
	s_delay_alu instid0(VALU_DEP_1) | instskip(NEXT) | instid1(VALU_DEP_1)
	v_div_fmas_f32 v30, v30, v31, v33
	v_div_fixup_f32 v29, v30, v28, v29
	global_store_b32 v[20:21], v29, off
	v_add_co_u32 v20, vcc_lo, v20, s34
	v_add_co_ci_u32_e32 v21, vcc_lo, s33, v21, vcc_lo
	s_and_not1_b32 exec_lo, exec_lo, s37
	s_cbranch_execnz .LBB517_18
.LBB517_19:                             ;   in Loop: Header=BB517_7 Depth=2
	s_or_b32 exec_lo, exec_lo, s36
	s_mov_b32 s2, 0
.LBB517_20:                             ;   in Loop: Header=BB517_7 Depth=2
	s_delay_alu instid0(SALU_CYCLE_1)
	s_and_b32 vcc_lo, exec_lo, s2
	s_cbranch_vccz .LBB517_6
; %bb.21:                               ;   in Loop: Header=BB517_7 Depth=2
	v_mov_b32_e32 v24, 0xff7fffff
	s_and_saveexec_b32 s36, s1
	s_cbranch_execz .LBB517_25
; %bb.22:                               ;   in Loop: Header=BB517_7 Depth=2
	v_dual_mov_b32 v24, 0xff7fffff :: v_dual_mov_b32 v21, v17
	v_dual_mov_b32 v20, v16 :: v_dual_mov_b32 v23, v3
	v_mov_b32_e32 v22, v2
	s_mov_b32 s37, 0
.LBB517_23:                             ;   Parent Loop BB517_3 Depth=1
                                        ;     Parent Loop BB517_7 Depth=2
                                        ; =>    This Inner Loop Header: Depth=3
	global_load_u16 v25, v[20:21], off
	v_add_co_u32 v22, vcc_lo, v22, s19
	v_add_co_ci_u32_e32 v23, vcc_lo, 0, v23, vcc_lo
	v_add_co_u32 v20, vcc_lo, v20, s30
	v_add_co_ci_u32_e32 v21, vcc_lo, s31, v21, vcc_lo
	s_delay_alu instid0(VALU_DEP_3) | instskip(NEXT) | instid1(VALU_DEP_1)
	v_cmp_le_i64_e64 s2, s[10:11], v[22:23]
	s_or_b32 s37, s2, s37
	s_waitcnt vmcnt(0)
	v_cvt_f32_f16_e32 v25, v25
	s_delay_alu instid0(VALU_DEP_1)
	v_cmp_lt_f32_e32 vcc_lo, v24, v25
	v_cndmask_b32_e32 v24, v24, v25, vcc_lo
	s_and_not1_b32 exec_lo, exec_lo, s37
	s_cbranch_execnz .LBB517_23
; %bb.24:                               ;   in Loop: Header=BB517_7 Depth=2
	s_or_b32 exec_lo, exec_lo, s37
.LBB517_25:                             ;   in Loop: Header=BB517_7 Depth=2
	s_delay_alu instid0(SALU_CYCLE_1)
	s_or_b32 exec_lo, exec_lo, s36
	s_mov_b32 s2, s19
	s_waitcnt_vscnt null, 0x0
	s_barrier
	buffer_gl0_inv
	ds_store_b32 v26, v24
	s_branch .LBB517_27
	.p2align	6
.LBB517_26:                             ;   in Loop: Header=BB517_27 Depth=3
	s_or_b32 exec_lo, exec_lo, s37
	s_cmp_gt_u32 s2, 3
	s_mov_b32 s2, s36
	s_cbranch_scc0 .LBB517_29
.LBB517_27:                             ;   Parent Loop BB517_3 Depth=1
                                        ;     Parent Loop BB517_7 Depth=2
                                        ; =>    This Inner Loop Header: Depth=3
	s_lshr_b32 s36, s2, 1
	s_mov_b32 s37, exec_lo
	s_waitcnt lgkmcnt(0)
	s_barrier
	buffer_gl0_inv
	v_cmpx_gt_u32_e64 s36, v2
	s_cbranch_execz .LBB517_26
; %bb.28:                               ;   in Loop: Header=BB517_27 Depth=3
	v_lshl_add_u32 v20, s36, 2, v26
	ds_load_b32 v21, v26
	ds_load_b32 v20, v20
	s_waitcnt lgkmcnt(0)
	v_cmp_lt_f32_e32 vcc_lo, v21, v20
	v_cndmask_b32_e32 v20, v21, v20, vcc_lo
	ds_store_b32 v26, v20
	s_branch .LBB517_26
.LBB517_29:                             ;   in Loop: Header=BB517_7 Depth=2
	s_waitcnt lgkmcnt(0)
	s_barrier
	buffer_gl0_inv
	ds_load_b32 v27, v0
	v_mov_b32_e32 v24, 0
	s_and_saveexec_b32 s36, s1
	s_cbranch_execz .LBB517_33
; %bb.30:                               ;   in Loop: Header=BB517_7 Depth=2
	v_dual_mov_b32 v24, 0 :: v_dual_mov_b32 v21, v17
	v_dual_mov_b32 v20, v16 :: v_dual_mov_b32 v23, v3
	v_mov_b32_e32 v22, v2
	s_mov_b32 s37, 0
	s_set_inst_prefetch_distance 0x1
	.p2align	6
.LBB517_31:                             ;   Parent Loop BB517_3 Depth=1
                                        ;     Parent Loop BB517_7 Depth=2
                                        ; =>    This Inner Loop Header: Depth=3
	global_load_u16 v25, v[20:21], off
	v_add_co_u32 v22, vcc_lo, v22, s19
	v_add_co_ci_u32_e32 v23, vcc_lo, 0, v23, vcc_lo
	s_delay_alu instid0(VALU_DEP_1) | instskip(SKIP_4) | instid1(VALU_DEP_1)
	v_cmp_le_i64_e32 vcc_lo, s[10:11], v[22:23]
	s_or_b32 s37, vcc_lo, s37
	s_waitcnt vmcnt(0)
	v_cvt_f32_f16_e32 v25, v25
	s_waitcnt lgkmcnt(0)
	v_sub_f32_e32 v25, v25, v27
	s_delay_alu instid0(VALU_DEP_1) | instskip(NEXT) | instid1(VALU_DEP_1)
	v_mul_f32_e32 v28, 0x3fb8aa3b, v25
	v_fma_f32 v29, 0x3fb8aa3b, v25, -v28
	v_rndne_f32_e32 v30, v28
	s_delay_alu instid0(VALU_DEP_1) | instskip(SKIP_1) | instid1(VALU_DEP_2)
	v_dual_sub_f32 v28, v28, v30 :: v_dual_fmac_f32 v29, 0x32a5705f, v25
	v_cmp_ngt_f32_e64 s2, 0xc2ce8ed0, v25
	v_add_f32_e32 v28, v28, v29
	v_cvt_i32_f32_e32 v29, v30
	s_delay_alu instid0(VALU_DEP_2) | instskip(SKIP_2) | instid1(VALU_DEP_1)
	v_exp_f32_e32 v28, v28
	s_waitcnt_depctr 0xfff
	v_ldexp_f32 v28, v28, v29
	v_cndmask_b32_e64 v28, 0, v28, s2
	v_cmp_nlt_f32_e64 s2, 0x42b17218, v25
	s_delay_alu instid0(VALU_DEP_1) | instskip(SKIP_1) | instid1(VALU_DEP_1)
	v_cndmask_b32_e64 v25, 0x7f800000, v28, s2
	v_add_co_u32 v20, s2, v20, s30
	v_add_co_ci_u32_e64 v21, s2, s31, v21, s2
	s_delay_alu instid0(VALU_DEP_3)
	v_add_f32_e32 v24, v24, v25
	s_and_not1_b32 exec_lo, exec_lo, s37
	s_cbranch_execnz .LBB517_31
; %bb.32:                               ;   in Loop: Header=BB517_7 Depth=2
	s_set_inst_prefetch_distance 0x2
	s_or_b32 exec_lo, exec_lo, s37
.LBB517_33:                             ;   in Loop: Header=BB517_7 Depth=2
	s_delay_alu instid0(SALU_CYCLE_1)
	s_or_b32 exec_lo, exec_lo, s36
	s_mov_b32 s2, s19
	s_waitcnt lgkmcnt(0)
	s_barrier
	buffer_gl0_inv
	ds_store_b32 v26, v24
	s_branch .LBB517_35
	.p2align	6
.LBB517_34:                             ;   in Loop: Header=BB517_35 Depth=3
	s_or_b32 exec_lo, exec_lo, s37
	s_cmp_gt_u32 s2, 3
	s_mov_b32 s2, s36
	s_cbranch_scc0 .LBB517_37
.LBB517_35:                             ;   Parent Loop BB517_3 Depth=1
                                        ;     Parent Loop BB517_7 Depth=2
                                        ; =>    This Inner Loop Header: Depth=3
	s_lshr_b32 s36, s2, 1
	s_mov_b32 s37, exec_lo
	s_waitcnt lgkmcnt(0)
	s_barrier
	buffer_gl0_inv
	v_cmpx_gt_u32_e64 s36, v2
	s_cbranch_execz .LBB517_34
; %bb.36:                               ;   in Loop: Header=BB517_35 Depth=3
	v_lshl_add_u32 v20, s36, 2, v26
	ds_load_b32 v21, v26
	ds_load_b32 v20, v20
	s_waitcnt lgkmcnt(0)
	v_add_f32_e32 v20, v21, v20
	ds_store_b32 v26, v20
	s_branch .LBB517_34
.LBB517_37:                             ;   in Loop: Header=BB517_7 Depth=2
	s_waitcnt lgkmcnt(0)
	s_barrier
	buffer_gl0_inv
	s_and_saveexec_b32 s36, s1
	s_cbranch_execz .LBB517_5
; %bb.38:                               ;   in Loop: Header=BB517_7 Depth=2
	ds_load_b32 v28, v0
	v_dual_mov_b32 v21, v13 :: v_dual_mov_b32 v20, v12
	v_dual_mov_b32 v23, v15 :: v_dual_mov_b32 v22, v14
	;; [unrolled: 1-line block ×3, first 2 shown]
	s_mov_b32 s37, 0
.LBB517_39:                             ;   Parent Loop BB517_3 Depth=1
                                        ;     Parent Loop BB517_7 Depth=2
                                        ; =>    This Inner Loop Header: Depth=3
	global_load_u16 v29, v[22:23], off
	v_add_co_u32 v24, vcc_lo, v24, s19
	v_add_co_ci_u32_e32 v25, vcc_lo, 0, v25, vcc_lo
	v_add_co_u32 v22, vcc_lo, v22, s30
	v_add_co_ci_u32_e32 v23, vcc_lo, s31, v23, vcc_lo
	s_waitcnt vmcnt(0)
	v_cvt_f32_f16_e32 v29, v29
	s_delay_alu instid0(VALU_DEP_1) | instskip(NEXT) | instid1(VALU_DEP_1)
	v_sub_f32_e32 v29, v29, v27
	v_mul_f32_e32 v30, 0x3fb8aa3b, v29
	s_delay_alu instid0(VALU_DEP_1) | instskip(SKIP_1) | instid1(VALU_DEP_1)
	v_fma_f32 v31, 0x3fb8aa3b, v29, -v30
	v_rndne_f32_e32 v32, v30
	v_dual_sub_f32 v30, v30, v32 :: v_dual_fmac_f32 v31, 0x32a5705f, v29
	v_cmp_ngt_f32_e64 s2, 0xc2ce8ed0, v29
	s_delay_alu instid0(VALU_DEP_2) | instskip(SKIP_1) | instid1(VALU_DEP_2)
	v_add_f32_e32 v30, v30, v31
	v_cvt_i32_f32_e32 v31, v32
	v_exp_f32_e32 v30, v30
	s_waitcnt_depctr 0xfff
	v_ldexp_f32 v30, v30, v31
	s_delay_alu instid0(VALU_DEP_1) | instskip(SKIP_1) | instid1(VALU_DEP_1)
	v_cndmask_b32_e64 v30, 0, v30, s2
	v_cmp_nlt_f32_e64 s2, 0x42b17218, v29
	v_cndmask_b32_e64 v29, 0x7f800000, v30, s2
	v_cmp_le_i64_e64 s2, s[10:11], v[24:25]
	s_waitcnt lgkmcnt(0)
	s_delay_alu instid0(VALU_DEP_2) | instskip(SKIP_1) | instid1(VALU_DEP_3)
	v_div_scale_f32 v30, null, v28, v28, v29
	v_div_scale_f32 v32, vcc_lo, v29, v28, v29
	s_or_b32 s37, s2, s37
	s_delay_alu instid0(VALU_DEP_2) | instskip(SKIP_2) | instid1(VALU_DEP_1)
	v_rcp_f32_e32 v31, v30
	s_waitcnt_depctr 0xfff
	v_fma_f32 v33, -v30, v31, 1.0
	v_fmac_f32_e32 v31, v33, v31
	s_delay_alu instid0(VALU_DEP_1) | instskip(NEXT) | instid1(VALU_DEP_1)
	v_mul_f32_e32 v33, v32, v31
	v_fma_f32 v34, -v30, v33, v32
	s_delay_alu instid0(VALU_DEP_1) | instskip(NEXT) | instid1(VALU_DEP_1)
	v_fmac_f32_e32 v33, v34, v31
	v_fma_f32 v30, -v30, v33, v32
	s_delay_alu instid0(VALU_DEP_1) | instskip(NEXT) | instid1(VALU_DEP_1)
	v_div_fmas_f32 v30, v30, v31, v33
	v_div_fixup_f32 v29, v30, v28, v29
	global_store_b32 v[20:21], v29, off
	v_add_co_u32 v20, vcc_lo, v20, s34
	v_add_co_ci_u32_e32 v21, vcc_lo, s33, v21, vcc_lo
	s_and_not1_b32 exec_lo, exec_lo, s37
	s_cbranch_execnz .LBB517_39
	s_branch .LBB517_5
.LBB517_40:
	s_nop 0
	s_sendmsg sendmsg(MSG_DEALLOC_VGPRS)
	s_endpgm
	.section	.rodata,"a",@progbits
	.p2align	6, 0x0
	.amdhsa_kernel _ZN2at6native12_GLOBAL__N_126cunn_SpatialSoftMaxForwardIN3c104HalfEfflNS1_22SoftMaxForwardEpilogueEEEvPT1_PKT_T2_SB_SB_
		.amdhsa_group_segment_fixed_size 0
		.amdhsa_private_segment_fixed_size 0
		.amdhsa_kernarg_size 296
		.amdhsa_user_sgpr_count 14
		.amdhsa_user_sgpr_dispatch_ptr 0
		.amdhsa_user_sgpr_queue_ptr 0
		.amdhsa_user_sgpr_kernarg_segment_ptr 1
		.amdhsa_user_sgpr_dispatch_id 0
		.amdhsa_user_sgpr_private_segment_size 0
		.amdhsa_wavefront_size32 1
		.amdhsa_uses_dynamic_stack 0
		.amdhsa_enable_private_segment 0
		.amdhsa_system_sgpr_workgroup_id_x 1
		.amdhsa_system_sgpr_workgroup_id_y 1
		.amdhsa_system_sgpr_workgroup_id_z 0
		.amdhsa_system_sgpr_workgroup_info 0
		.amdhsa_system_vgpr_workitem_id 1
		.amdhsa_next_free_vgpr 35
		.amdhsa_next_free_sgpr 38
		.amdhsa_reserve_vcc 1
		.amdhsa_float_round_mode_32 0
		.amdhsa_float_round_mode_16_64 0
		.amdhsa_float_denorm_mode_32 3
		.amdhsa_float_denorm_mode_16_64 3
		.amdhsa_dx10_clamp 1
		.amdhsa_ieee_mode 1
		.amdhsa_fp16_overflow 0
		.amdhsa_workgroup_processor_mode 1
		.amdhsa_memory_ordered 1
		.amdhsa_forward_progress 0
		.amdhsa_shared_vgpr_count 0
		.amdhsa_exception_fp_ieee_invalid_op 0
		.amdhsa_exception_fp_denorm_src 0
		.amdhsa_exception_fp_ieee_div_zero 0
		.amdhsa_exception_fp_ieee_overflow 0
		.amdhsa_exception_fp_ieee_underflow 0
		.amdhsa_exception_fp_ieee_inexact 0
		.amdhsa_exception_int_div_zero 0
	.end_amdhsa_kernel
	.section	.text._ZN2at6native12_GLOBAL__N_126cunn_SpatialSoftMaxForwardIN3c104HalfEfflNS1_22SoftMaxForwardEpilogueEEEvPT1_PKT_T2_SB_SB_,"axG",@progbits,_ZN2at6native12_GLOBAL__N_126cunn_SpatialSoftMaxForwardIN3c104HalfEfflNS1_22SoftMaxForwardEpilogueEEEvPT1_PKT_T2_SB_SB_,comdat
.Lfunc_end517:
	.size	_ZN2at6native12_GLOBAL__N_126cunn_SpatialSoftMaxForwardIN3c104HalfEfflNS1_22SoftMaxForwardEpilogueEEEvPT1_PKT_T2_SB_SB_, .Lfunc_end517-_ZN2at6native12_GLOBAL__N_126cunn_SpatialSoftMaxForwardIN3c104HalfEfflNS1_22SoftMaxForwardEpilogueEEEvPT1_PKT_T2_SB_SB_
                                        ; -- End function
	.section	.AMDGPU.csdata,"",@progbits
; Kernel info:
; codeLenInByte = 2520
; NumSgprs: 40
; NumVgprs: 35
; ScratchSize: 0
; MemoryBound: 0
; FloatMode: 240
; IeeeMode: 1
; LDSByteSize: 0 bytes/workgroup (compile time only)
; SGPRBlocks: 4
; VGPRBlocks: 4
; NumSGPRsForWavesPerEU: 40
; NumVGPRsForWavesPerEU: 35
; Occupancy: 16
; WaveLimiterHint : 0
; COMPUTE_PGM_RSRC2:SCRATCH_EN: 0
; COMPUTE_PGM_RSRC2:USER_SGPR: 14
; COMPUTE_PGM_RSRC2:TRAP_HANDLER: 0
; COMPUTE_PGM_RSRC2:TGID_X_EN: 1
; COMPUTE_PGM_RSRC2:TGID_Y_EN: 1
; COMPUTE_PGM_RSRC2:TGID_Z_EN: 0
; COMPUTE_PGM_RSRC2:TIDIG_COMP_CNT: 1
	.section	.text._ZN2at6native12_GLOBAL__N_126cunn_SpatialSoftMaxForwardIN3c108BFloat16EfS4_iNS1_22SoftMaxForwardEpilogueEEEvPT1_PKT_T2_SB_SB_,"axG",@progbits,_ZN2at6native12_GLOBAL__N_126cunn_SpatialSoftMaxForwardIN3c108BFloat16EfS4_iNS1_22SoftMaxForwardEpilogueEEEvPT1_PKT_T2_SB_SB_,comdat
	.globl	_ZN2at6native12_GLOBAL__N_126cunn_SpatialSoftMaxForwardIN3c108BFloat16EfS4_iNS1_22SoftMaxForwardEpilogueEEEvPT1_PKT_T2_SB_SB_ ; -- Begin function _ZN2at6native12_GLOBAL__N_126cunn_SpatialSoftMaxForwardIN3c108BFloat16EfS4_iNS1_22SoftMaxForwardEpilogueEEEvPT1_PKT_T2_SB_SB_
	.p2align	8
	.type	_ZN2at6native12_GLOBAL__N_126cunn_SpatialSoftMaxForwardIN3c108BFloat16EfS4_iNS1_22SoftMaxForwardEpilogueEEEvPT1_PKT_T2_SB_SB_,@function
_ZN2at6native12_GLOBAL__N_126cunn_SpatialSoftMaxForwardIN3c108BFloat16EfS4_iNS1_22SoftMaxForwardEpilogueEEEvPT1_PKT_T2_SB_SB_: ; @_ZN2at6native12_GLOBAL__N_126cunn_SpatialSoftMaxForwardIN3c108BFloat16EfS4_iNS1_22SoftMaxForwardEpilogueEEEvPT1_PKT_T2_SB_SB_
; %bb.0:
	s_load_b128 s[4:7], s[0:1], 0x10
	s_waitcnt lgkmcnt(0)
	s_cmp_ge_i32 s14, s4
	s_cbranch_scc1 .LBB518_40
; %bb.1:
	s_load_b32 s2, s[0:1], 0x2c
	v_and_b32_e32 v1, 0x3ff, v0
	s_clause 0x1
	s_load_b64 s[12:13], s[0:1], 0x20
	s_load_b128 s[8:11], s[0:1], 0x0
	s_add_u32 s16, s0, 32
	v_bfe_u32 v0, v0, 10, 10
	v_mad_u64_u32 v[2:3], null, s14, s5, v[1:2]
	s_addc_u32 s17, s1, 0
	v_cmp_gt_i32_e64 s0, s5, v1
	s_delay_alu instid0(VALU_DEP_2)
	v_mul_lo_u32 v2, s6, v2
	s_waitcnt lgkmcnt(0)
	s_lshr_b32 s2, s2, 16
	s_mul_i32 s7, s12, s6
	s_mul_i32 s15, s15, s2
	;; [unrolled: 1-line block ×3, first 2 shown]
	v_add_nc_u32_e32 v4, s15, v0
	s_delay_alu instid0(VALU_DEP_2) | instskip(SKIP_1) | instid1(VALU_DEP_2)
	v_add3_u32 v5, v0, v2, s15
	s_mul_i32 s7, s7, s5
	v_cmp_gt_i32_e64 s1, s6, v4
	s_branch .LBB518_3
.LBB518_2:                              ;   in Loop: Header=BB518_3 Depth=1
	s_or_b32 exec_lo, exec_lo, s13
	v_add_nc_u32_e32 v5, s7, v5
	s_add_i32 s14, s12, s14
	s_delay_alu instid0(SALU_CYCLE_1)
	s_cmp_ge_i32 s14, s4
	s_cbranch_scc1 .LBB518_40
.LBB518_3:                              ; =>This Loop Header: Depth=1
                                        ;     Child Loop BB518_7 Depth 2
                                        ;       Child Loop BB518_12 Depth 3
                                        ;       Child Loop BB518_15 Depth 3
	;; [unrolled: 1-line block ×8, first 2 shown]
	s_delay_alu instid0(VALU_DEP_1)
	s_and_saveexec_b32 s13, s1
	s_cbranch_execz .LBB518_2
; %bb.4:                                ;   in Loop: Header=BB518_3 Depth=1
	s_load_b32 s2, s[16:17], 0xc
	v_mov_b32_e32 v7, v5
	v_mov_b32_e32 v9, v4
	s_mov_b32 s20, 0
	s_waitcnt lgkmcnt(0)
	s_and_b32 s15, s2, 0xffff
	s_delay_alu instid0(SALU_CYCLE_1) | instskip(SKIP_3) | instid1(VALU_DEP_1)
	v_mul_u32_u24_e32 v2, s15, v0
	s_cmp_lt_u32 s15, 2
	s_mul_i32 s19, s6, s15
	s_cselect_b32 s18, -1, 0
	v_lshl_add_u32 v6, v2, 2, 0
	s_delay_alu instid0(VALU_DEP_1)
	v_lshl_add_u32 v8, v1, 2, v6
	s_branch .LBB518_7
.LBB518_5:                              ;   in Loop: Header=BB518_7 Depth=2
	s_or_b32 exec_lo, exec_lo, s21
.LBB518_6:                              ;   in Loop: Header=BB518_7 Depth=2
	v_add_nc_u32_e32 v9, s3, v9
	v_add_nc_u32_e32 v7, s3, v7
	s_delay_alu instid0(VALU_DEP_2) | instskip(SKIP_1) | instid1(SALU_CYCLE_1)
	v_cmp_le_i32_e32 vcc_lo, s6, v9
	s_or_b32 s20, vcc_lo, s20
	s_and_not1_b32 exec_lo, exec_lo, s20
	s_cbranch_execz .LBB518_2
.LBB518_7:                              ;   Parent Loop BB518_3 Depth=1
                                        ; =>  This Loop Header: Depth=2
                                        ;       Child Loop BB518_12 Depth 3
                                        ;       Child Loop BB518_15 Depth 3
	;; [unrolled: 1-line block ×8, first 2 shown]
	s_and_b32 vcc_lo, exec_lo, s18
	s_mov_b32 s2, -1
	s_cbranch_vccz .LBB518_20
; %bb.8:                                ;   in Loop: Header=BB518_7 Depth=2
	v_mov_b32_e32 v10, 0xff7fffff
	s_and_saveexec_b32 s21, s0
	s_cbranch_execnz .LBB518_11
; %bb.9:                                ;   in Loop: Header=BB518_7 Depth=2
	s_or_b32 exec_lo, exec_lo, s21
	v_mov_b32_e32 v11, 0
	s_and_saveexec_b32 s2, s0
	s_cbranch_execnz .LBB518_14
.LBB518_10:                             ;   in Loop: Header=BB518_7 Depth=2
	s_or_b32 exec_lo, exec_lo, s2
	s_and_saveexec_b32 s21, s0
	s_cbranch_execnz .LBB518_17
	s_branch .LBB518_19
.LBB518_11:                             ;   in Loop: Header=BB518_7 Depth=2
	v_dual_mov_b32 v10, 0xff7fffff :: v_dual_mov_b32 v11, v1
	v_mov_b32_e32 v2, v7
	s_mov_b32 s22, 0
	.p2align	6
.LBB518_12:                             ;   Parent Loop BB518_3 Depth=1
                                        ;     Parent Loop BB518_7 Depth=2
                                        ; =>    This Inner Loop Header: Depth=3
	s_delay_alu instid0(VALU_DEP_1) | instskip(NEXT) | instid1(VALU_DEP_3)
	v_ashrrev_i32_e32 v3, 31, v2
	v_add_nc_u32_e32 v11, s15, v11
	s_delay_alu instid0(VALU_DEP_2) | instskip(SKIP_1) | instid1(VALU_DEP_2)
	v_lshlrev_b64 v[12:13], 1, v[2:3]
	v_add_nc_u32_e32 v2, s19, v2
	v_add_co_u32 v12, vcc_lo, s10, v12
	s_delay_alu instid0(VALU_DEP_3)
	v_add_co_ci_u32_e32 v13, vcc_lo, s11, v13, vcc_lo
	v_cmp_le_i32_e32 vcc_lo, s5, v11
	global_load_u16 v3, v[12:13], off
	s_or_b32 s22, vcc_lo, s22
	s_waitcnt vmcnt(0)
	v_lshlrev_b32_e32 v3, 16, v3
	s_delay_alu instid0(VALU_DEP_1) | instskip(NEXT) | instid1(VALU_DEP_1)
	v_cmp_lt_f32_e64 s2, v10, v3
	v_cndmask_b32_e64 v10, v10, v3, s2
	s_and_not1_b32 exec_lo, exec_lo, s22
	s_cbranch_execnz .LBB518_12
; %bb.13:                               ;   in Loop: Header=BB518_7 Depth=2
	s_or_b32 exec_lo, exec_lo, s22
	s_delay_alu instid0(SALU_CYCLE_1)
	s_or_b32 exec_lo, exec_lo, s21
	v_mov_b32_e32 v11, 0
	s_and_saveexec_b32 s2, s0
	s_cbranch_execz .LBB518_10
.LBB518_14:                             ;   in Loop: Header=BB518_7 Depth=2
	v_dual_mov_b32 v11, 0 :: v_dual_mov_b32 v2, v7
	v_mov_b32_e32 v12, v1
	s_mov_b32 s21, 0
	s_set_inst_prefetch_distance 0x1
	.p2align	6
.LBB518_15:                             ;   Parent Loop BB518_3 Depth=1
                                        ;     Parent Loop BB518_7 Depth=2
                                        ; =>    This Inner Loop Header: Depth=3
	s_delay_alu instid0(VALU_DEP_2) | instskip(NEXT) | instid1(VALU_DEP_2)
	v_ashrrev_i32_e32 v3, 31, v2
	v_add_nc_u32_e32 v12, s15, v12
	s_delay_alu instid0(VALU_DEP_2) | instskip(SKIP_1) | instid1(VALU_DEP_2)
	v_lshlrev_b64 v[13:14], 1, v[2:3]
	v_add_nc_u32_e32 v2, s19, v2
	v_add_co_u32 v13, vcc_lo, s10, v13
	s_delay_alu instid0(VALU_DEP_3) | instskip(SKIP_3) | instid1(VALU_DEP_1)
	v_add_co_ci_u32_e32 v14, vcc_lo, s11, v14, vcc_lo
	global_load_u16 v3, v[13:14], off
	s_waitcnt vmcnt(0)
	v_lshlrev_b32_e32 v3, 16, v3
	v_sub_f32_e32 v3, v3, v10
	s_delay_alu instid0(VALU_DEP_1) | instskip(SKIP_1) | instid1(VALU_DEP_2)
	v_mul_f32_e32 v13, 0x3fb8aa3b, v3
	v_cmp_ngt_f32_e32 vcc_lo, 0xc2ce8ed0, v3
	v_fma_f32 v14, 0x3fb8aa3b, v3, -v13
	v_rndne_f32_e32 v15, v13
	s_delay_alu instid0(VALU_DEP_2) | instskip(NEXT) | instid1(VALU_DEP_2)
	v_fmac_f32_e32 v14, 0x32a5705f, v3
	v_sub_f32_e32 v13, v13, v15
	s_delay_alu instid0(VALU_DEP_1) | instskip(SKIP_1) | instid1(VALU_DEP_2)
	v_add_f32_e32 v13, v13, v14
	v_cvt_i32_f32_e32 v14, v15
	v_exp_f32_e32 v13, v13
	s_waitcnt_depctr 0xfff
	v_ldexp_f32 v13, v13, v14
	s_delay_alu instid0(VALU_DEP_1) | instskip(SKIP_1) | instid1(VALU_DEP_2)
	v_cndmask_b32_e32 v13, 0, v13, vcc_lo
	v_cmp_nlt_f32_e32 vcc_lo, 0x42b17218, v3
	v_cndmask_b32_e32 v3, 0x7f800000, v13, vcc_lo
	v_cmp_le_i32_e32 vcc_lo, s5, v12
	s_delay_alu instid0(VALU_DEP_2) | instskip(SKIP_1) | instid1(SALU_CYCLE_1)
	v_add_f32_e32 v11, v11, v3
	s_or_b32 s21, vcc_lo, s21
	s_and_not1_b32 exec_lo, exec_lo, s21
	s_cbranch_execnz .LBB518_15
; %bb.16:                               ;   in Loop: Header=BB518_7 Depth=2
	s_set_inst_prefetch_distance 0x2
	s_or_b32 exec_lo, exec_lo, s21
	s_delay_alu instid0(SALU_CYCLE_1)
	s_or_b32 exec_lo, exec_lo, s2
	s_and_saveexec_b32 s21, s0
	s_cbranch_execz .LBB518_19
.LBB518_17:                             ;   in Loop: Header=BB518_7 Depth=2
	v_mov_b32_e32 v2, v7
	v_mov_b32_e32 v12, v1
	s_mov_b32 s22, 0
.LBB518_18:                             ;   Parent Loop BB518_3 Depth=1
                                        ;     Parent Loop BB518_7 Depth=2
                                        ; =>    This Inner Loop Header: Depth=3
	s_delay_alu instid0(VALU_DEP_2) | instskip(NEXT) | instid1(VALU_DEP_2)
	v_ashrrev_i32_e32 v3, 31, v2
	v_add_nc_u32_e32 v12, s15, v12
	s_delay_alu instid0(VALU_DEP_2) | instskip(SKIP_1) | instid1(VALU_DEP_2)
	v_lshlrev_b64 v[13:14], 1, v[2:3]
	v_add_nc_u32_e32 v2, s19, v2
	v_add_co_u32 v15, vcc_lo, s10, v13
	s_delay_alu instid0(VALU_DEP_3) | instskip(SKIP_3) | instid1(VALU_DEP_1)
	v_add_co_ci_u32_e32 v16, vcc_lo, s11, v14, vcc_lo
	global_load_u16 v3, v[15:16], off
	s_waitcnt vmcnt(0)
	v_lshlrev_b32_e32 v3, 16, v3
	v_sub_f32_e32 v3, v3, v10
	s_delay_alu instid0(VALU_DEP_1) | instskip(SKIP_1) | instid1(VALU_DEP_2)
	v_mul_f32_e32 v15, 0x3fb8aa3b, v3
	v_cmp_ngt_f32_e32 vcc_lo, 0xc2ce8ed0, v3
	v_fma_f32 v16, 0x3fb8aa3b, v3, -v15
	v_rndne_f32_e32 v17, v15
	s_delay_alu instid0(VALU_DEP_1) | instskip(NEXT) | instid1(VALU_DEP_1)
	v_dual_fmac_f32 v16, 0x32a5705f, v3 :: v_dual_sub_f32 v15, v15, v17
	v_add_f32_e32 v15, v15, v16
	v_cvt_i32_f32_e32 v16, v17
	s_delay_alu instid0(VALU_DEP_2) | instskip(SKIP_2) | instid1(VALU_DEP_1)
	v_exp_f32_e32 v15, v15
	s_waitcnt_depctr 0xfff
	v_ldexp_f32 v15, v15, v16
	v_cndmask_b32_e32 v15, 0, v15, vcc_lo
	v_cmp_nlt_f32_e32 vcc_lo, 0x42b17218, v3
	s_delay_alu instid0(VALU_DEP_2) | instskip(NEXT) | instid1(VALU_DEP_1)
	v_cndmask_b32_e32 v3, 0x7f800000, v15, vcc_lo
	v_div_scale_f32 v15, null, v11, v11, v3
	v_div_scale_f32 v18, vcc_lo, v3, v11, v3
	s_delay_alu instid0(VALU_DEP_2) | instskip(SKIP_2) | instid1(VALU_DEP_1)
	v_rcp_f32_e32 v16, v15
	s_waitcnt_depctr 0xfff
	v_fma_f32 v17, -v15, v16, 1.0
	v_fmac_f32_e32 v16, v17, v16
	s_delay_alu instid0(VALU_DEP_1) | instskip(NEXT) | instid1(VALU_DEP_1)
	v_mul_f32_e32 v17, v18, v16
	v_fma_f32 v19, -v15, v17, v18
	s_delay_alu instid0(VALU_DEP_1) | instskip(NEXT) | instid1(VALU_DEP_1)
	v_fmac_f32_e32 v17, v19, v16
	v_fma_f32 v15, -v15, v17, v18
	s_delay_alu instid0(VALU_DEP_1) | instskip(SKIP_1) | instid1(VALU_DEP_2)
	v_div_fmas_f32 v15, v15, v16, v17
	v_cmp_le_i32_e32 vcc_lo, s5, v12
	v_div_fixup_f32 v3, v15, v11, v3
	s_or_b32 s22, vcc_lo, s22
	s_delay_alu instid0(VALU_DEP_1) | instskip(SKIP_1) | instid1(VALU_DEP_2)
	v_bfe_u32 v15, v3, 16, 1
	v_cmp_o_f32_e64 s2, v3, v3
	v_add3_u32 v15, v3, v15, 0x7fff
	s_delay_alu instid0(VALU_DEP_1) | instskip(NEXT) | instid1(VALU_DEP_1)
	v_lshrrev_b32_e32 v15, 16, v15
	v_cndmask_b32_e64 v3, 0x7fc0, v15, s2
	v_add_co_u32 v13, s2, s8, v13
	s_delay_alu instid0(VALU_DEP_1)
	v_add_co_ci_u32_e64 v14, s2, s9, v14, s2
	global_store_b16 v[13:14], v3, off
	s_and_not1_b32 exec_lo, exec_lo, s22
	s_cbranch_execnz .LBB518_18
.LBB518_19:                             ;   in Loop: Header=BB518_7 Depth=2
	s_or_b32 exec_lo, exec_lo, s21
	s_mov_b32 s2, 0
.LBB518_20:                             ;   in Loop: Header=BB518_7 Depth=2
	s_delay_alu instid0(SALU_CYCLE_1)
	s_and_b32 vcc_lo, exec_lo, s2
	s_cbranch_vccz .LBB518_6
; %bb.21:                               ;   in Loop: Header=BB518_7 Depth=2
	v_mov_b32_e32 v10, 0xff7fffff
	s_and_saveexec_b32 s21, s0
	s_cbranch_execz .LBB518_25
; %bb.22:                               ;   in Loop: Header=BB518_7 Depth=2
	v_dual_mov_b32 v10, 0xff7fffff :: v_dual_mov_b32 v11, v1
	v_mov_b32_e32 v2, v7
	s_mov_b32 s22, 0
	.p2align	6
.LBB518_23:                             ;   Parent Loop BB518_3 Depth=1
                                        ;     Parent Loop BB518_7 Depth=2
                                        ; =>    This Inner Loop Header: Depth=3
	s_delay_alu instid0(VALU_DEP_1) | instskip(NEXT) | instid1(VALU_DEP_3)
	v_ashrrev_i32_e32 v3, 31, v2
	v_add_nc_u32_e32 v11, s15, v11
	s_delay_alu instid0(VALU_DEP_2) | instskip(SKIP_1) | instid1(VALU_DEP_2)
	v_lshlrev_b64 v[12:13], 1, v[2:3]
	v_add_nc_u32_e32 v2, s19, v2
	v_add_co_u32 v12, vcc_lo, s10, v12
	s_delay_alu instid0(VALU_DEP_3)
	v_add_co_ci_u32_e32 v13, vcc_lo, s11, v13, vcc_lo
	v_cmp_le_i32_e32 vcc_lo, s5, v11
	global_load_u16 v3, v[12:13], off
	s_or_b32 s22, vcc_lo, s22
	s_waitcnt vmcnt(0)
	v_lshlrev_b32_e32 v3, 16, v3
	s_delay_alu instid0(VALU_DEP_1) | instskip(NEXT) | instid1(VALU_DEP_1)
	v_cmp_lt_f32_e64 s2, v10, v3
	v_cndmask_b32_e64 v10, v10, v3, s2
	s_and_not1_b32 exec_lo, exec_lo, s22
	s_cbranch_execnz .LBB518_23
; %bb.24:                               ;   in Loop: Header=BB518_7 Depth=2
	s_or_b32 exec_lo, exec_lo, s22
.LBB518_25:                             ;   in Loop: Header=BB518_7 Depth=2
	s_delay_alu instid0(SALU_CYCLE_1)
	s_or_b32 exec_lo, exec_lo, s21
	s_mov_b32 s2, s15
	s_waitcnt_vscnt null, 0x0
	s_barrier
	buffer_gl0_inv
	ds_store_b32 v8, v10
	s_branch .LBB518_27
	.p2align	6
.LBB518_26:                             ;   in Loop: Header=BB518_27 Depth=3
	s_or_b32 exec_lo, exec_lo, s22
	s_cmp_gt_u32 s2, 3
	s_mov_b32 s2, s21
	s_cbranch_scc0 .LBB518_29
.LBB518_27:                             ;   Parent Loop BB518_3 Depth=1
                                        ;     Parent Loop BB518_7 Depth=2
                                        ; =>    This Inner Loop Header: Depth=3
	s_lshr_b32 s21, s2, 1
	s_mov_b32 s22, exec_lo
	s_waitcnt lgkmcnt(0)
	s_barrier
	buffer_gl0_inv
	v_cmpx_gt_u32_e64 s21, v1
	s_cbranch_execz .LBB518_26
; %bb.28:                               ;   in Loop: Header=BB518_27 Depth=3
	v_lshl_add_u32 v2, s21, 2, v8
	ds_load_b32 v3, v8
	ds_load_b32 v2, v2
	s_waitcnt lgkmcnt(0)
	v_cmp_lt_f32_e32 vcc_lo, v3, v2
	v_cndmask_b32_e32 v2, v3, v2, vcc_lo
	ds_store_b32 v8, v2
	s_branch .LBB518_26
.LBB518_29:                             ;   in Loop: Header=BB518_7 Depth=2
	s_waitcnt lgkmcnt(0)
	s_barrier
	buffer_gl0_inv
	ds_load_b32 v10, v6
	v_mov_b32_e32 v11, 0
	s_and_saveexec_b32 s2, s0
	s_cbranch_execz .LBB518_33
; %bb.30:                               ;   in Loop: Header=BB518_7 Depth=2
	v_dual_mov_b32 v11, 0 :: v_dual_mov_b32 v2, v7
	v_mov_b32_e32 v12, v1
	s_mov_b32 s21, 0
	s_set_inst_prefetch_distance 0x1
	.p2align	6
.LBB518_31:                             ;   Parent Loop BB518_3 Depth=1
                                        ;     Parent Loop BB518_7 Depth=2
                                        ; =>    This Inner Loop Header: Depth=3
	s_delay_alu instid0(VALU_DEP_2) | instskip(NEXT) | instid1(VALU_DEP_2)
	v_ashrrev_i32_e32 v3, 31, v2
	v_add_nc_u32_e32 v12, s15, v12
	s_delay_alu instid0(VALU_DEP_2) | instskip(SKIP_1) | instid1(VALU_DEP_2)
	v_lshlrev_b64 v[13:14], 1, v[2:3]
	v_add_nc_u32_e32 v2, s19, v2
	v_add_co_u32 v13, vcc_lo, s10, v13
	s_delay_alu instid0(VALU_DEP_3) | instskip(SKIP_4) | instid1(VALU_DEP_1)
	v_add_co_ci_u32_e32 v14, vcc_lo, s11, v14, vcc_lo
	global_load_u16 v3, v[13:14], off
	s_waitcnt vmcnt(0)
	v_lshlrev_b32_e32 v3, 16, v3
	s_waitcnt lgkmcnt(0)
	v_sub_f32_e32 v3, v3, v10
	s_delay_alu instid0(VALU_DEP_1) | instskip(SKIP_1) | instid1(VALU_DEP_2)
	v_mul_f32_e32 v13, 0x3fb8aa3b, v3
	v_cmp_ngt_f32_e32 vcc_lo, 0xc2ce8ed0, v3
	v_fma_f32 v14, 0x3fb8aa3b, v3, -v13
	v_rndne_f32_e32 v15, v13
	s_delay_alu instid0(VALU_DEP_2) | instskip(NEXT) | instid1(VALU_DEP_2)
	v_fmac_f32_e32 v14, 0x32a5705f, v3
	v_sub_f32_e32 v13, v13, v15
	s_delay_alu instid0(VALU_DEP_1) | instskip(SKIP_1) | instid1(VALU_DEP_2)
	v_add_f32_e32 v13, v13, v14
	v_cvt_i32_f32_e32 v14, v15
	v_exp_f32_e32 v13, v13
	s_waitcnt_depctr 0xfff
	v_ldexp_f32 v13, v13, v14
	s_delay_alu instid0(VALU_DEP_1) | instskip(SKIP_1) | instid1(VALU_DEP_2)
	v_cndmask_b32_e32 v13, 0, v13, vcc_lo
	v_cmp_nlt_f32_e32 vcc_lo, 0x42b17218, v3
	v_cndmask_b32_e32 v3, 0x7f800000, v13, vcc_lo
	v_cmp_le_i32_e32 vcc_lo, s5, v12
	s_delay_alu instid0(VALU_DEP_2) | instskip(SKIP_1) | instid1(SALU_CYCLE_1)
	v_add_f32_e32 v11, v11, v3
	s_or_b32 s21, vcc_lo, s21
	s_and_not1_b32 exec_lo, exec_lo, s21
	s_cbranch_execnz .LBB518_31
; %bb.32:                               ;   in Loop: Header=BB518_7 Depth=2
	s_set_inst_prefetch_distance 0x2
	s_or_b32 exec_lo, exec_lo, s21
.LBB518_33:                             ;   in Loop: Header=BB518_7 Depth=2
	s_delay_alu instid0(SALU_CYCLE_1)
	s_or_b32 exec_lo, exec_lo, s2
	s_mov_b32 s2, s15
	s_waitcnt lgkmcnt(0)
	s_barrier
	buffer_gl0_inv
	ds_store_b32 v8, v11
	s_branch .LBB518_35
	.p2align	6
.LBB518_34:                             ;   in Loop: Header=BB518_35 Depth=3
	s_or_b32 exec_lo, exec_lo, s22
	s_cmp_gt_u32 s2, 3
	s_mov_b32 s2, s21
	s_cbranch_scc0 .LBB518_37
.LBB518_35:                             ;   Parent Loop BB518_3 Depth=1
                                        ;     Parent Loop BB518_7 Depth=2
                                        ; =>    This Inner Loop Header: Depth=3
	s_lshr_b32 s21, s2, 1
	s_mov_b32 s22, exec_lo
	s_waitcnt lgkmcnt(0)
	s_barrier
	buffer_gl0_inv
	v_cmpx_gt_u32_e64 s21, v1
	s_cbranch_execz .LBB518_34
; %bb.36:                               ;   in Loop: Header=BB518_35 Depth=3
	v_lshl_add_u32 v2, s21, 2, v8
	ds_load_b32 v3, v8
	ds_load_b32 v2, v2
	s_waitcnt lgkmcnt(0)
	v_add_f32_e32 v2, v3, v2
	ds_store_b32 v8, v2
	s_branch .LBB518_34
.LBB518_37:                             ;   in Loop: Header=BB518_7 Depth=2
	s_waitcnt lgkmcnt(0)
	s_barrier
	buffer_gl0_inv
	s_and_saveexec_b32 s21, s0
	s_cbranch_execz .LBB518_5
; %bb.38:                               ;   in Loop: Header=BB518_7 Depth=2
	ds_load_b32 v11, v6
	v_mov_b32_e32 v2, v7
	v_mov_b32_e32 v12, v1
	s_mov_b32 s22, 0
.LBB518_39:                             ;   Parent Loop BB518_3 Depth=1
                                        ;     Parent Loop BB518_7 Depth=2
                                        ; =>    This Inner Loop Header: Depth=3
	s_delay_alu instid0(VALU_DEP_2) | instskip(NEXT) | instid1(VALU_DEP_2)
	v_ashrrev_i32_e32 v3, 31, v2
	v_add_nc_u32_e32 v12, s15, v12
	s_delay_alu instid0(VALU_DEP_2) | instskip(SKIP_1) | instid1(VALU_DEP_2)
	v_lshlrev_b64 v[13:14], 1, v[2:3]
	v_add_nc_u32_e32 v2, s19, v2
	v_add_co_u32 v15, vcc_lo, s10, v13
	s_delay_alu instid0(VALU_DEP_3) | instskip(SKIP_3) | instid1(VALU_DEP_1)
	v_add_co_ci_u32_e32 v16, vcc_lo, s11, v14, vcc_lo
	global_load_u16 v3, v[15:16], off
	s_waitcnt vmcnt(0)
	v_lshlrev_b32_e32 v3, 16, v3
	v_sub_f32_e32 v3, v3, v10
	s_delay_alu instid0(VALU_DEP_1) | instskip(SKIP_1) | instid1(VALU_DEP_2)
	v_mul_f32_e32 v15, 0x3fb8aa3b, v3
	v_cmp_ngt_f32_e32 vcc_lo, 0xc2ce8ed0, v3
	v_fma_f32 v16, 0x3fb8aa3b, v3, -v15
	v_rndne_f32_e32 v17, v15
	s_delay_alu instid0(VALU_DEP_1) | instskip(NEXT) | instid1(VALU_DEP_1)
	v_dual_fmac_f32 v16, 0x32a5705f, v3 :: v_dual_sub_f32 v15, v15, v17
	v_add_f32_e32 v15, v15, v16
	v_cvt_i32_f32_e32 v16, v17
	s_delay_alu instid0(VALU_DEP_2) | instskip(SKIP_2) | instid1(VALU_DEP_1)
	v_exp_f32_e32 v15, v15
	s_waitcnt_depctr 0xfff
	v_ldexp_f32 v15, v15, v16
	v_cndmask_b32_e32 v15, 0, v15, vcc_lo
	v_cmp_nlt_f32_e32 vcc_lo, 0x42b17218, v3
	s_delay_alu instid0(VALU_DEP_2) | instskip(SKIP_1) | instid1(VALU_DEP_1)
	v_cndmask_b32_e32 v3, 0x7f800000, v15, vcc_lo
	s_waitcnt lgkmcnt(0)
	v_div_scale_f32 v15, null, v11, v11, v3
	v_div_scale_f32 v18, vcc_lo, v3, v11, v3
	s_delay_alu instid0(VALU_DEP_2) | instskip(SKIP_2) | instid1(VALU_DEP_1)
	v_rcp_f32_e32 v16, v15
	s_waitcnt_depctr 0xfff
	v_fma_f32 v17, -v15, v16, 1.0
	v_fmac_f32_e32 v16, v17, v16
	s_delay_alu instid0(VALU_DEP_1) | instskip(NEXT) | instid1(VALU_DEP_1)
	v_mul_f32_e32 v17, v18, v16
	v_fma_f32 v19, -v15, v17, v18
	s_delay_alu instid0(VALU_DEP_1) | instskip(NEXT) | instid1(VALU_DEP_1)
	v_fmac_f32_e32 v17, v19, v16
	v_fma_f32 v15, -v15, v17, v18
	s_delay_alu instid0(VALU_DEP_1) | instskip(SKIP_1) | instid1(VALU_DEP_2)
	v_div_fmas_f32 v15, v15, v16, v17
	v_cmp_le_i32_e32 vcc_lo, s5, v12
	v_div_fixup_f32 v3, v15, v11, v3
	s_or_b32 s22, vcc_lo, s22
	s_delay_alu instid0(VALU_DEP_1) | instskip(SKIP_1) | instid1(VALU_DEP_2)
	v_bfe_u32 v15, v3, 16, 1
	v_cmp_o_f32_e64 s2, v3, v3
	v_add3_u32 v15, v3, v15, 0x7fff
	s_delay_alu instid0(VALU_DEP_1) | instskip(NEXT) | instid1(VALU_DEP_1)
	v_lshrrev_b32_e32 v15, 16, v15
	v_cndmask_b32_e64 v3, 0x7fc0, v15, s2
	v_add_co_u32 v13, s2, s8, v13
	s_delay_alu instid0(VALU_DEP_1)
	v_add_co_ci_u32_e64 v14, s2, s9, v14, s2
	global_store_b16 v[13:14], v3, off
	s_and_not1_b32 exec_lo, exec_lo, s22
	s_cbranch_execnz .LBB518_39
	s_branch .LBB518_5
.LBB518_40:
	s_nop 0
	s_sendmsg sendmsg(MSG_DEALLOC_VGPRS)
	s_endpgm
	.section	.rodata,"a",@progbits
	.p2align	6, 0x0
	.amdhsa_kernel _ZN2at6native12_GLOBAL__N_126cunn_SpatialSoftMaxForwardIN3c108BFloat16EfS4_iNS1_22SoftMaxForwardEpilogueEEEvPT1_PKT_T2_SB_SB_
		.amdhsa_group_segment_fixed_size 0
		.amdhsa_private_segment_fixed_size 0
		.amdhsa_kernarg_size 288
		.amdhsa_user_sgpr_count 14
		.amdhsa_user_sgpr_dispatch_ptr 0
		.amdhsa_user_sgpr_queue_ptr 0
		.amdhsa_user_sgpr_kernarg_segment_ptr 1
		.amdhsa_user_sgpr_dispatch_id 0
		.amdhsa_user_sgpr_private_segment_size 0
		.amdhsa_wavefront_size32 1
		.amdhsa_uses_dynamic_stack 0
		.amdhsa_enable_private_segment 0
		.amdhsa_system_sgpr_workgroup_id_x 1
		.amdhsa_system_sgpr_workgroup_id_y 1
		.amdhsa_system_sgpr_workgroup_id_z 0
		.amdhsa_system_sgpr_workgroup_info 0
		.amdhsa_system_vgpr_workitem_id 1
		.amdhsa_next_free_vgpr 20
		.amdhsa_next_free_sgpr 23
		.amdhsa_reserve_vcc 1
		.amdhsa_float_round_mode_32 0
		.amdhsa_float_round_mode_16_64 0
		.amdhsa_float_denorm_mode_32 3
		.amdhsa_float_denorm_mode_16_64 3
		.amdhsa_dx10_clamp 1
		.amdhsa_ieee_mode 1
		.amdhsa_fp16_overflow 0
		.amdhsa_workgroup_processor_mode 1
		.amdhsa_memory_ordered 1
		.amdhsa_forward_progress 0
		.amdhsa_shared_vgpr_count 0
		.amdhsa_exception_fp_ieee_invalid_op 0
		.amdhsa_exception_fp_denorm_src 0
		.amdhsa_exception_fp_ieee_div_zero 0
		.amdhsa_exception_fp_ieee_overflow 0
		.amdhsa_exception_fp_ieee_underflow 0
		.amdhsa_exception_fp_ieee_inexact 0
		.amdhsa_exception_int_div_zero 0
	.end_amdhsa_kernel
	.section	.text._ZN2at6native12_GLOBAL__N_126cunn_SpatialSoftMaxForwardIN3c108BFloat16EfS4_iNS1_22SoftMaxForwardEpilogueEEEvPT1_PKT_T2_SB_SB_,"axG",@progbits,_ZN2at6native12_GLOBAL__N_126cunn_SpatialSoftMaxForwardIN3c108BFloat16EfS4_iNS1_22SoftMaxForwardEpilogueEEEvPT1_PKT_T2_SB_SB_,comdat
.Lfunc_end518:
	.size	_ZN2at6native12_GLOBAL__N_126cunn_SpatialSoftMaxForwardIN3c108BFloat16EfS4_iNS1_22SoftMaxForwardEpilogueEEEvPT1_PKT_T2_SB_SB_, .Lfunc_end518-_ZN2at6native12_GLOBAL__N_126cunn_SpatialSoftMaxForwardIN3c108BFloat16EfS4_iNS1_22SoftMaxForwardEpilogueEEEvPT1_PKT_T2_SB_SB_
                                        ; -- End function
	.section	.AMDGPU.csdata,"",@progbits
; Kernel info:
; codeLenInByte = 2212
; NumSgprs: 25
; NumVgprs: 20
; ScratchSize: 0
; MemoryBound: 0
; FloatMode: 240
; IeeeMode: 1
; LDSByteSize: 0 bytes/workgroup (compile time only)
; SGPRBlocks: 3
; VGPRBlocks: 2
; NumSGPRsForWavesPerEU: 25
; NumVGPRsForWavesPerEU: 20
; Occupancy: 16
; WaveLimiterHint : 0
; COMPUTE_PGM_RSRC2:SCRATCH_EN: 0
; COMPUTE_PGM_RSRC2:USER_SGPR: 14
; COMPUTE_PGM_RSRC2:TRAP_HANDLER: 0
; COMPUTE_PGM_RSRC2:TGID_X_EN: 1
; COMPUTE_PGM_RSRC2:TGID_Y_EN: 1
; COMPUTE_PGM_RSRC2:TGID_Z_EN: 0
; COMPUTE_PGM_RSRC2:TIDIG_COMP_CNT: 1
	.section	.text._ZN2at6native12_GLOBAL__N_126cunn_SpatialSoftMaxForwardIN3c108BFloat16EffiNS1_22SoftMaxForwardEpilogueEEEvPT1_PKT_T2_SB_SB_,"axG",@progbits,_ZN2at6native12_GLOBAL__N_126cunn_SpatialSoftMaxForwardIN3c108BFloat16EffiNS1_22SoftMaxForwardEpilogueEEEvPT1_PKT_T2_SB_SB_,comdat
	.globl	_ZN2at6native12_GLOBAL__N_126cunn_SpatialSoftMaxForwardIN3c108BFloat16EffiNS1_22SoftMaxForwardEpilogueEEEvPT1_PKT_T2_SB_SB_ ; -- Begin function _ZN2at6native12_GLOBAL__N_126cunn_SpatialSoftMaxForwardIN3c108BFloat16EffiNS1_22SoftMaxForwardEpilogueEEEvPT1_PKT_T2_SB_SB_
	.p2align	8
	.type	_ZN2at6native12_GLOBAL__N_126cunn_SpatialSoftMaxForwardIN3c108BFloat16EffiNS1_22SoftMaxForwardEpilogueEEEvPT1_PKT_T2_SB_SB_,@function
_ZN2at6native12_GLOBAL__N_126cunn_SpatialSoftMaxForwardIN3c108BFloat16EffiNS1_22SoftMaxForwardEpilogueEEEvPT1_PKT_T2_SB_SB_: ; @_ZN2at6native12_GLOBAL__N_126cunn_SpatialSoftMaxForwardIN3c108BFloat16EffiNS1_22SoftMaxForwardEpilogueEEEvPT1_PKT_T2_SB_SB_
; %bb.0:
	s_load_b128 s[4:7], s[0:1], 0x10
	s_waitcnt lgkmcnt(0)
	s_cmp_ge_i32 s14, s4
	s_cbranch_scc1 .LBB519_40
; %bb.1:
	s_load_b32 s2, s[0:1], 0x2c
	v_and_b32_e32 v1, 0x3ff, v0
	s_clause 0x1
	s_load_b64 s[12:13], s[0:1], 0x20
	s_load_b128 s[8:11], s[0:1], 0x0
	s_add_u32 s16, s0, 32
	v_bfe_u32 v0, v0, 10, 10
	v_mad_u64_u32 v[2:3], null, s14, s5, v[1:2]
	s_addc_u32 s17, s1, 0
	v_cmp_gt_i32_e64 s0, s5, v1
	s_delay_alu instid0(VALU_DEP_2)
	v_mul_lo_u32 v2, s6, v2
	s_waitcnt lgkmcnt(0)
	s_lshr_b32 s2, s2, 16
	s_mul_i32 s7, s12, s6
	s_mul_i32 s15, s15, s2
	;; [unrolled: 1-line block ×3, first 2 shown]
	v_add_nc_u32_e32 v4, s15, v0
	s_delay_alu instid0(VALU_DEP_2) | instskip(SKIP_1) | instid1(VALU_DEP_2)
	v_add3_u32 v5, v0, v2, s15
	s_mul_i32 s7, s7, s5
	v_cmp_gt_i32_e64 s1, s6, v4
	s_branch .LBB519_3
.LBB519_2:                              ;   in Loop: Header=BB519_3 Depth=1
	s_or_b32 exec_lo, exec_lo, s13
	v_add_nc_u32_e32 v5, s7, v5
	s_add_i32 s14, s12, s14
	s_delay_alu instid0(SALU_CYCLE_1)
	s_cmp_ge_i32 s14, s4
	s_cbranch_scc1 .LBB519_40
.LBB519_3:                              ; =>This Loop Header: Depth=1
                                        ;     Child Loop BB519_7 Depth 2
                                        ;       Child Loop BB519_12 Depth 3
                                        ;       Child Loop BB519_15 Depth 3
	;; [unrolled: 1-line block ×8, first 2 shown]
	s_delay_alu instid0(VALU_DEP_1)
	s_and_saveexec_b32 s13, s1
	s_cbranch_execz .LBB519_2
; %bb.4:                                ;   in Loop: Header=BB519_3 Depth=1
	s_load_b32 s2, s[16:17], 0xc
	v_mov_b32_e32 v7, v5
	v_mov_b32_e32 v9, v4
	s_mov_b32 s20, 0
	s_waitcnt lgkmcnt(0)
	s_and_b32 s15, s2, 0xffff
	s_delay_alu instid0(SALU_CYCLE_1) | instskip(SKIP_3) | instid1(VALU_DEP_1)
	v_mul_u32_u24_e32 v2, s15, v0
	s_cmp_lt_u32 s15, 2
	s_mul_i32 s19, s6, s15
	s_cselect_b32 s18, -1, 0
	v_lshl_add_u32 v6, v2, 2, 0
	s_delay_alu instid0(VALU_DEP_1)
	v_lshl_add_u32 v8, v1, 2, v6
	s_branch .LBB519_7
.LBB519_5:                              ;   in Loop: Header=BB519_7 Depth=2
	s_or_b32 exec_lo, exec_lo, s21
.LBB519_6:                              ;   in Loop: Header=BB519_7 Depth=2
	v_add_nc_u32_e32 v9, s3, v9
	v_add_nc_u32_e32 v7, s3, v7
	s_delay_alu instid0(VALU_DEP_2) | instskip(SKIP_1) | instid1(SALU_CYCLE_1)
	v_cmp_le_i32_e32 vcc_lo, s6, v9
	s_or_b32 s20, vcc_lo, s20
	s_and_not1_b32 exec_lo, exec_lo, s20
	s_cbranch_execz .LBB519_2
.LBB519_7:                              ;   Parent Loop BB519_3 Depth=1
                                        ; =>  This Loop Header: Depth=2
                                        ;       Child Loop BB519_12 Depth 3
                                        ;       Child Loop BB519_15 Depth 3
	;; [unrolled: 1-line block ×8, first 2 shown]
	s_and_b32 vcc_lo, exec_lo, s18
	s_mov_b32 s2, -1
	s_cbranch_vccz .LBB519_20
; %bb.8:                                ;   in Loop: Header=BB519_7 Depth=2
	v_mov_b32_e32 v10, 0xff7fffff
	s_and_saveexec_b32 s21, s0
	s_cbranch_execnz .LBB519_11
; %bb.9:                                ;   in Loop: Header=BB519_7 Depth=2
	s_or_b32 exec_lo, exec_lo, s21
	v_mov_b32_e32 v11, 0
	s_and_saveexec_b32 s2, s0
	s_cbranch_execnz .LBB519_14
.LBB519_10:                             ;   in Loop: Header=BB519_7 Depth=2
	s_or_b32 exec_lo, exec_lo, s2
	s_and_saveexec_b32 s21, s0
	s_cbranch_execnz .LBB519_17
	s_branch .LBB519_19
.LBB519_11:                             ;   in Loop: Header=BB519_7 Depth=2
	v_dual_mov_b32 v10, 0xff7fffff :: v_dual_mov_b32 v11, v1
	v_mov_b32_e32 v2, v7
	s_mov_b32 s22, 0
	.p2align	6
.LBB519_12:                             ;   Parent Loop BB519_3 Depth=1
                                        ;     Parent Loop BB519_7 Depth=2
                                        ; =>    This Inner Loop Header: Depth=3
	s_delay_alu instid0(VALU_DEP_1) | instskip(NEXT) | instid1(VALU_DEP_3)
	v_ashrrev_i32_e32 v3, 31, v2
	v_add_nc_u32_e32 v11, s15, v11
	s_delay_alu instid0(VALU_DEP_2) | instskip(SKIP_1) | instid1(VALU_DEP_2)
	v_lshlrev_b64 v[12:13], 1, v[2:3]
	v_add_nc_u32_e32 v2, s19, v2
	v_add_co_u32 v12, vcc_lo, s10, v12
	s_delay_alu instid0(VALU_DEP_3)
	v_add_co_ci_u32_e32 v13, vcc_lo, s11, v13, vcc_lo
	v_cmp_le_i32_e32 vcc_lo, s5, v11
	global_load_u16 v3, v[12:13], off
	s_or_b32 s22, vcc_lo, s22
	s_waitcnt vmcnt(0)
	v_lshlrev_b32_e32 v3, 16, v3
	s_delay_alu instid0(VALU_DEP_1) | instskip(NEXT) | instid1(VALU_DEP_1)
	v_cmp_lt_f32_e64 s2, v10, v3
	v_cndmask_b32_e64 v10, v10, v3, s2
	s_and_not1_b32 exec_lo, exec_lo, s22
	s_cbranch_execnz .LBB519_12
; %bb.13:                               ;   in Loop: Header=BB519_7 Depth=2
	s_or_b32 exec_lo, exec_lo, s22
	s_delay_alu instid0(SALU_CYCLE_1)
	s_or_b32 exec_lo, exec_lo, s21
	v_mov_b32_e32 v11, 0
	s_and_saveexec_b32 s2, s0
	s_cbranch_execz .LBB519_10
.LBB519_14:                             ;   in Loop: Header=BB519_7 Depth=2
	v_dual_mov_b32 v11, 0 :: v_dual_mov_b32 v2, v7
	v_mov_b32_e32 v12, v1
	s_mov_b32 s21, 0
	s_set_inst_prefetch_distance 0x1
	.p2align	6
.LBB519_15:                             ;   Parent Loop BB519_3 Depth=1
                                        ;     Parent Loop BB519_7 Depth=2
                                        ; =>    This Inner Loop Header: Depth=3
	s_delay_alu instid0(VALU_DEP_2) | instskip(NEXT) | instid1(VALU_DEP_2)
	v_ashrrev_i32_e32 v3, 31, v2
	v_add_nc_u32_e32 v12, s15, v12
	s_delay_alu instid0(VALU_DEP_2) | instskip(SKIP_1) | instid1(VALU_DEP_2)
	v_lshlrev_b64 v[13:14], 1, v[2:3]
	v_add_nc_u32_e32 v2, s19, v2
	v_add_co_u32 v13, vcc_lo, s10, v13
	s_delay_alu instid0(VALU_DEP_3) | instskip(SKIP_3) | instid1(VALU_DEP_1)
	v_add_co_ci_u32_e32 v14, vcc_lo, s11, v14, vcc_lo
	global_load_u16 v3, v[13:14], off
	s_waitcnt vmcnt(0)
	v_lshlrev_b32_e32 v3, 16, v3
	v_sub_f32_e32 v3, v3, v10
	s_delay_alu instid0(VALU_DEP_1) | instskip(SKIP_1) | instid1(VALU_DEP_2)
	v_mul_f32_e32 v13, 0x3fb8aa3b, v3
	v_cmp_ngt_f32_e32 vcc_lo, 0xc2ce8ed0, v3
	v_fma_f32 v14, 0x3fb8aa3b, v3, -v13
	v_rndne_f32_e32 v15, v13
	s_delay_alu instid0(VALU_DEP_2) | instskip(NEXT) | instid1(VALU_DEP_2)
	v_fmac_f32_e32 v14, 0x32a5705f, v3
	v_sub_f32_e32 v13, v13, v15
	s_delay_alu instid0(VALU_DEP_1) | instskip(SKIP_1) | instid1(VALU_DEP_2)
	v_add_f32_e32 v13, v13, v14
	v_cvt_i32_f32_e32 v14, v15
	v_exp_f32_e32 v13, v13
	s_waitcnt_depctr 0xfff
	v_ldexp_f32 v13, v13, v14
	s_delay_alu instid0(VALU_DEP_1) | instskip(SKIP_1) | instid1(VALU_DEP_2)
	v_cndmask_b32_e32 v13, 0, v13, vcc_lo
	v_cmp_nlt_f32_e32 vcc_lo, 0x42b17218, v3
	v_cndmask_b32_e32 v3, 0x7f800000, v13, vcc_lo
	v_cmp_le_i32_e32 vcc_lo, s5, v12
	s_delay_alu instid0(VALU_DEP_2) | instskip(SKIP_1) | instid1(SALU_CYCLE_1)
	v_add_f32_e32 v11, v11, v3
	s_or_b32 s21, vcc_lo, s21
	s_and_not1_b32 exec_lo, exec_lo, s21
	s_cbranch_execnz .LBB519_15
; %bb.16:                               ;   in Loop: Header=BB519_7 Depth=2
	s_set_inst_prefetch_distance 0x2
	s_or_b32 exec_lo, exec_lo, s21
	s_delay_alu instid0(SALU_CYCLE_1)
	s_or_b32 exec_lo, exec_lo, s2
	s_and_saveexec_b32 s21, s0
	s_cbranch_execz .LBB519_19
.LBB519_17:                             ;   in Loop: Header=BB519_7 Depth=2
	v_mov_b32_e32 v2, v7
	v_mov_b32_e32 v12, v1
	s_mov_b32 s22, 0
.LBB519_18:                             ;   Parent Loop BB519_3 Depth=1
                                        ;     Parent Loop BB519_7 Depth=2
                                        ; =>    This Inner Loop Header: Depth=3
	s_delay_alu instid0(VALU_DEP_2) | instskip(NEXT) | instid1(VALU_DEP_2)
	v_ashrrev_i32_e32 v3, 31, v2
	v_add_nc_u32_e32 v12, s15, v12
	s_delay_alu instid0(VALU_DEP_2) | instskip(NEXT) | instid1(VALU_DEP_1)
	v_lshlrev_b64 v[13:14], 1, v[2:3]
	v_add_co_u32 v13, vcc_lo, s10, v13
	s_delay_alu instid0(VALU_DEP_2) | instskip(SKIP_3) | instid1(VALU_DEP_1)
	v_add_co_ci_u32_e32 v14, vcc_lo, s11, v14, vcc_lo
	global_load_u16 v13, v[13:14], off
	s_waitcnt vmcnt(0)
	v_lshlrev_b32_e32 v13, 16, v13
	v_sub_f32_e32 v13, v13, v10
	s_delay_alu instid0(VALU_DEP_1) | instskip(NEXT) | instid1(VALU_DEP_1)
	v_mul_f32_e32 v14, 0x3fb8aa3b, v13
	v_fma_f32 v15, 0x3fb8aa3b, v13, -v14
	v_rndne_f32_e32 v16, v14
	s_delay_alu instid0(VALU_DEP_1) | instskip(NEXT) | instid1(VALU_DEP_1)
	v_dual_fmac_f32 v15, 0x32a5705f, v13 :: v_dual_sub_f32 v14, v14, v16
	v_add_f32_e32 v14, v14, v15
	v_cvt_i32_f32_e32 v15, v16
	v_cmp_ngt_f32_e32 vcc_lo, 0xc2ce8ed0, v13
	s_delay_alu instid0(VALU_DEP_3) | instskip(SKIP_2) | instid1(VALU_DEP_1)
	v_exp_f32_e32 v14, v14
	s_waitcnt_depctr 0xfff
	v_ldexp_f32 v14, v14, v15
	v_cndmask_b32_e32 v14, 0, v14, vcc_lo
	v_cmp_nlt_f32_e32 vcc_lo, 0x42b17218, v13
	s_delay_alu instid0(VALU_DEP_2) | instskip(NEXT) | instid1(VALU_DEP_1)
	v_cndmask_b32_e32 v15, 0x7f800000, v14, vcc_lo
	v_div_scale_f32 v13, null, v11, v11, v15
	v_div_scale_f32 v17, vcc_lo, v15, v11, v15
	s_delay_alu instid0(VALU_DEP_2) | instskip(SKIP_2) | instid1(VALU_DEP_1)
	v_rcp_f32_e32 v14, v13
	s_waitcnt_depctr 0xfff
	v_fma_f32 v16, -v13, v14, 1.0
	v_fmac_f32_e32 v14, v16, v14
	s_delay_alu instid0(VALU_DEP_1) | instskip(NEXT) | instid1(VALU_DEP_1)
	v_mul_f32_e32 v16, v17, v14
	v_fma_f32 v18, -v13, v16, v17
	s_delay_alu instid0(VALU_DEP_1) | instskip(NEXT) | instid1(VALU_DEP_1)
	v_fmac_f32_e32 v16, v18, v14
	v_fma_f32 v13, -v13, v16, v17
	s_delay_alu instid0(VALU_DEP_1) | instskip(SKIP_3) | instid1(VALU_DEP_4)
	v_div_fmas_f32 v16, v13, v14, v16
	v_lshlrev_b64 v[13:14], 2, v[2:3]
	v_cmp_le_i32_e32 vcc_lo, s5, v12
	v_add_nc_u32_e32 v2, s19, v2
	v_div_fixup_f32 v3, v16, v11, v15
	s_delay_alu instid0(VALU_DEP_4) | instskip(NEXT) | instid1(VALU_DEP_1)
	v_add_co_u32 v13, s2, s8, v13
	v_add_co_ci_u32_e64 v14, s2, s9, v14, s2
	s_or_b32 s22, vcc_lo, s22
	global_store_b32 v[13:14], v3, off
	s_and_not1_b32 exec_lo, exec_lo, s22
	s_cbranch_execnz .LBB519_18
.LBB519_19:                             ;   in Loop: Header=BB519_7 Depth=2
	s_or_b32 exec_lo, exec_lo, s21
	s_mov_b32 s2, 0
.LBB519_20:                             ;   in Loop: Header=BB519_7 Depth=2
	s_delay_alu instid0(SALU_CYCLE_1)
	s_and_b32 vcc_lo, exec_lo, s2
	s_cbranch_vccz .LBB519_6
; %bb.21:                               ;   in Loop: Header=BB519_7 Depth=2
	v_mov_b32_e32 v10, 0xff7fffff
	s_and_saveexec_b32 s21, s0
	s_cbranch_execz .LBB519_25
; %bb.22:                               ;   in Loop: Header=BB519_7 Depth=2
	v_dual_mov_b32 v10, 0xff7fffff :: v_dual_mov_b32 v11, v1
	v_mov_b32_e32 v2, v7
	s_mov_b32 s22, 0
	.p2align	6
.LBB519_23:                             ;   Parent Loop BB519_3 Depth=1
                                        ;     Parent Loop BB519_7 Depth=2
                                        ; =>    This Inner Loop Header: Depth=3
	s_delay_alu instid0(VALU_DEP_1) | instskip(NEXT) | instid1(VALU_DEP_3)
	v_ashrrev_i32_e32 v3, 31, v2
	v_add_nc_u32_e32 v11, s15, v11
	s_delay_alu instid0(VALU_DEP_2) | instskip(SKIP_1) | instid1(VALU_DEP_2)
	v_lshlrev_b64 v[12:13], 1, v[2:3]
	v_add_nc_u32_e32 v2, s19, v2
	v_add_co_u32 v12, vcc_lo, s10, v12
	s_delay_alu instid0(VALU_DEP_3)
	v_add_co_ci_u32_e32 v13, vcc_lo, s11, v13, vcc_lo
	v_cmp_le_i32_e32 vcc_lo, s5, v11
	global_load_u16 v3, v[12:13], off
	s_or_b32 s22, vcc_lo, s22
	s_waitcnt vmcnt(0)
	v_lshlrev_b32_e32 v3, 16, v3
	s_delay_alu instid0(VALU_DEP_1) | instskip(NEXT) | instid1(VALU_DEP_1)
	v_cmp_lt_f32_e64 s2, v10, v3
	v_cndmask_b32_e64 v10, v10, v3, s2
	s_and_not1_b32 exec_lo, exec_lo, s22
	s_cbranch_execnz .LBB519_23
; %bb.24:                               ;   in Loop: Header=BB519_7 Depth=2
	s_or_b32 exec_lo, exec_lo, s22
.LBB519_25:                             ;   in Loop: Header=BB519_7 Depth=2
	s_delay_alu instid0(SALU_CYCLE_1)
	s_or_b32 exec_lo, exec_lo, s21
	s_mov_b32 s2, s15
	s_waitcnt_vscnt null, 0x0
	s_barrier
	buffer_gl0_inv
	ds_store_b32 v8, v10
	s_branch .LBB519_27
	.p2align	6
.LBB519_26:                             ;   in Loop: Header=BB519_27 Depth=3
	s_or_b32 exec_lo, exec_lo, s22
	s_cmp_gt_u32 s2, 3
	s_mov_b32 s2, s21
	s_cbranch_scc0 .LBB519_29
.LBB519_27:                             ;   Parent Loop BB519_3 Depth=1
                                        ;     Parent Loop BB519_7 Depth=2
                                        ; =>    This Inner Loop Header: Depth=3
	s_lshr_b32 s21, s2, 1
	s_mov_b32 s22, exec_lo
	s_waitcnt lgkmcnt(0)
	s_barrier
	buffer_gl0_inv
	v_cmpx_gt_u32_e64 s21, v1
	s_cbranch_execz .LBB519_26
; %bb.28:                               ;   in Loop: Header=BB519_27 Depth=3
	v_lshl_add_u32 v2, s21, 2, v8
	ds_load_b32 v3, v8
	ds_load_b32 v2, v2
	s_waitcnt lgkmcnt(0)
	v_cmp_lt_f32_e32 vcc_lo, v3, v2
	v_cndmask_b32_e32 v2, v3, v2, vcc_lo
	ds_store_b32 v8, v2
	s_branch .LBB519_26
.LBB519_29:                             ;   in Loop: Header=BB519_7 Depth=2
	s_waitcnt lgkmcnt(0)
	s_barrier
	buffer_gl0_inv
	ds_load_b32 v10, v6
	v_mov_b32_e32 v11, 0
	s_and_saveexec_b32 s2, s0
	s_cbranch_execz .LBB519_33
; %bb.30:                               ;   in Loop: Header=BB519_7 Depth=2
	v_dual_mov_b32 v11, 0 :: v_dual_mov_b32 v2, v7
	v_mov_b32_e32 v12, v1
	s_mov_b32 s21, 0
	s_set_inst_prefetch_distance 0x1
	.p2align	6
.LBB519_31:                             ;   Parent Loop BB519_3 Depth=1
                                        ;     Parent Loop BB519_7 Depth=2
                                        ; =>    This Inner Loop Header: Depth=3
	s_delay_alu instid0(VALU_DEP_2) | instskip(NEXT) | instid1(VALU_DEP_2)
	v_ashrrev_i32_e32 v3, 31, v2
	v_add_nc_u32_e32 v12, s15, v12
	s_delay_alu instid0(VALU_DEP_2) | instskip(SKIP_1) | instid1(VALU_DEP_2)
	v_lshlrev_b64 v[13:14], 1, v[2:3]
	v_add_nc_u32_e32 v2, s19, v2
	v_add_co_u32 v13, vcc_lo, s10, v13
	s_delay_alu instid0(VALU_DEP_3) | instskip(SKIP_4) | instid1(VALU_DEP_1)
	v_add_co_ci_u32_e32 v14, vcc_lo, s11, v14, vcc_lo
	global_load_u16 v3, v[13:14], off
	s_waitcnt vmcnt(0)
	v_lshlrev_b32_e32 v3, 16, v3
	s_waitcnt lgkmcnt(0)
	v_sub_f32_e32 v3, v3, v10
	s_delay_alu instid0(VALU_DEP_1) | instskip(SKIP_1) | instid1(VALU_DEP_2)
	v_mul_f32_e32 v13, 0x3fb8aa3b, v3
	v_cmp_ngt_f32_e32 vcc_lo, 0xc2ce8ed0, v3
	v_fma_f32 v14, 0x3fb8aa3b, v3, -v13
	v_rndne_f32_e32 v15, v13
	s_delay_alu instid0(VALU_DEP_2) | instskip(NEXT) | instid1(VALU_DEP_2)
	v_fmac_f32_e32 v14, 0x32a5705f, v3
	v_sub_f32_e32 v13, v13, v15
	s_delay_alu instid0(VALU_DEP_1) | instskip(SKIP_1) | instid1(VALU_DEP_2)
	v_add_f32_e32 v13, v13, v14
	v_cvt_i32_f32_e32 v14, v15
	v_exp_f32_e32 v13, v13
	s_waitcnt_depctr 0xfff
	v_ldexp_f32 v13, v13, v14
	s_delay_alu instid0(VALU_DEP_1) | instskip(SKIP_1) | instid1(VALU_DEP_2)
	v_cndmask_b32_e32 v13, 0, v13, vcc_lo
	v_cmp_nlt_f32_e32 vcc_lo, 0x42b17218, v3
	v_cndmask_b32_e32 v3, 0x7f800000, v13, vcc_lo
	v_cmp_le_i32_e32 vcc_lo, s5, v12
	s_delay_alu instid0(VALU_DEP_2) | instskip(SKIP_1) | instid1(SALU_CYCLE_1)
	v_add_f32_e32 v11, v11, v3
	s_or_b32 s21, vcc_lo, s21
	s_and_not1_b32 exec_lo, exec_lo, s21
	s_cbranch_execnz .LBB519_31
; %bb.32:                               ;   in Loop: Header=BB519_7 Depth=2
	s_set_inst_prefetch_distance 0x2
	s_or_b32 exec_lo, exec_lo, s21
.LBB519_33:                             ;   in Loop: Header=BB519_7 Depth=2
	s_delay_alu instid0(SALU_CYCLE_1)
	s_or_b32 exec_lo, exec_lo, s2
	s_mov_b32 s2, s15
	s_waitcnt lgkmcnt(0)
	s_barrier
	buffer_gl0_inv
	ds_store_b32 v8, v11
	s_branch .LBB519_35
	.p2align	6
.LBB519_34:                             ;   in Loop: Header=BB519_35 Depth=3
	s_or_b32 exec_lo, exec_lo, s22
	s_cmp_gt_u32 s2, 3
	s_mov_b32 s2, s21
	s_cbranch_scc0 .LBB519_37
.LBB519_35:                             ;   Parent Loop BB519_3 Depth=1
                                        ;     Parent Loop BB519_7 Depth=2
                                        ; =>    This Inner Loop Header: Depth=3
	s_lshr_b32 s21, s2, 1
	s_mov_b32 s22, exec_lo
	s_waitcnt lgkmcnt(0)
	s_barrier
	buffer_gl0_inv
	v_cmpx_gt_u32_e64 s21, v1
	s_cbranch_execz .LBB519_34
; %bb.36:                               ;   in Loop: Header=BB519_35 Depth=3
	v_lshl_add_u32 v2, s21, 2, v8
	ds_load_b32 v3, v8
	ds_load_b32 v2, v2
	s_waitcnt lgkmcnt(0)
	v_add_f32_e32 v2, v3, v2
	ds_store_b32 v8, v2
	s_branch .LBB519_34
.LBB519_37:                             ;   in Loop: Header=BB519_7 Depth=2
	s_waitcnt lgkmcnt(0)
	s_barrier
	buffer_gl0_inv
	s_and_saveexec_b32 s21, s0
	s_cbranch_execz .LBB519_5
; %bb.38:                               ;   in Loop: Header=BB519_7 Depth=2
	ds_load_b32 v11, v6
	v_mov_b32_e32 v2, v7
	v_mov_b32_e32 v12, v1
	s_mov_b32 s22, 0
.LBB519_39:                             ;   Parent Loop BB519_3 Depth=1
                                        ;     Parent Loop BB519_7 Depth=2
                                        ; =>    This Inner Loop Header: Depth=3
	s_delay_alu instid0(VALU_DEP_2) | instskip(NEXT) | instid1(VALU_DEP_2)
	v_ashrrev_i32_e32 v3, 31, v2
	v_add_nc_u32_e32 v12, s15, v12
	s_delay_alu instid0(VALU_DEP_2) | instskip(NEXT) | instid1(VALU_DEP_1)
	v_lshlrev_b64 v[13:14], 1, v[2:3]
	v_add_co_u32 v13, vcc_lo, s10, v13
	s_delay_alu instid0(VALU_DEP_2) | instskip(SKIP_3) | instid1(VALU_DEP_1)
	v_add_co_ci_u32_e32 v14, vcc_lo, s11, v14, vcc_lo
	global_load_u16 v13, v[13:14], off
	s_waitcnt vmcnt(0)
	v_lshlrev_b32_e32 v13, 16, v13
	v_sub_f32_e32 v13, v13, v10
	s_delay_alu instid0(VALU_DEP_1) | instskip(NEXT) | instid1(VALU_DEP_1)
	v_mul_f32_e32 v14, 0x3fb8aa3b, v13
	v_fma_f32 v15, 0x3fb8aa3b, v13, -v14
	v_rndne_f32_e32 v16, v14
	s_delay_alu instid0(VALU_DEP_1) | instskip(NEXT) | instid1(VALU_DEP_1)
	v_dual_fmac_f32 v15, 0x32a5705f, v13 :: v_dual_sub_f32 v14, v14, v16
	v_add_f32_e32 v14, v14, v15
	v_cvt_i32_f32_e32 v15, v16
	v_cmp_ngt_f32_e32 vcc_lo, 0xc2ce8ed0, v13
	s_delay_alu instid0(VALU_DEP_3) | instskip(SKIP_2) | instid1(VALU_DEP_1)
	v_exp_f32_e32 v14, v14
	s_waitcnt_depctr 0xfff
	v_ldexp_f32 v14, v14, v15
	v_cndmask_b32_e32 v14, 0, v14, vcc_lo
	v_cmp_nlt_f32_e32 vcc_lo, 0x42b17218, v13
	s_delay_alu instid0(VALU_DEP_2) | instskip(SKIP_1) | instid1(VALU_DEP_1)
	v_cndmask_b32_e32 v15, 0x7f800000, v14, vcc_lo
	s_waitcnt lgkmcnt(0)
	v_div_scale_f32 v13, null, v11, v11, v15
	v_div_scale_f32 v17, vcc_lo, v15, v11, v15
	s_delay_alu instid0(VALU_DEP_2) | instskip(SKIP_2) | instid1(VALU_DEP_1)
	v_rcp_f32_e32 v14, v13
	s_waitcnt_depctr 0xfff
	v_fma_f32 v16, -v13, v14, 1.0
	v_fmac_f32_e32 v14, v16, v14
	s_delay_alu instid0(VALU_DEP_1) | instskip(NEXT) | instid1(VALU_DEP_1)
	v_mul_f32_e32 v16, v17, v14
	v_fma_f32 v18, -v13, v16, v17
	s_delay_alu instid0(VALU_DEP_1) | instskip(NEXT) | instid1(VALU_DEP_1)
	v_fmac_f32_e32 v16, v18, v14
	v_fma_f32 v13, -v13, v16, v17
	s_delay_alu instid0(VALU_DEP_1) | instskip(SKIP_3) | instid1(VALU_DEP_4)
	v_div_fmas_f32 v16, v13, v14, v16
	v_lshlrev_b64 v[13:14], 2, v[2:3]
	v_cmp_le_i32_e32 vcc_lo, s5, v12
	v_add_nc_u32_e32 v2, s19, v2
	v_div_fixup_f32 v3, v16, v11, v15
	s_delay_alu instid0(VALU_DEP_4) | instskip(NEXT) | instid1(VALU_DEP_1)
	v_add_co_u32 v13, s2, s8, v13
	v_add_co_ci_u32_e64 v14, s2, s9, v14, s2
	s_or_b32 s22, vcc_lo, s22
	global_store_b32 v[13:14], v3, off
	s_and_not1_b32 exec_lo, exec_lo, s22
	s_cbranch_execnz .LBB519_39
	s_branch .LBB519_5
.LBB519_40:
	s_nop 0
	s_sendmsg sendmsg(MSG_DEALLOC_VGPRS)
	s_endpgm
	.section	.rodata,"a",@progbits
	.p2align	6, 0x0
	.amdhsa_kernel _ZN2at6native12_GLOBAL__N_126cunn_SpatialSoftMaxForwardIN3c108BFloat16EffiNS1_22SoftMaxForwardEpilogueEEEvPT1_PKT_T2_SB_SB_
		.amdhsa_group_segment_fixed_size 0
		.amdhsa_private_segment_fixed_size 0
		.amdhsa_kernarg_size 288
		.amdhsa_user_sgpr_count 14
		.amdhsa_user_sgpr_dispatch_ptr 0
		.amdhsa_user_sgpr_queue_ptr 0
		.amdhsa_user_sgpr_kernarg_segment_ptr 1
		.amdhsa_user_sgpr_dispatch_id 0
		.amdhsa_user_sgpr_private_segment_size 0
		.amdhsa_wavefront_size32 1
		.amdhsa_uses_dynamic_stack 0
		.amdhsa_enable_private_segment 0
		.amdhsa_system_sgpr_workgroup_id_x 1
		.amdhsa_system_sgpr_workgroup_id_y 1
		.amdhsa_system_sgpr_workgroup_id_z 0
		.amdhsa_system_sgpr_workgroup_info 0
		.amdhsa_system_vgpr_workitem_id 1
		.amdhsa_next_free_vgpr 19
		.amdhsa_next_free_sgpr 23
		.amdhsa_reserve_vcc 1
		.amdhsa_float_round_mode_32 0
		.amdhsa_float_round_mode_16_64 0
		.amdhsa_float_denorm_mode_32 3
		.amdhsa_float_denorm_mode_16_64 3
		.amdhsa_dx10_clamp 1
		.amdhsa_ieee_mode 1
		.amdhsa_fp16_overflow 0
		.amdhsa_workgroup_processor_mode 1
		.amdhsa_memory_ordered 1
		.amdhsa_forward_progress 0
		.amdhsa_shared_vgpr_count 0
		.amdhsa_exception_fp_ieee_invalid_op 0
		.amdhsa_exception_fp_denorm_src 0
		.amdhsa_exception_fp_ieee_div_zero 0
		.amdhsa_exception_fp_ieee_overflow 0
		.amdhsa_exception_fp_ieee_underflow 0
		.amdhsa_exception_fp_ieee_inexact 0
		.amdhsa_exception_int_div_zero 0
	.end_amdhsa_kernel
	.section	.text._ZN2at6native12_GLOBAL__N_126cunn_SpatialSoftMaxForwardIN3c108BFloat16EffiNS1_22SoftMaxForwardEpilogueEEEvPT1_PKT_T2_SB_SB_,"axG",@progbits,_ZN2at6native12_GLOBAL__N_126cunn_SpatialSoftMaxForwardIN3c108BFloat16EffiNS1_22SoftMaxForwardEpilogueEEEvPT1_PKT_T2_SB_SB_,comdat
.Lfunc_end519:
	.size	_ZN2at6native12_GLOBAL__N_126cunn_SpatialSoftMaxForwardIN3c108BFloat16EffiNS1_22SoftMaxForwardEpilogueEEEvPT1_PKT_T2_SB_SB_, .Lfunc_end519-_ZN2at6native12_GLOBAL__N_126cunn_SpatialSoftMaxForwardIN3c108BFloat16EffiNS1_22SoftMaxForwardEpilogueEEEvPT1_PKT_T2_SB_SB_
                                        ; -- End function
	.section	.AMDGPU.csdata,"",@progbits
; Kernel info:
; codeLenInByte = 2124
; NumSgprs: 25
; NumVgprs: 19
; ScratchSize: 0
; MemoryBound: 0
; FloatMode: 240
; IeeeMode: 1
; LDSByteSize: 0 bytes/workgroup (compile time only)
; SGPRBlocks: 3
; VGPRBlocks: 2
; NumSGPRsForWavesPerEU: 25
; NumVGPRsForWavesPerEU: 19
; Occupancy: 16
; WaveLimiterHint : 0
; COMPUTE_PGM_RSRC2:SCRATCH_EN: 0
; COMPUTE_PGM_RSRC2:USER_SGPR: 14
; COMPUTE_PGM_RSRC2:TRAP_HANDLER: 0
; COMPUTE_PGM_RSRC2:TGID_X_EN: 1
; COMPUTE_PGM_RSRC2:TGID_Y_EN: 1
; COMPUTE_PGM_RSRC2:TGID_Z_EN: 0
; COMPUTE_PGM_RSRC2:TIDIG_COMP_CNT: 1
	.section	.text._ZN2at6native12_GLOBAL__N_126cunn_SpatialSoftMaxForwardIN3c108BFloat16EfS4_lNS1_22SoftMaxForwardEpilogueEEEvPT1_PKT_T2_SB_SB_,"axG",@progbits,_ZN2at6native12_GLOBAL__N_126cunn_SpatialSoftMaxForwardIN3c108BFloat16EfS4_lNS1_22SoftMaxForwardEpilogueEEEvPT1_PKT_T2_SB_SB_,comdat
	.globl	_ZN2at6native12_GLOBAL__N_126cunn_SpatialSoftMaxForwardIN3c108BFloat16EfS4_lNS1_22SoftMaxForwardEpilogueEEEvPT1_PKT_T2_SB_SB_ ; -- Begin function _ZN2at6native12_GLOBAL__N_126cunn_SpatialSoftMaxForwardIN3c108BFloat16EfS4_lNS1_22SoftMaxForwardEpilogueEEEvPT1_PKT_T2_SB_SB_
	.p2align	8
	.type	_ZN2at6native12_GLOBAL__N_126cunn_SpatialSoftMaxForwardIN3c108BFloat16EfS4_lNS1_22SoftMaxForwardEpilogueEEEvPT1_PKT_T2_SB_SB_,@function
_ZN2at6native12_GLOBAL__N_126cunn_SpatialSoftMaxForwardIN3c108BFloat16EfS4_lNS1_22SoftMaxForwardEpilogueEEEvPT1_PKT_T2_SB_SB_: ; @_ZN2at6native12_GLOBAL__N_126cunn_SpatialSoftMaxForwardIN3c108BFloat16EfS4_lNS1_22SoftMaxForwardEpilogueEEEvPT1_PKT_T2_SB_SB_
; %bb.0:
	s_load_b256 s[4:11], s[0:1], 0x0
	s_mov_b32 s2, s15
	s_mov_b32 s15, 0
	s_waitcnt lgkmcnt(0)
	v_cmp_ge_i64_e64 s3, s[14:15], s[8:9]
	s_delay_alu instid0(VALU_DEP_1)
	s_and_b32 vcc_lo, exec_lo, s3
	s_cbranch_vccnz .LBB520_40
; %bb.1:
	s_clause 0x1
	s_load_b32 s3, s[0:1], 0x34
	s_load_b128 s[16:19], s[0:1], 0x20
	v_bfe_u32 v1, v0, 10, 10
	v_and_b32_e32 v2, 0x3ff, v0
	s_add_u32 s12, s0, 40
	s_addc_u32 s13, s1, 0
	s_mov_b32 s21, s15
	s_waitcnt lgkmcnt(0)
	s_lshr_b32 s0, s3, 16
	s_mul_i32 s1, s16, s10
	v_mad_u64_u32 v[4:5], null, s2, s0, v[1:2]
	v_mov_b32_e32 v5, 0
	v_mad_u64_u32 v[6:7], null, s16, v2, 0
	s_mul_i32 s2, s16, s11
	s_mul_hi_u32 s3, s16, s10
	s_delay_alu instid0(VALU_DEP_2) | instskip(NEXT) | instid1(VALU_DEP_4)
	v_mov_b32_e32 v3, v5
	v_mad_u64_u32 v[8:9], null, s1, s14, v[4:5]
	s_mul_i32 s20, s17, s10
	s_delay_alu instid0(VALU_DEP_3) | instskip(NEXT) | instid1(VALU_DEP_3)
	v_mov_b32_e32 v0, v7
	v_mad_u64_u32 v[10:11], null, s10, s14, v[2:3]
	s_add_i32 s2, s3, s2
	s_lshl_b64 s[22:23], s[16:17], 1
	s_delay_alu instid0(VALU_DEP_3) | instskip(SKIP_2) | instid1(VALU_DEP_3)
	v_mov_b32_e32 v7, v9
	v_mad_u64_u32 v[12:13], null, s17, v2, v[0:1]
	s_add_i32 s3, s2, s20
	v_mov_b32_e32 v0, v11
	s_delay_alu instid0(VALU_DEP_3) | instskip(SKIP_2) | instid1(VALU_DEP_2)
	v_mad_u64_u32 v[13:14], null, s3, s14, v[7:8]
	s_mul_i32 s20, s19, s0
	s_mul_hi_u32 s0, s1, s18
	v_mad_u64_u32 v[14:15], null, s11, s14, v[0:1]
	s_delay_alu instid0(VALU_DEP_4) | instskip(SKIP_3) | instid1(VALU_DEP_4)
	v_mov_b32_e32 v7, v12
	v_mad_u64_u32 v[11:12], null, s16, v10, v[4:5]
	v_mul_lo_u32 v0, s17, v10
	v_mov_b32_e32 v9, v13
	v_lshlrev_b64 v[6:7], 1, v[6:7]
	v_mul_lo_u32 v10, s16, v14
	s_mul_i32 s3, s3, s18
	s_mul_i32 s2, s1, s18
	v_lshlrev_b64 v[8:9], 1, v[8:9]
	s_add_i32 s3, s0, s3
	v_cmp_gt_i64_e64 s0, s[16:17], v[4:5]
	v_cmp_gt_i64_e64 s1, s[10:11], v[2:3]
	s_delay_alu instid0(VALU_DEP_4) | instskip(NEXT) | instid1(VALU_DEP_4)
	v_add3_u32 v12, v0, v12, v10
	v_add_co_u32 v0, vcc_lo, v6, v8
	v_add_co_ci_u32_e32 v7, vcc_lo, v7, v9, vcc_lo
	s_delay_alu instid0(VALU_DEP_3) | instskip(NEXT) | instid1(VALU_DEP_3)
	v_lshlrev_b64 v[10:11], 1, v[11:12]
	v_add_co_u32 v6, vcc_lo, s6, v0
	s_delay_alu instid0(VALU_DEP_3) | instskip(NEXT) | instid1(VALU_DEP_3)
	v_add_co_ci_u32_e32 v7, vcc_lo, s7, v7, vcc_lo
	v_add_co_u32 v8, vcc_lo, s6, v10
	s_delay_alu instid0(VALU_DEP_4)
	v_add_co_ci_u32_e32 v9, vcc_lo, s7, v11, vcc_lo
	v_add_co_u32 v10, vcc_lo, s4, v10
	v_add_co_ci_u32_e32 v11, vcc_lo, s5, v11, vcc_lo
	s_lshl_b64 s[4:5], s[2:3], 1
	s_lshl_b64 s[6:7], s[20:21], 1
	s_branch .LBB520_3
.LBB520_2:                              ;   in Loop: Header=BB520_3 Depth=1
	s_or_b32 exec_lo, exec_lo, s3
	v_add_co_u32 v6, vcc_lo, v6, s4
	s_add_u32 s14, s14, s18
	v_add_co_ci_u32_e32 v7, vcc_lo, s5, v7, vcc_lo
	s_addc_u32 s15, s15, 0
	v_add_co_u32 v8, vcc_lo, v8, s4
	v_cmp_ge_i64_e64 s2, s[14:15], s[8:9]
	v_add_co_ci_u32_e32 v9, vcc_lo, s5, v9, vcc_lo
	v_add_co_u32 v10, vcc_lo, v10, s4
	v_add_co_ci_u32_e32 v11, vcc_lo, s5, v11, vcc_lo
	s_delay_alu instid0(VALU_DEP_4)
	s_and_b32 vcc_lo, exec_lo, s2
	s_cbranch_vccnz .LBB520_40
.LBB520_3:                              ; =>This Loop Header: Depth=1
                                        ;     Child Loop BB520_7 Depth 2
                                        ;       Child Loop BB520_12 Depth 3
                                        ;       Child Loop BB520_15 Depth 3
                                        ;       Child Loop BB520_18 Depth 3
                                        ;       Child Loop BB520_23 Depth 3
                                        ;       Child Loop BB520_27 Depth 3
                                        ;       Child Loop BB520_31 Depth 3
                                        ;       Child Loop BB520_35 Depth 3
                                        ;       Child Loop BB520_39 Depth 3
	s_and_saveexec_b32 s3, s0
	s_cbranch_execz .LBB520_2
; %bb.4:                                ;   in Loop: Header=BB520_3 Depth=1
	s_load_b32 s2, s[12:13], 0xc
	v_dual_mov_b32 v13, v11 :: v_dual_mov_b32 v12, v10
	v_dual_mov_b32 v15, v9 :: v_dual_mov_b32 v14, v8
	;; [unrolled: 1-line block ×4, first 2 shown]
	s_mov_b32 s28, 0
	s_waitcnt lgkmcnt(0)
	s_and_b32 s19, s2, 0xffff
	v_cmp_lt_u16_e64 s21, s2, 2
	v_mul_u32_u24_e32 v0, s19, v1
	s_mul_i32 s2, s23, s19
	s_mul_hi_u32 s24, s22, s19
	s_mul_i32 s27, s22, s19
	s_add_i32 s26, s24, s2
	v_lshl_add_u32 v0, v0, 2, 0
	s_delay_alu instid0(VALU_DEP_1)
	v_lshl_add_u32 v24, v2, 2, v0
	s_branch .LBB520_7
.LBB520_5:                              ;   in Loop: Header=BB520_7 Depth=2
	s_or_b32 exec_lo, exec_lo, s29
.LBB520_6:                              ;   in Loop: Header=BB520_7 Depth=2
	v_add_co_u32 v18, vcc_lo, v18, s20
	v_add_co_ci_u32_e32 v19, vcc_lo, 0, v19, vcc_lo
	v_add_co_u32 v16, vcc_lo, v16, s6
	v_add_co_ci_u32_e32 v17, vcc_lo, s7, v17, vcc_lo
	;; [unrolled: 2-line block ×3, first 2 shown]
	v_cmp_le_i64_e32 vcc_lo, s[16:17], v[18:19]
	v_add_co_u32 v12, s2, v12, s6
	s_delay_alu instid0(VALU_DEP_1) | instskip(SKIP_1) | instid1(SALU_CYCLE_1)
	v_add_co_ci_u32_e64 v13, s2, s7, v13, s2
	s_or_b32 s28, vcc_lo, s28
	s_and_not1_b32 exec_lo, exec_lo, s28
	s_cbranch_execz .LBB520_2
.LBB520_7:                              ;   Parent Loop BB520_3 Depth=1
                                        ; =>  This Loop Header: Depth=2
                                        ;       Child Loop BB520_12 Depth 3
                                        ;       Child Loop BB520_15 Depth 3
	;; [unrolled: 1-line block ×8, first 2 shown]
	s_and_b32 vcc_lo, exec_lo, s21
	s_mov_b32 s2, -1
	s_cbranch_vccz .LBB520_20
; %bb.8:                                ;   in Loop: Header=BB520_7 Depth=2
	v_mov_b32_e32 v25, 0xff7fffff
	s_and_saveexec_b32 s24, s1
	s_cbranch_execnz .LBB520_11
; %bb.9:                                ;   in Loop: Header=BB520_7 Depth=2
	s_or_b32 exec_lo, exec_lo, s24
	v_mov_b32_e32 v26, 0
	s_and_saveexec_b32 s24, s1
	s_cbranch_execnz .LBB520_14
.LBB520_10:                             ;   in Loop: Header=BB520_7 Depth=2
	s_or_b32 exec_lo, exec_lo, s24
	s_and_saveexec_b32 s29, s1
	s_cbranch_execnz .LBB520_17
	s_branch .LBB520_19
.LBB520_11:                             ;   in Loop: Header=BB520_7 Depth=2
	v_mov_b32_e32 v21, v17
	v_dual_mov_b32 v23, v3 :: v_dual_mov_b32 v22, v2
	v_dual_mov_b32 v25, 0xff7fffff :: v_dual_mov_b32 v20, v16
	s_mov_b32 s25, 0
.LBB520_12:                             ;   Parent Loop BB520_3 Depth=1
                                        ;     Parent Loop BB520_7 Depth=2
                                        ; =>    This Inner Loop Header: Depth=3
	global_load_u16 v26, v[20:21], off
	v_add_co_u32 v22, vcc_lo, v22, s19
	v_add_co_ci_u32_e32 v23, vcc_lo, 0, v23, vcc_lo
	v_add_co_u32 v20, vcc_lo, v20, s27
	v_add_co_ci_u32_e32 v21, vcc_lo, s26, v21, vcc_lo
	s_delay_alu instid0(VALU_DEP_3) | instskip(NEXT) | instid1(VALU_DEP_1)
	v_cmp_le_i64_e64 s2, s[10:11], v[22:23]
	s_or_b32 s25, s2, s25
	s_waitcnt vmcnt(0)
	v_lshlrev_b32_e32 v26, 16, v26
	s_delay_alu instid0(VALU_DEP_1)
	v_cmp_lt_f32_e32 vcc_lo, v25, v26
	v_cndmask_b32_e32 v25, v25, v26, vcc_lo
	s_and_not1_b32 exec_lo, exec_lo, s25
	s_cbranch_execnz .LBB520_12
; %bb.13:                               ;   in Loop: Header=BB520_7 Depth=2
	s_or_b32 exec_lo, exec_lo, s25
	s_delay_alu instid0(SALU_CYCLE_1)
	s_or_b32 exec_lo, exec_lo, s24
	v_mov_b32_e32 v26, 0
	s_and_saveexec_b32 s24, s1
	s_cbranch_execz .LBB520_10
.LBB520_14:                             ;   in Loop: Header=BB520_7 Depth=2
	v_dual_mov_b32 v26, 0 :: v_dual_mov_b32 v21, v17
	v_dual_mov_b32 v20, v16 :: v_dual_mov_b32 v23, v3
	v_mov_b32_e32 v22, v2
	s_mov_b32 s25, 0
	s_set_inst_prefetch_distance 0x1
	.p2align	6
.LBB520_15:                             ;   Parent Loop BB520_3 Depth=1
                                        ;     Parent Loop BB520_7 Depth=2
                                        ; =>    This Inner Loop Header: Depth=3
	global_load_u16 v27, v[20:21], off
	v_add_co_u32 v22, vcc_lo, v22, s19
	v_add_co_ci_u32_e32 v23, vcc_lo, 0, v23, vcc_lo
	s_delay_alu instid0(VALU_DEP_1) | instskip(SKIP_3) | instid1(VALU_DEP_1)
	v_cmp_le_i64_e32 vcc_lo, s[10:11], v[22:23]
	s_or_b32 s25, vcc_lo, s25
	s_waitcnt vmcnt(0)
	v_lshlrev_b32_e32 v27, 16, v27
	v_sub_f32_e32 v27, v27, v25
	s_delay_alu instid0(VALU_DEP_1) | instskip(SKIP_1) | instid1(VALU_DEP_2)
	v_mul_f32_e32 v28, 0x3fb8aa3b, v27
	v_cmp_ngt_f32_e64 s2, 0xc2ce8ed0, v27
	v_fma_f32 v29, 0x3fb8aa3b, v27, -v28
	v_rndne_f32_e32 v30, v28
	s_delay_alu instid0(VALU_DEP_1) | instskip(NEXT) | instid1(VALU_DEP_1)
	v_dual_fmac_f32 v29, 0x32a5705f, v27 :: v_dual_sub_f32 v28, v28, v30
	v_add_f32_e32 v28, v28, v29
	v_cvt_i32_f32_e32 v29, v30
	s_delay_alu instid0(VALU_DEP_2) | instskip(SKIP_2) | instid1(VALU_DEP_1)
	v_exp_f32_e32 v28, v28
	s_waitcnt_depctr 0xfff
	v_ldexp_f32 v28, v28, v29
	v_cndmask_b32_e64 v28, 0, v28, s2
	v_cmp_nlt_f32_e64 s2, 0x42b17218, v27
	s_delay_alu instid0(VALU_DEP_1) | instskip(SKIP_1) | instid1(VALU_DEP_1)
	v_cndmask_b32_e64 v27, 0x7f800000, v28, s2
	v_add_co_u32 v20, s2, v20, s27
	v_add_co_ci_u32_e64 v21, s2, s26, v21, s2
	s_delay_alu instid0(VALU_DEP_3)
	v_add_f32_e32 v26, v26, v27
	s_and_not1_b32 exec_lo, exec_lo, s25
	s_cbranch_execnz .LBB520_15
; %bb.16:                               ;   in Loop: Header=BB520_7 Depth=2
	s_set_inst_prefetch_distance 0x2
	s_or_b32 exec_lo, exec_lo, s25
	s_delay_alu instid0(SALU_CYCLE_1)
	s_or_b32 exec_lo, exec_lo, s24
	s_and_saveexec_b32 s29, s1
	s_cbranch_execz .LBB520_19
.LBB520_17:                             ;   in Loop: Header=BB520_7 Depth=2
	v_dual_mov_b32 v21, v3 :: v_dual_mov_b32 v20, v2
	s_mov_b64 s[24:25], 0
	s_mov_b32 s30, 0
.LBB520_18:                             ;   Parent Loop BB520_3 Depth=1
                                        ;     Parent Loop BB520_7 Depth=2
                                        ; =>    This Inner Loop Header: Depth=3
	v_add_co_u32 v22, vcc_lo, v14, s24
	v_add_co_ci_u32_e32 v23, vcc_lo, s25, v15, vcc_lo
	global_load_u16 v22, v[22:23], off
	s_waitcnt vmcnt(0)
	v_lshlrev_b32_e32 v22, 16, v22
	s_delay_alu instid0(VALU_DEP_1) | instskip(NEXT) | instid1(VALU_DEP_1)
	v_sub_f32_e32 v22, v22, v25
	v_mul_f32_e32 v23, 0x3fb8aa3b, v22
	s_delay_alu instid0(VALU_DEP_1) | instskip(SKIP_1) | instid1(VALU_DEP_2)
	v_fma_f32 v27, 0x3fb8aa3b, v22, -v23
	v_rndne_f32_e32 v28, v23
	v_fmac_f32_e32 v27, 0x32a5705f, v22
	s_delay_alu instid0(VALU_DEP_2) | instskip(NEXT) | instid1(VALU_DEP_1)
	v_sub_f32_e32 v23, v23, v28
	v_add_f32_e32 v23, v23, v27
	v_cvt_i32_f32_e32 v27, v28
	v_cmp_ngt_f32_e32 vcc_lo, 0xc2ce8ed0, v22
	s_delay_alu instid0(VALU_DEP_3) | instskip(SKIP_2) | instid1(VALU_DEP_1)
	v_exp_f32_e32 v23, v23
	s_waitcnt_depctr 0xfff
	v_ldexp_f32 v23, v23, v27
	v_cndmask_b32_e32 v23, 0, v23, vcc_lo
	v_cmp_nlt_f32_e32 vcc_lo, 0x42b17218, v22
	s_delay_alu instid0(VALU_DEP_2) | instskip(NEXT) | instid1(VALU_DEP_1)
	v_cndmask_b32_e32 v22, 0x7f800000, v23, vcc_lo
	v_div_scale_f32 v23, null, v26, v26, v22
	v_div_scale_f32 v29, vcc_lo, v22, v26, v22
	s_delay_alu instid0(VALU_DEP_2) | instskip(SKIP_2) | instid1(VALU_DEP_1)
	v_rcp_f32_e32 v27, v23
	s_waitcnt_depctr 0xfff
	v_fma_f32 v28, -v23, v27, 1.0
	v_fmac_f32_e32 v27, v28, v27
	s_delay_alu instid0(VALU_DEP_1) | instskip(NEXT) | instid1(VALU_DEP_1)
	v_mul_f32_e32 v28, v29, v27
	v_fma_f32 v30, -v23, v28, v29
	s_delay_alu instid0(VALU_DEP_1) | instskip(NEXT) | instid1(VALU_DEP_1)
	v_fmac_f32_e32 v28, v30, v27
	v_fma_f32 v23, -v23, v28, v29
	s_delay_alu instid0(VALU_DEP_1) | instskip(SKIP_2) | instid1(VALU_DEP_3)
	v_div_fmas_f32 v23, v23, v27, v28
	v_add_co_u32 v20, vcc_lo, v20, s19
	v_add_co_ci_u32_e32 v21, vcc_lo, 0, v21, vcc_lo
	v_div_fixup_f32 v27, v23, v26, v22
	s_delay_alu instid0(VALU_DEP_2) | instskip(NEXT) | instid1(VALU_DEP_2)
	v_cmp_le_i64_e64 s2, s[10:11], v[20:21]
	v_bfe_u32 v22, v27, 16, 1
	s_delay_alu instid0(VALU_DEP_1) | instskip(SKIP_2) | instid1(VALU_DEP_2)
	v_add3_u32 v23, v27, v22, 0x7fff
	v_add_co_u32 v22, vcc_lo, v12, s24
	s_add_u32 s24, s24, s27
	v_lshrrev_b32_e32 v28, 16, v23
	v_add_co_ci_u32_e32 v23, vcc_lo, s25, v13, vcc_lo
	v_cmp_o_f32_e32 vcc_lo, v27, v27
	s_addc_u32 s25, s25, s26
	s_or_b32 s30, s2, s30
	v_cndmask_b32_e32 v27, 0x7fc0, v28, vcc_lo
	global_store_b16 v[22:23], v27, off
	s_and_not1_b32 exec_lo, exec_lo, s30
	s_cbranch_execnz .LBB520_18
.LBB520_19:                             ;   in Loop: Header=BB520_7 Depth=2
	s_or_b32 exec_lo, exec_lo, s29
	s_mov_b32 s2, 0
.LBB520_20:                             ;   in Loop: Header=BB520_7 Depth=2
	s_delay_alu instid0(SALU_CYCLE_1)
	s_and_b32 vcc_lo, exec_lo, s2
	s_cbranch_vccz .LBB520_6
; %bb.21:                               ;   in Loop: Header=BB520_7 Depth=2
	v_mov_b32_e32 v25, 0xff7fffff
	s_and_saveexec_b32 s24, s1
	s_cbranch_execz .LBB520_25
; %bb.22:                               ;   in Loop: Header=BB520_7 Depth=2
	v_mov_b32_e32 v21, v17
	v_dual_mov_b32 v23, v3 :: v_dual_mov_b32 v22, v2
	v_dual_mov_b32 v25, 0xff7fffff :: v_dual_mov_b32 v20, v16
	s_mov_b32 s25, 0
.LBB520_23:                             ;   Parent Loop BB520_3 Depth=1
                                        ;     Parent Loop BB520_7 Depth=2
                                        ; =>    This Inner Loop Header: Depth=3
	global_load_u16 v26, v[20:21], off
	v_add_co_u32 v22, vcc_lo, v22, s19
	v_add_co_ci_u32_e32 v23, vcc_lo, 0, v23, vcc_lo
	v_add_co_u32 v20, vcc_lo, v20, s27
	v_add_co_ci_u32_e32 v21, vcc_lo, s26, v21, vcc_lo
	s_delay_alu instid0(VALU_DEP_3) | instskip(NEXT) | instid1(VALU_DEP_1)
	v_cmp_le_i64_e64 s2, s[10:11], v[22:23]
	s_or_b32 s25, s2, s25
	s_waitcnt vmcnt(0)
	v_lshlrev_b32_e32 v26, 16, v26
	s_delay_alu instid0(VALU_DEP_1)
	v_cmp_lt_f32_e32 vcc_lo, v25, v26
	v_cndmask_b32_e32 v25, v25, v26, vcc_lo
	s_and_not1_b32 exec_lo, exec_lo, s25
	s_cbranch_execnz .LBB520_23
; %bb.24:                               ;   in Loop: Header=BB520_7 Depth=2
	s_or_b32 exec_lo, exec_lo, s25
.LBB520_25:                             ;   in Loop: Header=BB520_7 Depth=2
	s_delay_alu instid0(SALU_CYCLE_1)
	s_or_b32 exec_lo, exec_lo, s24
	s_mov_b32 s2, s19
	s_waitcnt_vscnt null, 0x0
	s_barrier
	buffer_gl0_inv
	ds_store_b32 v24, v25
	s_branch .LBB520_27
	.p2align	6
.LBB520_26:                             ;   in Loop: Header=BB520_27 Depth=3
	s_or_b32 exec_lo, exec_lo, s25
	s_cmp_gt_u32 s2, 3
	s_mov_b32 s2, s24
	s_cbranch_scc0 .LBB520_29
.LBB520_27:                             ;   Parent Loop BB520_3 Depth=1
                                        ;     Parent Loop BB520_7 Depth=2
                                        ; =>    This Inner Loop Header: Depth=3
	s_lshr_b32 s24, s2, 1
	s_mov_b32 s25, exec_lo
	s_waitcnt lgkmcnt(0)
	s_barrier
	buffer_gl0_inv
	v_cmpx_gt_u32_e64 s24, v2
	s_cbranch_execz .LBB520_26
; %bb.28:                               ;   in Loop: Header=BB520_27 Depth=3
	v_lshl_add_u32 v20, s24, 2, v24
	ds_load_b32 v21, v24
	ds_load_b32 v20, v20
	s_waitcnt lgkmcnt(0)
	v_cmp_lt_f32_e32 vcc_lo, v21, v20
	v_cndmask_b32_e32 v20, v21, v20, vcc_lo
	ds_store_b32 v24, v20
	s_branch .LBB520_26
.LBB520_29:                             ;   in Loop: Header=BB520_7 Depth=2
	s_waitcnt lgkmcnt(0)
	s_barrier
	buffer_gl0_inv
	ds_load_b32 v25, v0
	v_mov_b32_e32 v26, 0
	s_and_saveexec_b32 s24, s1
	s_cbranch_execz .LBB520_33
; %bb.30:                               ;   in Loop: Header=BB520_7 Depth=2
	v_dual_mov_b32 v26, 0 :: v_dual_mov_b32 v21, v17
	v_dual_mov_b32 v20, v16 :: v_dual_mov_b32 v23, v3
	v_mov_b32_e32 v22, v2
	s_mov_b32 s25, 0
	s_set_inst_prefetch_distance 0x1
	.p2align	6
.LBB520_31:                             ;   Parent Loop BB520_3 Depth=1
                                        ;     Parent Loop BB520_7 Depth=2
                                        ; =>    This Inner Loop Header: Depth=3
	global_load_u16 v27, v[20:21], off
	v_add_co_u32 v22, vcc_lo, v22, s19
	v_add_co_ci_u32_e32 v23, vcc_lo, 0, v23, vcc_lo
	s_delay_alu instid0(VALU_DEP_1) | instskip(SKIP_4) | instid1(VALU_DEP_1)
	v_cmp_le_i64_e32 vcc_lo, s[10:11], v[22:23]
	s_or_b32 s25, vcc_lo, s25
	s_waitcnt vmcnt(0)
	v_lshlrev_b32_e32 v27, 16, v27
	s_waitcnt lgkmcnt(0)
	v_sub_f32_e32 v27, v27, v25
	s_delay_alu instid0(VALU_DEP_1) | instskip(SKIP_1) | instid1(VALU_DEP_2)
	v_mul_f32_e32 v28, 0x3fb8aa3b, v27
	v_cmp_ngt_f32_e64 s2, 0xc2ce8ed0, v27
	v_fma_f32 v29, 0x3fb8aa3b, v27, -v28
	v_rndne_f32_e32 v30, v28
	s_delay_alu instid0(VALU_DEP_1) | instskip(NEXT) | instid1(VALU_DEP_1)
	v_dual_fmac_f32 v29, 0x32a5705f, v27 :: v_dual_sub_f32 v28, v28, v30
	v_add_f32_e32 v28, v28, v29
	v_cvt_i32_f32_e32 v29, v30
	s_delay_alu instid0(VALU_DEP_2) | instskip(SKIP_2) | instid1(VALU_DEP_1)
	v_exp_f32_e32 v28, v28
	s_waitcnt_depctr 0xfff
	v_ldexp_f32 v28, v28, v29
	v_cndmask_b32_e64 v28, 0, v28, s2
	v_cmp_nlt_f32_e64 s2, 0x42b17218, v27
	s_delay_alu instid0(VALU_DEP_1) | instskip(SKIP_1) | instid1(VALU_DEP_1)
	v_cndmask_b32_e64 v27, 0x7f800000, v28, s2
	v_add_co_u32 v20, s2, v20, s27
	v_add_co_ci_u32_e64 v21, s2, s26, v21, s2
	s_delay_alu instid0(VALU_DEP_3)
	v_add_f32_e32 v26, v26, v27
	s_and_not1_b32 exec_lo, exec_lo, s25
	s_cbranch_execnz .LBB520_31
; %bb.32:                               ;   in Loop: Header=BB520_7 Depth=2
	s_set_inst_prefetch_distance 0x2
	s_or_b32 exec_lo, exec_lo, s25
.LBB520_33:                             ;   in Loop: Header=BB520_7 Depth=2
	s_delay_alu instid0(SALU_CYCLE_1)
	s_or_b32 exec_lo, exec_lo, s24
	s_mov_b32 s2, s19
	s_waitcnt lgkmcnt(0)
	s_barrier
	buffer_gl0_inv
	ds_store_b32 v24, v26
	s_branch .LBB520_35
	.p2align	6
.LBB520_34:                             ;   in Loop: Header=BB520_35 Depth=3
	s_or_b32 exec_lo, exec_lo, s25
	s_cmp_gt_u32 s2, 3
	s_mov_b32 s2, s24
	s_cbranch_scc0 .LBB520_37
.LBB520_35:                             ;   Parent Loop BB520_3 Depth=1
                                        ;     Parent Loop BB520_7 Depth=2
                                        ; =>    This Inner Loop Header: Depth=3
	s_lshr_b32 s24, s2, 1
	s_mov_b32 s25, exec_lo
	s_waitcnt lgkmcnt(0)
	s_barrier
	buffer_gl0_inv
	v_cmpx_gt_u32_e64 s24, v2
	s_cbranch_execz .LBB520_34
; %bb.36:                               ;   in Loop: Header=BB520_35 Depth=3
	v_lshl_add_u32 v20, s24, 2, v24
	ds_load_b32 v21, v24
	ds_load_b32 v20, v20
	s_waitcnt lgkmcnt(0)
	v_add_f32_e32 v20, v21, v20
	ds_store_b32 v24, v20
	s_branch .LBB520_34
.LBB520_37:                             ;   in Loop: Header=BB520_7 Depth=2
	s_waitcnt lgkmcnt(0)
	s_barrier
	buffer_gl0_inv
	s_and_saveexec_b32 s29, s1
	s_cbranch_execz .LBB520_5
; %bb.38:                               ;   in Loop: Header=BB520_7 Depth=2
	ds_load_b32 v22, v0
	v_dual_mov_b32 v21, v3 :: v_dual_mov_b32 v20, v2
	s_mov_b64 s[24:25], 0
	s_mov_b32 s30, 0
.LBB520_39:                             ;   Parent Loop BB520_3 Depth=1
                                        ;     Parent Loop BB520_7 Depth=2
                                        ; =>    This Inner Loop Header: Depth=3
	v_add_co_u32 v26, vcc_lo, v14, s24
	v_add_co_ci_u32_e32 v27, vcc_lo, s25, v15, vcc_lo
	global_load_u16 v23, v[26:27], off
	s_waitcnt vmcnt(0)
	v_lshlrev_b32_e32 v23, 16, v23
	s_delay_alu instid0(VALU_DEP_1) | instskip(NEXT) | instid1(VALU_DEP_1)
	v_sub_f32_e32 v23, v23, v25
	v_mul_f32_e32 v26, 0x3fb8aa3b, v23
	s_delay_alu instid0(VALU_DEP_1) | instskip(SKIP_1) | instid1(VALU_DEP_1)
	v_fma_f32 v27, 0x3fb8aa3b, v23, -v26
	v_rndne_f32_e32 v28, v26
	v_dual_fmac_f32 v27, 0x32a5705f, v23 :: v_dual_sub_f32 v26, v26, v28
	s_delay_alu instid0(VALU_DEP_1) | instskip(SKIP_2) | instid1(VALU_DEP_3)
	v_add_f32_e32 v26, v26, v27
	v_cvt_i32_f32_e32 v27, v28
	v_cmp_ngt_f32_e32 vcc_lo, 0xc2ce8ed0, v23
	v_exp_f32_e32 v26, v26
	s_waitcnt_depctr 0xfff
	v_ldexp_f32 v26, v26, v27
	s_delay_alu instid0(VALU_DEP_1) | instskip(SKIP_1) | instid1(VALU_DEP_2)
	v_cndmask_b32_e32 v26, 0, v26, vcc_lo
	v_cmp_nlt_f32_e32 vcc_lo, 0x42b17218, v23
	v_cndmask_b32_e32 v23, 0x7f800000, v26, vcc_lo
	s_waitcnt lgkmcnt(0)
	s_delay_alu instid0(VALU_DEP_1) | instskip(SKIP_1) | instid1(VALU_DEP_2)
	v_div_scale_f32 v26, null, v22, v22, v23
	v_div_scale_f32 v29, vcc_lo, v23, v22, v23
	v_rcp_f32_e32 v27, v26
	s_waitcnt_depctr 0xfff
	v_fma_f32 v28, -v26, v27, 1.0
	s_delay_alu instid0(VALU_DEP_1) | instskip(NEXT) | instid1(VALU_DEP_1)
	v_fmac_f32_e32 v27, v28, v27
	v_mul_f32_e32 v28, v29, v27
	s_delay_alu instid0(VALU_DEP_1) | instskip(NEXT) | instid1(VALU_DEP_1)
	v_fma_f32 v30, -v26, v28, v29
	v_fmac_f32_e32 v28, v30, v27
	s_delay_alu instid0(VALU_DEP_1) | instskip(NEXT) | instid1(VALU_DEP_1)
	v_fma_f32 v26, -v26, v28, v29
	v_div_fmas_f32 v26, v26, v27, v28
	v_add_co_u32 v20, vcc_lo, v20, s19
	v_add_co_ci_u32_e32 v21, vcc_lo, 0, v21, vcc_lo
	s_delay_alu instid0(VALU_DEP_3) | instskip(NEXT) | instid1(VALU_DEP_2)
	v_div_fixup_f32 v23, v26, v22, v23
	v_cmp_le_i64_e64 s2, s[10:11], v[20:21]
	s_delay_alu instid0(VALU_DEP_2) | instskip(NEXT) | instid1(VALU_DEP_1)
	v_bfe_u32 v26, v23, 16, 1
	v_add3_u32 v27, v23, v26, 0x7fff
	v_add_co_u32 v26, vcc_lo, v12, s24
	s_add_u32 s24, s24, s27
	s_delay_alu instid0(VALU_DEP_2)
	v_lshrrev_b32_e32 v28, 16, v27
	v_add_co_ci_u32_e32 v27, vcc_lo, s25, v13, vcc_lo
	v_cmp_o_f32_e32 vcc_lo, v23, v23
	s_addc_u32 s25, s25, s26
	s_or_b32 s30, s2, s30
	v_cndmask_b32_e32 v23, 0x7fc0, v28, vcc_lo
	global_store_b16 v[26:27], v23, off
	s_and_not1_b32 exec_lo, exec_lo, s30
	s_cbranch_execnz .LBB520_39
	s_branch .LBB520_5
.LBB520_40:
	s_nop 0
	s_sendmsg sendmsg(MSG_DEALLOC_VGPRS)
	s_endpgm
	.section	.rodata,"a",@progbits
	.p2align	6, 0x0
	.amdhsa_kernel _ZN2at6native12_GLOBAL__N_126cunn_SpatialSoftMaxForwardIN3c108BFloat16EfS4_lNS1_22SoftMaxForwardEpilogueEEEvPT1_PKT_T2_SB_SB_
		.amdhsa_group_segment_fixed_size 0
		.amdhsa_private_segment_fixed_size 0
		.amdhsa_kernarg_size 296
		.amdhsa_user_sgpr_count 14
		.amdhsa_user_sgpr_dispatch_ptr 0
		.amdhsa_user_sgpr_queue_ptr 0
		.amdhsa_user_sgpr_kernarg_segment_ptr 1
		.amdhsa_user_sgpr_dispatch_id 0
		.amdhsa_user_sgpr_private_segment_size 0
		.amdhsa_wavefront_size32 1
		.amdhsa_uses_dynamic_stack 0
		.amdhsa_enable_private_segment 0
		.amdhsa_system_sgpr_workgroup_id_x 1
		.amdhsa_system_sgpr_workgroup_id_y 1
		.amdhsa_system_sgpr_workgroup_id_z 0
		.amdhsa_system_sgpr_workgroup_info 0
		.amdhsa_system_vgpr_workitem_id 1
		.amdhsa_next_free_vgpr 31
		.amdhsa_next_free_sgpr 31
		.amdhsa_reserve_vcc 1
		.amdhsa_float_round_mode_32 0
		.amdhsa_float_round_mode_16_64 0
		.amdhsa_float_denorm_mode_32 3
		.amdhsa_float_denorm_mode_16_64 3
		.amdhsa_dx10_clamp 1
		.amdhsa_ieee_mode 1
		.amdhsa_fp16_overflow 0
		.amdhsa_workgroup_processor_mode 1
		.amdhsa_memory_ordered 1
		.amdhsa_forward_progress 0
		.amdhsa_shared_vgpr_count 0
		.amdhsa_exception_fp_ieee_invalid_op 0
		.amdhsa_exception_fp_denorm_src 0
		.amdhsa_exception_fp_ieee_div_zero 0
		.amdhsa_exception_fp_ieee_overflow 0
		.amdhsa_exception_fp_ieee_underflow 0
		.amdhsa_exception_fp_ieee_inexact 0
		.amdhsa_exception_int_div_zero 0
	.end_amdhsa_kernel
	.section	.text._ZN2at6native12_GLOBAL__N_126cunn_SpatialSoftMaxForwardIN3c108BFloat16EfS4_lNS1_22SoftMaxForwardEpilogueEEEvPT1_PKT_T2_SB_SB_,"axG",@progbits,_ZN2at6native12_GLOBAL__N_126cunn_SpatialSoftMaxForwardIN3c108BFloat16EfS4_lNS1_22SoftMaxForwardEpilogueEEEvPT1_PKT_T2_SB_SB_,comdat
.Lfunc_end520:
	.size	_ZN2at6native12_GLOBAL__N_126cunn_SpatialSoftMaxForwardIN3c108BFloat16EfS4_lNS1_22SoftMaxForwardEpilogueEEEvPT1_PKT_T2_SB_SB_, .Lfunc_end520-_ZN2at6native12_GLOBAL__N_126cunn_SpatialSoftMaxForwardIN3c108BFloat16EfS4_lNS1_22SoftMaxForwardEpilogueEEEvPT1_PKT_T2_SB_SB_
                                        ; -- End function
	.section	.AMDGPU.csdata,"",@progbits
; Kernel info:
; codeLenInByte = 2540
; NumSgprs: 33
; NumVgprs: 31
; ScratchSize: 0
; MemoryBound: 0
; FloatMode: 240
; IeeeMode: 1
; LDSByteSize: 0 bytes/workgroup (compile time only)
; SGPRBlocks: 4
; VGPRBlocks: 3
; NumSGPRsForWavesPerEU: 33
; NumVGPRsForWavesPerEU: 31
; Occupancy: 16
; WaveLimiterHint : 0
; COMPUTE_PGM_RSRC2:SCRATCH_EN: 0
; COMPUTE_PGM_RSRC2:USER_SGPR: 14
; COMPUTE_PGM_RSRC2:TRAP_HANDLER: 0
; COMPUTE_PGM_RSRC2:TGID_X_EN: 1
; COMPUTE_PGM_RSRC2:TGID_Y_EN: 1
; COMPUTE_PGM_RSRC2:TGID_Z_EN: 0
; COMPUTE_PGM_RSRC2:TIDIG_COMP_CNT: 1
	.section	.text._ZN2at6native12_GLOBAL__N_126cunn_SpatialSoftMaxForwardIN3c108BFloat16EfflNS1_22SoftMaxForwardEpilogueEEEvPT1_PKT_T2_SB_SB_,"axG",@progbits,_ZN2at6native12_GLOBAL__N_126cunn_SpatialSoftMaxForwardIN3c108BFloat16EfflNS1_22SoftMaxForwardEpilogueEEEvPT1_PKT_T2_SB_SB_,comdat
	.globl	_ZN2at6native12_GLOBAL__N_126cunn_SpatialSoftMaxForwardIN3c108BFloat16EfflNS1_22SoftMaxForwardEpilogueEEEvPT1_PKT_T2_SB_SB_ ; -- Begin function _ZN2at6native12_GLOBAL__N_126cunn_SpatialSoftMaxForwardIN3c108BFloat16EfflNS1_22SoftMaxForwardEpilogueEEEvPT1_PKT_T2_SB_SB_
	.p2align	8
	.type	_ZN2at6native12_GLOBAL__N_126cunn_SpatialSoftMaxForwardIN3c108BFloat16EfflNS1_22SoftMaxForwardEpilogueEEEvPT1_PKT_T2_SB_SB_,@function
_ZN2at6native12_GLOBAL__N_126cunn_SpatialSoftMaxForwardIN3c108BFloat16EfflNS1_22SoftMaxForwardEpilogueEEEvPT1_PKT_T2_SB_SB_: ; @_ZN2at6native12_GLOBAL__N_126cunn_SpatialSoftMaxForwardIN3c108BFloat16EfflNS1_22SoftMaxForwardEpilogueEEEvPT1_PKT_T2_SB_SB_
; %bb.0:
	s_load_b256 s[4:11], s[0:1], 0x0
	s_mov_b32 s2, s15
	s_mov_b32 s15, 0
	s_waitcnt lgkmcnt(0)
	v_cmp_ge_i64_e64 s3, s[14:15], s[8:9]
	s_delay_alu instid0(VALU_DEP_1)
	s_and_b32 vcc_lo, exec_lo, s3
	s_cbranch_vccnz .LBB521_40
; %bb.1:
	s_clause 0x1
	s_load_b32 s3, s[0:1], 0x34
	s_load_b128 s[16:19], s[0:1], 0x20
	v_bfe_u32 v1, v0, 10, 10
	v_and_b32_e32 v2, 0x3ff, v0
	s_add_u32 s12, s0, 40
	s_addc_u32 s13, s1, 0
	s_mov_b32 s21, s15
	s_waitcnt lgkmcnt(0)
	s_lshr_b32 s0, s3, 16
	s_mul_i32 s24, s16, s10
	v_mad_u64_u32 v[4:5], null, s2, s0, v[1:2]
	v_mov_b32_e32 v5, 0
	v_mad_u64_u32 v[6:7], null, s16, v2, 0
	s_mul_i32 s1, s16, s11
	s_mul_hi_u32 s2, s16, s10
	s_delay_alu instid0(VALU_DEP_2) | instskip(NEXT) | instid1(VALU_DEP_4)
	v_mov_b32_e32 v3, v5
	v_mad_u64_u32 v[8:9], null, s24, s14, v[4:5]
	s_mul_i32 s3, s17, s10
	s_delay_alu instid0(VALU_DEP_3) | instskip(NEXT) | instid1(VALU_DEP_3)
	v_mov_b32_e32 v0, v7
	v_mad_u64_u32 v[10:11], null, s10, s14, v[2:3]
	s_mul_i32 s20, s19, s0
	s_add_i32 s0, s2, s1
	s_delay_alu instid0(VALU_DEP_3) | instskip(SKIP_2) | instid1(VALU_DEP_3)
	v_mov_b32_e32 v7, v9
	v_mad_u64_u32 v[12:13], null, s17, v2, v[0:1]
	s_add_i32 s0, s0, s3
	v_mov_b32_e32 v0, v11
	s_delay_alu instid0(VALU_DEP_3) | instskip(SKIP_2) | instid1(VALU_DEP_2)
	v_mad_u64_u32 v[13:14], null, s0, s14, v[7:8]
	s_mul_hi_u32 s1, s24, s18
	s_mul_i32 s0, s0, s18
	v_mad_u64_u32 v[14:15], null, s11, s14, v[0:1]
	s_delay_alu instid0(VALU_DEP_4) | instskip(SKIP_3) | instid1(VALU_DEP_4)
	v_mov_b32_e32 v7, v12
	v_mad_u64_u32 v[11:12], null, s16, v10, v[4:5]
	v_mul_lo_u32 v0, s17, v10
	v_mov_b32_e32 v9, v13
	v_lshlrev_b64 v[6:7], 1, v[6:7]
	v_mul_lo_u32 v10, s16, v14
	s_add_i32 s3, s1, s0
	v_cmp_gt_i64_e64 s0, s[16:17], v[4:5]
	v_lshlrev_b64 v[8:9], 1, v[8:9]
	v_cmp_gt_i64_e64 s1, s[10:11], v[2:3]
	s_mul_i32 s2, s24, s18
	s_lshl_b64 s[22:23], s[16:17], 1
	s_lshl_b64 s[24:25], s[20:21], 1
	v_add3_u32 v12, v0, v12, v10
	v_add_co_u32 v0, vcc_lo, v6, v8
	v_add_co_ci_u32_e32 v7, vcc_lo, v7, v9, vcc_lo
	s_delay_alu instid0(VALU_DEP_3) | instskip(NEXT) | instid1(VALU_DEP_3)
	v_lshlrev_b64 v[8:9], 1, v[11:12]
	v_add_co_u32 v6, vcc_lo, s6, v0
	v_lshlrev_b64 v[10:11], 2, v[11:12]
	s_delay_alu instid0(VALU_DEP_4) | instskip(NEXT) | instid1(VALU_DEP_4)
	v_add_co_ci_u32_e32 v7, vcc_lo, s7, v7, vcc_lo
	v_add_co_u32 v8, vcc_lo, s6, v8
	v_add_co_ci_u32_e32 v9, vcc_lo, s7, v9, vcc_lo
	s_delay_alu instid0(VALU_DEP_4)
	v_add_co_u32 v10, vcc_lo, s4, v10
	v_add_co_ci_u32_e32 v11, vcc_lo, s5, v11, vcc_lo
	s_lshl_b64 s[26:27], s[2:3], 1
	s_lshl_b64 s[4:5], s[2:3], 2
	;; [unrolled: 1-line block ×4, first 2 shown]
	s_branch .LBB521_3
.LBB521_2:                              ;   in Loop: Header=BB521_3 Depth=1
	s_or_b32 exec_lo, exec_lo, s3
	v_add_co_u32 v6, vcc_lo, v6, s26
	s_add_u32 s14, s14, s18
	v_add_co_ci_u32_e32 v7, vcc_lo, s27, v7, vcc_lo
	s_addc_u32 s15, s15, 0
	v_add_co_u32 v8, vcc_lo, v8, s26
	v_cmp_ge_i64_e64 s2, s[14:15], s[8:9]
	v_add_co_ci_u32_e32 v9, vcc_lo, s27, v9, vcc_lo
	v_add_co_u32 v10, vcc_lo, v10, s4
	v_add_co_ci_u32_e32 v11, vcc_lo, s5, v11, vcc_lo
	s_delay_alu instid0(VALU_DEP_4)
	s_and_b32 vcc_lo, exec_lo, s2
	s_cbranch_vccnz .LBB521_40
.LBB521_3:                              ; =>This Loop Header: Depth=1
                                        ;     Child Loop BB521_7 Depth 2
                                        ;       Child Loop BB521_12 Depth 3
                                        ;       Child Loop BB521_15 Depth 3
	;; [unrolled: 1-line block ×8, first 2 shown]
	s_and_saveexec_b32 s3, s0
	s_cbranch_execz .LBB521_2
; %bb.4:                                ;   in Loop: Header=BB521_3 Depth=1
	s_load_b32 s2, s[12:13], 0xc
	v_dual_mov_b32 v13, v11 :: v_dual_mov_b32 v12, v10
	v_dual_mov_b32 v15, v9 :: v_dual_mov_b32 v14, v8
	;; [unrolled: 1-line block ×4, first 2 shown]
	s_mov_b32 s35, 0
	s_waitcnt lgkmcnt(0)
	s_and_b32 s19, s2, 0xffff
	v_cmp_lt_u16_e64 s21, s2, 2
	v_mul_u32_u24_e32 v0, s19, v1
	s_mul_i32 s2, s23, s19
	s_mul_hi_u32 s31, s22, s19
	s_mul_i32 s33, s29, s19
	s_mul_hi_u32 s34, s28, s19
	v_lshl_add_u32 v0, v0, 2, 0
	s_mul_i32 s30, s22, s19
	s_add_i32 s31, s31, s2
	s_add_i32 s33, s34, s33
	s_mul_i32 s34, s28, s19
	v_lshl_add_u32 v26, v2, 2, v0
	s_branch .LBB521_7
.LBB521_5:                              ;   in Loop: Header=BB521_7 Depth=2
	s_or_b32 exec_lo, exec_lo, s36
.LBB521_6:                              ;   in Loop: Header=BB521_7 Depth=2
	v_add_co_u32 v18, vcc_lo, v18, s20
	v_add_co_ci_u32_e32 v19, vcc_lo, 0, v19, vcc_lo
	v_add_co_u32 v16, vcc_lo, v16, s24
	v_add_co_ci_u32_e32 v17, vcc_lo, s25, v17, vcc_lo
	;; [unrolled: 2-line block ×3, first 2 shown]
	v_cmp_le_i64_e32 vcc_lo, s[16:17], v[18:19]
	v_add_co_u32 v12, s2, v12, s6
	s_delay_alu instid0(VALU_DEP_1) | instskip(SKIP_1) | instid1(SALU_CYCLE_1)
	v_add_co_ci_u32_e64 v13, s2, s7, v13, s2
	s_or_b32 s35, vcc_lo, s35
	s_and_not1_b32 exec_lo, exec_lo, s35
	s_cbranch_execz .LBB521_2
.LBB521_7:                              ;   Parent Loop BB521_3 Depth=1
                                        ; =>  This Loop Header: Depth=2
                                        ;       Child Loop BB521_12 Depth 3
                                        ;       Child Loop BB521_15 Depth 3
	;; [unrolled: 1-line block ×8, first 2 shown]
	s_and_b32 vcc_lo, exec_lo, s21
	s_mov_b32 s2, -1
	s_cbranch_vccz .LBB521_20
; %bb.8:                                ;   in Loop: Header=BB521_7 Depth=2
	v_mov_b32_e32 v27, 0xff7fffff
	s_and_saveexec_b32 s36, s1
	s_cbranch_execnz .LBB521_11
; %bb.9:                                ;   in Loop: Header=BB521_7 Depth=2
	s_or_b32 exec_lo, exec_lo, s36
	v_mov_b32_e32 v28, 0
	s_and_saveexec_b32 s36, s1
	s_cbranch_execnz .LBB521_14
.LBB521_10:                             ;   in Loop: Header=BB521_7 Depth=2
	s_or_b32 exec_lo, exec_lo, s36
	s_and_saveexec_b32 s36, s1
	s_cbranch_execnz .LBB521_17
	s_branch .LBB521_19
.LBB521_11:                             ;   in Loop: Header=BB521_7 Depth=2
	v_mov_b32_e32 v21, v17
	v_dual_mov_b32 v23, v3 :: v_dual_mov_b32 v22, v2
	v_dual_mov_b32 v27, 0xff7fffff :: v_dual_mov_b32 v20, v16
	s_mov_b32 s37, 0
.LBB521_12:                             ;   Parent Loop BB521_3 Depth=1
                                        ;     Parent Loop BB521_7 Depth=2
                                        ; =>    This Inner Loop Header: Depth=3
	global_load_u16 v24, v[20:21], off
	v_add_co_u32 v22, vcc_lo, v22, s19
	v_add_co_ci_u32_e32 v23, vcc_lo, 0, v23, vcc_lo
	v_add_co_u32 v20, vcc_lo, v20, s30
	v_add_co_ci_u32_e32 v21, vcc_lo, s31, v21, vcc_lo
	s_delay_alu instid0(VALU_DEP_3) | instskip(NEXT) | instid1(VALU_DEP_1)
	v_cmp_le_i64_e64 s2, s[10:11], v[22:23]
	s_or_b32 s37, s2, s37
	s_waitcnt vmcnt(0)
	v_lshlrev_b32_e32 v24, 16, v24
	s_delay_alu instid0(VALU_DEP_1)
	v_cmp_lt_f32_e32 vcc_lo, v27, v24
	v_cndmask_b32_e32 v27, v27, v24, vcc_lo
	s_and_not1_b32 exec_lo, exec_lo, s37
	s_cbranch_execnz .LBB521_12
; %bb.13:                               ;   in Loop: Header=BB521_7 Depth=2
	s_or_b32 exec_lo, exec_lo, s37
	s_delay_alu instid0(SALU_CYCLE_1)
	s_or_b32 exec_lo, exec_lo, s36
	v_mov_b32_e32 v28, 0
	s_and_saveexec_b32 s36, s1
	s_cbranch_execz .LBB521_10
.LBB521_14:                             ;   in Loop: Header=BB521_7 Depth=2
	v_dual_mov_b32 v28, 0 :: v_dual_mov_b32 v21, v17
	v_dual_mov_b32 v20, v16 :: v_dual_mov_b32 v23, v3
	v_mov_b32_e32 v22, v2
	s_mov_b32 s37, 0
	s_set_inst_prefetch_distance 0x1
	.p2align	6
.LBB521_15:                             ;   Parent Loop BB521_3 Depth=1
                                        ;     Parent Loop BB521_7 Depth=2
                                        ; =>    This Inner Loop Header: Depth=3
	global_load_u16 v24, v[20:21], off
	v_add_co_u32 v22, vcc_lo, v22, s19
	v_add_co_ci_u32_e32 v23, vcc_lo, 0, v23, vcc_lo
	s_delay_alu instid0(VALU_DEP_1) | instskip(SKIP_3) | instid1(VALU_DEP_1)
	v_cmp_le_i64_e32 vcc_lo, s[10:11], v[22:23]
	s_or_b32 s37, vcc_lo, s37
	s_waitcnt vmcnt(0)
	v_lshlrev_b32_e32 v24, 16, v24
	v_sub_f32_e32 v24, v24, v27
	s_delay_alu instid0(VALU_DEP_1) | instskip(NEXT) | instid1(VALU_DEP_1)
	v_mul_f32_e32 v25, 0x3fb8aa3b, v24
	v_fma_f32 v29, 0x3fb8aa3b, v24, -v25
	v_rndne_f32_e32 v30, v25
	s_delay_alu instid0(VALU_DEP_2) | instskip(NEXT) | instid1(VALU_DEP_2)
	v_fmac_f32_e32 v29, 0x32a5705f, v24
	v_sub_f32_e32 v25, v25, v30
	s_delay_alu instid0(VALU_DEP_1) | instskip(SKIP_2) | instid1(VALU_DEP_3)
	v_add_f32_e32 v25, v25, v29
	v_cvt_i32_f32_e32 v29, v30
	v_cmp_ngt_f32_e64 s2, 0xc2ce8ed0, v24
	v_exp_f32_e32 v25, v25
	s_waitcnt_depctr 0xfff
	v_ldexp_f32 v25, v25, v29
	s_delay_alu instid0(VALU_DEP_1) | instskip(SKIP_1) | instid1(VALU_DEP_1)
	v_cndmask_b32_e64 v25, 0, v25, s2
	v_cmp_nlt_f32_e64 s2, 0x42b17218, v24
	v_cndmask_b32_e64 v24, 0x7f800000, v25, s2
	v_add_co_u32 v20, s2, v20, s30
	s_delay_alu instid0(VALU_DEP_1) | instskip(NEXT) | instid1(VALU_DEP_3)
	v_add_co_ci_u32_e64 v21, s2, s31, v21, s2
	v_add_f32_e32 v28, v28, v24
	s_and_not1_b32 exec_lo, exec_lo, s37
	s_cbranch_execnz .LBB521_15
; %bb.16:                               ;   in Loop: Header=BB521_7 Depth=2
	s_set_inst_prefetch_distance 0x2
	s_or_b32 exec_lo, exec_lo, s37
	s_delay_alu instid0(SALU_CYCLE_1)
	s_or_b32 exec_lo, exec_lo, s36
	s_and_saveexec_b32 s36, s1
	s_cbranch_execz .LBB521_19
.LBB521_17:                             ;   in Loop: Header=BB521_7 Depth=2
	v_dual_mov_b32 v21, v13 :: v_dual_mov_b32 v20, v12
	v_dual_mov_b32 v23, v15 :: v_dual_mov_b32 v22, v14
	;; [unrolled: 1-line block ×3, first 2 shown]
	s_mov_b32 s37, 0
.LBB521_18:                             ;   Parent Loop BB521_3 Depth=1
                                        ;     Parent Loop BB521_7 Depth=2
                                        ; =>    This Inner Loop Header: Depth=3
	global_load_u16 v29, v[22:23], off
	v_add_co_u32 v24, vcc_lo, v24, s19
	v_add_co_ci_u32_e32 v25, vcc_lo, 0, v25, vcc_lo
	v_add_co_u32 v22, vcc_lo, v22, s30
	v_add_co_ci_u32_e32 v23, vcc_lo, s31, v23, vcc_lo
	s_waitcnt vmcnt(0)
	v_lshlrev_b32_e32 v29, 16, v29
	s_delay_alu instid0(VALU_DEP_1) | instskip(NEXT) | instid1(VALU_DEP_1)
	v_sub_f32_e32 v29, v29, v27
	v_mul_f32_e32 v30, 0x3fb8aa3b, v29
	v_cmp_ngt_f32_e64 s2, 0xc2ce8ed0, v29
	s_delay_alu instid0(VALU_DEP_2) | instskip(SKIP_1) | instid1(VALU_DEP_1)
	v_fma_f32 v31, 0x3fb8aa3b, v29, -v30
	v_rndne_f32_e32 v32, v30
	v_dual_fmac_f32 v31, 0x32a5705f, v29 :: v_dual_sub_f32 v30, v30, v32
	s_delay_alu instid0(VALU_DEP_1) | instskip(SKIP_1) | instid1(VALU_DEP_2)
	v_add_f32_e32 v30, v30, v31
	v_cvt_i32_f32_e32 v31, v32
	v_exp_f32_e32 v30, v30
	s_waitcnt_depctr 0xfff
	v_ldexp_f32 v30, v30, v31
	s_delay_alu instid0(VALU_DEP_1) | instskip(SKIP_1) | instid1(VALU_DEP_1)
	v_cndmask_b32_e64 v30, 0, v30, s2
	v_cmp_nlt_f32_e64 s2, 0x42b17218, v29
	v_cndmask_b32_e64 v29, 0x7f800000, v30, s2
	v_cmp_le_i64_e64 s2, s[10:11], v[24:25]
	s_delay_alu instid0(VALU_DEP_2) | instskip(SKIP_1) | instid1(VALU_DEP_3)
	v_div_scale_f32 v30, null, v28, v28, v29
	v_div_scale_f32 v32, vcc_lo, v29, v28, v29
	s_or_b32 s37, s2, s37
	s_delay_alu instid0(VALU_DEP_2) | instskip(SKIP_2) | instid1(VALU_DEP_1)
	v_rcp_f32_e32 v31, v30
	s_waitcnt_depctr 0xfff
	v_fma_f32 v33, -v30, v31, 1.0
	v_fmac_f32_e32 v31, v33, v31
	s_delay_alu instid0(VALU_DEP_1) | instskip(NEXT) | instid1(VALU_DEP_1)
	v_mul_f32_e32 v33, v32, v31
	v_fma_f32 v34, -v30, v33, v32
	s_delay_alu instid0(VALU_DEP_1) | instskip(NEXT) | instid1(VALU_DEP_1)
	v_fmac_f32_e32 v33, v34, v31
	v_fma_f32 v30, -v30, v33, v32
	s_delay_alu instid0(VALU_DEP_1) | instskip(NEXT) | instid1(VALU_DEP_1)
	v_div_fmas_f32 v30, v30, v31, v33
	v_div_fixup_f32 v29, v30, v28, v29
	global_store_b32 v[20:21], v29, off
	v_add_co_u32 v20, vcc_lo, v20, s34
	v_add_co_ci_u32_e32 v21, vcc_lo, s33, v21, vcc_lo
	s_and_not1_b32 exec_lo, exec_lo, s37
	s_cbranch_execnz .LBB521_18
.LBB521_19:                             ;   in Loop: Header=BB521_7 Depth=2
	s_or_b32 exec_lo, exec_lo, s36
	s_mov_b32 s2, 0
.LBB521_20:                             ;   in Loop: Header=BB521_7 Depth=2
	s_delay_alu instid0(SALU_CYCLE_1)
	s_and_b32 vcc_lo, exec_lo, s2
	s_cbranch_vccz .LBB521_6
; %bb.21:                               ;   in Loop: Header=BB521_7 Depth=2
	v_mov_b32_e32 v24, 0xff7fffff
	s_and_saveexec_b32 s36, s1
	s_cbranch_execz .LBB521_25
; %bb.22:                               ;   in Loop: Header=BB521_7 Depth=2
	v_dual_mov_b32 v24, 0xff7fffff :: v_dual_mov_b32 v21, v17
	v_dual_mov_b32 v20, v16 :: v_dual_mov_b32 v23, v3
	v_mov_b32_e32 v22, v2
	s_mov_b32 s37, 0
.LBB521_23:                             ;   Parent Loop BB521_3 Depth=1
                                        ;     Parent Loop BB521_7 Depth=2
                                        ; =>    This Inner Loop Header: Depth=3
	global_load_u16 v25, v[20:21], off
	v_add_co_u32 v22, vcc_lo, v22, s19
	v_add_co_ci_u32_e32 v23, vcc_lo, 0, v23, vcc_lo
	v_add_co_u32 v20, vcc_lo, v20, s30
	v_add_co_ci_u32_e32 v21, vcc_lo, s31, v21, vcc_lo
	s_delay_alu instid0(VALU_DEP_3) | instskip(NEXT) | instid1(VALU_DEP_1)
	v_cmp_le_i64_e64 s2, s[10:11], v[22:23]
	s_or_b32 s37, s2, s37
	s_waitcnt vmcnt(0)
	v_lshlrev_b32_e32 v25, 16, v25
	s_delay_alu instid0(VALU_DEP_1)
	v_cmp_lt_f32_e32 vcc_lo, v24, v25
	v_cndmask_b32_e32 v24, v24, v25, vcc_lo
	s_and_not1_b32 exec_lo, exec_lo, s37
	s_cbranch_execnz .LBB521_23
; %bb.24:                               ;   in Loop: Header=BB521_7 Depth=2
	s_or_b32 exec_lo, exec_lo, s37
.LBB521_25:                             ;   in Loop: Header=BB521_7 Depth=2
	s_delay_alu instid0(SALU_CYCLE_1)
	s_or_b32 exec_lo, exec_lo, s36
	s_mov_b32 s2, s19
	s_waitcnt_vscnt null, 0x0
	s_barrier
	buffer_gl0_inv
	ds_store_b32 v26, v24
	s_branch .LBB521_27
	.p2align	6
.LBB521_26:                             ;   in Loop: Header=BB521_27 Depth=3
	s_or_b32 exec_lo, exec_lo, s37
	s_cmp_gt_u32 s2, 3
	s_mov_b32 s2, s36
	s_cbranch_scc0 .LBB521_29
.LBB521_27:                             ;   Parent Loop BB521_3 Depth=1
                                        ;     Parent Loop BB521_7 Depth=2
                                        ; =>    This Inner Loop Header: Depth=3
	s_lshr_b32 s36, s2, 1
	s_mov_b32 s37, exec_lo
	s_waitcnt lgkmcnt(0)
	s_barrier
	buffer_gl0_inv
	v_cmpx_gt_u32_e64 s36, v2
	s_cbranch_execz .LBB521_26
; %bb.28:                               ;   in Loop: Header=BB521_27 Depth=3
	v_lshl_add_u32 v20, s36, 2, v26
	ds_load_b32 v21, v26
	ds_load_b32 v20, v20
	s_waitcnt lgkmcnt(0)
	v_cmp_lt_f32_e32 vcc_lo, v21, v20
	v_cndmask_b32_e32 v20, v21, v20, vcc_lo
	ds_store_b32 v26, v20
	s_branch .LBB521_26
.LBB521_29:                             ;   in Loop: Header=BB521_7 Depth=2
	s_waitcnt lgkmcnt(0)
	s_barrier
	buffer_gl0_inv
	ds_load_b32 v27, v0
	v_mov_b32_e32 v24, 0
	s_and_saveexec_b32 s36, s1
	s_cbranch_execz .LBB521_33
; %bb.30:                               ;   in Loop: Header=BB521_7 Depth=2
	v_dual_mov_b32 v24, 0 :: v_dual_mov_b32 v21, v17
	v_dual_mov_b32 v20, v16 :: v_dual_mov_b32 v23, v3
	v_mov_b32_e32 v22, v2
	s_mov_b32 s37, 0
	s_set_inst_prefetch_distance 0x1
	.p2align	6
.LBB521_31:                             ;   Parent Loop BB521_3 Depth=1
                                        ;     Parent Loop BB521_7 Depth=2
                                        ; =>    This Inner Loop Header: Depth=3
	global_load_u16 v25, v[20:21], off
	v_add_co_u32 v22, vcc_lo, v22, s19
	v_add_co_ci_u32_e32 v23, vcc_lo, 0, v23, vcc_lo
	s_delay_alu instid0(VALU_DEP_1) | instskip(SKIP_4) | instid1(VALU_DEP_1)
	v_cmp_le_i64_e32 vcc_lo, s[10:11], v[22:23]
	s_or_b32 s37, vcc_lo, s37
	s_waitcnt vmcnt(0)
	v_lshlrev_b32_e32 v25, 16, v25
	s_waitcnt lgkmcnt(0)
	v_sub_f32_e32 v25, v25, v27
	s_delay_alu instid0(VALU_DEP_1) | instskip(NEXT) | instid1(VALU_DEP_1)
	v_mul_f32_e32 v28, 0x3fb8aa3b, v25
	v_fma_f32 v29, 0x3fb8aa3b, v25, -v28
	v_rndne_f32_e32 v30, v28
	s_delay_alu instid0(VALU_DEP_1) | instskip(NEXT) | instid1(VALU_DEP_1)
	v_dual_fmac_f32 v29, 0x32a5705f, v25 :: v_dual_sub_f32 v28, v28, v30
	v_add_f32_e32 v28, v28, v29
	v_cvt_i32_f32_e32 v29, v30
	v_cmp_ngt_f32_e64 s2, 0xc2ce8ed0, v25
	s_delay_alu instid0(VALU_DEP_3) | instskip(SKIP_2) | instid1(VALU_DEP_1)
	v_exp_f32_e32 v28, v28
	s_waitcnt_depctr 0xfff
	v_ldexp_f32 v28, v28, v29
	v_cndmask_b32_e64 v28, 0, v28, s2
	v_cmp_nlt_f32_e64 s2, 0x42b17218, v25
	s_delay_alu instid0(VALU_DEP_1) | instskip(SKIP_1) | instid1(VALU_DEP_1)
	v_cndmask_b32_e64 v25, 0x7f800000, v28, s2
	v_add_co_u32 v20, s2, v20, s30
	v_add_co_ci_u32_e64 v21, s2, s31, v21, s2
	s_delay_alu instid0(VALU_DEP_3)
	v_add_f32_e32 v24, v24, v25
	s_and_not1_b32 exec_lo, exec_lo, s37
	s_cbranch_execnz .LBB521_31
; %bb.32:                               ;   in Loop: Header=BB521_7 Depth=2
	s_set_inst_prefetch_distance 0x2
	s_or_b32 exec_lo, exec_lo, s37
.LBB521_33:                             ;   in Loop: Header=BB521_7 Depth=2
	s_delay_alu instid0(SALU_CYCLE_1)
	s_or_b32 exec_lo, exec_lo, s36
	s_mov_b32 s2, s19
	s_waitcnt lgkmcnt(0)
	s_barrier
	buffer_gl0_inv
	ds_store_b32 v26, v24
	s_branch .LBB521_35
	.p2align	6
.LBB521_34:                             ;   in Loop: Header=BB521_35 Depth=3
	s_or_b32 exec_lo, exec_lo, s37
	s_cmp_gt_u32 s2, 3
	s_mov_b32 s2, s36
	s_cbranch_scc0 .LBB521_37
.LBB521_35:                             ;   Parent Loop BB521_3 Depth=1
                                        ;     Parent Loop BB521_7 Depth=2
                                        ; =>    This Inner Loop Header: Depth=3
	s_lshr_b32 s36, s2, 1
	s_mov_b32 s37, exec_lo
	s_waitcnt lgkmcnt(0)
	s_barrier
	buffer_gl0_inv
	v_cmpx_gt_u32_e64 s36, v2
	s_cbranch_execz .LBB521_34
; %bb.36:                               ;   in Loop: Header=BB521_35 Depth=3
	v_lshl_add_u32 v20, s36, 2, v26
	ds_load_b32 v21, v26
	ds_load_b32 v20, v20
	s_waitcnt lgkmcnt(0)
	v_add_f32_e32 v20, v21, v20
	ds_store_b32 v26, v20
	s_branch .LBB521_34
.LBB521_37:                             ;   in Loop: Header=BB521_7 Depth=2
	s_waitcnt lgkmcnt(0)
	s_barrier
	buffer_gl0_inv
	s_and_saveexec_b32 s36, s1
	s_cbranch_execz .LBB521_5
; %bb.38:                               ;   in Loop: Header=BB521_7 Depth=2
	ds_load_b32 v28, v0
	v_dual_mov_b32 v21, v13 :: v_dual_mov_b32 v20, v12
	v_dual_mov_b32 v23, v15 :: v_dual_mov_b32 v22, v14
	;; [unrolled: 1-line block ×3, first 2 shown]
	s_mov_b32 s37, 0
.LBB521_39:                             ;   Parent Loop BB521_3 Depth=1
                                        ;     Parent Loop BB521_7 Depth=2
                                        ; =>    This Inner Loop Header: Depth=3
	global_load_u16 v29, v[22:23], off
	v_add_co_u32 v24, vcc_lo, v24, s19
	v_add_co_ci_u32_e32 v25, vcc_lo, 0, v25, vcc_lo
	v_add_co_u32 v22, vcc_lo, v22, s30
	v_add_co_ci_u32_e32 v23, vcc_lo, s31, v23, vcc_lo
	s_waitcnt vmcnt(0)
	v_lshlrev_b32_e32 v29, 16, v29
	s_delay_alu instid0(VALU_DEP_1) | instskip(NEXT) | instid1(VALU_DEP_1)
	v_sub_f32_e32 v29, v29, v27
	v_mul_f32_e32 v30, 0x3fb8aa3b, v29
	v_cmp_ngt_f32_e64 s2, 0xc2ce8ed0, v29
	s_delay_alu instid0(VALU_DEP_2) | instskip(SKIP_1) | instid1(VALU_DEP_1)
	v_fma_f32 v31, 0x3fb8aa3b, v29, -v30
	v_rndne_f32_e32 v32, v30
	v_dual_fmac_f32 v31, 0x32a5705f, v29 :: v_dual_sub_f32 v30, v30, v32
	s_delay_alu instid0(VALU_DEP_1) | instskip(SKIP_1) | instid1(VALU_DEP_2)
	v_add_f32_e32 v30, v30, v31
	v_cvt_i32_f32_e32 v31, v32
	v_exp_f32_e32 v30, v30
	s_waitcnt_depctr 0xfff
	v_ldexp_f32 v30, v30, v31
	s_delay_alu instid0(VALU_DEP_1) | instskip(SKIP_1) | instid1(VALU_DEP_1)
	v_cndmask_b32_e64 v30, 0, v30, s2
	v_cmp_nlt_f32_e64 s2, 0x42b17218, v29
	v_cndmask_b32_e64 v29, 0x7f800000, v30, s2
	v_cmp_le_i64_e64 s2, s[10:11], v[24:25]
	s_waitcnt lgkmcnt(0)
	s_delay_alu instid0(VALU_DEP_2) | instskip(SKIP_1) | instid1(VALU_DEP_3)
	v_div_scale_f32 v30, null, v28, v28, v29
	v_div_scale_f32 v32, vcc_lo, v29, v28, v29
	s_or_b32 s37, s2, s37
	s_delay_alu instid0(VALU_DEP_2) | instskip(SKIP_2) | instid1(VALU_DEP_1)
	v_rcp_f32_e32 v31, v30
	s_waitcnt_depctr 0xfff
	v_fma_f32 v33, -v30, v31, 1.0
	v_fmac_f32_e32 v31, v33, v31
	s_delay_alu instid0(VALU_DEP_1) | instskip(NEXT) | instid1(VALU_DEP_1)
	v_mul_f32_e32 v33, v32, v31
	v_fma_f32 v34, -v30, v33, v32
	s_delay_alu instid0(VALU_DEP_1) | instskip(NEXT) | instid1(VALU_DEP_1)
	v_fmac_f32_e32 v33, v34, v31
	v_fma_f32 v30, -v30, v33, v32
	s_delay_alu instid0(VALU_DEP_1) | instskip(NEXT) | instid1(VALU_DEP_1)
	v_div_fmas_f32 v30, v30, v31, v33
	v_div_fixup_f32 v29, v30, v28, v29
	global_store_b32 v[20:21], v29, off
	v_add_co_u32 v20, vcc_lo, v20, s34
	v_add_co_ci_u32_e32 v21, vcc_lo, s33, v21, vcc_lo
	s_and_not1_b32 exec_lo, exec_lo, s37
	s_cbranch_execnz .LBB521_39
	s_branch .LBB521_5
.LBB521_40:
	s_nop 0
	s_sendmsg sendmsg(MSG_DEALLOC_VGPRS)
	s_endpgm
	.section	.rodata,"a",@progbits
	.p2align	6, 0x0
	.amdhsa_kernel _ZN2at6native12_GLOBAL__N_126cunn_SpatialSoftMaxForwardIN3c108BFloat16EfflNS1_22SoftMaxForwardEpilogueEEEvPT1_PKT_T2_SB_SB_
		.amdhsa_group_segment_fixed_size 0
		.amdhsa_private_segment_fixed_size 0
		.amdhsa_kernarg_size 296
		.amdhsa_user_sgpr_count 14
		.amdhsa_user_sgpr_dispatch_ptr 0
		.amdhsa_user_sgpr_queue_ptr 0
		.amdhsa_user_sgpr_kernarg_segment_ptr 1
		.amdhsa_user_sgpr_dispatch_id 0
		.amdhsa_user_sgpr_private_segment_size 0
		.amdhsa_wavefront_size32 1
		.amdhsa_uses_dynamic_stack 0
		.amdhsa_enable_private_segment 0
		.amdhsa_system_sgpr_workgroup_id_x 1
		.amdhsa_system_sgpr_workgroup_id_y 1
		.amdhsa_system_sgpr_workgroup_id_z 0
		.amdhsa_system_sgpr_workgroup_info 0
		.amdhsa_system_vgpr_workitem_id 1
		.amdhsa_next_free_vgpr 35
		.amdhsa_next_free_sgpr 38
		.amdhsa_reserve_vcc 1
		.amdhsa_float_round_mode_32 0
		.amdhsa_float_round_mode_16_64 0
		.amdhsa_float_denorm_mode_32 3
		.amdhsa_float_denorm_mode_16_64 3
		.amdhsa_dx10_clamp 1
		.amdhsa_ieee_mode 1
		.amdhsa_fp16_overflow 0
		.amdhsa_workgroup_processor_mode 1
		.amdhsa_memory_ordered 1
		.amdhsa_forward_progress 0
		.amdhsa_shared_vgpr_count 0
		.amdhsa_exception_fp_ieee_invalid_op 0
		.amdhsa_exception_fp_denorm_src 0
		.amdhsa_exception_fp_ieee_div_zero 0
		.amdhsa_exception_fp_ieee_overflow 0
		.amdhsa_exception_fp_ieee_underflow 0
		.amdhsa_exception_fp_ieee_inexact 0
		.amdhsa_exception_int_div_zero 0
	.end_amdhsa_kernel
	.section	.text._ZN2at6native12_GLOBAL__N_126cunn_SpatialSoftMaxForwardIN3c108BFloat16EfflNS1_22SoftMaxForwardEpilogueEEEvPT1_PKT_T2_SB_SB_,"axG",@progbits,_ZN2at6native12_GLOBAL__N_126cunn_SpatialSoftMaxForwardIN3c108BFloat16EfflNS1_22SoftMaxForwardEpilogueEEEvPT1_PKT_T2_SB_SB_,comdat
.Lfunc_end521:
	.size	_ZN2at6native12_GLOBAL__N_126cunn_SpatialSoftMaxForwardIN3c108BFloat16EfflNS1_22SoftMaxForwardEpilogueEEEvPT1_PKT_T2_SB_SB_, .Lfunc_end521-_ZN2at6native12_GLOBAL__N_126cunn_SpatialSoftMaxForwardIN3c108BFloat16EfflNS1_22SoftMaxForwardEpilogueEEEvPT1_PKT_T2_SB_SB_
                                        ; -- End function
	.section	.AMDGPU.csdata,"",@progbits
; Kernel info:
; codeLenInByte = 2520
; NumSgprs: 40
; NumVgprs: 35
; ScratchSize: 0
; MemoryBound: 0
; FloatMode: 240
; IeeeMode: 1
; LDSByteSize: 0 bytes/workgroup (compile time only)
; SGPRBlocks: 4
; VGPRBlocks: 4
; NumSGPRsForWavesPerEU: 40
; NumVGPRsForWavesPerEU: 35
; Occupancy: 16
; WaveLimiterHint : 0
; COMPUTE_PGM_RSRC2:SCRATCH_EN: 0
; COMPUTE_PGM_RSRC2:USER_SGPR: 14
; COMPUTE_PGM_RSRC2:TRAP_HANDLER: 0
; COMPUTE_PGM_RSRC2:TGID_X_EN: 1
; COMPUTE_PGM_RSRC2:TGID_Y_EN: 1
; COMPUTE_PGM_RSRC2:TGID_Z_EN: 0
; COMPUTE_PGM_RSRC2:TIDIG_COMP_CNT: 1
	.section	.text._ZN12_GLOBAL__N_121softmax_warp_backwardIdddLi0ELb0ELb0ELi64EEEvPT0_PKT_S5_iiiPKb,"axG",@progbits,_ZN12_GLOBAL__N_121softmax_warp_backwardIdddLi0ELb0ELb0ELi64EEEvPT0_PKT_S5_iiiPKb,comdat
	.globl	_ZN12_GLOBAL__N_121softmax_warp_backwardIdddLi0ELb0ELb0ELi64EEEvPT0_PKT_S5_iiiPKb ; -- Begin function _ZN12_GLOBAL__N_121softmax_warp_backwardIdddLi0ELb0ELb0ELi64EEEvPT0_PKT_S5_iiiPKb
	.p2align	8
	.type	_ZN12_GLOBAL__N_121softmax_warp_backwardIdddLi0ELb0ELb0ELi64EEEvPT0_PKT_S5_iiiPKb,@function
_ZN12_GLOBAL__N_121softmax_warp_backwardIdddLi0ELb0ELb0ELi64EEEvPT0_PKT_S5_iiiPKb: ; @_ZN12_GLOBAL__N_121softmax_warp_backwardIdddLi0ELb0ELb0ELi64EEEvPT0_PKT_S5_iiiPKb
; %bb.0:
	s_clause 0x1
	s_load_b32 s2, s[0:1], 0x3c
	s_load_b128 s[4:7], s[0:1], 0x18
	v_bfe_u32 v0, v0, 10, 10
	s_load_b128 s[8:11], s[0:1], 0x0
	s_waitcnt lgkmcnt(0)
	s_lshr_b32 s2, s2, 16
	s_cmp_gt_i32 s6, 0
	s_mul_i32 s15, s15, s2
	s_load_b64 s[2:3], s[0:1], 0x10
	v_add_lshl_u32 v4, s15, v0, 1
	v_mov_b32_e32 v0, 0
	v_mov_b32_e32 v1, 0
	s_cselect_b32 s1, -1, 0
	s_delay_alu instid0(VALU_DEP_3) | instskip(SKIP_1) | instid1(VALU_DEP_3)
	v_mul_lo_u32 v2, v4, s5
	v_sub_nc_u32_e32 v14, s4, v4
	v_dual_mov_b32 v7, v1 :: v_dual_mov_b32 v6, v0
	s_delay_alu instid0(VALU_DEP_2) | instskip(NEXT) | instid1(VALU_DEP_4)
	v_cmp_lt_i32_e32 vcc_lo, 0, v14
	v_ashrrev_i32_e32 v3, 31, v2
	s_delay_alu instid0(VALU_DEP_1) | instskip(SKIP_1) | instid1(VALU_DEP_2)
	v_lshlrev_b64 v[4:5], 3, v[2:3]
	v_dual_mov_b32 v3, v1 :: v_dual_mov_b32 v2, v0
	v_add_co_u32 v12, s0, s10, v4
	s_delay_alu instid0(VALU_DEP_1) | instskip(SKIP_2) | instid1(VALU_DEP_1)
	v_add_co_ci_u32_e64 v13, s0, s11, v5, s0
	s_waitcnt lgkmcnt(0)
	v_add_co_u32 v10, s0, s2, v4
	v_add_co_ci_u32_e64 v11, s0, s3, v5, s0
	s_and_b32 s2, s1, vcc_lo
	s_delay_alu instid0(SALU_CYCLE_1)
	s_and_saveexec_b32 s0, s2
	s_cbranch_execz .LBB522_2
; %bb.1:
	global_load_b64 v[2:3], v[12:13], off
	global_load_b64 v[6:7], v[10:11], off
.LBB522_2:
	s_or_b32 exec_lo, exec_lo, s0
	v_cmp_lt_i32_e64 s0, 1, v14
	v_dual_mov_b32 v9, v1 :: v_dual_mov_b32 v8, v0
	s_delay_alu instid0(VALU_DEP_2) | instskip(NEXT) | instid1(SALU_CYCLE_1)
	s_and_b32 s0, s1, s0
	s_and_saveexec_b32 s2, s0
	s_cbranch_execz .LBB522_4
; %bb.3:
	s_mov_b32 s7, 0
	s_delay_alu instid0(SALU_CYCLE_1) | instskip(NEXT) | instid1(SALU_CYCLE_1)
	s_lshl_b64 s[4:5], s[6:7], 3
	v_add_co_u32 v0, s0, v12, s4
	s_delay_alu instid0(VALU_DEP_1) | instskip(SKIP_1) | instid1(VALU_DEP_1)
	v_add_co_ci_u32_e64 v1, s0, s5, v13, s0
	v_add_co_u32 v8, s0, v10, s4
	v_add_co_ci_u32_e64 v9, s0, s5, v11, s0
	global_load_b64 v[0:1], v[0:1], off
	global_load_b64 v[8:9], v[8:9], off
.LBB522_4:
	s_or_b32 exec_lo, exec_lo, s2
	s_and_saveexec_b32 s0, vcc_lo
	s_cbranch_execz .LBB522_10
; %bb.5:
	v_add_co_u32 v4, vcc_lo, s8, v4
	v_cndmask_b32_e64 v10, 0, 1, s1
	v_add_co_ci_u32_e32 v5, vcc_lo, s9, v5, vcc_lo
	s_and_not1_b32 vcc_lo, exec_lo, s1
	s_cbranch_vccnz .LBB522_7
; %bb.6:
	s_waitcnt vmcnt(1)
	v_add_f64 v[11:12], v[2:3], 0
	s_waitcnt vmcnt(0)
	s_delay_alu instid0(VALU_DEP_1)
	v_fma_f64 v[2:3], -v[11:12], v[6:7], v[2:3]
	global_store_b64 v[4:5], v[2:3], off
.LBB522_7:
	v_cmp_ne_u32_e32 vcc_lo, 1, v14
	s_and_b32 exec_lo, exec_lo, vcc_lo
	s_cbranch_execz .LBB522_10
; %bb.8:
	v_cmp_ne_u32_e32 vcc_lo, 1, v10
	s_cbranch_vccnz .LBB522_10
; %bb.9:
	s_waitcnt vmcnt(1)
	v_add_f64 v[2:3], v[0:1], 0
	s_mov_b32 s7, 0
	s_delay_alu instid0(SALU_CYCLE_1) | instskip(SKIP_1) | instid1(VALU_DEP_1)
	s_lshl_b64 s[0:1], s[6:7], 3
	s_waitcnt vmcnt(0)
	v_fma_f64 v[0:1], -v[2:3], v[8:9], v[0:1]
	v_add_co_u32 v2, vcc_lo, v4, s0
	v_add_co_ci_u32_e32 v3, vcc_lo, s1, v5, vcc_lo
	global_store_b64 v[2:3], v[0:1], off
.LBB522_10:
	s_nop 0
	s_sendmsg sendmsg(MSG_DEALLOC_VGPRS)
	s_endpgm
	.section	.rodata,"a",@progbits
	.p2align	6, 0x0
	.amdhsa_kernel _ZN12_GLOBAL__N_121softmax_warp_backwardIdddLi0ELb0ELb0ELi64EEEvPT0_PKT_S5_iiiPKb
		.amdhsa_group_segment_fixed_size 0
		.amdhsa_private_segment_fixed_size 0
		.amdhsa_kernarg_size 304
		.amdhsa_user_sgpr_count 15
		.amdhsa_user_sgpr_dispatch_ptr 0
		.amdhsa_user_sgpr_queue_ptr 0
		.amdhsa_user_sgpr_kernarg_segment_ptr 1
		.amdhsa_user_sgpr_dispatch_id 0
		.amdhsa_user_sgpr_private_segment_size 0
		.amdhsa_wavefront_size32 1
		.amdhsa_uses_dynamic_stack 0
		.amdhsa_enable_private_segment 0
		.amdhsa_system_sgpr_workgroup_id_x 1
		.amdhsa_system_sgpr_workgroup_id_y 0
		.amdhsa_system_sgpr_workgroup_id_z 0
		.amdhsa_system_sgpr_workgroup_info 0
		.amdhsa_system_vgpr_workitem_id 1
		.amdhsa_next_free_vgpr 15
		.amdhsa_next_free_sgpr 16
		.amdhsa_reserve_vcc 1
		.amdhsa_float_round_mode_32 0
		.amdhsa_float_round_mode_16_64 0
		.amdhsa_float_denorm_mode_32 3
		.amdhsa_float_denorm_mode_16_64 3
		.amdhsa_dx10_clamp 1
		.amdhsa_ieee_mode 1
		.amdhsa_fp16_overflow 0
		.amdhsa_workgroup_processor_mode 1
		.amdhsa_memory_ordered 1
		.amdhsa_forward_progress 0
		.amdhsa_shared_vgpr_count 0
		.amdhsa_exception_fp_ieee_invalid_op 0
		.amdhsa_exception_fp_denorm_src 0
		.amdhsa_exception_fp_ieee_div_zero 0
		.amdhsa_exception_fp_ieee_overflow 0
		.amdhsa_exception_fp_ieee_underflow 0
		.amdhsa_exception_fp_ieee_inexact 0
		.amdhsa_exception_int_div_zero 0
	.end_amdhsa_kernel
	.section	.text._ZN12_GLOBAL__N_121softmax_warp_backwardIdddLi0ELb0ELb0ELi64EEEvPT0_PKT_S5_iiiPKb,"axG",@progbits,_ZN12_GLOBAL__N_121softmax_warp_backwardIdddLi0ELb0ELb0ELi64EEEvPT0_PKT_S5_iiiPKb,comdat
.Lfunc_end522:
	.size	_ZN12_GLOBAL__N_121softmax_warp_backwardIdddLi0ELb0ELb0ELi64EEEvPT0_PKT_S5_iiiPKb, .Lfunc_end522-_ZN12_GLOBAL__N_121softmax_warp_backwardIdddLi0ELb0ELb0ELi64EEEvPT0_PKT_S5_iiiPKb
                                        ; -- End function
	.section	.AMDGPU.csdata,"",@progbits
; Kernel info:
; codeLenInByte = 472
; NumSgprs: 18
; NumVgprs: 15
; ScratchSize: 0
; MemoryBound: 0
; FloatMode: 240
; IeeeMode: 1
; LDSByteSize: 0 bytes/workgroup (compile time only)
; SGPRBlocks: 2
; VGPRBlocks: 1
; NumSGPRsForWavesPerEU: 18
; NumVGPRsForWavesPerEU: 15
; Occupancy: 16
; WaveLimiterHint : 0
; COMPUTE_PGM_RSRC2:SCRATCH_EN: 0
; COMPUTE_PGM_RSRC2:USER_SGPR: 15
; COMPUTE_PGM_RSRC2:TRAP_HANDLER: 0
; COMPUTE_PGM_RSRC2:TGID_X_EN: 1
; COMPUTE_PGM_RSRC2:TGID_Y_EN: 0
; COMPUTE_PGM_RSRC2:TGID_Z_EN: 0
; COMPUTE_PGM_RSRC2:TIDIG_COMP_CNT: 1
	.section	.text._ZN12_GLOBAL__N_121softmax_warp_backwardIdddLi0ELb0ELb0ELi32EEEvPT0_PKT_S5_iiiPKb,"axG",@progbits,_ZN12_GLOBAL__N_121softmax_warp_backwardIdddLi0ELb0ELb0ELi32EEEvPT0_PKT_S5_iiiPKb,comdat
	.globl	_ZN12_GLOBAL__N_121softmax_warp_backwardIdddLi0ELb0ELb0ELi32EEEvPT0_PKT_S5_iiiPKb ; -- Begin function _ZN12_GLOBAL__N_121softmax_warp_backwardIdddLi0ELb0ELb0ELi32EEEvPT0_PKT_S5_iiiPKb
	.p2align	8
	.type	_ZN12_GLOBAL__N_121softmax_warp_backwardIdddLi0ELb0ELb0ELi32EEEvPT0_PKT_S5_iiiPKb,@function
_ZN12_GLOBAL__N_121softmax_warp_backwardIdddLi0ELb0ELb0ELi32EEEvPT0_PKT_S5_iiiPKb: ; @_ZN12_GLOBAL__N_121softmax_warp_backwardIdddLi0ELb0ELb0ELi32EEEvPT0_PKT_S5_iiiPKb
; %bb.0:
	s_clause 0x1
	s_load_b32 s2, s[0:1], 0x3c
	s_load_b128 s[4:7], s[0:1], 0x18
	v_bfe_u32 v0, v0, 10, 10
	s_load_b128 s[8:11], s[0:1], 0x0
	s_waitcnt lgkmcnt(0)
	s_lshr_b32 s2, s2, 16
	s_cmp_gt_i32 s6, 0
	s_mul_i32 s15, s15, s2
	s_load_b64 s[2:3], s[0:1], 0x10
	v_add_lshl_u32 v4, s15, v0, 1
	v_mov_b32_e32 v0, 0
	v_mov_b32_e32 v1, 0
	s_cselect_b32 s1, -1, 0
	s_delay_alu instid0(VALU_DEP_3) | instskip(SKIP_1) | instid1(VALU_DEP_3)
	v_mul_lo_u32 v2, v4, s5
	v_sub_nc_u32_e32 v14, s4, v4
	v_dual_mov_b32 v7, v1 :: v_dual_mov_b32 v6, v0
	s_delay_alu instid0(VALU_DEP_2) | instskip(NEXT) | instid1(VALU_DEP_4)
	v_cmp_lt_i32_e32 vcc_lo, 0, v14
	v_ashrrev_i32_e32 v3, 31, v2
	s_delay_alu instid0(VALU_DEP_1) | instskip(SKIP_1) | instid1(VALU_DEP_2)
	v_lshlrev_b64 v[4:5], 3, v[2:3]
	v_dual_mov_b32 v3, v1 :: v_dual_mov_b32 v2, v0
	v_add_co_u32 v12, s0, s10, v4
	s_delay_alu instid0(VALU_DEP_1) | instskip(SKIP_2) | instid1(VALU_DEP_1)
	v_add_co_ci_u32_e64 v13, s0, s11, v5, s0
	s_waitcnt lgkmcnt(0)
	v_add_co_u32 v10, s0, s2, v4
	v_add_co_ci_u32_e64 v11, s0, s3, v5, s0
	s_and_b32 s2, s1, vcc_lo
	s_delay_alu instid0(SALU_CYCLE_1)
	s_and_saveexec_b32 s0, s2
	s_cbranch_execz .LBB523_2
; %bb.1:
	global_load_b64 v[2:3], v[12:13], off
	global_load_b64 v[6:7], v[10:11], off
.LBB523_2:
	s_or_b32 exec_lo, exec_lo, s0
	v_cmp_lt_i32_e64 s0, 1, v14
	v_dual_mov_b32 v9, v1 :: v_dual_mov_b32 v8, v0
	s_delay_alu instid0(VALU_DEP_2) | instskip(NEXT) | instid1(SALU_CYCLE_1)
	s_and_b32 s0, s1, s0
	s_and_saveexec_b32 s2, s0
	s_cbranch_execz .LBB523_4
; %bb.3:
	s_mov_b32 s7, 0
	s_delay_alu instid0(SALU_CYCLE_1) | instskip(NEXT) | instid1(SALU_CYCLE_1)
	s_lshl_b64 s[4:5], s[6:7], 3
	v_add_co_u32 v0, s0, v12, s4
	s_delay_alu instid0(VALU_DEP_1) | instskip(SKIP_1) | instid1(VALU_DEP_1)
	v_add_co_ci_u32_e64 v1, s0, s5, v13, s0
	v_add_co_u32 v8, s0, v10, s4
	v_add_co_ci_u32_e64 v9, s0, s5, v11, s0
	global_load_b64 v[0:1], v[0:1], off
	global_load_b64 v[8:9], v[8:9], off
.LBB523_4:
	s_or_b32 exec_lo, exec_lo, s2
	s_and_saveexec_b32 s0, vcc_lo
	s_cbranch_execz .LBB523_10
; %bb.5:
	v_add_co_u32 v4, vcc_lo, s8, v4
	v_cndmask_b32_e64 v10, 0, 1, s1
	v_add_co_ci_u32_e32 v5, vcc_lo, s9, v5, vcc_lo
	s_and_not1_b32 vcc_lo, exec_lo, s1
	s_cbranch_vccnz .LBB523_7
; %bb.6:
	s_waitcnt vmcnt(1)
	v_add_f64 v[11:12], v[2:3], 0
	s_waitcnt vmcnt(0)
	s_delay_alu instid0(VALU_DEP_1)
	v_fma_f64 v[2:3], -v[11:12], v[6:7], v[2:3]
	global_store_b64 v[4:5], v[2:3], off
.LBB523_7:
	v_cmp_ne_u32_e32 vcc_lo, 1, v14
	s_and_b32 exec_lo, exec_lo, vcc_lo
	s_cbranch_execz .LBB523_10
; %bb.8:
	v_cmp_ne_u32_e32 vcc_lo, 1, v10
	s_cbranch_vccnz .LBB523_10
; %bb.9:
	s_waitcnt vmcnt(1)
	v_add_f64 v[2:3], v[0:1], 0
	s_mov_b32 s7, 0
	s_delay_alu instid0(SALU_CYCLE_1) | instskip(SKIP_1) | instid1(VALU_DEP_1)
	s_lshl_b64 s[0:1], s[6:7], 3
	s_waitcnt vmcnt(0)
	v_fma_f64 v[0:1], -v[2:3], v[8:9], v[0:1]
	v_add_co_u32 v2, vcc_lo, v4, s0
	v_add_co_ci_u32_e32 v3, vcc_lo, s1, v5, vcc_lo
	global_store_b64 v[2:3], v[0:1], off
.LBB523_10:
	s_nop 0
	s_sendmsg sendmsg(MSG_DEALLOC_VGPRS)
	s_endpgm
	.section	.rodata,"a",@progbits
	.p2align	6, 0x0
	.amdhsa_kernel _ZN12_GLOBAL__N_121softmax_warp_backwardIdddLi0ELb0ELb0ELi32EEEvPT0_PKT_S5_iiiPKb
		.amdhsa_group_segment_fixed_size 0
		.amdhsa_private_segment_fixed_size 0
		.amdhsa_kernarg_size 304
		.amdhsa_user_sgpr_count 15
		.amdhsa_user_sgpr_dispatch_ptr 0
		.amdhsa_user_sgpr_queue_ptr 0
		.amdhsa_user_sgpr_kernarg_segment_ptr 1
		.amdhsa_user_sgpr_dispatch_id 0
		.amdhsa_user_sgpr_private_segment_size 0
		.amdhsa_wavefront_size32 1
		.amdhsa_uses_dynamic_stack 0
		.amdhsa_enable_private_segment 0
		.amdhsa_system_sgpr_workgroup_id_x 1
		.amdhsa_system_sgpr_workgroup_id_y 0
		.amdhsa_system_sgpr_workgroup_id_z 0
		.amdhsa_system_sgpr_workgroup_info 0
		.amdhsa_system_vgpr_workitem_id 1
		.amdhsa_next_free_vgpr 15
		.amdhsa_next_free_sgpr 16
		.amdhsa_reserve_vcc 1
		.amdhsa_float_round_mode_32 0
		.amdhsa_float_round_mode_16_64 0
		.amdhsa_float_denorm_mode_32 3
		.amdhsa_float_denorm_mode_16_64 3
		.amdhsa_dx10_clamp 1
		.amdhsa_ieee_mode 1
		.amdhsa_fp16_overflow 0
		.amdhsa_workgroup_processor_mode 1
		.amdhsa_memory_ordered 1
		.amdhsa_forward_progress 0
		.amdhsa_shared_vgpr_count 0
		.amdhsa_exception_fp_ieee_invalid_op 0
		.amdhsa_exception_fp_denorm_src 0
		.amdhsa_exception_fp_ieee_div_zero 0
		.amdhsa_exception_fp_ieee_overflow 0
		.amdhsa_exception_fp_ieee_underflow 0
		.amdhsa_exception_fp_ieee_inexact 0
		.amdhsa_exception_int_div_zero 0
	.end_amdhsa_kernel
	.section	.text._ZN12_GLOBAL__N_121softmax_warp_backwardIdddLi0ELb0ELb0ELi32EEEvPT0_PKT_S5_iiiPKb,"axG",@progbits,_ZN12_GLOBAL__N_121softmax_warp_backwardIdddLi0ELb0ELb0ELi32EEEvPT0_PKT_S5_iiiPKb,comdat
.Lfunc_end523:
	.size	_ZN12_GLOBAL__N_121softmax_warp_backwardIdddLi0ELb0ELb0ELi32EEEvPT0_PKT_S5_iiiPKb, .Lfunc_end523-_ZN12_GLOBAL__N_121softmax_warp_backwardIdddLi0ELb0ELb0ELi32EEEvPT0_PKT_S5_iiiPKb
                                        ; -- End function
	.section	.AMDGPU.csdata,"",@progbits
; Kernel info:
; codeLenInByte = 472
; NumSgprs: 18
; NumVgprs: 15
; ScratchSize: 0
; MemoryBound: 0
; FloatMode: 240
; IeeeMode: 1
; LDSByteSize: 0 bytes/workgroup (compile time only)
; SGPRBlocks: 2
; VGPRBlocks: 1
; NumSGPRsForWavesPerEU: 18
; NumVGPRsForWavesPerEU: 15
; Occupancy: 16
; WaveLimiterHint : 0
; COMPUTE_PGM_RSRC2:SCRATCH_EN: 0
; COMPUTE_PGM_RSRC2:USER_SGPR: 15
; COMPUTE_PGM_RSRC2:TRAP_HANDLER: 0
; COMPUTE_PGM_RSRC2:TGID_X_EN: 1
; COMPUTE_PGM_RSRC2:TGID_Y_EN: 0
; COMPUTE_PGM_RSRC2:TGID_Z_EN: 0
; COMPUTE_PGM_RSRC2:TIDIG_COMP_CNT: 1
	.section	.text._ZN12_GLOBAL__N_121softmax_warp_backwardIdddLi1ELb0ELb0ELi64EEEvPT0_PKT_S5_iiiPKb,"axG",@progbits,_ZN12_GLOBAL__N_121softmax_warp_backwardIdddLi1ELb0ELb0ELi64EEEvPT0_PKT_S5_iiiPKb,comdat
	.globl	_ZN12_GLOBAL__N_121softmax_warp_backwardIdddLi1ELb0ELb0ELi64EEEvPT0_PKT_S5_iiiPKb ; -- Begin function _ZN12_GLOBAL__N_121softmax_warp_backwardIdddLi1ELb0ELb0ELi64EEEvPT0_PKT_S5_iiiPKb
	.p2align	8
	.type	_ZN12_GLOBAL__N_121softmax_warp_backwardIdddLi1ELb0ELb0ELi64EEEvPT0_PKT_S5_iiiPKb,@function
_ZN12_GLOBAL__N_121softmax_warp_backwardIdddLi1ELb0ELb0ELi64EEEvPT0_PKT_S5_iiiPKb: ; @_ZN12_GLOBAL__N_121softmax_warp_backwardIdddLi1ELb0ELb0ELi64EEEvPT0_PKT_S5_iiiPKb
; %bb.0:
	s_clause 0x1
	s_load_b32 s2, s[0:1], 0x3c
	s_load_b128 s[4:7], s[0:1], 0x18
	v_bfe_u32 v1, v0, 10, 10
	v_and_b32_e32 v5, 1, v0
	s_waitcnt lgkmcnt(0)
	s_lshr_b32 s2, s2, 16
	s_delay_alu instid0(SALU_CYCLE_1) | instskip(SKIP_4) | instid1(VALU_DEP_1)
	s_mul_i32 s15, s15, s2
	s_clause 0x1
	s_load_b128 s[8:11], s[0:1], 0x0
	s_load_b64 s[2:3], s[0:1], 0x10
	v_add_lshl_u32 v4, s15, v1, 1
	v_mul_lo_u32 v1, v4, s5
	v_sub_nc_u32_e32 v18, s4, v4
	s_delay_alu instid0(VALU_DEP_1) | instskip(NEXT) | instid1(VALU_DEP_3)
	v_cmp_lt_i32_e64 s0, 0, v18
	v_or_b32_e32 v2, v1, v5
	v_mov_b32_e32 v0, 0
	v_mov_b32_e32 v1, 0
	v_cmp_gt_i32_e32 vcc_lo, s6, v5
	s_delay_alu instid0(VALU_DEP_4) | instskip(NEXT) | instid1(VALU_DEP_3)
	v_ashrrev_i32_e32 v3, 31, v2
	v_dual_mov_b32 v5, v1 :: v_dual_mov_b32 v4, v0
	s_delay_alu instid0(VALU_DEP_2) | instskip(SKIP_2) | instid1(VALU_DEP_2)
	v_lshlrev_b64 v[6:7], 3, v[2:3]
	v_dual_mov_b32 v3, v1 :: v_dual_mov_b32 v2, v0
	s_waitcnt lgkmcnt(0)
	v_add_co_u32 v12, s1, s10, v6
	s_delay_alu instid0(VALU_DEP_1) | instskip(SKIP_1) | instid1(VALU_DEP_1)
	v_add_co_ci_u32_e64 v13, s1, s11, v7, s1
	v_add_co_u32 v10, s1, s2, v6
	v_add_co_ci_u32_e64 v11, s1, s3, v7, s1
	s_and_b32 s2, vcc_lo, s0
	s_delay_alu instid0(SALU_CYCLE_1)
	s_and_saveexec_b32 s1, s2
	s_cbranch_execz .LBB524_2
; %bb.1:
	global_load_b64 v[2:3], v[12:13], off
	global_load_b64 v[4:5], v[10:11], off
.LBB524_2:
	s_or_b32 exec_lo, exec_lo, s1
	v_cmp_lt_i32_e64 s1, 1, v18
	v_dual_mov_b32 v9, v1 :: v_dual_mov_b32 v8, v0
	s_delay_alu instid0(VALU_DEP_2) | instskip(NEXT) | instid1(SALU_CYCLE_1)
	s_and_b32 s1, vcc_lo, s1
	s_and_saveexec_b32 s2, s1
	s_cbranch_execz .LBB524_4
; %bb.3:
	s_mov_b32 s7, 0
	s_delay_alu instid0(SALU_CYCLE_1) | instskip(NEXT) | instid1(SALU_CYCLE_1)
	s_lshl_b64 s[4:5], s[6:7], 3
	v_add_co_u32 v0, s1, v12, s4
	s_delay_alu instid0(VALU_DEP_1) | instskip(SKIP_1) | instid1(VALU_DEP_1)
	v_add_co_ci_u32_e64 v1, s1, s5, v13, s1
	v_add_co_u32 v8, s1, v10, s4
	v_add_co_ci_u32_e64 v9, s1, s5, v11, s1
	global_load_b64 v[0:1], v[0:1], off
	global_load_b64 v[8:9], v[8:9], off
.LBB524_4:
	s_or_b32 exec_lo, exec_lo, s2
	s_waitcnt vmcnt(1)
	v_add_f64 v[14:15], v[2:3], 0
	v_add_f64 v[10:11], v[0:1], 0
	v_mbcnt_lo_u32_b32 v12, -1, 0
	s_delay_alu instid0(VALU_DEP_1) | instskip(SKIP_1) | instid1(VALU_DEP_2)
	v_and_b32_e32 v13, 30, v12
	v_xor_b32_e32 v16, 1, v12
	v_add_nc_u32_e32 v13, 2, v13
	s_delay_alu instid0(VALU_DEP_1) | instskip(NEXT) | instid1(VALU_DEP_1)
	v_cmp_lt_i32_e64 s1, v16, v13
	v_cndmask_b32_e64 v12, v12, v16, s1
	s_delay_alu instid0(VALU_DEP_1)
	v_lshlrev_b32_e32 v13, 2, v12
	ds_bpermute_b32 v16, v13, v14
	ds_bpermute_b32 v17, v13, v15
	;; [unrolled: 1-line block ×4, first 2 shown]
	s_and_saveexec_b32 s1, s0
	s_cbranch_execz .LBB524_10
; %bb.5:
	v_add_co_u32 v6, s0, s8, v6
	s_delay_alu instid0(VALU_DEP_1)
	v_add_co_ci_u32_e64 v7, s0, s9, v7, s0
	s_and_saveexec_b32 s0, vcc_lo
	s_cbranch_execz .LBB524_7
; %bb.6:
	s_waitcnt lgkmcnt(2)
	v_add_f64 v[14:15], v[14:15], v[16:17]
	s_waitcnt vmcnt(0)
	s_delay_alu instid0(VALU_DEP_1)
	v_fma_f64 v[2:3], -v[14:15], v[4:5], v[2:3]
	global_store_b64 v[6:7], v[2:3], off
.LBB524_7:
	s_or_b32 exec_lo, exec_lo, s0
	v_cmp_ne_u32_e64 s0, 1, v18
	s_delay_alu instid0(VALU_DEP_1)
	s_and_b32 exec_lo, exec_lo, s0
	s_cbranch_execz .LBB524_10
; %bb.8:
	s_and_b32 exec_lo, exec_lo, vcc_lo
	s_cbranch_execz .LBB524_10
; %bb.9:
	s_waitcnt lgkmcnt(0)
	v_add_f64 v[2:3], v[10:11], v[12:13]
	s_mov_b32 s7, 0
	s_delay_alu instid0(SALU_CYCLE_1) | instskip(SKIP_1) | instid1(VALU_DEP_1)
	s_lshl_b64 s[0:1], s[6:7], 3
	s_waitcnt vmcnt(0)
	v_fma_f64 v[0:1], -v[2:3], v[8:9], v[0:1]
	v_add_co_u32 v2, vcc_lo, v6, s0
	v_add_co_ci_u32_e32 v3, vcc_lo, s1, v7, vcc_lo
	global_store_b64 v[2:3], v[0:1], off
.LBB524_10:
	s_nop 0
	s_sendmsg sendmsg(MSG_DEALLOC_VGPRS)
	s_endpgm
	.section	.rodata,"a",@progbits
	.p2align	6, 0x0
	.amdhsa_kernel _ZN12_GLOBAL__N_121softmax_warp_backwardIdddLi1ELb0ELb0ELi64EEEvPT0_PKT_S5_iiiPKb
		.amdhsa_group_segment_fixed_size 0
		.amdhsa_private_segment_fixed_size 0
		.amdhsa_kernarg_size 304
		.amdhsa_user_sgpr_count 15
		.amdhsa_user_sgpr_dispatch_ptr 0
		.amdhsa_user_sgpr_queue_ptr 0
		.amdhsa_user_sgpr_kernarg_segment_ptr 1
		.amdhsa_user_sgpr_dispatch_id 0
		.amdhsa_user_sgpr_private_segment_size 0
		.amdhsa_wavefront_size32 1
		.amdhsa_uses_dynamic_stack 0
		.amdhsa_enable_private_segment 0
		.amdhsa_system_sgpr_workgroup_id_x 1
		.amdhsa_system_sgpr_workgroup_id_y 0
		.amdhsa_system_sgpr_workgroup_id_z 0
		.amdhsa_system_sgpr_workgroup_info 0
		.amdhsa_system_vgpr_workitem_id 1
		.amdhsa_next_free_vgpr 19
		.amdhsa_next_free_sgpr 16
		.amdhsa_reserve_vcc 1
		.amdhsa_float_round_mode_32 0
		.amdhsa_float_round_mode_16_64 0
		.amdhsa_float_denorm_mode_32 3
		.amdhsa_float_denorm_mode_16_64 3
		.amdhsa_dx10_clamp 1
		.amdhsa_ieee_mode 1
		.amdhsa_fp16_overflow 0
		.amdhsa_workgroup_processor_mode 1
		.amdhsa_memory_ordered 1
		.amdhsa_forward_progress 0
		.amdhsa_shared_vgpr_count 0
		.amdhsa_exception_fp_ieee_invalid_op 0
		.amdhsa_exception_fp_denorm_src 0
		.amdhsa_exception_fp_ieee_div_zero 0
		.amdhsa_exception_fp_ieee_overflow 0
		.amdhsa_exception_fp_ieee_underflow 0
		.amdhsa_exception_fp_ieee_inexact 0
		.amdhsa_exception_int_div_zero 0
	.end_amdhsa_kernel
	.section	.text._ZN12_GLOBAL__N_121softmax_warp_backwardIdddLi1ELb0ELb0ELi64EEEvPT0_PKT_S5_iiiPKb,"axG",@progbits,_ZN12_GLOBAL__N_121softmax_warp_backwardIdddLi1ELb0ELb0ELi64EEEvPT0_PKT_S5_iiiPKb,comdat
.Lfunc_end524:
	.size	_ZN12_GLOBAL__N_121softmax_warp_backwardIdddLi1ELb0ELb0ELi64EEEvPT0_PKT_S5_iiiPKb, .Lfunc_end524-_ZN12_GLOBAL__N_121softmax_warp_backwardIdddLi1ELb0ELb0ELi64EEEvPT0_PKT_S5_iiiPKb
                                        ; -- End function
	.section	.AMDGPU.csdata,"",@progbits
; Kernel info:
; codeLenInByte = 604
; NumSgprs: 18
; NumVgprs: 19
; ScratchSize: 0
; MemoryBound: 0
; FloatMode: 240
; IeeeMode: 1
; LDSByteSize: 0 bytes/workgroup (compile time only)
; SGPRBlocks: 2
; VGPRBlocks: 2
; NumSGPRsForWavesPerEU: 18
; NumVGPRsForWavesPerEU: 19
; Occupancy: 16
; WaveLimiterHint : 0
; COMPUTE_PGM_RSRC2:SCRATCH_EN: 0
; COMPUTE_PGM_RSRC2:USER_SGPR: 15
; COMPUTE_PGM_RSRC2:TRAP_HANDLER: 0
; COMPUTE_PGM_RSRC2:TGID_X_EN: 1
; COMPUTE_PGM_RSRC2:TGID_Y_EN: 0
; COMPUTE_PGM_RSRC2:TGID_Z_EN: 0
; COMPUTE_PGM_RSRC2:TIDIG_COMP_CNT: 1
	.section	.text._ZN12_GLOBAL__N_121softmax_warp_backwardIdddLi1ELb0ELb0ELi32EEEvPT0_PKT_S5_iiiPKb,"axG",@progbits,_ZN12_GLOBAL__N_121softmax_warp_backwardIdddLi1ELb0ELb0ELi32EEEvPT0_PKT_S5_iiiPKb,comdat
	.globl	_ZN12_GLOBAL__N_121softmax_warp_backwardIdddLi1ELb0ELb0ELi32EEEvPT0_PKT_S5_iiiPKb ; -- Begin function _ZN12_GLOBAL__N_121softmax_warp_backwardIdddLi1ELb0ELb0ELi32EEEvPT0_PKT_S5_iiiPKb
	.p2align	8
	.type	_ZN12_GLOBAL__N_121softmax_warp_backwardIdddLi1ELb0ELb0ELi32EEEvPT0_PKT_S5_iiiPKb,@function
_ZN12_GLOBAL__N_121softmax_warp_backwardIdddLi1ELb0ELb0ELi32EEEvPT0_PKT_S5_iiiPKb: ; @_ZN12_GLOBAL__N_121softmax_warp_backwardIdddLi1ELb0ELb0ELi32EEEvPT0_PKT_S5_iiiPKb
; %bb.0:
	s_clause 0x1
	s_load_b32 s2, s[0:1], 0x3c
	s_load_b128 s[4:7], s[0:1], 0x18
	v_bfe_u32 v1, v0, 10, 10
	v_and_b32_e32 v5, 1, v0
	s_waitcnt lgkmcnt(0)
	s_lshr_b32 s2, s2, 16
	s_delay_alu instid0(SALU_CYCLE_1) | instskip(SKIP_4) | instid1(VALU_DEP_1)
	s_mul_i32 s15, s15, s2
	s_clause 0x1
	s_load_b128 s[8:11], s[0:1], 0x0
	s_load_b64 s[2:3], s[0:1], 0x10
	v_add_lshl_u32 v4, s15, v1, 1
	v_mul_lo_u32 v1, v4, s5
	v_sub_nc_u32_e32 v18, s4, v4
	s_delay_alu instid0(VALU_DEP_1) | instskip(NEXT) | instid1(VALU_DEP_3)
	v_cmp_lt_i32_e64 s0, 0, v18
	v_or_b32_e32 v2, v1, v5
	v_mov_b32_e32 v0, 0
	v_mov_b32_e32 v1, 0
	v_cmp_gt_i32_e32 vcc_lo, s6, v5
	s_delay_alu instid0(VALU_DEP_4) | instskip(NEXT) | instid1(VALU_DEP_3)
	v_ashrrev_i32_e32 v3, 31, v2
	v_dual_mov_b32 v5, v1 :: v_dual_mov_b32 v4, v0
	s_delay_alu instid0(VALU_DEP_2) | instskip(SKIP_2) | instid1(VALU_DEP_2)
	v_lshlrev_b64 v[6:7], 3, v[2:3]
	v_dual_mov_b32 v3, v1 :: v_dual_mov_b32 v2, v0
	s_waitcnt lgkmcnt(0)
	v_add_co_u32 v12, s1, s10, v6
	s_delay_alu instid0(VALU_DEP_1) | instskip(SKIP_1) | instid1(VALU_DEP_1)
	v_add_co_ci_u32_e64 v13, s1, s11, v7, s1
	v_add_co_u32 v10, s1, s2, v6
	v_add_co_ci_u32_e64 v11, s1, s3, v7, s1
	s_and_b32 s2, vcc_lo, s0
	s_delay_alu instid0(SALU_CYCLE_1)
	s_and_saveexec_b32 s1, s2
	s_cbranch_execz .LBB525_2
; %bb.1:
	global_load_b64 v[2:3], v[12:13], off
	global_load_b64 v[4:5], v[10:11], off
.LBB525_2:
	s_or_b32 exec_lo, exec_lo, s1
	v_cmp_lt_i32_e64 s1, 1, v18
	v_dual_mov_b32 v9, v1 :: v_dual_mov_b32 v8, v0
	s_delay_alu instid0(VALU_DEP_2) | instskip(NEXT) | instid1(SALU_CYCLE_1)
	s_and_b32 s1, vcc_lo, s1
	s_and_saveexec_b32 s2, s1
	s_cbranch_execz .LBB525_4
; %bb.3:
	s_mov_b32 s7, 0
	s_delay_alu instid0(SALU_CYCLE_1) | instskip(NEXT) | instid1(SALU_CYCLE_1)
	s_lshl_b64 s[4:5], s[6:7], 3
	v_add_co_u32 v0, s1, v12, s4
	s_delay_alu instid0(VALU_DEP_1) | instskip(SKIP_1) | instid1(VALU_DEP_1)
	v_add_co_ci_u32_e64 v1, s1, s5, v13, s1
	v_add_co_u32 v8, s1, v10, s4
	v_add_co_ci_u32_e64 v9, s1, s5, v11, s1
	global_load_b64 v[0:1], v[0:1], off
	global_load_b64 v[8:9], v[8:9], off
.LBB525_4:
	s_or_b32 exec_lo, exec_lo, s2
	s_waitcnt vmcnt(1)
	v_add_f64 v[14:15], v[2:3], 0
	v_add_f64 v[10:11], v[0:1], 0
	v_mbcnt_lo_u32_b32 v12, -1, 0
	s_delay_alu instid0(VALU_DEP_1) | instskip(SKIP_1) | instid1(VALU_DEP_2)
	v_and_b32_e32 v13, 30, v12
	v_xor_b32_e32 v16, 1, v12
	v_add_nc_u32_e32 v13, 2, v13
	s_delay_alu instid0(VALU_DEP_1) | instskip(NEXT) | instid1(VALU_DEP_1)
	v_cmp_lt_i32_e64 s1, v16, v13
	v_cndmask_b32_e64 v12, v12, v16, s1
	s_delay_alu instid0(VALU_DEP_1)
	v_lshlrev_b32_e32 v13, 2, v12
	ds_bpermute_b32 v16, v13, v14
	ds_bpermute_b32 v17, v13, v15
	;; [unrolled: 1-line block ×4, first 2 shown]
	s_and_saveexec_b32 s1, s0
	s_cbranch_execz .LBB525_10
; %bb.5:
	v_add_co_u32 v6, s0, s8, v6
	s_delay_alu instid0(VALU_DEP_1)
	v_add_co_ci_u32_e64 v7, s0, s9, v7, s0
	s_and_saveexec_b32 s0, vcc_lo
	s_cbranch_execz .LBB525_7
; %bb.6:
	s_waitcnt lgkmcnt(2)
	v_add_f64 v[14:15], v[14:15], v[16:17]
	s_waitcnt vmcnt(0)
	s_delay_alu instid0(VALU_DEP_1)
	v_fma_f64 v[2:3], -v[14:15], v[4:5], v[2:3]
	global_store_b64 v[6:7], v[2:3], off
.LBB525_7:
	s_or_b32 exec_lo, exec_lo, s0
	v_cmp_ne_u32_e64 s0, 1, v18
	s_delay_alu instid0(VALU_DEP_1)
	s_and_b32 exec_lo, exec_lo, s0
	s_cbranch_execz .LBB525_10
; %bb.8:
	s_and_b32 exec_lo, exec_lo, vcc_lo
	s_cbranch_execz .LBB525_10
; %bb.9:
	s_waitcnt lgkmcnt(0)
	v_add_f64 v[2:3], v[10:11], v[12:13]
	s_mov_b32 s7, 0
	s_delay_alu instid0(SALU_CYCLE_1) | instskip(SKIP_1) | instid1(VALU_DEP_1)
	s_lshl_b64 s[0:1], s[6:7], 3
	s_waitcnt vmcnt(0)
	v_fma_f64 v[0:1], -v[2:3], v[8:9], v[0:1]
	v_add_co_u32 v2, vcc_lo, v6, s0
	v_add_co_ci_u32_e32 v3, vcc_lo, s1, v7, vcc_lo
	global_store_b64 v[2:3], v[0:1], off
.LBB525_10:
	s_nop 0
	s_sendmsg sendmsg(MSG_DEALLOC_VGPRS)
	s_endpgm
	.section	.rodata,"a",@progbits
	.p2align	6, 0x0
	.amdhsa_kernel _ZN12_GLOBAL__N_121softmax_warp_backwardIdddLi1ELb0ELb0ELi32EEEvPT0_PKT_S5_iiiPKb
		.amdhsa_group_segment_fixed_size 0
		.amdhsa_private_segment_fixed_size 0
		.amdhsa_kernarg_size 304
		.amdhsa_user_sgpr_count 15
		.amdhsa_user_sgpr_dispatch_ptr 0
		.amdhsa_user_sgpr_queue_ptr 0
		.amdhsa_user_sgpr_kernarg_segment_ptr 1
		.amdhsa_user_sgpr_dispatch_id 0
		.amdhsa_user_sgpr_private_segment_size 0
		.amdhsa_wavefront_size32 1
		.amdhsa_uses_dynamic_stack 0
		.amdhsa_enable_private_segment 0
		.amdhsa_system_sgpr_workgroup_id_x 1
		.amdhsa_system_sgpr_workgroup_id_y 0
		.amdhsa_system_sgpr_workgroup_id_z 0
		.amdhsa_system_sgpr_workgroup_info 0
		.amdhsa_system_vgpr_workitem_id 1
		.amdhsa_next_free_vgpr 19
		.amdhsa_next_free_sgpr 16
		.amdhsa_reserve_vcc 1
		.amdhsa_float_round_mode_32 0
		.amdhsa_float_round_mode_16_64 0
		.amdhsa_float_denorm_mode_32 3
		.amdhsa_float_denorm_mode_16_64 3
		.amdhsa_dx10_clamp 1
		.amdhsa_ieee_mode 1
		.amdhsa_fp16_overflow 0
		.amdhsa_workgroup_processor_mode 1
		.amdhsa_memory_ordered 1
		.amdhsa_forward_progress 0
		.amdhsa_shared_vgpr_count 0
		.amdhsa_exception_fp_ieee_invalid_op 0
		.amdhsa_exception_fp_denorm_src 0
		.amdhsa_exception_fp_ieee_div_zero 0
		.amdhsa_exception_fp_ieee_overflow 0
		.amdhsa_exception_fp_ieee_underflow 0
		.amdhsa_exception_fp_ieee_inexact 0
		.amdhsa_exception_int_div_zero 0
	.end_amdhsa_kernel
	.section	.text._ZN12_GLOBAL__N_121softmax_warp_backwardIdddLi1ELb0ELb0ELi32EEEvPT0_PKT_S5_iiiPKb,"axG",@progbits,_ZN12_GLOBAL__N_121softmax_warp_backwardIdddLi1ELb0ELb0ELi32EEEvPT0_PKT_S5_iiiPKb,comdat
.Lfunc_end525:
	.size	_ZN12_GLOBAL__N_121softmax_warp_backwardIdddLi1ELb0ELb0ELi32EEEvPT0_PKT_S5_iiiPKb, .Lfunc_end525-_ZN12_GLOBAL__N_121softmax_warp_backwardIdddLi1ELb0ELb0ELi32EEEvPT0_PKT_S5_iiiPKb
                                        ; -- End function
	.section	.AMDGPU.csdata,"",@progbits
; Kernel info:
; codeLenInByte = 604
; NumSgprs: 18
; NumVgprs: 19
; ScratchSize: 0
; MemoryBound: 0
; FloatMode: 240
; IeeeMode: 1
; LDSByteSize: 0 bytes/workgroup (compile time only)
; SGPRBlocks: 2
; VGPRBlocks: 2
; NumSGPRsForWavesPerEU: 18
; NumVGPRsForWavesPerEU: 19
; Occupancy: 16
; WaveLimiterHint : 0
; COMPUTE_PGM_RSRC2:SCRATCH_EN: 0
; COMPUTE_PGM_RSRC2:USER_SGPR: 15
; COMPUTE_PGM_RSRC2:TRAP_HANDLER: 0
; COMPUTE_PGM_RSRC2:TGID_X_EN: 1
; COMPUTE_PGM_RSRC2:TGID_Y_EN: 0
; COMPUTE_PGM_RSRC2:TGID_Z_EN: 0
; COMPUTE_PGM_RSRC2:TIDIG_COMP_CNT: 1
	.section	.text._ZN12_GLOBAL__N_121softmax_warp_backwardIdddLi2ELb0ELb0ELi64EEEvPT0_PKT_S5_iiiPKb,"axG",@progbits,_ZN12_GLOBAL__N_121softmax_warp_backwardIdddLi2ELb0ELb0ELi64EEEvPT0_PKT_S5_iiiPKb,comdat
	.globl	_ZN12_GLOBAL__N_121softmax_warp_backwardIdddLi2ELb0ELb0ELi64EEEvPT0_PKT_S5_iiiPKb ; -- Begin function _ZN12_GLOBAL__N_121softmax_warp_backwardIdddLi2ELb0ELb0ELi64EEEvPT0_PKT_S5_iiiPKb
	.p2align	8
	.type	_ZN12_GLOBAL__N_121softmax_warp_backwardIdddLi2ELb0ELb0ELi64EEEvPT0_PKT_S5_iiiPKb,@function
_ZN12_GLOBAL__N_121softmax_warp_backwardIdddLi2ELb0ELb0ELi64EEEvPT0_PKT_S5_iiiPKb: ; @_ZN12_GLOBAL__N_121softmax_warp_backwardIdddLi2ELb0ELb0ELi64EEEvPT0_PKT_S5_iiiPKb
; %bb.0:
	s_clause 0x1
	s_load_b32 s2, s[0:1], 0x3c
	s_load_b128 s[4:7], s[0:1], 0x18
	v_bfe_u32 v1, v0, 10, 10
	v_and_b32_e32 v4, 3, v0
	s_load_b128 s[8:11], s[0:1], 0x0
	s_waitcnt lgkmcnt(0)
	s_lshr_b32 s2, s2, 16
	s_delay_alu instid0(SALU_CYCLE_1)
	s_mul_i32 s15, s15, s2
	s_load_b64 s[2:3], s[0:1], 0x10
	v_add_lshl_u32 v5, s15, v1, 1
	v_mov_b32_e32 v0, 0
	v_mov_b32_e32 v1, 0
	v_cmp_gt_i32_e32 vcc_lo, s6, v4
	s_delay_alu instid0(VALU_DEP_4) | instskip(SKIP_1) | instid1(VALU_DEP_4)
	v_mad_u64_u32 v[2:3], null, v5, s5, v[4:5]
	v_sub_nc_u32_e32 v18, s4, v5
	v_dual_mov_b32 v5, v1 :: v_dual_mov_b32 v4, v0
	s_delay_alu instid0(VALU_DEP_2) | instskip(NEXT) | instid1(VALU_DEP_4)
	v_cmp_lt_i32_e64 s0, 0, v18
	v_ashrrev_i32_e32 v3, 31, v2
	s_delay_alu instid0(VALU_DEP_1) | instskip(SKIP_1) | instid1(VALU_DEP_2)
	v_lshlrev_b64 v[6:7], 3, v[2:3]
	v_dual_mov_b32 v3, v1 :: v_dual_mov_b32 v2, v0
	v_add_co_u32 v12, s1, s10, v6
	s_delay_alu instid0(VALU_DEP_1) | instskip(SKIP_2) | instid1(VALU_DEP_1)
	v_add_co_ci_u32_e64 v13, s1, s11, v7, s1
	s_waitcnt lgkmcnt(0)
	v_add_co_u32 v10, s1, s2, v6
	v_add_co_ci_u32_e64 v11, s1, s3, v7, s1
	s_and_b32 s2, vcc_lo, s0
	s_delay_alu instid0(SALU_CYCLE_1)
	s_and_saveexec_b32 s1, s2
	s_cbranch_execz .LBB526_2
; %bb.1:
	global_load_b64 v[2:3], v[12:13], off
	global_load_b64 v[4:5], v[10:11], off
.LBB526_2:
	s_or_b32 exec_lo, exec_lo, s1
	v_cmp_lt_i32_e64 s1, 1, v18
	v_dual_mov_b32 v9, v1 :: v_dual_mov_b32 v8, v0
	s_delay_alu instid0(VALU_DEP_2) | instskip(NEXT) | instid1(SALU_CYCLE_1)
	s_and_b32 s1, vcc_lo, s1
	s_and_saveexec_b32 s2, s1
	s_cbranch_execz .LBB526_4
; %bb.3:
	s_mov_b32 s7, 0
	s_delay_alu instid0(SALU_CYCLE_1) | instskip(NEXT) | instid1(SALU_CYCLE_1)
	s_lshl_b64 s[4:5], s[6:7], 3
	v_add_co_u32 v0, s1, v12, s4
	s_delay_alu instid0(VALU_DEP_1) | instskip(SKIP_1) | instid1(VALU_DEP_1)
	v_add_co_ci_u32_e64 v1, s1, s5, v13, s1
	v_add_co_u32 v8, s1, v10, s4
	v_add_co_ci_u32_e64 v9, s1, s5, v11, s1
	global_load_b64 v[0:1], v[0:1], off
	global_load_b64 v[8:9], v[8:9], off
.LBB526_4:
	s_or_b32 exec_lo, exec_lo, s2
	s_waitcnt vmcnt(1)
	v_add_f64 v[10:11], v[2:3], 0
	v_add_f64 v[12:13], v[0:1], 0
	v_mbcnt_lo_u32_b32 v19, -1, 0
	s_delay_alu instid0(VALU_DEP_1) | instskip(SKIP_1) | instid1(VALU_DEP_2)
	v_and_b32_e32 v14, 28, v19
	v_xor_b32_e32 v15, 2, v19
	v_add_nc_u32_e32 v20, 4, v14
	s_delay_alu instid0(VALU_DEP_1) | instskip(NEXT) | instid1(VALU_DEP_1)
	v_cmp_lt_i32_e64 s1, v15, v20
	v_cndmask_b32_e64 v14, v19, v15, s1
	s_delay_alu instid0(VALU_DEP_1)
	v_lshlrev_b32_e32 v17, 2, v14
	ds_bpermute_b32 v14, v17, v10
	ds_bpermute_b32 v15, v17, v11
	;; [unrolled: 1-line block ×4, first 2 shown]
	s_waitcnt lgkmcnt(2)
	v_add_f64 v[14:15], v[10:11], v[14:15]
	s_waitcnt lgkmcnt(0)
	v_add_f64 v[10:11], v[12:13], v[16:17]
	v_xor_b32_e32 v12, 1, v19
	s_delay_alu instid0(VALU_DEP_1) | instskip(NEXT) | instid1(VALU_DEP_1)
	v_cmp_lt_i32_e64 s1, v12, v20
	v_cndmask_b32_e64 v12, v19, v12, s1
	s_delay_alu instid0(VALU_DEP_1)
	v_lshlrev_b32_e32 v13, 2, v12
	ds_bpermute_b32 v16, v13, v14
	ds_bpermute_b32 v17, v13, v15
	;; [unrolled: 1-line block ×4, first 2 shown]
	s_and_saveexec_b32 s1, s0
	s_cbranch_execz .LBB526_10
; %bb.5:
	v_add_co_u32 v6, s0, s8, v6
	s_delay_alu instid0(VALU_DEP_1)
	v_add_co_ci_u32_e64 v7, s0, s9, v7, s0
	s_and_saveexec_b32 s0, vcc_lo
	s_cbranch_execz .LBB526_7
; %bb.6:
	s_waitcnt lgkmcnt(2)
	v_add_f64 v[14:15], v[14:15], v[16:17]
	s_waitcnt vmcnt(0)
	s_delay_alu instid0(VALU_DEP_1)
	v_fma_f64 v[2:3], -v[14:15], v[4:5], v[2:3]
	global_store_b64 v[6:7], v[2:3], off
.LBB526_7:
	s_or_b32 exec_lo, exec_lo, s0
	v_cmp_ne_u32_e64 s0, 1, v18
	s_delay_alu instid0(VALU_DEP_1)
	s_and_b32 exec_lo, exec_lo, s0
	s_cbranch_execz .LBB526_10
; %bb.8:
	s_and_b32 exec_lo, exec_lo, vcc_lo
	s_cbranch_execz .LBB526_10
; %bb.9:
	s_waitcnt lgkmcnt(0)
	v_add_f64 v[2:3], v[10:11], v[12:13]
	s_mov_b32 s7, 0
	s_delay_alu instid0(SALU_CYCLE_1) | instskip(SKIP_1) | instid1(VALU_DEP_1)
	s_lshl_b64 s[0:1], s[6:7], 3
	s_waitcnt vmcnt(0)
	v_fma_f64 v[0:1], -v[2:3], v[8:9], v[0:1]
	v_add_co_u32 v2, vcc_lo, v6, s0
	v_add_co_ci_u32_e32 v3, vcc_lo, s1, v7, vcc_lo
	global_store_b64 v[2:3], v[0:1], off
.LBB526_10:
	s_nop 0
	s_sendmsg sendmsg(MSG_DEALLOC_VGPRS)
	s_endpgm
	.section	.rodata,"a",@progbits
	.p2align	6, 0x0
	.amdhsa_kernel _ZN12_GLOBAL__N_121softmax_warp_backwardIdddLi2ELb0ELb0ELi64EEEvPT0_PKT_S5_iiiPKb
		.amdhsa_group_segment_fixed_size 0
		.amdhsa_private_segment_fixed_size 0
		.amdhsa_kernarg_size 304
		.amdhsa_user_sgpr_count 15
		.amdhsa_user_sgpr_dispatch_ptr 0
		.amdhsa_user_sgpr_queue_ptr 0
		.amdhsa_user_sgpr_kernarg_segment_ptr 1
		.amdhsa_user_sgpr_dispatch_id 0
		.amdhsa_user_sgpr_private_segment_size 0
		.amdhsa_wavefront_size32 1
		.amdhsa_uses_dynamic_stack 0
		.amdhsa_enable_private_segment 0
		.amdhsa_system_sgpr_workgroup_id_x 1
		.amdhsa_system_sgpr_workgroup_id_y 0
		.amdhsa_system_sgpr_workgroup_id_z 0
		.amdhsa_system_sgpr_workgroup_info 0
		.amdhsa_system_vgpr_workitem_id 1
		.amdhsa_next_free_vgpr 21
		.amdhsa_next_free_sgpr 16
		.amdhsa_reserve_vcc 1
		.amdhsa_float_round_mode_32 0
		.amdhsa_float_round_mode_16_64 0
		.amdhsa_float_denorm_mode_32 3
		.amdhsa_float_denorm_mode_16_64 3
		.amdhsa_dx10_clamp 1
		.amdhsa_ieee_mode 1
		.amdhsa_fp16_overflow 0
		.amdhsa_workgroup_processor_mode 1
		.amdhsa_memory_ordered 1
		.amdhsa_forward_progress 0
		.amdhsa_shared_vgpr_count 0
		.amdhsa_exception_fp_ieee_invalid_op 0
		.amdhsa_exception_fp_denorm_src 0
		.amdhsa_exception_fp_ieee_div_zero 0
		.amdhsa_exception_fp_ieee_overflow 0
		.amdhsa_exception_fp_ieee_underflow 0
		.amdhsa_exception_fp_ieee_inexact 0
		.amdhsa_exception_int_div_zero 0
	.end_amdhsa_kernel
	.section	.text._ZN12_GLOBAL__N_121softmax_warp_backwardIdddLi2ELb0ELb0ELi64EEEvPT0_PKT_S5_iiiPKb,"axG",@progbits,_ZN12_GLOBAL__N_121softmax_warp_backwardIdddLi2ELb0ELb0ELi64EEEvPT0_PKT_S5_iiiPKb,comdat
.Lfunc_end526:
	.size	_ZN12_GLOBAL__N_121softmax_warp_backwardIdddLi2ELb0ELb0ELi64EEEvPT0_PKT_S5_iiiPKb, .Lfunc_end526-_ZN12_GLOBAL__N_121softmax_warp_backwardIdddLi2ELb0ELb0ELi64EEEvPT0_PKT_S5_iiiPKb
                                        ; -- End function
	.section	.AMDGPU.csdata,"",@progbits
; Kernel info:
; codeLenInByte = 684
; NumSgprs: 18
; NumVgprs: 21
; ScratchSize: 0
; MemoryBound: 0
; FloatMode: 240
; IeeeMode: 1
; LDSByteSize: 0 bytes/workgroup (compile time only)
; SGPRBlocks: 2
; VGPRBlocks: 2
; NumSGPRsForWavesPerEU: 18
; NumVGPRsForWavesPerEU: 21
; Occupancy: 16
; WaveLimiterHint : 0
; COMPUTE_PGM_RSRC2:SCRATCH_EN: 0
; COMPUTE_PGM_RSRC2:USER_SGPR: 15
; COMPUTE_PGM_RSRC2:TRAP_HANDLER: 0
; COMPUTE_PGM_RSRC2:TGID_X_EN: 1
; COMPUTE_PGM_RSRC2:TGID_Y_EN: 0
; COMPUTE_PGM_RSRC2:TGID_Z_EN: 0
; COMPUTE_PGM_RSRC2:TIDIG_COMP_CNT: 1
	.section	.text._ZN12_GLOBAL__N_121softmax_warp_backwardIdddLi2ELb0ELb0ELi32EEEvPT0_PKT_S5_iiiPKb,"axG",@progbits,_ZN12_GLOBAL__N_121softmax_warp_backwardIdddLi2ELb0ELb0ELi32EEEvPT0_PKT_S5_iiiPKb,comdat
	.globl	_ZN12_GLOBAL__N_121softmax_warp_backwardIdddLi2ELb0ELb0ELi32EEEvPT0_PKT_S5_iiiPKb ; -- Begin function _ZN12_GLOBAL__N_121softmax_warp_backwardIdddLi2ELb0ELb0ELi32EEEvPT0_PKT_S5_iiiPKb
	.p2align	8
	.type	_ZN12_GLOBAL__N_121softmax_warp_backwardIdddLi2ELb0ELb0ELi32EEEvPT0_PKT_S5_iiiPKb,@function
_ZN12_GLOBAL__N_121softmax_warp_backwardIdddLi2ELb0ELb0ELi32EEEvPT0_PKT_S5_iiiPKb: ; @_ZN12_GLOBAL__N_121softmax_warp_backwardIdddLi2ELb0ELb0ELi32EEEvPT0_PKT_S5_iiiPKb
; %bb.0:
	s_clause 0x1
	s_load_b32 s2, s[0:1], 0x3c
	s_load_b128 s[4:7], s[0:1], 0x18
	v_bfe_u32 v1, v0, 10, 10
	v_and_b32_e32 v4, 3, v0
	s_load_b128 s[8:11], s[0:1], 0x0
	s_waitcnt lgkmcnt(0)
	s_lshr_b32 s2, s2, 16
	s_delay_alu instid0(SALU_CYCLE_1)
	s_mul_i32 s15, s15, s2
	s_load_b64 s[2:3], s[0:1], 0x10
	v_add_lshl_u32 v5, s15, v1, 1
	v_mov_b32_e32 v0, 0
	v_mov_b32_e32 v1, 0
	v_cmp_gt_i32_e32 vcc_lo, s6, v4
	s_delay_alu instid0(VALU_DEP_4) | instskip(SKIP_1) | instid1(VALU_DEP_4)
	v_mad_u64_u32 v[2:3], null, v5, s5, v[4:5]
	v_sub_nc_u32_e32 v18, s4, v5
	v_dual_mov_b32 v5, v1 :: v_dual_mov_b32 v4, v0
	s_delay_alu instid0(VALU_DEP_2) | instskip(NEXT) | instid1(VALU_DEP_4)
	v_cmp_lt_i32_e64 s0, 0, v18
	v_ashrrev_i32_e32 v3, 31, v2
	s_delay_alu instid0(VALU_DEP_1) | instskip(SKIP_1) | instid1(VALU_DEP_2)
	v_lshlrev_b64 v[6:7], 3, v[2:3]
	v_dual_mov_b32 v3, v1 :: v_dual_mov_b32 v2, v0
	v_add_co_u32 v12, s1, s10, v6
	s_delay_alu instid0(VALU_DEP_1) | instskip(SKIP_2) | instid1(VALU_DEP_1)
	v_add_co_ci_u32_e64 v13, s1, s11, v7, s1
	s_waitcnt lgkmcnt(0)
	v_add_co_u32 v10, s1, s2, v6
	v_add_co_ci_u32_e64 v11, s1, s3, v7, s1
	s_and_b32 s2, vcc_lo, s0
	s_delay_alu instid0(SALU_CYCLE_1)
	s_and_saveexec_b32 s1, s2
	s_cbranch_execz .LBB527_2
; %bb.1:
	global_load_b64 v[2:3], v[12:13], off
	global_load_b64 v[4:5], v[10:11], off
.LBB527_2:
	s_or_b32 exec_lo, exec_lo, s1
	v_cmp_lt_i32_e64 s1, 1, v18
	v_dual_mov_b32 v9, v1 :: v_dual_mov_b32 v8, v0
	s_delay_alu instid0(VALU_DEP_2) | instskip(NEXT) | instid1(SALU_CYCLE_1)
	s_and_b32 s1, vcc_lo, s1
	s_and_saveexec_b32 s2, s1
	s_cbranch_execz .LBB527_4
; %bb.3:
	s_mov_b32 s7, 0
	s_delay_alu instid0(SALU_CYCLE_1) | instskip(NEXT) | instid1(SALU_CYCLE_1)
	s_lshl_b64 s[4:5], s[6:7], 3
	v_add_co_u32 v0, s1, v12, s4
	s_delay_alu instid0(VALU_DEP_1) | instskip(SKIP_1) | instid1(VALU_DEP_1)
	v_add_co_ci_u32_e64 v1, s1, s5, v13, s1
	v_add_co_u32 v8, s1, v10, s4
	v_add_co_ci_u32_e64 v9, s1, s5, v11, s1
	global_load_b64 v[0:1], v[0:1], off
	global_load_b64 v[8:9], v[8:9], off
.LBB527_4:
	s_or_b32 exec_lo, exec_lo, s2
	s_waitcnt vmcnt(1)
	v_add_f64 v[10:11], v[2:3], 0
	v_add_f64 v[12:13], v[0:1], 0
	v_mbcnt_lo_u32_b32 v19, -1, 0
	s_delay_alu instid0(VALU_DEP_1) | instskip(SKIP_1) | instid1(VALU_DEP_2)
	v_and_b32_e32 v14, 28, v19
	v_xor_b32_e32 v15, 2, v19
	v_add_nc_u32_e32 v20, 4, v14
	s_delay_alu instid0(VALU_DEP_1) | instskip(NEXT) | instid1(VALU_DEP_1)
	v_cmp_lt_i32_e64 s1, v15, v20
	v_cndmask_b32_e64 v14, v19, v15, s1
	s_delay_alu instid0(VALU_DEP_1)
	v_lshlrev_b32_e32 v17, 2, v14
	ds_bpermute_b32 v14, v17, v10
	ds_bpermute_b32 v15, v17, v11
	ds_bpermute_b32 v16, v17, v12
	ds_bpermute_b32 v17, v17, v13
	s_waitcnt lgkmcnt(2)
	v_add_f64 v[14:15], v[10:11], v[14:15]
	s_waitcnt lgkmcnt(0)
	v_add_f64 v[10:11], v[12:13], v[16:17]
	v_xor_b32_e32 v12, 1, v19
	s_delay_alu instid0(VALU_DEP_1) | instskip(NEXT) | instid1(VALU_DEP_1)
	v_cmp_lt_i32_e64 s1, v12, v20
	v_cndmask_b32_e64 v12, v19, v12, s1
	s_delay_alu instid0(VALU_DEP_1)
	v_lshlrev_b32_e32 v13, 2, v12
	ds_bpermute_b32 v16, v13, v14
	ds_bpermute_b32 v17, v13, v15
	;; [unrolled: 1-line block ×4, first 2 shown]
	s_and_saveexec_b32 s1, s0
	s_cbranch_execz .LBB527_10
; %bb.5:
	v_add_co_u32 v6, s0, s8, v6
	s_delay_alu instid0(VALU_DEP_1)
	v_add_co_ci_u32_e64 v7, s0, s9, v7, s0
	s_and_saveexec_b32 s0, vcc_lo
	s_cbranch_execz .LBB527_7
; %bb.6:
	s_waitcnt lgkmcnt(2)
	v_add_f64 v[14:15], v[14:15], v[16:17]
	s_waitcnt vmcnt(0)
	s_delay_alu instid0(VALU_DEP_1)
	v_fma_f64 v[2:3], -v[14:15], v[4:5], v[2:3]
	global_store_b64 v[6:7], v[2:3], off
.LBB527_7:
	s_or_b32 exec_lo, exec_lo, s0
	v_cmp_ne_u32_e64 s0, 1, v18
	s_delay_alu instid0(VALU_DEP_1)
	s_and_b32 exec_lo, exec_lo, s0
	s_cbranch_execz .LBB527_10
; %bb.8:
	s_and_b32 exec_lo, exec_lo, vcc_lo
	s_cbranch_execz .LBB527_10
; %bb.9:
	s_waitcnt lgkmcnt(0)
	v_add_f64 v[2:3], v[10:11], v[12:13]
	s_mov_b32 s7, 0
	s_delay_alu instid0(SALU_CYCLE_1) | instskip(SKIP_1) | instid1(VALU_DEP_1)
	s_lshl_b64 s[0:1], s[6:7], 3
	s_waitcnt vmcnt(0)
	v_fma_f64 v[0:1], -v[2:3], v[8:9], v[0:1]
	v_add_co_u32 v2, vcc_lo, v6, s0
	v_add_co_ci_u32_e32 v3, vcc_lo, s1, v7, vcc_lo
	global_store_b64 v[2:3], v[0:1], off
.LBB527_10:
	s_nop 0
	s_sendmsg sendmsg(MSG_DEALLOC_VGPRS)
	s_endpgm
	.section	.rodata,"a",@progbits
	.p2align	6, 0x0
	.amdhsa_kernel _ZN12_GLOBAL__N_121softmax_warp_backwardIdddLi2ELb0ELb0ELi32EEEvPT0_PKT_S5_iiiPKb
		.amdhsa_group_segment_fixed_size 0
		.amdhsa_private_segment_fixed_size 0
		.amdhsa_kernarg_size 304
		.amdhsa_user_sgpr_count 15
		.amdhsa_user_sgpr_dispatch_ptr 0
		.amdhsa_user_sgpr_queue_ptr 0
		.amdhsa_user_sgpr_kernarg_segment_ptr 1
		.amdhsa_user_sgpr_dispatch_id 0
		.amdhsa_user_sgpr_private_segment_size 0
		.amdhsa_wavefront_size32 1
		.amdhsa_uses_dynamic_stack 0
		.amdhsa_enable_private_segment 0
		.amdhsa_system_sgpr_workgroup_id_x 1
		.amdhsa_system_sgpr_workgroup_id_y 0
		.amdhsa_system_sgpr_workgroup_id_z 0
		.amdhsa_system_sgpr_workgroup_info 0
		.amdhsa_system_vgpr_workitem_id 1
		.amdhsa_next_free_vgpr 21
		.amdhsa_next_free_sgpr 16
		.amdhsa_reserve_vcc 1
		.amdhsa_float_round_mode_32 0
		.amdhsa_float_round_mode_16_64 0
		.amdhsa_float_denorm_mode_32 3
		.amdhsa_float_denorm_mode_16_64 3
		.amdhsa_dx10_clamp 1
		.amdhsa_ieee_mode 1
		.amdhsa_fp16_overflow 0
		.amdhsa_workgroup_processor_mode 1
		.amdhsa_memory_ordered 1
		.amdhsa_forward_progress 0
		.amdhsa_shared_vgpr_count 0
		.amdhsa_exception_fp_ieee_invalid_op 0
		.amdhsa_exception_fp_denorm_src 0
		.amdhsa_exception_fp_ieee_div_zero 0
		.amdhsa_exception_fp_ieee_overflow 0
		.amdhsa_exception_fp_ieee_underflow 0
		.amdhsa_exception_fp_ieee_inexact 0
		.amdhsa_exception_int_div_zero 0
	.end_amdhsa_kernel
	.section	.text._ZN12_GLOBAL__N_121softmax_warp_backwardIdddLi2ELb0ELb0ELi32EEEvPT0_PKT_S5_iiiPKb,"axG",@progbits,_ZN12_GLOBAL__N_121softmax_warp_backwardIdddLi2ELb0ELb0ELi32EEEvPT0_PKT_S5_iiiPKb,comdat
.Lfunc_end527:
	.size	_ZN12_GLOBAL__N_121softmax_warp_backwardIdddLi2ELb0ELb0ELi32EEEvPT0_PKT_S5_iiiPKb, .Lfunc_end527-_ZN12_GLOBAL__N_121softmax_warp_backwardIdddLi2ELb0ELb0ELi32EEEvPT0_PKT_S5_iiiPKb
                                        ; -- End function
	.section	.AMDGPU.csdata,"",@progbits
; Kernel info:
; codeLenInByte = 684
; NumSgprs: 18
; NumVgprs: 21
; ScratchSize: 0
; MemoryBound: 0
; FloatMode: 240
; IeeeMode: 1
; LDSByteSize: 0 bytes/workgroup (compile time only)
; SGPRBlocks: 2
; VGPRBlocks: 2
; NumSGPRsForWavesPerEU: 18
; NumVGPRsForWavesPerEU: 21
; Occupancy: 16
; WaveLimiterHint : 0
; COMPUTE_PGM_RSRC2:SCRATCH_EN: 0
; COMPUTE_PGM_RSRC2:USER_SGPR: 15
; COMPUTE_PGM_RSRC2:TRAP_HANDLER: 0
; COMPUTE_PGM_RSRC2:TGID_X_EN: 1
; COMPUTE_PGM_RSRC2:TGID_Y_EN: 0
; COMPUTE_PGM_RSRC2:TGID_Z_EN: 0
; COMPUTE_PGM_RSRC2:TIDIG_COMP_CNT: 1
	.section	.text._ZN12_GLOBAL__N_121softmax_warp_backwardIdddLi3ELb0ELb0ELi64EEEvPT0_PKT_S5_iiiPKb,"axG",@progbits,_ZN12_GLOBAL__N_121softmax_warp_backwardIdddLi3ELb0ELb0ELi64EEEvPT0_PKT_S5_iiiPKb,comdat
	.globl	_ZN12_GLOBAL__N_121softmax_warp_backwardIdddLi3ELb0ELb0ELi64EEEvPT0_PKT_S5_iiiPKb ; -- Begin function _ZN12_GLOBAL__N_121softmax_warp_backwardIdddLi3ELb0ELb0ELi64EEEvPT0_PKT_S5_iiiPKb
	.p2align	8
	.type	_ZN12_GLOBAL__N_121softmax_warp_backwardIdddLi3ELb0ELb0ELi64EEEvPT0_PKT_S5_iiiPKb,@function
_ZN12_GLOBAL__N_121softmax_warp_backwardIdddLi3ELb0ELb0ELi64EEEvPT0_PKT_S5_iiiPKb: ; @_ZN12_GLOBAL__N_121softmax_warp_backwardIdddLi3ELb0ELb0ELi64EEEvPT0_PKT_S5_iiiPKb
; %bb.0:
	s_clause 0x1
	s_load_b32 s2, s[0:1], 0x3c
	s_load_b128 s[4:7], s[0:1], 0x18
	v_bfe_u32 v1, v0, 10, 10
	v_and_b32_e32 v4, 7, v0
	s_load_b128 s[8:11], s[0:1], 0x0
	s_waitcnt lgkmcnt(0)
	s_lshr_b32 s2, s2, 16
	s_delay_alu instid0(SALU_CYCLE_1)
	s_mul_i32 s15, s15, s2
	s_load_b64 s[2:3], s[0:1], 0x10
	v_add_lshl_u32 v5, s15, v1, 1
	v_mov_b32_e32 v0, 0
	v_mov_b32_e32 v1, 0
	v_cmp_gt_i32_e32 vcc_lo, s6, v4
	s_delay_alu instid0(VALU_DEP_4) | instskip(SKIP_1) | instid1(VALU_DEP_4)
	v_mad_u64_u32 v[2:3], null, v5, s5, v[4:5]
	v_sub_nc_u32_e32 v18, s4, v5
	v_dual_mov_b32 v5, v1 :: v_dual_mov_b32 v4, v0
	s_delay_alu instid0(VALU_DEP_2) | instskip(NEXT) | instid1(VALU_DEP_4)
	v_cmp_lt_i32_e64 s0, 0, v18
	v_ashrrev_i32_e32 v3, 31, v2
	s_delay_alu instid0(VALU_DEP_1) | instskip(SKIP_1) | instid1(VALU_DEP_2)
	v_lshlrev_b64 v[6:7], 3, v[2:3]
	v_dual_mov_b32 v3, v1 :: v_dual_mov_b32 v2, v0
	v_add_co_u32 v12, s1, s10, v6
	s_delay_alu instid0(VALU_DEP_1) | instskip(SKIP_2) | instid1(VALU_DEP_1)
	v_add_co_ci_u32_e64 v13, s1, s11, v7, s1
	s_waitcnt lgkmcnt(0)
	v_add_co_u32 v10, s1, s2, v6
	v_add_co_ci_u32_e64 v11, s1, s3, v7, s1
	s_and_b32 s2, vcc_lo, s0
	s_delay_alu instid0(SALU_CYCLE_1)
	s_and_saveexec_b32 s1, s2
	s_cbranch_execz .LBB528_2
; %bb.1:
	global_load_b64 v[2:3], v[12:13], off
	global_load_b64 v[4:5], v[10:11], off
.LBB528_2:
	s_or_b32 exec_lo, exec_lo, s1
	v_cmp_lt_i32_e64 s1, 1, v18
	v_dual_mov_b32 v9, v1 :: v_dual_mov_b32 v8, v0
	s_delay_alu instid0(VALU_DEP_2) | instskip(NEXT) | instid1(SALU_CYCLE_1)
	s_and_b32 s1, vcc_lo, s1
	s_and_saveexec_b32 s2, s1
	s_cbranch_execz .LBB528_4
; %bb.3:
	s_mov_b32 s7, 0
	s_delay_alu instid0(SALU_CYCLE_1) | instskip(NEXT) | instid1(SALU_CYCLE_1)
	s_lshl_b64 s[4:5], s[6:7], 3
	v_add_co_u32 v0, s1, v12, s4
	s_delay_alu instid0(VALU_DEP_1) | instskip(SKIP_1) | instid1(VALU_DEP_1)
	v_add_co_ci_u32_e64 v1, s1, s5, v13, s1
	v_add_co_u32 v8, s1, v10, s4
	v_add_co_ci_u32_e64 v9, s1, s5, v11, s1
	global_load_b64 v[0:1], v[0:1], off
	global_load_b64 v[8:9], v[8:9], off
.LBB528_4:
	s_or_b32 exec_lo, exec_lo, s2
	s_waitcnt vmcnt(1)
	v_add_f64 v[10:11], v[2:3], 0
	v_add_f64 v[12:13], v[0:1], 0
	v_mbcnt_lo_u32_b32 v19, -1, 0
	s_delay_alu instid0(VALU_DEP_1) | instskip(SKIP_1) | instid1(VALU_DEP_2)
	v_and_b32_e32 v14, 24, v19
	v_xor_b32_e32 v15, 4, v19
	v_add_nc_u32_e32 v20, 8, v14
	s_delay_alu instid0(VALU_DEP_1) | instskip(NEXT) | instid1(VALU_DEP_1)
	v_cmp_lt_i32_e64 s1, v15, v20
	v_cndmask_b32_e64 v14, v19, v15, s1
	s_delay_alu instid0(VALU_DEP_1)
	v_lshlrev_b32_e32 v17, 2, v14
	ds_bpermute_b32 v14, v17, v10
	ds_bpermute_b32 v15, v17, v11
	;; [unrolled: 1-line block ×4, first 2 shown]
	s_waitcnt lgkmcnt(2)
	v_add_f64 v[10:11], v[10:11], v[14:15]
	v_xor_b32_e32 v14, 2, v19
	s_waitcnt lgkmcnt(0)
	v_add_f64 v[12:13], v[12:13], v[16:17]
	s_delay_alu instid0(VALU_DEP_2) | instskip(NEXT) | instid1(VALU_DEP_1)
	v_cmp_lt_i32_e64 s1, v14, v20
	v_cndmask_b32_e64 v14, v19, v14, s1
	s_delay_alu instid0(VALU_DEP_1)
	v_lshlrev_b32_e32 v17, 2, v14
	ds_bpermute_b32 v14, v17, v10
	ds_bpermute_b32 v15, v17, v11
	;; [unrolled: 1-line block ×4, first 2 shown]
	s_waitcnt lgkmcnt(2)
	v_add_f64 v[14:15], v[10:11], v[14:15]
	s_waitcnt lgkmcnt(0)
	v_add_f64 v[10:11], v[12:13], v[16:17]
	v_xor_b32_e32 v12, 1, v19
	s_delay_alu instid0(VALU_DEP_1) | instskip(NEXT) | instid1(VALU_DEP_1)
	v_cmp_lt_i32_e64 s1, v12, v20
	v_cndmask_b32_e64 v12, v19, v12, s1
	s_delay_alu instid0(VALU_DEP_1)
	v_lshlrev_b32_e32 v13, 2, v12
	ds_bpermute_b32 v16, v13, v14
	ds_bpermute_b32 v17, v13, v15
	;; [unrolled: 1-line block ×4, first 2 shown]
	s_and_saveexec_b32 s1, s0
	s_cbranch_execz .LBB528_10
; %bb.5:
	v_add_co_u32 v6, s0, s8, v6
	s_delay_alu instid0(VALU_DEP_1)
	v_add_co_ci_u32_e64 v7, s0, s9, v7, s0
	s_and_saveexec_b32 s0, vcc_lo
	s_cbranch_execz .LBB528_7
; %bb.6:
	s_waitcnt lgkmcnt(2)
	v_add_f64 v[14:15], v[14:15], v[16:17]
	s_waitcnt vmcnt(0)
	s_delay_alu instid0(VALU_DEP_1)
	v_fma_f64 v[2:3], -v[14:15], v[4:5], v[2:3]
	global_store_b64 v[6:7], v[2:3], off
.LBB528_7:
	s_or_b32 exec_lo, exec_lo, s0
	v_cmp_ne_u32_e64 s0, 1, v18
	s_delay_alu instid0(VALU_DEP_1)
	s_and_b32 exec_lo, exec_lo, s0
	s_cbranch_execz .LBB528_10
; %bb.8:
	s_and_b32 exec_lo, exec_lo, vcc_lo
	s_cbranch_execz .LBB528_10
; %bb.9:
	s_waitcnt lgkmcnt(0)
	v_add_f64 v[2:3], v[10:11], v[12:13]
	s_mov_b32 s7, 0
	s_delay_alu instid0(SALU_CYCLE_1) | instskip(SKIP_1) | instid1(VALU_DEP_1)
	s_lshl_b64 s[0:1], s[6:7], 3
	s_waitcnt vmcnt(0)
	v_fma_f64 v[0:1], -v[2:3], v[8:9], v[0:1]
	v_add_co_u32 v2, vcc_lo, v6, s0
	v_add_co_ci_u32_e32 v3, vcc_lo, s1, v7, vcc_lo
	global_store_b64 v[2:3], v[0:1], off
.LBB528_10:
	s_nop 0
	s_sendmsg sendmsg(MSG_DEALLOC_VGPRS)
	s_endpgm
	.section	.rodata,"a",@progbits
	.p2align	6, 0x0
	.amdhsa_kernel _ZN12_GLOBAL__N_121softmax_warp_backwardIdddLi3ELb0ELb0ELi64EEEvPT0_PKT_S5_iiiPKb
		.amdhsa_group_segment_fixed_size 0
		.amdhsa_private_segment_fixed_size 0
		.amdhsa_kernarg_size 304
		.amdhsa_user_sgpr_count 15
		.amdhsa_user_sgpr_dispatch_ptr 0
		.amdhsa_user_sgpr_queue_ptr 0
		.amdhsa_user_sgpr_kernarg_segment_ptr 1
		.amdhsa_user_sgpr_dispatch_id 0
		.amdhsa_user_sgpr_private_segment_size 0
		.amdhsa_wavefront_size32 1
		.amdhsa_uses_dynamic_stack 0
		.amdhsa_enable_private_segment 0
		.amdhsa_system_sgpr_workgroup_id_x 1
		.amdhsa_system_sgpr_workgroup_id_y 0
		.amdhsa_system_sgpr_workgroup_id_z 0
		.amdhsa_system_sgpr_workgroup_info 0
		.amdhsa_system_vgpr_workitem_id 1
		.amdhsa_next_free_vgpr 21
		.amdhsa_next_free_sgpr 16
		.amdhsa_reserve_vcc 1
		.amdhsa_float_round_mode_32 0
		.amdhsa_float_round_mode_16_64 0
		.amdhsa_float_denorm_mode_32 3
		.amdhsa_float_denorm_mode_16_64 3
		.amdhsa_dx10_clamp 1
		.amdhsa_ieee_mode 1
		.amdhsa_fp16_overflow 0
		.amdhsa_workgroup_processor_mode 1
		.amdhsa_memory_ordered 1
		.amdhsa_forward_progress 0
		.amdhsa_shared_vgpr_count 0
		.amdhsa_exception_fp_ieee_invalid_op 0
		.amdhsa_exception_fp_denorm_src 0
		.amdhsa_exception_fp_ieee_div_zero 0
		.amdhsa_exception_fp_ieee_overflow 0
		.amdhsa_exception_fp_ieee_underflow 0
		.amdhsa_exception_fp_ieee_inexact 0
		.amdhsa_exception_int_div_zero 0
	.end_amdhsa_kernel
	.section	.text._ZN12_GLOBAL__N_121softmax_warp_backwardIdddLi3ELb0ELb0ELi64EEEvPT0_PKT_S5_iiiPKb,"axG",@progbits,_ZN12_GLOBAL__N_121softmax_warp_backwardIdddLi3ELb0ELb0ELi64EEEvPT0_PKT_S5_iiiPKb,comdat
.Lfunc_end528:
	.size	_ZN12_GLOBAL__N_121softmax_warp_backwardIdddLi3ELb0ELb0ELi64EEEvPT0_PKT_S5_iiiPKb, .Lfunc_end528-_ZN12_GLOBAL__N_121softmax_warp_backwardIdddLi3ELb0ELb0ELi64EEEvPT0_PKT_S5_iiiPKb
                                        ; -- End function
	.section	.AMDGPU.csdata,"",@progbits
; Kernel info:
; codeLenInByte = 772
; NumSgprs: 18
; NumVgprs: 21
; ScratchSize: 0
; MemoryBound: 0
; FloatMode: 240
; IeeeMode: 1
; LDSByteSize: 0 bytes/workgroup (compile time only)
; SGPRBlocks: 2
; VGPRBlocks: 2
; NumSGPRsForWavesPerEU: 18
; NumVGPRsForWavesPerEU: 21
; Occupancy: 16
; WaveLimiterHint : 0
; COMPUTE_PGM_RSRC2:SCRATCH_EN: 0
; COMPUTE_PGM_RSRC2:USER_SGPR: 15
; COMPUTE_PGM_RSRC2:TRAP_HANDLER: 0
; COMPUTE_PGM_RSRC2:TGID_X_EN: 1
; COMPUTE_PGM_RSRC2:TGID_Y_EN: 0
; COMPUTE_PGM_RSRC2:TGID_Z_EN: 0
; COMPUTE_PGM_RSRC2:TIDIG_COMP_CNT: 1
	.section	.text._ZN12_GLOBAL__N_121softmax_warp_backwardIdddLi3ELb0ELb0ELi32EEEvPT0_PKT_S5_iiiPKb,"axG",@progbits,_ZN12_GLOBAL__N_121softmax_warp_backwardIdddLi3ELb0ELb0ELi32EEEvPT0_PKT_S5_iiiPKb,comdat
	.globl	_ZN12_GLOBAL__N_121softmax_warp_backwardIdddLi3ELb0ELb0ELi32EEEvPT0_PKT_S5_iiiPKb ; -- Begin function _ZN12_GLOBAL__N_121softmax_warp_backwardIdddLi3ELb0ELb0ELi32EEEvPT0_PKT_S5_iiiPKb
	.p2align	8
	.type	_ZN12_GLOBAL__N_121softmax_warp_backwardIdddLi3ELb0ELb0ELi32EEEvPT0_PKT_S5_iiiPKb,@function
_ZN12_GLOBAL__N_121softmax_warp_backwardIdddLi3ELb0ELb0ELi32EEEvPT0_PKT_S5_iiiPKb: ; @_ZN12_GLOBAL__N_121softmax_warp_backwardIdddLi3ELb0ELb0ELi32EEEvPT0_PKT_S5_iiiPKb
; %bb.0:
	s_clause 0x1
	s_load_b32 s2, s[0:1], 0x3c
	s_load_b128 s[4:7], s[0:1], 0x18
	v_bfe_u32 v1, v0, 10, 10
	v_and_b32_e32 v4, 7, v0
	s_load_b128 s[8:11], s[0:1], 0x0
	s_waitcnt lgkmcnt(0)
	s_lshr_b32 s2, s2, 16
	s_delay_alu instid0(SALU_CYCLE_1)
	s_mul_i32 s15, s15, s2
	s_load_b64 s[2:3], s[0:1], 0x10
	v_add_lshl_u32 v5, s15, v1, 1
	v_mov_b32_e32 v0, 0
	v_mov_b32_e32 v1, 0
	v_cmp_gt_i32_e32 vcc_lo, s6, v4
	s_delay_alu instid0(VALU_DEP_4) | instskip(SKIP_1) | instid1(VALU_DEP_4)
	v_mad_u64_u32 v[2:3], null, v5, s5, v[4:5]
	v_sub_nc_u32_e32 v18, s4, v5
	v_dual_mov_b32 v5, v1 :: v_dual_mov_b32 v4, v0
	s_delay_alu instid0(VALU_DEP_2) | instskip(NEXT) | instid1(VALU_DEP_4)
	v_cmp_lt_i32_e64 s0, 0, v18
	v_ashrrev_i32_e32 v3, 31, v2
	s_delay_alu instid0(VALU_DEP_1) | instskip(SKIP_1) | instid1(VALU_DEP_2)
	v_lshlrev_b64 v[6:7], 3, v[2:3]
	v_dual_mov_b32 v3, v1 :: v_dual_mov_b32 v2, v0
	v_add_co_u32 v12, s1, s10, v6
	s_delay_alu instid0(VALU_DEP_1) | instskip(SKIP_2) | instid1(VALU_DEP_1)
	v_add_co_ci_u32_e64 v13, s1, s11, v7, s1
	s_waitcnt lgkmcnt(0)
	v_add_co_u32 v10, s1, s2, v6
	v_add_co_ci_u32_e64 v11, s1, s3, v7, s1
	s_and_b32 s2, vcc_lo, s0
	s_delay_alu instid0(SALU_CYCLE_1)
	s_and_saveexec_b32 s1, s2
	s_cbranch_execz .LBB529_2
; %bb.1:
	global_load_b64 v[2:3], v[12:13], off
	global_load_b64 v[4:5], v[10:11], off
.LBB529_2:
	s_or_b32 exec_lo, exec_lo, s1
	v_cmp_lt_i32_e64 s1, 1, v18
	v_dual_mov_b32 v9, v1 :: v_dual_mov_b32 v8, v0
	s_delay_alu instid0(VALU_DEP_2) | instskip(NEXT) | instid1(SALU_CYCLE_1)
	s_and_b32 s1, vcc_lo, s1
	s_and_saveexec_b32 s2, s1
	s_cbranch_execz .LBB529_4
; %bb.3:
	s_mov_b32 s7, 0
	s_delay_alu instid0(SALU_CYCLE_1) | instskip(NEXT) | instid1(SALU_CYCLE_1)
	s_lshl_b64 s[4:5], s[6:7], 3
	v_add_co_u32 v0, s1, v12, s4
	s_delay_alu instid0(VALU_DEP_1) | instskip(SKIP_1) | instid1(VALU_DEP_1)
	v_add_co_ci_u32_e64 v1, s1, s5, v13, s1
	v_add_co_u32 v8, s1, v10, s4
	v_add_co_ci_u32_e64 v9, s1, s5, v11, s1
	global_load_b64 v[0:1], v[0:1], off
	global_load_b64 v[8:9], v[8:9], off
.LBB529_4:
	s_or_b32 exec_lo, exec_lo, s2
	s_waitcnt vmcnt(1)
	v_add_f64 v[10:11], v[2:3], 0
	v_add_f64 v[12:13], v[0:1], 0
	v_mbcnt_lo_u32_b32 v19, -1, 0
	s_delay_alu instid0(VALU_DEP_1) | instskip(SKIP_1) | instid1(VALU_DEP_2)
	v_and_b32_e32 v14, 24, v19
	v_xor_b32_e32 v15, 4, v19
	v_add_nc_u32_e32 v20, 8, v14
	s_delay_alu instid0(VALU_DEP_1) | instskip(NEXT) | instid1(VALU_DEP_1)
	v_cmp_lt_i32_e64 s1, v15, v20
	v_cndmask_b32_e64 v14, v19, v15, s1
	s_delay_alu instid0(VALU_DEP_1)
	v_lshlrev_b32_e32 v17, 2, v14
	ds_bpermute_b32 v14, v17, v10
	ds_bpermute_b32 v15, v17, v11
	;; [unrolled: 1-line block ×4, first 2 shown]
	s_waitcnt lgkmcnt(2)
	v_add_f64 v[10:11], v[10:11], v[14:15]
	v_xor_b32_e32 v14, 2, v19
	s_waitcnt lgkmcnt(0)
	v_add_f64 v[12:13], v[12:13], v[16:17]
	s_delay_alu instid0(VALU_DEP_2) | instskip(NEXT) | instid1(VALU_DEP_1)
	v_cmp_lt_i32_e64 s1, v14, v20
	v_cndmask_b32_e64 v14, v19, v14, s1
	s_delay_alu instid0(VALU_DEP_1)
	v_lshlrev_b32_e32 v17, 2, v14
	ds_bpermute_b32 v14, v17, v10
	ds_bpermute_b32 v15, v17, v11
	;; [unrolled: 1-line block ×4, first 2 shown]
	s_waitcnt lgkmcnt(2)
	v_add_f64 v[14:15], v[10:11], v[14:15]
	s_waitcnt lgkmcnt(0)
	v_add_f64 v[10:11], v[12:13], v[16:17]
	v_xor_b32_e32 v12, 1, v19
	s_delay_alu instid0(VALU_DEP_1) | instskip(NEXT) | instid1(VALU_DEP_1)
	v_cmp_lt_i32_e64 s1, v12, v20
	v_cndmask_b32_e64 v12, v19, v12, s1
	s_delay_alu instid0(VALU_DEP_1)
	v_lshlrev_b32_e32 v13, 2, v12
	ds_bpermute_b32 v16, v13, v14
	ds_bpermute_b32 v17, v13, v15
	;; [unrolled: 1-line block ×4, first 2 shown]
	s_and_saveexec_b32 s1, s0
	s_cbranch_execz .LBB529_10
; %bb.5:
	v_add_co_u32 v6, s0, s8, v6
	s_delay_alu instid0(VALU_DEP_1)
	v_add_co_ci_u32_e64 v7, s0, s9, v7, s0
	s_and_saveexec_b32 s0, vcc_lo
	s_cbranch_execz .LBB529_7
; %bb.6:
	s_waitcnt lgkmcnt(2)
	v_add_f64 v[14:15], v[14:15], v[16:17]
	s_waitcnt vmcnt(0)
	s_delay_alu instid0(VALU_DEP_1)
	v_fma_f64 v[2:3], -v[14:15], v[4:5], v[2:3]
	global_store_b64 v[6:7], v[2:3], off
.LBB529_7:
	s_or_b32 exec_lo, exec_lo, s0
	v_cmp_ne_u32_e64 s0, 1, v18
	s_delay_alu instid0(VALU_DEP_1)
	s_and_b32 exec_lo, exec_lo, s0
	s_cbranch_execz .LBB529_10
; %bb.8:
	s_and_b32 exec_lo, exec_lo, vcc_lo
	s_cbranch_execz .LBB529_10
; %bb.9:
	s_waitcnt lgkmcnt(0)
	v_add_f64 v[2:3], v[10:11], v[12:13]
	s_mov_b32 s7, 0
	s_delay_alu instid0(SALU_CYCLE_1) | instskip(SKIP_1) | instid1(VALU_DEP_1)
	s_lshl_b64 s[0:1], s[6:7], 3
	s_waitcnt vmcnt(0)
	v_fma_f64 v[0:1], -v[2:3], v[8:9], v[0:1]
	v_add_co_u32 v2, vcc_lo, v6, s0
	v_add_co_ci_u32_e32 v3, vcc_lo, s1, v7, vcc_lo
	global_store_b64 v[2:3], v[0:1], off
.LBB529_10:
	s_nop 0
	s_sendmsg sendmsg(MSG_DEALLOC_VGPRS)
	s_endpgm
	.section	.rodata,"a",@progbits
	.p2align	6, 0x0
	.amdhsa_kernel _ZN12_GLOBAL__N_121softmax_warp_backwardIdddLi3ELb0ELb0ELi32EEEvPT0_PKT_S5_iiiPKb
		.amdhsa_group_segment_fixed_size 0
		.amdhsa_private_segment_fixed_size 0
		.amdhsa_kernarg_size 304
		.amdhsa_user_sgpr_count 15
		.amdhsa_user_sgpr_dispatch_ptr 0
		.amdhsa_user_sgpr_queue_ptr 0
		.amdhsa_user_sgpr_kernarg_segment_ptr 1
		.amdhsa_user_sgpr_dispatch_id 0
		.amdhsa_user_sgpr_private_segment_size 0
		.amdhsa_wavefront_size32 1
		.amdhsa_uses_dynamic_stack 0
		.amdhsa_enable_private_segment 0
		.amdhsa_system_sgpr_workgroup_id_x 1
		.amdhsa_system_sgpr_workgroup_id_y 0
		.amdhsa_system_sgpr_workgroup_id_z 0
		.amdhsa_system_sgpr_workgroup_info 0
		.amdhsa_system_vgpr_workitem_id 1
		.amdhsa_next_free_vgpr 21
		.amdhsa_next_free_sgpr 16
		.amdhsa_reserve_vcc 1
		.amdhsa_float_round_mode_32 0
		.amdhsa_float_round_mode_16_64 0
		.amdhsa_float_denorm_mode_32 3
		.amdhsa_float_denorm_mode_16_64 3
		.amdhsa_dx10_clamp 1
		.amdhsa_ieee_mode 1
		.amdhsa_fp16_overflow 0
		.amdhsa_workgroup_processor_mode 1
		.amdhsa_memory_ordered 1
		.amdhsa_forward_progress 0
		.amdhsa_shared_vgpr_count 0
		.amdhsa_exception_fp_ieee_invalid_op 0
		.amdhsa_exception_fp_denorm_src 0
		.amdhsa_exception_fp_ieee_div_zero 0
		.amdhsa_exception_fp_ieee_overflow 0
		.amdhsa_exception_fp_ieee_underflow 0
		.amdhsa_exception_fp_ieee_inexact 0
		.amdhsa_exception_int_div_zero 0
	.end_amdhsa_kernel
	.section	.text._ZN12_GLOBAL__N_121softmax_warp_backwardIdddLi3ELb0ELb0ELi32EEEvPT0_PKT_S5_iiiPKb,"axG",@progbits,_ZN12_GLOBAL__N_121softmax_warp_backwardIdddLi3ELb0ELb0ELi32EEEvPT0_PKT_S5_iiiPKb,comdat
.Lfunc_end529:
	.size	_ZN12_GLOBAL__N_121softmax_warp_backwardIdddLi3ELb0ELb0ELi32EEEvPT0_PKT_S5_iiiPKb, .Lfunc_end529-_ZN12_GLOBAL__N_121softmax_warp_backwardIdddLi3ELb0ELb0ELi32EEEvPT0_PKT_S5_iiiPKb
                                        ; -- End function
	.section	.AMDGPU.csdata,"",@progbits
; Kernel info:
; codeLenInByte = 772
; NumSgprs: 18
; NumVgprs: 21
; ScratchSize: 0
; MemoryBound: 0
; FloatMode: 240
; IeeeMode: 1
; LDSByteSize: 0 bytes/workgroup (compile time only)
; SGPRBlocks: 2
; VGPRBlocks: 2
; NumSGPRsForWavesPerEU: 18
; NumVGPRsForWavesPerEU: 21
; Occupancy: 16
; WaveLimiterHint : 0
; COMPUTE_PGM_RSRC2:SCRATCH_EN: 0
; COMPUTE_PGM_RSRC2:USER_SGPR: 15
; COMPUTE_PGM_RSRC2:TRAP_HANDLER: 0
; COMPUTE_PGM_RSRC2:TGID_X_EN: 1
; COMPUTE_PGM_RSRC2:TGID_Y_EN: 0
; COMPUTE_PGM_RSRC2:TGID_Z_EN: 0
; COMPUTE_PGM_RSRC2:TIDIG_COMP_CNT: 1
	.section	.text._ZN12_GLOBAL__N_121softmax_warp_backwardIdddLi4ELb0ELb0ELi64EEEvPT0_PKT_S5_iiiPKb,"axG",@progbits,_ZN12_GLOBAL__N_121softmax_warp_backwardIdddLi4ELb0ELb0ELi64EEEvPT0_PKT_S5_iiiPKb,comdat
	.globl	_ZN12_GLOBAL__N_121softmax_warp_backwardIdddLi4ELb0ELb0ELi64EEEvPT0_PKT_S5_iiiPKb ; -- Begin function _ZN12_GLOBAL__N_121softmax_warp_backwardIdddLi4ELb0ELb0ELi64EEEvPT0_PKT_S5_iiiPKb
	.p2align	8
	.type	_ZN12_GLOBAL__N_121softmax_warp_backwardIdddLi4ELb0ELb0ELi64EEEvPT0_PKT_S5_iiiPKb,@function
_ZN12_GLOBAL__N_121softmax_warp_backwardIdddLi4ELb0ELb0ELi64EEEvPT0_PKT_S5_iiiPKb: ; @_ZN12_GLOBAL__N_121softmax_warp_backwardIdddLi4ELb0ELb0ELi64EEEvPT0_PKT_S5_iiiPKb
; %bb.0:
	s_clause 0x1
	s_load_b32 s2, s[0:1], 0x3c
	s_load_b128 s[4:7], s[0:1], 0x18
	v_bfe_u32 v1, v0, 10, 10
	v_and_b32_e32 v4, 15, v0
	s_load_b128 s[8:11], s[0:1], 0x0
	s_waitcnt lgkmcnt(0)
	s_lshr_b32 s2, s2, 16
	s_delay_alu instid0(SALU_CYCLE_1)
	s_mul_i32 s15, s15, s2
	s_load_b64 s[2:3], s[0:1], 0x10
	v_add_lshl_u32 v5, s15, v1, 1
	v_mov_b32_e32 v0, 0
	v_mov_b32_e32 v1, 0
	v_cmp_gt_i32_e32 vcc_lo, s6, v4
	s_delay_alu instid0(VALU_DEP_4) | instskip(SKIP_1) | instid1(VALU_DEP_4)
	v_mad_u64_u32 v[2:3], null, v5, s5, v[4:5]
	v_sub_nc_u32_e32 v18, s4, v5
	v_dual_mov_b32 v5, v1 :: v_dual_mov_b32 v4, v0
	s_delay_alu instid0(VALU_DEP_2) | instskip(NEXT) | instid1(VALU_DEP_4)
	v_cmp_lt_i32_e64 s0, 0, v18
	v_ashrrev_i32_e32 v3, 31, v2
	s_delay_alu instid0(VALU_DEP_1) | instskip(SKIP_1) | instid1(VALU_DEP_2)
	v_lshlrev_b64 v[6:7], 3, v[2:3]
	v_dual_mov_b32 v3, v1 :: v_dual_mov_b32 v2, v0
	v_add_co_u32 v12, s1, s10, v6
	s_delay_alu instid0(VALU_DEP_1) | instskip(SKIP_2) | instid1(VALU_DEP_1)
	v_add_co_ci_u32_e64 v13, s1, s11, v7, s1
	s_waitcnt lgkmcnt(0)
	v_add_co_u32 v10, s1, s2, v6
	v_add_co_ci_u32_e64 v11, s1, s3, v7, s1
	s_and_b32 s2, vcc_lo, s0
	s_delay_alu instid0(SALU_CYCLE_1)
	s_and_saveexec_b32 s1, s2
	s_cbranch_execz .LBB530_2
; %bb.1:
	global_load_b64 v[2:3], v[12:13], off
	global_load_b64 v[4:5], v[10:11], off
.LBB530_2:
	s_or_b32 exec_lo, exec_lo, s1
	v_cmp_lt_i32_e64 s1, 1, v18
	v_dual_mov_b32 v9, v1 :: v_dual_mov_b32 v8, v0
	s_delay_alu instid0(VALU_DEP_2) | instskip(NEXT) | instid1(SALU_CYCLE_1)
	s_and_b32 s1, vcc_lo, s1
	s_and_saveexec_b32 s2, s1
	s_cbranch_execz .LBB530_4
; %bb.3:
	s_mov_b32 s7, 0
	s_delay_alu instid0(SALU_CYCLE_1) | instskip(NEXT) | instid1(SALU_CYCLE_1)
	s_lshl_b64 s[4:5], s[6:7], 3
	v_add_co_u32 v0, s1, v12, s4
	s_delay_alu instid0(VALU_DEP_1) | instskip(SKIP_1) | instid1(VALU_DEP_1)
	v_add_co_ci_u32_e64 v1, s1, s5, v13, s1
	v_add_co_u32 v8, s1, v10, s4
	v_add_co_ci_u32_e64 v9, s1, s5, v11, s1
	global_load_b64 v[0:1], v[0:1], off
	global_load_b64 v[8:9], v[8:9], off
.LBB530_4:
	s_or_b32 exec_lo, exec_lo, s2
	s_waitcnt vmcnt(1)
	v_add_f64 v[10:11], v[2:3], 0
	v_add_f64 v[12:13], v[0:1], 0
	v_mbcnt_lo_u32_b32 v19, -1, 0
	s_delay_alu instid0(VALU_DEP_1) | instskip(SKIP_1) | instid1(VALU_DEP_2)
	v_and_b32_e32 v14, 16, v19
	v_xor_b32_e32 v15, 8, v19
	v_add_nc_u32_e32 v20, 16, v14
	s_delay_alu instid0(VALU_DEP_1) | instskip(NEXT) | instid1(VALU_DEP_1)
	v_cmp_lt_i32_e64 s1, v15, v20
	v_cndmask_b32_e64 v14, v19, v15, s1
	s_delay_alu instid0(VALU_DEP_1)
	v_lshlrev_b32_e32 v17, 2, v14
	ds_bpermute_b32 v14, v17, v10
	ds_bpermute_b32 v15, v17, v11
	;; [unrolled: 1-line block ×4, first 2 shown]
	s_waitcnt lgkmcnt(2)
	v_add_f64 v[10:11], v[10:11], v[14:15]
	v_xor_b32_e32 v14, 4, v19
	s_waitcnt lgkmcnt(0)
	v_add_f64 v[12:13], v[12:13], v[16:17]
	s_delay_alu instid0(VALU_DEP_2) | instskip(NEXT) | instid1(VALU_DEP_1)
	v_cmp_lt_i32_e64 s1, v14, v20
	v_cndmask_b32_e64 v14, v19, v14, s1
	s_delay_alu instid0(VALU_DEP_1)
	v_lshlrev_b32_e32 v17, 2, v14
	ds_bpermute_b32 v14, v17, v10
	ds_bpermute_b32 v15, v17, v11
	ds_bpermute_b32 v16, v17, v12
	ds_bpermute_b32 v17, v17, v13
	s_waitcnt lgkmcnt(2)
	v_add_f64 v[10:11], v[10:11], v[14:15]
	v_xor_b32_e32 v14, 2, v19
	s_waitcnt lgkmcnt(0)
	v_add_f64 v[12:13], v[12:13], v[16:17]
	s_delay_alu instid0(VALU_DEP_2) | instskip(NEXT) | instid1(VALU_DEP_1)
	v_cmp_lt_i32_e64 s1, v14, v20
	v_cndmask_b32_e64 v14, v19, v14, s1
	s_delay_alu instid0(VALU_DEP_1)
	v_lshlrev_b32_e32 v17, 2, v14
	ds_bpermute_b32 v14, v17, v10
	ds_bpermute_b32 v15, v17, v11
	;; [unrolled: 1-line block ×4, first 2 shown]
	s_waitcnt lgkmcnt(2)
	v_add_f64 v[14:15], v[10:11], v[14:15]
	s_waitcnt lgkmcnt(0)
	v_add_f64 v[10:11], v[12:13], v[16:17]
	v_xor_b32_e32 v12, 1, v19
	s_delay_alu instid0(VALU_DEP_1) | instskip(NEXT) | instid1(VALU_DEP_1)
	v_cmp_lt_i32_e64 s1, v12, v20
	v_cndmask_b32_e64 v12, v19, v12, s1
	s_delay_alu instid0(VALU_DEP_1)
	v_lshlrev_b32_e32 v13, 2, v12
	ds_bpermute_b32 v16, v13, v14
	ds_bpermute_b32 v17, v13, v15
	;; [unrolled: 1-line block ×4, first 2 shown]
	s_and_saveexec_b32 s1, s0
	s_cbranch_execz .LBB530_10
; %bb.5:
	v_add_co_u32 v6, s0, s8, v6
	s_delay_alu instid0(VALU_DEP_1)
	v_add_co_ci_u32_e64 v7, s0, s9, v7, s0
	s_and_saveexec_b32 s0, vcc_lo
	s_cbranch_execz .LBB530_7
; %bb.6:
	s_waitcnt lgkmcnt(2)
	v_add_f64 v[14:15], v[14:15], v[16:17]
	s_waitcnt vmcnt(0)
	s_delay_alu instid0(VALU_DEP_1)
	v_fma_f64 v[2:3], -v[14:15], v[4:5], v[2:3]
	global_store_b64 v[6:7], v[2:3], off
.LBB530_7:
	s_or_b32 exec_lo, exec_lo, s0
	v_cmp_ne_u32_e64 s0, 1, v18
	s_delay_alu instid0(VALU_DEP_1)
	s_and_b32 exec_lo, exec_lo, s0
	s_cbranch_execz .LBB530_10
; %bb.8:
	s_and_b32 exec_lo, exec_lo, vcc_lo
	s_cbranch_execz .LBB530_10
; %bb.9:
	s_waitcnt lgkmcnt(0)
	v_add_f64 v[2:3], v[10:11], v[12:13]
	s_mov_b32 s7, 0
	s_delay_alu instid0(SALU_CYCLE_1) | instskip(SKIP_1) | instid1(VALU_DEP_1)
	s_lshl_b64 s[0:1], s[6:7], 3
	s_waitcnt vmcnt(0)
	v_fma_f64 v[0:1], -v[2:3], v[8:9], v[0:1]
	v_add_co_u32 v2, vcc_lo, v6, s0
	v_add_co_ci_u32_e32 v3, vcc_lo, s1, v7, vcc_lo
	global_store_b64 v[2:3], v[0:1], off
.LBB530_10:
	s_nop 0
	s_sendmsg sendmsg(MSG_DEALLOC_VGPRS)
	s_endpgm
	.section	.rodata,"a",@progbits
	.p2align	6, 0x0
	.amdhsa_kernel _ZN12_GLOBAL__N_121softmax_warp_backwardIdddLi4ELb0ELb0ELi64EEEvPT0_PKT_S5_iiiPKb
		.amdhsa_group_segment_fixed_size 0
		.amdhsa_private_segment_fixed_size 0
		.amdhsa_kernarg_size 304
		.amdhsa_user_sgpr_count 15
		.amdhsa_user_sgpr_dispatch_ptr 0
		.amdhsa_user_sgpr_queue_ptr 0
		.amdhsa_user_sgpr_kernarg_segment_ptr 1
		.amdhsa_user_sgpr_dispatch_id 0
		.amdhsa_user_sgpr_private_segment_size 0
		.amdhsa_wavefront_size32 1
		.amdhsa_uses_dynamic_stack 0
		.amdhsa_enable_private_segment 0
		.amdhsa_system_sgpr_workgroup_id_x 1
		.amdhsa_system_sgpr_workgroup_id_y 0
		.amdhsa_system_sgpr_workgroup_id_z 0
		.amdhsa_system_sgpr_workgroup_info 0
		.amdhsa_system_vgpr_workitem_id 1
		.amdhsa_next_free_vgpr 21
		.amdhsa_next_free_sgpr 16
		.amdhsa_reserve_vcc 1
		.amdhsa_float_round_mode_32 0
		.amdhsa_float_round_mode_16_64 0
		.amdhsa_float_denorm_mode_32 3
		.amdhsa_float_denorm_mode_16_64 3
		.amdhsa_dx10_clamp 1
		.amdhsa_ieee_mode 1
		.amdhsa_fp16_overflow 0
		.amdhsa_workgroup_processor_mode 1
		.amdhsa_memory_ordered 1
		.amdhsa_forward_progress 0
		.amdhsa_shared_vgpr_count 0
		.amdhsa_exception_fp_ieee_invalid_op 0
		.amdhsa_exception_fp_denorm_src 0
		.amdhsa_exception_fp_ieee_div_zero 0
		.amdhsa_exception_fp_ieee_overflow 0
		.amdhsa_exception_fp_ieee_underflow 0
		.amdhsa_exception_fp_ieee_inexact 0
		.amdhsa_exception_int_div_zero 0
	.end_amdhsa_kernel
	.section	.text._ZN12_GLOBAL__N_121softmax_warp_backwardIdddLi4ELb0ELb0ELi64EEEvPT0_PKT_S5_iiiPKb,"axG",@progbits,_ZN12_GLOBAL__N_121softmax_warp_backwardIdddLi4ELb0ELb0ELi64EEEvPT0_PKT_S5_iiiPKb,comdat
.Lfunc_end530:
	.size	_ZN12_GLOBAL__N_121softmax_warp_backwardIdddLi4ELb0ELb0ELi64EEEvPT0_PKT_S5_iiiPKb, .Lfunc_end530-_ZN12_GLOBAL__N_121softmax_warp_backwardIdddLi4ELb0ELb0ELi64EEEvPT0_PKT_S5_iiiPKb
                                        ; -- End function
	.section	.AMDGPU.csdata,"",@progbits
; Kernel info:
; codeLenInByte = 860
; NumSgprs: 18
; NumVgprs: 21
; ScratchSize: 0
; MemoryBound: 0
; FloatMode: 240
; IeeeMode: 1
; LDSByteSize: 0 bytes/workgroup (compile time only)
; SGPRBlocks: 2
; VGPRBlocks: 2
; NumSGPRsForWavesPerEU: 18
; NumVGPRsForWavesPerEU: 21
; Occupancy: 16
; WaveLimiterHint : 0
; COMPUTE_PGM_RSRC2:SCRATCH_EN: 0
; COMPUTE_PGM_RSRC2:USER_SGPR: 15
; COMPUTE_PGM_RSRC2:TRAP_HANDLER: 0
; COMPUTE_PGM_RSRC2:TGID_X_EN: 1
; COMPUTE_PGM_RSRC2:TGID_Y_EN: 0
; COMPUTE_PGM_RSRC2:TGID_Z_EN: 0
; COMPUTE_PGM_RSRC2:TIDIG_COMP_CNT: 1
	.section	.text._ZN12_GLOBAL__N_121softmax_warp_backwardIdddLi4ELb0ELb0ELi32EEEvPT0_PKT_S5_iiiPKb,"axG",@progbits,_ZN12_GLOBAL__N_121softmax_warp_backwardIdddLi4ELb0ELb0ELi32EEEvPT0_PKT_S5_iiiPKb,comdat
	.globl	_ZN12_GLOBAL__N_121softmax_warp_backwardIdddLi4ELb0ELb0ELi32EEEvPT0_PKT_S5_iiiPKb ; -- Begin function _ZN12_GLOBAL__N_121softmax_warp_backwardIdddLi4ELb0ELb0ELi32EEEvPT0_PKT_S5_iiiPKb
	.p2align	8
	.type	_ZN12_GLOBAL__N_121softmax_warp_backwardIdddLi4ELb0ELb0ELi32EEEvPT0_PKT_S5_iiiPKb,@function
_ZN12_GLOBAL__N_121softmax_warp_backwardIdddLi4ELb0ELb0ELi32EEEvPT0_PKT_S5_iiiPKb: ; @_ZN12_GLOBAL__N_121softmax_warp_backwardIdddLi4ELb0ELb0ELi32EEEvPT0_PKT_S5_iiiPKb
; %bb.0:
	s_clause 0x1
	s_load_b32 s2, s[0:1], 0x3c
	s_load_b128 s[4:7], s[0:1], 0x18
	v_bfe_u32 v1, v0, 10, 10
	v_and_b32_e32 v4, 15, v0
	s_load_b128 s[8:11], s[0:1], 0x0
	s_waitcnt lgkmcnt(0)
	s_lshr_b32 s2, s2, 16
	s_delay_alu instid0(SALU_CYCLE_1)
	s_mul_i32 s15, s15, s2
	s_load_b64 s[2:3], s[0:1], 0x10
	v_add_lshl_u32 v5, s15, v1, 1
	v_mov_b32_e32 v0, 0
	v_mov_b32_e32 v1, 0
	v_cmp_gt_i32_e32 vcc_lo, s6, v4
	s_delay_alu instid0(VALU_DEP_4) | instskip(SKIP_1) | instid1(VALU_DEP_4)
	v_mad_u64_u32 v[2:3], null, v5, s5, v[4:5]
	v_sub_nc_u32_e32 v18, s4, v5
	v_dual_mov_b32 v5, v1 :: v_dual_mov_b32 v4, v0
	s_delay_alu instid0(VALU_DEP_2) | instskip(NEXT) | instid1(VALU_DEP_4)
	v_cmp_lt_i32_e64 s0, 0, v18
	v_ashrrev_i32_e32 v3, 31, v2
	s_delay_alu instid0(VALU_DEP_1) | instskip(SKIP_1) | instid1(VALU_DEP_2)
	v_lshlrev_b64 v[6:7], 3, v[2:3]
	v_dual_mov_b32 v3, v1 :: v_dual_mov_b32 v2, v0
	v_add_co_u32 v12, s1, s10, v6
	s_delay_alu instid0(VALU_DEP_1) | instskip(SKIP_2) | instid1(VALU_DEP_1)
	v_add_co_ci_u32_e64 v13, s1, s11, v7, s1
	s_waitcnt lgkmcnt(0)
	v_add_co_u32 v10, s1, s2, v6
	v_add_co_ci_u32_e64 v11, s1, s3, v7, s1
	s_and_b32 s2, vcc_lo, s0
	s_delay_alu instid0(SALU_CYCLE_1)
	s_and_saveexec_b32 s1, s2
	s_cbranch_execz .LBB531_2
; %bb.1:
	global_load_b64 v[2:3], v[12:13], off
	global_load_b64 v[4:5], v[10:11], off
.LBB531_2:
	s_or_b32 exec_lo, exec_lo, s1
	v_cmp_lt_i32_e64 s1, 1, v18
	v_dual_mov_b32 v9, v1 :: v_dual_mov_b32 v8, v0
	s_delay_alu instid0(VALU_DEP_2) | instskip(NEXT) | instid1(SALU_CYCLE_1)
	s_and_b32 s1, vcc_lo, s1
	s_and_saveexec_b32 s2, s1
	s_cbranch_execz .LBB531_4
; %bb.3:
	s_mov_b32 s7, 0
	s_delay_alu instid0(SALU_CYCLE_1) | instskip(NEXT) | instid1(SALU_CYCLE_1)
	s_lshl_b64 s[4:5], s[6:7], 3
	v_add_co_u32 v0, s1, v12, s4
	s_delay_alu instid0(VALU_DEP_1) | instskip(SKIP_1) | instid1(VALU_DEP_1)
	v_add_co_ci_u32_e64 v1, s1, s5, v13, s1
	v_add_co_u32 v8, s1, v10, s4
	v_add_co_ci_u32_e64 v9, s1, s5, v11, s1
	global_load_b64 v[0:1], v[0:1], off
	global_load_b64 v[8:9], v[8:9], off
.LBB531_4:
	s_or_b32 exec_lo, exec_lo, s2
	s_waitcnt vmcnt(1)
	v_add_f64 v[10:11], v[2:3], 0
	v_add_f64 v[12:13], v[0:1], 0
	v_mbcnt_lo_u32_b32 v19, -1, 0
	s_delay_alu instid0(VALU_DEP_1) | instskip(SKIP_1) | instid1(VALU_DEP_2)
	v_and_b32_e32 v14, 16, v19
	v_xor_b32_e32 v15, 8, v19
	v_add_nc_u32_e32 v20, 16, v14
	s_delay_alu instid0(VALU_DEP_1) | instskip(NEXT) | instid1(VALU_DEP_1)
	v_cmp_lt_i32_e64 s1, v15, v20
	v_cndmask_b32_e64 v14, v19, v15, s1
	s_delay_alu instid0(VALU_DEP_1)
	v_lshlrev_b32_e32 v17, 2, v14
	ds_bpermute_b32 v14, v17, v10
	ds_bpermute_b32 v15, v17, v11
	;; [unrolled: 1-line block ×4, first 2 shown]
	s_waitcnt lgkmcnt(2)
	v_add_f64 v[10:11], v[10:11], v[14:15]
	v_xor_b32_e32 v14, 4, v19
	s_waitcnt lgkmcnt(0)
	v_add_f64 v[12:13], v[12:13], v[16:17]
	s_delay_alu instid0(VALU_DEP_2) | instskip(NEXT) | instid1(VALU_DEP_1)
	v_cmp_lt_i32_e64 s1, v14, v20
	v_cndmask_b32_e64 v14, v19, v14, s1
	s_delay_alu instid0(VALU_DEP_1)
	v_lshlrev_b32_e32 v17, 2, v14
	ds_bpermute_b32 v14, v17, v10
	ds_bpermute_b32 v15, v17, v11
	;; [unrolled: 1-line block ×4, first 2 shown]
	s_waitcnt lgkmcnt(2)
	v_add_f64 v[10:11], v[10:11], v[14:15]
	v_xor_b32_e32 v14, 2, v19
	s_waitcnt lgkmcnt(0)
	v_add_f64 v[12:13], v[12:13], v[16:17]
	s_delay_alu instid0(VALU_DEP_2) | instskip(NEXT) | instid1(VALU_DEP_1)
	v_cmp_lt_i32_e64 s1, v14, v20
	v_cndmask_b32_e64 v14, v19, v14, s1
	s_delay_alu instid0(VALU_DEP_1)
	v_lshlrev_b32_e32 v17, 2, v14
	ds_bpermute_b32 v14, v17, v10
	ds_bpermute_b32 v15, v17, v11
	;; [unrolled: 1-line block ×4, first 2 shown]
	s_waitcnt lgkmcnt(2)
	v_add_f64 v[14:15], v[10:11], v[14:15]
	s_waitcnt lgkmcnt(0)
	v_add_f64 v[10:11], v[12:13], v[16:17]
	v_xor_b32_e32 v12, 1, v19
	s_delay_alu instid0(VALU_DEP_1) | instskip(NEXT) | instid1(VALU_DEP_1)
	v_cmp_lt_i32_e64 s1, v12, v20
	v_cndmask_b32_e64 v12, v19, v12, s1
	s_delay_alu instid0(VALU_DEP_1)
	v_lshlrev_b32_e32 v13, 2, v12
	ds_bpermute_b32 v16, v13, v14
	ds_bpermute_b32 v17, v13, v15
	;; [unrolled: 1-line block ×4, first 2 shown]
	s_and_saveexec_b32 s1, s0
	s_cbranch_execz .LBB531_10
; %bb.5:
	v_add_co_u32 v6, s0, s8, v6
	s_delay_alu instid0(VALU_DEP_1)
	v_add_co_ci_u32_e64 v7, s0, s9, v7, s0
	s_and_saveexec_b32 s0, vcc_lo
	s_cbranch_execz .LBB531_7
; %bb.6:
	s_waitcnt lgkmcnt(2)
	v_add_f64 v[14:15], v[14:15], v[16:17]
	s_waitcnt vmcnt(0)
	s_delay_alu instid0(VALU_DEP_1)
	v_fma_f64 v[2:3], -v[14:15], v[4:5], v[2:3]
	global_store_b64 v[6:7], v[2:3], off
.LBB531_7:
	s_or_b32 exec_lo, exec_lo, s0
	v_cmp_ne_u32_e64 s0, 1, v18
	s_delay_alu instid0(VALU_DEP_1)
	s_and_b32 exec_lo, exec_lo, s0
	s_cbranch_execz .LBB531_10
; %bb.8:
	s_and_b32 exec_lo, exec_lo, vcc_lo
	s_cbranch_execz .LBB531_10
; %bb.9:
	s_waitcnt lgkmcnt(0)
	v_add_f64 v[2:3], v[10:11], v[12:13]
	s_mov_b32 s7, 0
	s_delay_alu instid0(SALU_CYCLE_1) | instskip(SKIP_1) | instid1(VALU_DEP_1)
	s_lshl_b64 s[0:1], s[6:7], 3
	s_waitcnt vmcnt(0)
	v_fma_f64 v[0:1], -v[2:3], v[8:9], v[0:1]
	v_add_co_u32 v2, vcc_lo, v6, s0
	v_add_co_ci_u32_e32 v3, vcc_lo, s1, v7, vcc_lo
	global_store_b64 v[2:3], v[0:1], off
.LBB531_10:
	s_nop 0
	s_sendmsg sendmsg(MSG_DEALLOC_VGPRS)
	s_endpgm
	.section	.rodata,"a",@progbits
	.p2align	6, 0x0
	.amdhsa_kernel _ZN12_GLOBAL__N_121softmax_warp_backwardIdddLi4ELb0ELb0ELi32EEEvPT0_PKT_S5_iiiPKb
		.amdhsa_group_segment_fixed_size 0
		.amdhsa_private_segment_fixed_size 0
		.amdhsa_kernarg_size 304
		.amdhsa_user_sgpr_count 15
		.amdhsa_user_sgpr_dispatch_ptr 0
		.amdhsa_user_sgpr_queue_ptr 0
		.amdhsa_user_sgpr_kernarg_segment_ptr 1
		.amdhsa_user_sgpr_dispatch_id 0
		.amdhsa_user_sgpr_private_segment_size 0
		.amdhsa_wavefront_size32 1
		.amdhsa_uses_dynamic_stack 0
		.amdhsa_enable_private_segment 0
		.amdhsa_system_sgpr_workgroup_id_x 1
		.amdhsa_system_sgpr_workgroup_id_y 0
		.amdhsa_system_sgpr_workgroup_id_z 0
		.amdhsa_system_sgpr_workgroup_info 0
		.amdhsa_system_vgpr_workitem_id 1
		.amdhsa_next_free_vgpr 21
		.amdhsa_next_free_sgpr 16
		.amdhsa_reserve_vcc 1
		.amdhsa_float_round_mode_32 0
		.amdhsa_float_round_mode_16_64 0
		.amdhsa_float_denorm_mode_32 3
		.amdhsa_float_denorm_mode_16_64 3
		.amdhsa_dx10_clamp 1
		.amdhsa_ieee_mode 1
		.amdhsa_fp16_overflow 0
		.amdhsa_workgroup_processor_mode 1
		.amdhsa_memory_ordered 1
		.amdhsa_forward_progress 0
		.amdhsa_shared_vgpr_count 0
		.amdhsa_exception_fp_ieee_invalid_op 0
		.amdhsa_exception_fp_denorm_src 0
		.amdhsa_exception_fp_ieee_div_zero 0
		.amdhsa_exception_fp_ieee_overflow 0
		.amdhsa_exception_fp_ieee_underflow 0
		.amdhsa_exception_fp_ieee_inexact 0
		.amdhsa_exception_int_div_zero 0
	.end_amdhsa_kernel
	.section	.text._ZN12_GLOBAL__N_121softmax_warp_backwardIdddLi4ELb0ELb0ELi32EEEvPT0_PKT_S5_iiiPKb,"axG",@progbits,_ZN12_GLOBAL__N_121softmax_warp_backwardIdddLi4ELb0ELb0ELi32EEEvPT0_PKT_S5_iiiPKb,comdat
.Lfunc_end531:
	.size	_ZN12_GLOBAL__N_121softmax_warp_backwardIdddLi4ELb0ELb0ELi32EEEvPT0_PKT_S5_iiiPKb, .Lfunc_end531-_ZN12_GLOBAL__N_121softmax_warp_backwardIdddLi4ELb0ELb0ELi32EEEvPT0_PKT_S5_iiiPKb
                                        ; -- End function
	.section	.AMDGPU.csdata,"",@progbits
; Kernel info:
; codeLenInByte = 860
; NumSgprs: 18
; NumVgprs: 21
; ScratchSize: 0
; MemoryBound: 0
; FloatMode: 240
; IeeeMode: 1
; LDSByteSize: 0 bytes/workgroup (compile time only)
; SGPRBlocks: 2
; VGPRBlocks: 2
; NumSGPRsForWavesPerEU: 18
; NumVGPRsForWavesPerEU: 21
; Occupancy: 16
; WaveLimiterHint : 0
; COMPUTE_PGM_RSRC2:SCRATCH_EN: 0
; COMPUTE_PGM_RSRC2:USER_SGPR: 15
; COMPUTE_PGM_RSRC2:TRAP_HANDLER: 0
; COMPUTE_PGM_RSRC2:TGID_X_EN: 1
; COMPUTE_PGM_RSRC2:TGID_Y_EN: 0
; COMPUTE_PGM_RSRC2:TGID_Z_EN: 0
; COMPUTE_PGM_RSRC2:TIDIG_COMP_CNT: 1
	.section	.text._ZN12_GLOBAL__N_121softmax_warp_backwardIdddLi5ELb0ELb0ELi64EEEvPT0_PKT_S5_iiiPKb,"axG",@progbits,_ZN12_GLOBAL__N_121softmax_warp_backwardIdddLi5ELb0ELb0ELi64EEEvPT0_PKT_S5_iiiPKb,comdat
	.globl	_ZN12_GLOBAL__N_121softmax_warp_backwardIdddLi5ELb0ELb0ELi64EEEvPT0_PKT_S5_iiiPKb ; -- Begin function _ZN12_GLOBAL__N_121softmax_warp_backwardIdddLi5ELb0ELb0ELi64EEEvPT0_PKT_S5_iiiPKb
	.p2align	8
	.type	_ZN12_GLOBAL__N_121softmax_warp_backwardIdddLi5ELb0ELb0ELi64EEEvPT0_PKT_S5_iiiPKb,@function
_ZN12_GLOBAL__N_121softmax_warp_backwardIdddLi5ELb0ELb0ELi64EEEvPT0_PKT_S5_iiiPKb: ; @_ZN12_GLOBAL__N_121softmax_warp_backwardIdddLi5ELb0ELb0ELi64EEEvPT0_PKT_S5_iiiPKb
; %bb.0:
	s_clause 0x1
	s_load_b32 s2, s[0:1], 0x3c
	s_load_b128 s[4:7], s[0:1], 0x18
	v_bfe_u32 v1, v0, 10, 10
	v_and_b32_e32 v4, 31, v0
	s_load_b128 s[8:11], s[0:1], 0x0
	s_waitcnt lgkmcnt(0)
	s_lshr_b32 s2, s2, 16
	s_delay_alu instid0(SALU_CYCLE_1)
	s_mul_i32 s15, s15, s2
	s_load_b64 s[2:3], s[0:1], 0x10
	v_add_lshl_u32 v5, s15, v1, 1
	v_mov_b32_e32 v0, 0
	v_mov_b32_e32 v1, 0
	v_cmp_gt_i32_e32 vcc_lo, s6, v4
	s_delay_alu instid0(VALU_DEP_4) | instskip(SKIP_1) | instid1(VALU_DEP_4)
	v_mad_u64_u32 v[2:3], null, v5, s5, v[4:5]
	v_sub_nc_u32_e32 v18, s4, v5
	v_dual_mov_b32 v5, v1 :: v_dual_mov_b32 v4, v0
	s_delay_alu instid0(VALU_DEP_2) | instskip(NEXT) | instid1(VALU_DEP_4)
	v_cmp_lt_i32_e64 s0, 0, v18
	v_ashrrev_i32_e32 v3, 31, v2
	s_delay_alu instid0(VALU_DEP_1) | instskip(SKIP_1) | instid1(VALU_DEP_2)
	v_lshlrev_b64 v[6:7], 3, v[2:3]
	v_dual_mov_b32 v3, v1 :: v_dual_mov_b32 v2, v0
	v_add_co_u32 v12, s1, s10, v6
	s_delay_alu instid0(VALU_DEP_1) | instskip(SKIP_2) | instid1(VALU_DEP_1)
	v_add_co_ci_u32_e64 v13, s1, s11, v7, s1
	s_waitcnt lgkmcnt(0)
	v_add_co_u32 v10, s1, s2, v6
	v_add_co_ci_u32_e64 v11, s1, s3, v7, s1
	s_and_b32 s2, vcc_lo, s0
	s_delay_alu instid0(SALU_CYCLE_1)
	s_and_saveexec_b32 s1, s2
	s_cbranch_execz .LBB532_2
; %bb.1:
	global_load_b64 v[2:3], v[12:13], off
	global_load_b64 v[4:5], v[10:11], off
.LBB532_2:
	s_or_b32 exec_lo, exec_lo, s1
	v_cmp_lt_i32_e64 s1, 1, v18
	v_dual_mov_b32 v9, v1 :: v_dual_mov_b32 v8, v0
	s_delay_alu instid0(VALU_DEP_2) | instskip(NEXT) | instid1(SALU_CYCLE_1)
	s_and_b32 s1, vcc_lo, s1
	s_and_saveexec_b32 s2, s1
	s_cbranch_execz .LBB532_4
; %bb.3:
	s_mov_b32 s7, 0
	s_delay_alu instid0(SALU_CYCLE_1) | instskip(NEXT) | instid1(SALU_CYCLE_1)
	s_lshl_b64 s[4:5], s[6:7], 3
	v_add_co_u32 v0, s1, v12, s4
	s_delay_alu instid0(VALU_DEP_1) | instskip(SKIP_1) | instid1(VALU_DEP_1)
	v_add_co_ci_u32_e64 v1, s1, s5, v13, s1
	v_add_co_u32 v8, s1, v10, s4
	v_add_co_ci_u32_e64 v9, s1, s5, v11, s1
	global_load_b64 v[0:1], v[0:1], off
	global_load_b64 v[8:9], v[8:9], off
.LBB532_4:
	s_or_b32 exec_lo, exec_lo, s2
	s_waitcnt vmcnt(1)
	v_add_f64 v[10:11], v[2:3], 0
	v_add_f64 v[12:13], v[0:1], 0
	v_mbcnt_lo_u32_b32 v19, -1, 0
	s_delay_alu instid0(VALU_DEP_1) | instskip(NEXT) | instid1(VALU_DEP_1)
	v_xor_b32_e32 v14, 16, v19
	v_cmp_gt_i32_e64 s1, 32, v14
	s_delay_alu instid0(VALU_DEP_1) | instskip(NEXT) | instid1(VALU_DEP_1)
	v_cndmask_b32_e64 v14, v19, v14, s1
	v_lshlrev_b32_e32 v17, 2, v14
	ds_bpermute_b32 v14, v17, v10
	ds_bpermute_b32 v15, v17, v11
	ds_bpermute_b32 v16, v17, v12
	ds_bpermute_b32 v17, v17, v13
	s_waitcnt lgkmcnt(2)
	v_add_f64 v[10:11], v[10:11], v[14:15]
	v_xor_b32_e32 v14, 8, v19
	s_waitcnt lgkmcnt(0)
	v_add_f64 v[12:13], v[12:13], v[16:17]
	s_delay_alu instid0(VALU_DEP_2) | instskip(NEXT) | instid1(VALU_DEP_1)
	v_cmp_gt_i32_e64 s1, 32, v14
	v_cndmask_b32_e64 v14, v19, v14, s1
	s_delay_alu instid0(VALU_DEP_1)
	v_lshlrev_b32_e32 v17, 2, v14
	ds_bpermute_b32 v14, v17, v10
	ds_bpermute_b32 v15, v17, v11
	ds_bpermute_b32 v16, v17, v12
	ds_bpermute_b32 v17, v17, v13
	s_waitcnt lgkmcnt(2)
	v_add_f64 v[10:11], v[10:11], v[14:15]
	v_xor_b32_e32 v14, 4, v19
	s_waitcnt lgkmcnt(0)
	v_add_f64 v[12:13], v[12:13], v[16:17]
	s_delay_alu instid0(VALU_DEP_2) | instskip(NEXT) | instid1(VALU_DEP_1)
	v_cmp_gt_i32_e64 s1, 32, v14
	v_cndmask_b32_e64 v14, v19, v14, s1
	s_delay_alu instid0(VALU_DEP_1)
	;; [unrolled: 14-line block ×3, first 2 shown]
	v_lshlrev_b32_e32 v17, 2, v14
	ds_bpermute_b32 v14, v17, v10
	ds_bpermute_b32 v15, v17, v11
	;; [unrolled: 1-line block ×4, first 2 shown]
	s_waitcnt lgkmcnt(2)
	v_add_f64 v[14:15], v[10:11], v[14:15]
	s_waitcnt lgkmcnt(0)
	v_add_f64 v[10:11], v[12:13], v[16:17]
	v_xor_b32_e32 v12, 1, v19
	s_delay_alu instid0(VALU_DEP_1) | instskip(NEXT) | instid1(VALU_DEP_1)
	v_cmp_gt_i32_e64 s1, 32, v12
	v_cndmask_b32_e64 v12, v19, v12, s1
	s_delay_alu instid0(VALU_DEP_1)
	v_lshlrev_b32_e32 v13, 2, v12
	ds_bpermute_b32 v16, v13, v14
	ds_bpermute_b32 v17, v13, v15
	;; [unrolled: 1-line block ×4, first 2 shown]
	s_and_saveexec_b32 s1, s0
	s_cbranch_execz .LBB532_10
; %bb.5:
	v_add_co_u32 v6, s0, s8, v6
	s_delay_alu instid0(VALU_DEP_1)
	v_add_co_ci_u32_e64 v7, s0, s9, v7, s0
	s_and_saveexec_b32 s0, vcc_lo
	s_cbranch_execz .LBB532_7
; %bb.6:
	s_waitcnt lgkmcnt(2)
	v_add_f64 v[14:15], v[14:15], v[16:17]
	s_waitcnt vmcnt(0)
	s_delay_alu instid0(VALU_DEP_1)
	v_fma_f64 v[2:3], -v[14:15], v[4:5], v[2:3]
	global_store_b64 v[6:7], v[2:3], off
.LBB532_7:
	s_or_b32 exec_lo, exec_lo, s0
	v_cmp_ne_u32_e64 s0, 1, v18
	s_delay_alu instid0(VALU_DEP_1)
	s_and_b32 exec_lo, exec_lo, s0
	s_cbranch_execz .LBB532_10
; %bb.8:
	s_and_b32 exec_lo, exec_lo, vcc_lo
	s_cbranch_execz .LBB532_10
; %bb.9:
	s_waitcnt lgkmcnt(0)
	v_add_f64 v[2:3], v[10:11], v[12:13]
	s_mov_b32 s7, 0
	s_delay_alu instid0(SALU_CYCLE_1) | instskip(SKIP_1) | instid1(VALU_DEP_1)
	s_lshl_b64 s[0:1], s[6:7], 3
	s_waitcnt vmcnt(0)
	v_fma_f64 v[0:1], -v[2:3], v[8:9], v[0:1]
	v_add_co_u32 v2, vcc_lo, v6, s0
	v_add_co_ci_u32_e32 v3, vcc_lo, s1, v7, vcc_lo
	global_store_b64 v[2:3], v[0:1], off
.LBB532_10:
	s_nop 0
	s_sendmsg sendmsg(MSG_DEALLOC_VGPRS)
	s_endpgm
	.section	.rodata,"a",@progbits
	.p2align	6, 0x0
	.amdhsa_kernel _ZN12_GLOBAL__N_121softmax_warp_backwardIdddLi5ELb0ELb0ELi64EEEvPT0_PKT_S5_iiiPKb
		.amdhsa_group_segment_fixed_size 0
		.amdhsa_private_segment_fixed_size 0
		.amdhsa_kernarg_size 304
		.amdhsa_user_sgpr_count 15
		.amdhsa_user_sgpr_dispatch_ptr 0
		.amdhsa_user_sgpr_queue_ptr 0
		.amdhsa_user_sgpr_kernarg_segment_ptr 1
		.amdhsa_user_sgpr_dispatch_id 0
		.amdhsa_user_sgpr_private_segment_size 0
		.amdhsa_wavefront_size32 1
		.amdhsa_uses_dynamic_stack 0
		.amdhsa_enable_private_segment 0
		.amdhsa_system_sgpr_workgroup_id_x 1
		.amdhsa_system_sgpr_workgroup_id_y 0
		.amdhsa_system_sgpr_workgroup_id_z 0
		.amdhsa_system_sgpr_workgroup_info 0
		.amdhsa_system_vgpr_workitem_id 1
		.amdhsa_next_free_vgpr 20
		.amdhsa_next_free_sgpr 16
		.amdhsa_reserve_vcc 1
		.amdhsa_float_round_mode_32 0
		.amdhsa_float_round_mode_16_64 0
		.amdhsa_float_denorm_mode_32 3
		.amdhsa_float_denorm_mode_16_64 3
		.amdhsa_dx10_clamp 1
		.amdhsa_ieee_mode 1
		.amdhsa_fp16_overflow 0
		.amdhsa_workgroup_processor_mode 1
		.amdhsa_memory_ordered 1
		.amdhsa_forward_progress 0
		.amdhsa_shared_vgpr_count 0
		.amdhsa_exception_fp_ieee_invalid_op 0
		.amdhsa_exception_fp_denorm_src 0
		.amdhsa_exception_fp_ieee_div_zero 0
		.amdhsa_exception_fp_ieee_overflow 0
		.amdhsa_exception_fp_ieee_underflow 0
		.amdhsa_exception_fp_ieee_inexact 0
		.amdhsa_exception_int_div_zero 0
	.end_amdhsa_kernel
	.section	.text._ZN12_GLOBAL__N_121softmax_warp_backwardIdddLi5ELb0ELb0ELi64EEEvPT0_PKT_S5_iiiPKb,"axG",@progbits,_ZN12_GLOBAL__N_121softmax_warp_backwardIdddLi5ELb0ELb0ELi64EEEvPT0_PKT_S5_iiiPKb,comdat
.Lfunc_end532:
	.size	_ZN12_GLOBAL__N_121softmax_warp_backwardIdddLi5ELb0ELb0ELi64EEEvPT0_PKT_S5_iiiPKb, .Lfunc_end532-_ZN12_GLOBAL__N_121softmax_warp_backwardIdddLi5ELb0ELb0ELi64EEEvPT0_PKT_S5_iiiPKb
                                        ; -- End function
	.section	.AMDGPU.csdata,"",@progbits
; Kernel info:
; codeLenInByte = 936
; NumSgprs: 18
; NumVgprs: 20
; ScratchSize: 0
; MemoryBound: 0
; FloatMode: 240
; IeeeMode: 1
; LDSByteSize: 0 bytes/workgroup (compile time only)
; SGPRBlocks: 2
; VGPRBlocks: 2
; NumSGPRsForWavesPerEU: 18
; NumVGPRsForWavesPerEU: 20
; Occupancy: 16
; WaveLimiterHint : 0
; COMPUTE_PGM_RSRC2:SCRATCH_EN: 0
; COMPUTE_PGM_RSRC2:USER_SGPR: 15
; COMPUTE_PGM_RSRC2:TRAP_HANDLER: 0
; COMPUTE_PGM_RSRC2:TGID_X_EN: 1
; COMPUTE_PGM_RSRC2:TGID_Y_EN: 0
; COMPUTE_PGM_RSRC2:TGID_Z_EN: 0
; COMPUTE_PGM_RSRC2:TIDIG_COMP_CNT: 1
	.section	.text._ZN12_GLOBAL__N_121softmax_warp_backwardIdddLi5ELb0ELb0ELi32EEEvPT0_PKT_S5_iiiPKb,"axG",@progbits,_ZN12_GLOBAL__N_121softmax_warp_backwardIdddLi5ELb0ELb0ELi32EEEvPT0_PKT_S5_iiiPKb,comdat
	.globl	_ZN12_GLOBAL__N_121softmax_warp_backwardIdddLi5ELb0ELb0ELi32EEEvPT0_PKT_S5_iiiPKb ; -- Begin function _ZN12_GLOBAL__N_121softmax_warp_backwardIdddLi5ELb0ELb0ELi32EEEvPT0_PKT_S5_iiiPKb
	.p2align	8
	.type	_ZN12_GLOBAL__N_121softmax_warp_backwardIdddLi5ELb0ELb0ELi32EEEvPT0_PKT_S5_iiiPKb,@function
_ZN12_GLOBAL__N_121softmax_warp_backwardIdddLi5ELb0ELb0ELi32EEEvPT0_PKT_S5_iiiPKb: ; @_ZN12_GLOBAL__N_121softmax_warp_backwardIdddLi5ELb0ELb0ELi32EEEvPT0_PKT_S5_iiiPKb
; %bb.0:
	s_clause 0x1
	s_load_b32 s2, s[0:1], 0x3c
	s_load_b128 s[4:7], s[0:1], 0x18
	v_bfe_u32 v1, v0, 10, 10
	v_and_b32_e32 v4, 31, v0
	s_load_b128 s[8:11], s[0:1], 0x0
	s_waitcnt lgkmcnt(0)
	s_lshr_b32 s2, s2, 16
	s_delay_alu instid0(SALU_CYCLE_1)
	s_mul_i32 s15, s15, s2
	s_load_b64 s[2:3], s[0:1], 0x10
	v_add_lshl_u32 v5, s15, v1, 1
	v_mov_b32_e32 v0, 0
	v_mov_b32_e32 v1, 0
	v_cmp_gt_i32_e32 vcc_lo, s6, v4
	s_delay_alu instid0(VALU_DEP_4) | instskip(SKIP_1) | instid1(VALU_DEP_4)
	v_mad_u64_u32 v[2:3], null, v5, s5, v[4:5]
	v_sub_nc_u32_e32 v18, s4, v5
	v_dual_mov_b32 v5, v1 :: v_dual_mov_b32 v4, v0
	s_delay_alu instid0(VALU_DEP_2) | instskip(NEXT) | instid1(VALU_DEP_4)
	v_cmp_lt_i32_e64 s0, 0, v18
	v_ashrrev_i32_e32 v3, 31, v2
	s_delay_alu instid0(VALU_DEP_1) | instskip(SKIP_1) | instid1(VALU_DEP_2)
	v_lshlrev_b64 v[6:7], 3, v[2:3]
	v_dual_mov_b32 v3, v1 :: v_dual_mov_b32 v2, v0
	v_add_co_u32 v12, s1, s10, v6
	s_delay_alu instid0(VALU_DEP_1) | instskip(SKIP_2) | instid1(VALU_DEP_1)
	v_add_co_ci_u32_e64 v13, s1, s11, v7, s1
	s_waitcnt lgkmcnt(0)
	v_add_co_u32 v10, s1, s2, v6
	v_add_co_ci_u32_e64 v11, s1, s3, v7, s1
	s_and_b32 s2, vcc_lo, s0
	s_delay_alu instid0(SALU_CYCLE_1)
	s_and_saveexec_b32 s1, s2
	s_cbranch_execz .LBB533_2
; %bb.1:
	global_load_b64 v[2:3], v[12:13], off
	global_load_b64 v[4:5], v[10:11], off
.LBB533_2:
	s_or_b32 exec_lo, exec_lo, s1
	v_cmp_lt_i32_e64 s1, 1, v18
	v_dual_mov_b32 v9, v1 :: v_dual_mov_b32 v8, v0
	s_delay_alu instid0(VALU_DEP_2) | instskip(NEXT) | instid1(SALU_CYCLE_1)
	s_and_b32 s1, vcc_lo, s1
	s_and_saveexec_b32 s2, s1
	s_cbranch_execz .LBB533_4
; %bb.3:
	s_mov_b32 s7, 0
	s_delay_alu instid0(SALU_CYCLE_1) | instskip(NEXT) | instid1(SALU_CYCLE_1)
	s_lshl_b64 s[4:5], s[6:7], 3
	v_add_co_u32 v0, s1, v12, s4
	s_delay_alu instid0(VALU_DEP_1) | instskip(SKIP_1) | instid1(VALU_DEP_1)
	v_add_co_ci_u32_e64 v1, s1, s5, v13, s1
	v_add_co_u32 v8, s1, v10, s4
	v_add_co_ci_u32_e64 v9, s1, s5, v11, s1
	global_load_b64 v[0:1], v[0:1], off
	global_load_b64 v[8:9], v[8:9], off
.LBB533_4:
	s_or_b32 exec_lo, exec_lo, s2
	s_waitcnt vmcnt(1)
	v_add_f64 v[10:11], v[2:3], 0
	v_add_f64 v[12:13], v[0:1], 0
	v_mbcnt_lo_u32_b32 v19, -1, 0
	s_delay_alu instid0(VALU_DEP_1) | instskip(NEXT) | instid1(VALU_DEP_1)
	v_xor_b32_e32 v14, 16, v19
	v_cmp_gt_i32_e64 s1, 32, v14
	s_delay_alu instid0(VALU_DEP_1) | instskip(NEXT) | instid1(VALU_DEP_1)
	v_cndmask_b32_e64 v14, v19, v14, s1
	v_lshlrev_b32_e32 v17, 2, v14
	ds_bpermute_b32 v14, v17, v10
	ds_bpermute_b32 v15, v17, v11
	ds_bpermute_b32 v16, v17, v12
	ds_bpermute_b32 v17, v17, v13
	s_waitcnt lgkmcnt(2)
	v_add_f64 v[10:11], v[10:11], v[14:15]
	v_xor_b32_e32 v14, 8, v19
	s_waitcnt lgkmcnt(0)
	v_add_f64 v[12:13], v[12:13], v[16:17]
	s_delay_alu instid0(VALU_DEP_2) | instskip(NEXT) | instid1(VALU_DEP_1)
	v_cmp_gt_i32_e64 s1, 32, v14
	v_cndmask_b32_e64 v14, v19, v14, s1
	s_delay_alu instid0(VALU_DEP_1)
	v_lshlrev_b32_e32 v17, 2, v14
	ds_bpermute_b32 v14, v17, v10
	ds_bpermute_b32 v15, v17, v11
	ds_bpermute_b32 v16, v17, v12
	ds_bpermute_b32 v17, v17, v13
	s_waitcnt lgkmcnt(2)
	v_add_f64 v[10:11], v[10:11], v[14:15]
	v_xor_b32_e32 v14, 4, v19
	s_waitcnt lgkmcnt(0)
	v_add_f64 v[12:13], v[12:13], v[16:17]
	s_delay_alu instid0(VALU_DEP_2) | instskip(NEXT) | instid1(VALU_DEP_1)
	v_cmp_gt_i32_e64 s1, 32, v14
	v_cndmask_b32_e64 v14, v19, v14, s1
	s_delay_alu instid0(VALU_DEP_1)
	;; [unrolled: 14-line block ×3, first 2 shown]
	v_lshlrev_b32_e32 v17, 2, v14
	ds_bpermute_b32 v14, v17, v10
	ds_bpermute_b32 v15, v17, v11
	ds_bpermute_b32 v16, v17, v12
	ds_bpermute_b32 v17, v17, v13
	s_waitcnt lgkmcnt(2)
	v_add_f64 v[14:15], v[10:11], v[14:15]
	s_waitcnt lgkmcnt(0)
	v_add_f64 v[10:11], v[12:13], v[16:17]
	v_xor_b32_e32 v12, 1, v19
	s_delay_alu instid0(VALU_DEP_1) | instskip(NEXT) | instid1(VALU_DEP_1)
	v_cmp_gt_i32_e64 s1, 32, v12
	v_cndmask_b32_e64 v12, v19, v12, s1
	s_delay_alu instid0(VALU_DEP_1)
	v_lshlrev_b32_e32 v13, 2, v12
	ds_bpermute_b32 v16, v13, v14
	ds_bpermute_b32 v17, v13, v15
	;; [unrolled: 1-line block ×4, first 2 shown]
	s_and_saveexec_b32 s1, s0
	s_cbranch_execz .LBB533_10
; %bb.5:
	v_add_co_u32 v6, s0, s8, v6
	s_delay_alu instid0(VALU_DEP_1)
	v_add_co_ci_u32_e64 v7, s0, s9, v7, s0
	s_and_saveexec_b32 s0, vcc_lo
	s_cbranch_execz .LBB533_7
; %bb.6:
	s_waitcnt lgkmcnt(2)
	v_add_f64 v[14:15], v[14:15], v[16:17]
	s_waitcnt vmcnt(0)
	s_delay_alu instid0(VALU_DEP_1)
	v_fma_f64 v[2:3], -v[14:15], v[4:5], v[2:3]
	global_store_b64 v[6:7], v[2:3], off
.LBB533_7:
	s_or_b32 exec_lo, exec_lo, s0
	v_cmp_ne_u32_e64 s0, 1, v18
	s_delay_alu instid0(VALU_DEP_1)
	s_and_b32 exec_lo, exec_lo, s0
	s_cbranch_execz .LBB533_10
; %bb.8:
	s_and_b32 exec_lo, exec_lo, vcc_lo
	s_cbranch_execz .LBB533_10
; %bb.9:
	s_waitcnt lgkmcnt(0)
	v_add_f64 v[2:3], v[10:11], v[12:13]
	s_mov_b32 s7, 0
	s_delay_alu instid0(SALU_CYCLE_1) | instskip(SKIP_1) | instid1(VALU_DEP_1)
	s_lshl_b64 s[0:1], s[6:7], 3
	s_waitcnt vmcnt(0)
	v_fma_f64 v[0:1], -v[2:3], v[8:9], v[0:1]
	v_add_co_u32 v2, vcc_lo, v6, s0
	v_add_co_ci_u32_e32 v3, vcc_lo, s1, v7, vcc_lo
	global_store_b64 v[2:3], v[0:1], off
.LBB533_10:
	s_nop 0
	s_sendmsg sendmsg(MSG_DEALLOC_VGPRS)
	s_endpgm
	.section	.rodata,"a",@progbits
	.p2align	6, 0x0
	.amdhsa_kernel _ZN12_GLOBAL__N_121softmax_warp_backwardIdddLi5ELb0ELb0ELi32EEEvPT0_PKT_S5_iiiPKb
		.amdhsa_group_segment_fixed_size 0
		.amdhsa_private_segment_fixed_size 0
		.amdhsa_kernarg_size 304
		.amdhsa_user_sgpr_count 15
		.amdhsa_user_sgpr_dispatch_ptr 0
		.amdhsa_user_sgpr_queue_ptr 0
		.amdhsa_user_sgpr_kernarg_segment_ptr 1
		.amdhsa_user_sgpr_dispatch_id 0
		.amdhsa_user_sgpr_private_segment_size 0
		.amdhsa_wavefront_size32 1
		.amdhsa_uses_dynamic_stack 0
		.amdhsa_enable_private_segment 0
		.amdhsa_system_sgpr_workgroup_id_x 1
		.amdhsa_system_sgpr_workgroup_id_y 0
		.amdhsa_system_sgpr_workgroup_id_z 0
		.amdhsa_system_sgpr_workgroup_info 0
		.amdhsa_system_vgpr_workitem_id 1
		.amdhsa_next_free_vgpr 20
		.amdhsa_next_free_sgpr 16
		.amdhsa_reserve_vcc 1
		.amdhsa_float_round_mode_32 0
		.amdhsa_float_round_mode_16_64 0
		.amdhsa_float_denorm_mode_32 3
		.amdhsa_float_denorm_mode_16_64 3
		.amdhsa_dx10_clamp 1
		.amdhsa_ieee_mode 1
		.amdhsa_fp16_overflow 0
		.amdhsa_workgroup_processor_mode 1
		.amdhsa_memory_ordered 1
		.amdhsa_forward_progress 0
		.amdhsa_shared_vgpr_count 0
		.amdhsa_exception_fp_ieee_invalid_op 0
		.amdhsa_exception_fp_denorm_src 0
		.amdhsa_exception_fp_ieee_div_zero 0
		.amdhsa_exception_fp_ieee_overflow 0
		.amdhsa_exception_fp_ieee_underflow 0
		.amdhsa_exception_fp_ieee_inexact 0
		.amdhsa_exception_int_div_zero 0
	.end_amdhsa_kernel
	.section	.text._ZN12_GLOBAL__N_121softmax_warp_backwardIdddLi5ELb0ELb0ELi32EEEvPT0_PKT_S5_iiiPKb,"axG",@progbits,_ZN12_GLOBAL__N_121softmax_warp_backwardIdddLi5ELb0ELb0ELi32EEEvPT0_PKT_S5_iiiPKb,comdat
.Lfunc_end533:
	.size	_ZN12_GLOBAL__N_121softmax_warp_backwardIdddLi5ELb0ELb0ELi32EEEvPT0_PKT_S5_iiiPKb, .Lfunc_end533-_ZN12_GLOBAL__N_121softmax_warp_backwardIdddLi5ELb0ELb0ELi32EEEvPT0_PKT_S5_iiiPKb
                                        ; -- End function
	.section	.AMDGPU.csdata,"",@progbits
; Kernel info:
; codeLenInByte = 936
; NumSgprs: 18
; NumVgprs: 20
; ScratchSize: 0
; MemoryBound: 0
; FloatMode: 240
; IeeeMode: 1
; LDSByteSize: 0 bytes/workgroup (compile time only)
; SGPRBlocks: 2
; VGPRBlocks: 2
; NumSGPRsForWavesPerEU: 18
; NumVGPRsForWavesPerEU: 20
; Occupancy: 16
; WaveLimiterHint : 0
; COMPUTE_PGM_RSRC2:SCRATCH_EN: 0
; COMPUTE_PGM_RSRC2:USER_SGPR: 15
; COMPUTE_PGM_RSRC2:TRAP_HANDLER: 0
; COMPUTE_PGM_RSRC2:TGID_X_EN: 1
; COMPUTE_PGM_RSRC2:TGID_Y_EN: 0
; COMPUTE_PGM_RSRC2:TGID_Z_EN: 0
; COMPUTE_PGM_RSRC2:TIDIG_COMP_CNT: 1
	.section	.text._ZN12_GLOBAL__N_121softmax_warp_backwardIdddLi6ELb0ELb0ELi64EEEvPT0_PKT_S5_iiiPKb,"axG",@progbits,_ZN12_GLOBAL__N_121softmax_warp_backwardIdddLi6ELb0ELb0ELi64EEEvPT0_PKT_S5_iiiPKb,comdat
	.globl	_ZN12_GLOBAL__N_121softmax_warp_backwardIdddLi6ELb0ELb0ELi64EEEvPT0_PKT_S5_iiiPKb ; -- Begin function _ZN12_GLOBAL__N_121softmax_warp_backwardIdddLi6ELb0ELb0ELi64EEEvPT0_PKT_S5_iiiPKb
	.p2align	8
	.type	_ZN12_GLOBAL__N_121softmax_warp_backwardIdddLi6ELb0ELb0ELi64EEEvPT0_PKT_S5_iiiPKb,@function
_ZN12_GLOBAL__N_121softmax_warp_backwardIdddLi6ELb0ELb0ELi64EEEvPT0_PKT_S5_iiiPKb: ; @_ZN12_GLOBAL__N_121softmax_warp_backwardIdddLi6ELb0ELb0ELi64EEEvPT0_PKT_S5_iiiPKb
; %bb.0:
	s_clause 0x1
	s_load_b32 s2, s[0:1], 0x3c
	s_load_b128 s[4:7], s[0:1], 0x18
	v_bfe_u32 v1, v0, 10, 10
	v_and_b32_e32 v4, 63, v0
	s_load_b128 s[8:11], s[0:1], 0x0
	s_waitcnt lgkmcnt(0)
	s_lshr_b32 s2, s2, 16
	s_delay_alu instid0(SALU_CYCLE_1)
	s_mul_i32 s15, s15, s2
	s_load_b64 s[2:3], s[0:1], 0x10
	v_add_lshl_u32 v5, s15, v1, 1
	v_mov_b32_e32 v0, 0
	v_mov_b32_e32 v1, 0
	v_cmp_gt_i32_e32 vcc_lo, s6, v4
	s_delay_alu instid0(VALU_DEP_4) | instskip(SKIP_1) | instid1(VALU_DEP_4)
	v_mad_u64_u32 v[2:3], null, v5, s5, v[4:5]
	v_sub_nc_u32_e32 v18, s4, v5
	v_dual_mov_b32 v5, v1 :: v_dual_mov_b32 v4, v0
	s_delay_alu instid0(VALU_DEP_2) | instskip(NEXT) | instid1(VALU_DEP_4)
	v_cmp_lt_i32_e64 s0, 0, v18
	v_ashrrev_i32_e32 v3, 31, v2
	s_delay_alu instid0(VALU_DEP_1) | instskip(SKIP_1) | instid1(VALU_DEP_2)
	v_lshlrev_b64 v[6:7], 3, v[2:3]
	v_dual_mov_b32 v3, v1 :: v_dual_mov_b32 v2, v0
	v_add_co_u32 v12, s1, s10, v6
	s_delay_alu instid0(VALU_DEP_1) | instskip(SKIP_2) | instid1(VALU_DEP_1)
	v_add_co_ci_u32_e64 v13, s1, s11, v7, s1
	s_waitcnt lgkmcnt(0)
	v_add_co_u32 v10, s1, s2, v6
	v_add_co_ci_u32_e64 v11, s1, s3, v7, s1
	s_and_b32 s2, vcc_lo, s0
	s_delay_alu instid0(SALU_CYCLE_1)
	s_and_saveexec_b32 s1, s2
	s_cbranch_execz .LBB534_2
; %bb.1:
	global_load_b64 v[2:3], v[12:13], off
	global_load_b64 v[4:5], v[10:11], off
.LBB534_2:
	s_or_b32 exec_lo, exec_lo, s1
	v_cmp_lt_i32_e64 s1, 1, v18
	v_dual_mov_b32 v9, v1 :: v_dual_mov_b32 v8, v0
	s_delay_alu instid0(VALU_DEP_2) | instskip(NEXT) | instid1(SALU_CYCLE_1)
	s_and_b32 s1, vcc_lo, s1
	s_and_saveexec_b32 s2, s1
	s_cbranch_execz .LBB534_4
; %bb.3:
	s_mov_b32 s7, 0
	s_delay_alu instid0(SALU_CYCLE_1) | instskip(NEXT) | instid1(SALU_CYCLE_1)
	s_lshl_b64 s[4:5], s[6:7], 3
	v_add_co_u32 v0, s1, v12, s4
	s_delay_alu instid0(VALU_DEP_1) | instskip(SKIP_1) | instid1(VALU_DEP_1)
	v_add_co_ci_u32_e64 v1, s1, s5, v13, s1
	v_add_co_u32 v8, s1, v10, s4
	v_add_co_ci_u32_e64 v9, s1, s5, v11, s1
	global_load_b64 v[0:1], v[0:1], off
	global_load_b64 v[8:9], v[8:9], off
.LBB534_4:
	s_or_b32 exec_lo, exec_lo, s2
	s_waitcnt vmcnt(1)
	v_add_f64 v[10:11], v[2:3], 0
	v_add_f64 v[12:13], v[0:1], 0
	v_mbcnt_lo_u32_b32 v19, -1, 0
	s_delay_alu instid0(VALU_DEP_1) | instskip(NEXT) | instid1(VALU_DEP_1)
	v_or_b32_e32 v14, 32, v19
	v_cmp_gt_i32_e64 s1, 64, v14
	s_delay_alu instid0(VALU_DEP_1) | instskip(NEXT) | instid1(VALU_DEP_1)
	v_cndmask_b32_e64 v14, v19, v14, s1
	v_lshlrev_b32_e32 v17, 2, v14
	ds_bpermute_b32 v14, v17, v10
	ds_bpermute_b32 v15, v17, v11
	ds_bpermute_b32 v16, v17, v12
	ds_bpermute_b32 v17, v17, v13
	s_waitcnt lgkmcnt(2)
	v_add_f64 v[10:11], v[10:11], v[14:15]
	v_xor_b32_e32 v14, 16, v19
	s_waitcnt lgkmcnt(0)
	v_add_f64 v[12:13], v[12:13], v[16:17]
	s_delay_alu instid0(VALU_DEP_2) | instskip(NEXT) | instid1(VALU_DEP_1)
	v_cmp_gt_i32_e64 s1, 64, v14
	v_cndmask_b32_e64 v14, v19, v14, s1
	s_delay_alu instid0(VALU_DEP_1)
	v_lshlrev_b32_e32 v17, 2, v14
	ds_bpermute_b32 v14, v17, v10
	ds_bpermute_b32 v15, v17, v11
	ds_bpermute_b32 v16, v17, v12
	ds_bpermute_b32 v17, v17, v13
	s_waitcnt lgkmcnt(2)
	v_add_f64 v[10:11], v[10:11], v[14:15]
	v_xor_b32_e32 v14, 8, v19
	s_waitcnt lgkmcnt(0)
	v_add_f64 v[12:13], v[12:13], v[16:17]
	s_delay_alu instid0(VALU_DEP_2) | instskip(NEXT) | instid1(VALU_DEP_1)
	v_cmp_gt_i32_e64 s1, 64, v14
	v_cndmask_b32_e64 v14, v19, v14, s1
	s_delay_alu instid0(VALU_DEP_1)
	;; [unrolled: 14-line block ×4, first 2 shown]
	v_lshlrev_b32_e32 v17, 2, v14
	ds_bpermute_b32 v14, v17, v10
	ds_bpermute_b32 v15, v17, v11
	;; [unrolled: 1-line block ×4, first 2 shown]
	s_waitcnt lgkmcnt(2)
	v_add_f64 v[14:15], v[10:11], v[14:15]
	s_waitcnt lgkmcnt(0)
	v_add_f64 v[10:11], v[12:13], v[16:17]
	v_xor_b32_e32 v12, 1, v19
	s_delay_alu instid0(VALU_DEP_1) | instskip(NEXT) | instid1(VALU_DEP_1)
	v_cmp_gt_i32_e64 s1, 64, v12
	v_cndmask_b32_e64 v12, v19, v12, s1
	s_delay_alu instid0(VALU_DEP_1)
	v_lshlrev_b32_e32 v13, 2, v12
	ds_bpermute_b32 v16, v13, v14
	ds_bpermute_b32 v17, v13, v15
	;; [unrolled: 1-line block ×4, first 2 shown]
	s_and_saveexec_b32 s1, s0
	s_cbranch_execz .LBB534_10
; %bb.5:
	v_add_co_u32 v6, s0, s8, v6
	s_delay_alu instid0(VALU_DEP_1)
	v_add_co_ci_u32_e64 v7, s0, s9, v7, s0
	s_and_saveexec_b32 s0, vcc_lo
	s_cbranch_execz .LBB534_7
; %bb.6:
	s_waitcnt lgkmcnt(2)
	v_add_f64 v[14:15], v[14:15], v[16:17]
	s_waitcnt vmcnt(0)
	s_delay_alu instid0(VALU_DEP_1)
	v_fma_f64 v[2:3], -v[14:15], v[4:5], v[2:3]
	global_store_b64 v[6:7], v[2:3], off
.LBB534_7:
	s_or_b32 exec_lo, exec_lo, s0
	v_cmp_ne_u32_e64 s0, 1, v18
	s_delay_alu instid0(VALU_DEP_1)
	s_and_b32 exec_lo, exec_lo, s0
	s_cbranch_execz .LBB534_10
; %bb.8:
	s_and_b32 exec_lo, exec_lo, vcc_lo
	s_cbranch_execz .LBB534_10
; %bb.9:
	s_waitcnt lgkmcnt(0)
	v_add_f64 v[2:3], v[10:11], v[12:13]
	s_mov_b32 s7, 0
	s_delay_alu instid0(SALU_CYCLE_1) | instskip(SKIP_1) | instid1(VALU_DEP_1)
	s_lshl_b64 s[0:1], s[6:7], 3
	s_waitcnt vmcnt(0)
	v_fma_f64 v[0:1], -v[2:3], v[8:9], v[0:1]
	v_add_co_u32 v2, vcc_lo, v6, s0
	v_add_co_ci_u32_e32 v3, vcc_lo, s1, v7, vcc_lo
	global_store_b64 v[2:3], v[0:1], off
.LBB534_10:
	s_nop 0
	s_sendmsg sendmsg(MSG_DEALLOC_VGPRS)
	s_endpgm
	.section	.rodata,"a",@progbits
	.p2align	6, 0x0
	.amdhsa_kernel _ZN12_GLOBAL__N_121softmax_warp_backwardIdddLi6ELb0ELb0ELi64EEEvPT0_PKT_S5_iiiPKb
		.amdhsa_group_segment_fixed_size 0
		.amdhsa_private_segment_fixed_size 0
		.amdhsa_kernarg_size 304
		.amdhsa_user_sgpr_count 15
		.amdhsa_user_sgpr_dispatch_ptr 0
		.amdhsa_user_sgpr_queue_ptr 0
		.amdhsa_user_sgpr_kernarg_segment_ptr 1
		.amdhsa_user_sgpr_dispatch_id 0
		.amdhsa_user_sgpr_private_segment_size 0
		.amdhsa_wavefront_size32 1
		.amdhsa_uses_dynamic_stack 0
		.amdhsa_enable_private_segment 0
		.amdhsa_system_sgpr_workgroup_id_x 1
		.amdhsa_system_sgpr_workgroup_id_y 0
		.amdhsa_system_sgpr_workgroup_id_z 0
		.amdhsa_system_sgpr_workgroup_info 0
		.amdhsa_system_vgpr_workitem_id 1
		.amdhsa_next_free_vgpr 20
		.amdhsa_next_free_sgpr 16
		.amdhsa_reserve_vcc 1
		.amdhsa_float_round_mode_32 0
		.amdhsa_float_round_mode_16_64 0
		.amdhsa_float_denorm_mode_32 3
		.amdhsa_float_denorm_mode_16_64 3
		.amdhsa_dx10_clamp 1
		.amdhsa_ieee_mode 1
		.amdhsa_fp16_overflow 0
		.amdhsa_workgroup_processor_mode 1
		.amdhsa_memory_ordered 1
		.amdhsa_forward_progress 0
		.amdhsa_shared_vgpr_count 0
		.amdhsa_exception_fp_ieee_invalid_op 0
		.amdhsa_exception_fp_denorm_src 0
		.amdhsa_exception_fp_ieee_div_zero 0
		.amdhsa_exception_fp_ieee_overflow 0
		.amdhsa_exception_fp_ieee_underflow 0
		.amdhsa_exception_fp_ieee_inexact 0
		.amdhsa_exception_int_div_zero 0
	.end_amdhsa_kernel
	.section	.text._ZN12_GLOBAL__N_121softmax_warp_backwardIdddLi6ELb0ELb0ELi64EEEvPT0_PKT_S5_iiiPKb,"axG",@progbits,_ZN12_GLOBAL__N_121softmax_warp_backwardIdddLi6ELb0ELb0ELi64EEEvPT0_PKT_S5_iiiPKb,comdat
.Lfunc_end534:
	.size	_ZN12_GLOBAL__N_121softmax_warp_backwardIdddLi6ELb0ELb0ELi64EEEvPT0_PKT_S5_iiiPKb, .Lfunc_end534-_ZN12_GLOBAL__N_121softmax_warp_backwardIdddLi6ELb0ELb0ELi64EEEvPT0_PKT_S5_iiiPKb
                                        ; -- End function
	.section	.AMDGPU.csdata,"",@progbits
; Kernel info:
; codeLenInByte = 1024
; NumSgprs: 18
; NumVgprs: 20
; ScratchSize: 0
; MemoryBound: 0
; FloatMode: 240
; IeeeMode: 1
; LDSByteSize: 0 bytes/workgroup (compile time only)
; SGPRBlocks: 2
; VGPRBlocks: 2
; NumSGPRsForWavesPerEU: 18
; NumVGPRsForWavesPerEU: 20
; Occupancy: 16
; WaveLimiterHint : 0
; COMPUTE_PGM_RSRC2:SCRATCH_EN: 0
; COMPUTE_PGM_RSRC2:USER_SGPR: 15
; COMPUTE_PGM_RSRC2:TRAP_HANDLER: 0
; COMPUTE_PGM_RSRC2:TGID_X_EN: 1
; COMPUTE_PGM_RSRC2:TGID_Y_EN: 0
; COMPUTE_PGM_RSRC2:TGID_Z_EN: 0
; COMPUTE_PGM_RSRC2:TIDIG_COMP_CNT: 1
	.section	.text._ZN12_GLOBAL__N_121softmax_warp_backwardIdddLi6ELb0ELb0ELi32EEEvPT0_PKT_S5_iiiPKb,"axG",@progbits,_ZN12_GLOBAL__N_121softmax_warp_backwardIdddLi6ELb0ELb0ELi32EEEvPT0_PKT_S5_iiiPKb,comdat
	.globl	_ZN12_GLOBAL__N_121softmax_warp_backwardIdddLi6ELb0ELb0ELi32EEEvPT0_PKT_S5_iiiPKb ; -- Begin function _ZN12_GLOBAL__N_121softmax_warp_backwardIdddLi6ELb0ELb0ELi32EEEvPT0_PKT_S5_iiiPKb
	.p2align	8
	.type	_ZN12_GLOBAL__N_121softmax_warp_backwardIdddLi6ELb0ELb0ELi32EEEvPT0_PKT_S5_iiiPKb,@function
_ZN12_GLOBAL__N_121softmax_warp_backwardIdddLi6ELb0ELb0ELi32EEEvPT0_PKT_S5_iiiPKb: ; @_ZN12_GLOBAL__N_121softmax_warp_backwardIdddLi6ELb0ELb0ELi32EEEvPT0_PKT_S5_iiiPKb
; %bb.0:
	s_clause 0x1
	s_load_b32 s2, s[0:1], 0x3c
	s_load_b128 s[4:7], s[0:1], 0x18
	v_bfe_u32 v1, v0, 10, 10
	v_and_b32_e32 v6, 31, v0
	s_load_b128 s[8:11], s[0:1], 0x0
	s_waitcnt lgkmcnt(0)
	s_lshr_b32 s2, s2, 16
	s_delay_alu instid0(SALU_CYCLE_1)
	s_mul_i32 s15, s15, s2
	s_load_b64 s[2:3], s[0:1], 0x10
	v_add_lshl_u32 v4, s15, v1, 1
	v_mov_b32_e32 v0, 0
	v_mov_b32_e32 v1, 0
	v_cmp_gt_i32_e32 vcc_lo, s6, v6
	s_delay_alu instid0(VALU_DEP_4) | instskip(SKIP_1) | instid1(VALU_DEP_4)
	v_mad_u64_u32 v[2:3], null, v4, s5, v[6:7]
	v_sub_nc_u32_e32 v26, s4, v4
	v_dual_mov_b32 v9, v1 :: v_dual_mov_b32 v8, v0
	s_delay_alu instid0(VALU_DEP_2) | instskip(NEXT) | instid1(VALU_DEP_4)
	v_cmp_lt_i32_e64 s1, 0, v26
	v_ashrrev_i32_e32 v3, 31, v2
	s_delay_alu instid0(VALU_DEP_1) | instskip(SKIP_1) | instid1(VALU_DEP_2)
	v_lshlrev_b64 v[4:5], 3, v[2:3]
	v_dual_mov_b32 v3, v1 :: v_dual_mov_b32 v2, v0
	v_add_co_u32 v20, s0, s10, v4
	s_delay_alu instid0(VALU_DEP_1) | instskip(SKIP_2) | instid1(VALU_DEP_1)
	v_add_co_ci_u32_e64 v21, s0, s11, v5, s0
	s_waitcnt lgkmcnt(0)
	v_add_co_u32 v18, s0, s2, v4
	v_add_co_ci_u32_e64 v19, s0, s3, v5, s0
	s_and_b32 s2, s1, vcc_lo
	s_delay_alu instid0(SALU_CYCLE_1)
	s_and_saveexec_b32 s0, s2
	s_cbranch_execz .LBB535_2
; %bb.1:
	global_load_b64 v[2:3], v[20:21], off
	global_load_b64 v[8:9], v[18:19], off
.LBB535_2:
	s_or_b32 exec_lo, exec_lo, s0
	v_or_b32_e32 v6, 32, v6
	v_dual_mov_b32 v11, v1 :: v_dual_mov_b32 v10, v0
	s_delay_alu instid0(VALU_DEP_2) | instskip(NEXT) | instid1(VALU_DEP_1)
	v_cmp_gt_i32_e64 s0, s6, v6
	s_and_b32 s3, s1, s0
	s_delay_alu instid0(SALU_CYCLE_1)
	s_and_saveexec_b32 s2, s3
	s_cbranch_execz .LBB535_4
; %bb.3:
	global_load_b64 v[0:1], v[20:21], off offset:256
	global_load_b64 v[10:11], v[18:19], off offset:256
.LBB535_4:
	s_or_b32 exec_lo, exec_lo, s2
	v_mov_b32_e32 v6, 0
	v_mov_b32_e32 v7, 0
	v_cmp_lt_i32_e64 s2, 1, v26
	s_delay_alu instid0(VALU_DEP_2) | instskip(SKIP_1) | instid1(VALU_DEP_3)
	v_dual_mov_b32 v13, v7 :: v_dual_mov_b32 v12, v6
	v_dual_mov_b32 v15, v7 :: v_dual_mov_b32 v14, v6
	s_and_b32 s3, s2, vcc_lo
	s_delay_alu instid0(SALU_CYCLE_1)
	s_and_saveexec_b32 s4, s3
	s_cbranch_execz .LBB535_6
; %bb.5:
	s_mov_b32 s7, 0
	s_delay_alu instid0(SALU_CYCLE_1) | instskip(NEXT) | instid1(SALU_CYCLE_1)
	s_lshl_b64 s[10:11], s[6:7], 3
	v_add_co_u32 v12, s3, v20, s10
	s_delay_alu instid0(VALU_DEP_1) | instskip(SKIP_1) | instid1(VALU_DEP_1)
	v_add_co_ci_u32_e64 v13, s3, s11, v21, s3
	v_add_co_u32 v14, s3, v18, s10
	v_add_co_ci_u32_e64 v15, s3, s11, v19, s3
	global_load_b64 v[12:13], v[12:13], off
	global_load_b64 v[14:15], v[14:15], off
.LBB535_6:
	s_or_b32 exec_lo, exec_lo, s4
	v_dual_mov_b32 v17, v7 :: v_dual_mov_b32 v16, v6
	s_and_b32 s2, s2, s0
	s_delay_alu instid0(SALU_CYCLE_1)
	s_and_saveexec_b32 s3, s2
	s_cbranch_execz .LBB535_8
; %bb.7:
	s_mov_b32 s7, 0
	s_delay_alu instid0(SALU_CYCLE_1) | instskip(NEXT) | instid1(SALU_CYCLE_1)
	s_lshl_b64 s[4:5], s[6:7], 3
	v_add_co_u32 v6, s2, v20, s4
	s_delay_alu instid0(VALU_DEP_1) | instskip(SKIP_1) | instid1(VALU_DEP_1)
	v_add_co_ci_u32_e64 v7, s2, s5, v21, s2
	v_add_co_u32 v16, s2, v18, s4
	v_add_co_ci_u32_e64 v17, s2, s5, v19, s2
	global_load_b64 v[6:7], v[6:7], off offset:256
	global_load_b64 v[16:17], v[16:17], off offset:256
.LBB535_8:
	s_or_b32 exec_lo, exec_lo, s3
	s_waitcnt vmcnt(1)
	v_add_f64 v[18:19], v[2:3], 0
	v_add_f64 v[20:21], v[12:13], 0
	v_mbcnt_lo_u32_b32 v27, -1, 0
	s_delay_alu instid0(VALU_DEP_1) | instskip(NEXT) | instid1(VALU_DEP_1)
	v_xor_b32_e32 v22, 16, v27
	v_cmp_gt_i32_e64 s2, 32, v22
	s_delay_alu instid0(VALU_DEP_1) | instskip(NEXT) | instid1(VALU_DEP_1)
	v_cndmask_b32_e64 v22, v27, v22, s2
	v_lshlrev_b32_e32 v25, 2, v22
	v_add_f64 v[18:19], v[18:19], v[0:1]
	v_add_f64 v[20:21], v[20:21], v[6:7]
	ds_bpermute_b32 v22, v25, v18
	ds_bpermute_b32 v23, v25, v19
	ds_bpermute_b32 v24, v25, v20
	ds_bpermute_b32 v25, v25, v21
	s_waitcnt lgkmcnt(2)
	v_add_f64 v[18:19], v[18:19], v[22:23]
	v_xor_b32_e32 v22, 8, v27
	s_waitcnt lgkmcnt(0)
	v_add_f64 v[20:21], v[20:21], v[24:25]
	s_delay_alu instid0(VALU_DEP_2) | instskip(NEXT) | instid1(VALU_DEP_1)
	v_cmp_gt_i32_e64 s2, 32, v22
	v_cndmask_b32_e64 v22, v27, v22, s2
	s_delay_alu instid0(VALU_DEP_1)
	v_lshlrev_b32_e32 v25, 2, v22
	ds_bpermute_b32 v22, v25, v18
	ds_bpermute_b32 v23, v25, v19
	ds_bpermute_b32 v24, v25, v20
	ds_bpermute_b32 v25, v25, v21
	s_waitcnt lgkmcnt(2)
	v_add_f64 v[18:19], v[18:19], v[22:23]
	v_xor_b32_e32 v22, 4, v27
	s_waitcnt lgkmcnt(0)
	v_add_f64 v[20:21], v[20:21], v[24:25]
	s_delay_alu instid0(VALU_DEP_2) | instskip(NEXT) | instid1(VALU_DEP_1)
	v_cmp_gt_i32_e64 s2, 32, v22
	v_cndmask_b32_e64 v22, v27, v22, s2
	s_delay_alu instid0(VALU_DEP_1)
	v_lshlrev_b32_e32 v25, 2, v22
	;; [unrolled: 14-line block ×3, first 2 shown]
	ds_bpermute_b32 v22, v25, v18
	ds_bpermute_b32 v23, v25, v19
	;; [unrolled: 1-line block ×4, first 2 shown]
	s_waitcnt lgkmcnt(2)
	v_add_f64 v[22:23], v[18:19], v[22:23]
	s_waitcnt lgkmcnt(0)
	v_add_f64 v[18:19], v[20:21], v[24:25]
	v_xor_b32_e32 v20, 1, v27
	s_delay_alu instid0(VALU_DEP_1) | instskip(NEXT) | instid1(VALU_DEP_1)
	v_cmp_gt_i32_e64 s2, 32, v20
	v_cndmask_b32_e64 v20, v27, v20, s2
	s_delay_alu instid0(VALU_DEP_1)
	v_lshlrev_b32_e32 v21, 2, v20
	ds_bpermute_b32 v24, v21, v22
	ds_bpermute_b32 v25, v21, v23
	ds_bpermute_b32 v20, v21, v18
	ds_bpermute_b32 v21, v21, v19
	s_and_saveexec_b32 s2, s1
	s_cbranch_execz .LBB535_12
; %bb.9:
	s_waitcnt lgkmcnt(2)
	v_add_f64 v[22:23], v[22:23], v[24:25]
	v_add_co_u32 v4, s1, s8, v4
	s_delay_alu instid0(VALU_DEP_1)
	v_add_co_ci_u32_e64 v5, s1, s9, v5, s1
	s_and_saveexec_b32 s1, vcc_lo
	s_cbranch_execnz .LBB535_13
; %bb.10:
	s_or_b32 exec_lo, exec_lo, s1
	s_and_saveexec_b32 s1, s0
	s_cbranch_execnz .LBB535_14
.LBB535_11:
	s_or_b32 exec_lo, exec_lo, s1
	v_cmp_ne_u32_e64 s1, 1, v26
	s_delay_alu instid0(VALU_DEP_1)
	s_and_b32 exec_lo, exec_lo, s1
	s_cbranch_execnz .LBB535_15
.LBB535_12:
	s_nop 0
	s_sendmsg sendmsg(MSG_DEALLOC_VGPRS)
	s_endpgm
.LBB535_13:
	s_waitcnt vmcnt(0)
	s_delay_alu instid0(VALU_DEP_3)
	v_fma_f64 v[2:3], -v[22:23], v[8:9], v[2:3]
	global_store_b64 v[4:5], v[2:3], off
	s_or_b32 exec_lo, exec_lo, s1
	s_and_saveexec_b32 s1, s0
	s_cbranch_execz .LBB535_11
.LBB535_14:
	s_waitcnt vmcnt(0)
	s_delay_alu instid0(VALU_DEP_3) | instskip(SKIP_3) | instid1(VALU_DEP_1)
	v_fma_f64 v[0:1], -v[22:23], v[10:11], v[0:1]
	global_store_b64 v[4:5], v[0:1], off offset:256
	s_or_b32 exec_lo, exec_lo, s1
	v_cmp_ne_u32_e64 s1, 1, v26
	s_and_b32 exec_lo, exec_lo, s1
	s_cbranch_execz .LBB535_12
.LBB535_15:
	s_waitcnt lgkmcnt(0)
	v_add_f64 v[0:1], v[18:19], v[20:21]
	s_and_saveexec_b32 s1, vcc_lo
	s_cbranch_execz .LBB535_17
; %bb.16:
	s_waitcnt vmcnt(0)
	s_delay_alu instid0(VALU_DEP_1) | instskip(SKIP_1) | instid1(SALU_CYCLE_1)
	v_fma_f64 v[2:3], -v[0:1], v[14:15], v[12:13]
	s_mov_b32 s7, 0
	s_lshl_b64 s[2:3], s[6:7], 3
	s_delay_alu instid0(SALU_CYCLE_1)
	v_add_co_u32 v8, vcc_lo, v4, s2
	v_add_co_ci_u32_e32 v9, vcc_lo, s3, v5, vcc_lo
	global_store_b64 v[8:9], v[2:3], off
.LBB535_17:
	s_or_b32 exec_lo, exec_lo, s1
	s_delay_alu instid0(SALU_CYCLE_1)
	s_and_b32 exec_lo, exec_lo, s0
	s_cbranch_execz .LBB535_12
; %bb.18:
	s_waitcnt vmcnt(0)
	s_delay_alu instid0(VALU_DEP_1) | instskip(SKIP_1) | instid1(SALU_CYCLE_1)
	v_fma_f64 v[0:1], -v[0:1], v[16:17], v[6:7]
	s_ashr_i32 s7, s6, 31
	s_lshl_b64 s[0:1], s[6:7], 3
	s_delay_alu instid0(SALU_CYCLE_1)
	v_add_co_u32 v2, vcc_lo, v4, s0
	v_add_co_ci_u32_e32 v3, vcc_lo, s1, v5, vcc_lo
	global_store_b64 v[2:3], v[0:1], off offset:256
	s_nop 0
	s_sendmsg sendmsg(MSG_DEALLOC_VGPRS)
	s_endpgm
	.section	.rodata,"a",@progbits
	.p2align	6, 0x0
	.amdhsa_kernel _ZN12_GLOBAL__N_121softmax_warp_backwardIdddLi6ELb0ELb0ELi32EEEvPT0_PKT_S5_iiiPKb
		.amdhsa_group_segment_fixed_size 0
		.amdhsa_private_segment_fixed_size 0
		.amdhsa_kernarg_size 304
		.amdhsa_user_sgpr_count 15
		.amdhsa_user_sgpr_dispatch_ptr 0
		.amdhsa_user_sgpr_queue_ptr 0
		.amdhsa_user_sgpr_kernarg_segment_ptr 1
		.amdhsa_user_sgpr_dispatch_id 0
		.amdhsa_user_sgpr_private_segment_size 0
		.amdhsa_wavefront_size32 1
		.amdhsa_uses_dynamic_stack 0
		.amdhsa_enable_private_segment 0
		.amdhsa_system_sgpr_workgroup_id_x 1
		.amdhsa_system_sgpr_workgroup_id_y 0
		.amdhsa_system_sgpr_workgroup_id_z 0
		.amdhsa_system_sgpr_workgroup_info 0
		.amdhsa_system_vgpr_workitem_id 1
		.amdhsa_next_free_vgpr 28
		.amdhsa_next_free_sgpr 16
		.amdhsa_reserve_vcc 1
		.amdhsa_float_round_mode_32 0
		.amdhsa_float_round_mode_16_64 0
		.amdhsa_float_denorm_mode_32 3
		.amdhsa_float_denorm_mode_16_64 3
		.amdhsa_dx10_clamp 1
		.amdhsa_ieee_mode 1
		.amdhsa_fp16_overflow 0
		.amdhsa_workgroup_processor_mode 1
		.amdhsa_memory_ordered 1
		.amdhsa_forward_progress 0
		.amdhsa_shared_vgpr_count 0
		.amdhsa_exception_fp_ieee_invalid_op 0
		.amdhsa_exception_fp_denorm_src 0
		.amdhsa_exception_fp_ieee_div_zero 0
		.amdhsa_exception_fp_ieee_overflow 0
		.amdhsa_exception_fp_ieee_underflow 0
		.amdhsa_exception_fp_ieee_inexact 0
		.amdhsa_exception_int_div_zero 0
	.end_amdhsa_kernel
	.section	.text._ZN12_GLOBAL__N_121softmax_warp_backwardIdddLi6ELb0ELb0ELi32EEEvPT0_PKT_S5_iiiPKb,"axG",@progbits,_ZN12_GLOBAL__N_121softmax_warp_backwardIdddLi6ELb0ELb0ELi32EEEvPT0_PKT_S5_iiiPKb,comdat
.Lfunc_end535:
	.size	_ZN12_GLOBAL__N_121softmax_warp_backwardIdddLi6ELb0ELb0ELi32EEEvPT0_PKT_S5_iiiPKb, .Lfunc_end535-_ZN12_GLOBAL__N_121softmax_warp_backwardIdddLi6ELb0ELb0ELi32EEEvPT0_PKT_S5_iiiPKb
                                        ; -- End function
	.section	.AMDGPU.csdata,"",@progbits
; Kernel info:
; codeLenInByte = 1272
; NumSgprs: 18
; NumVgprs: 28
; ScratchSize: 0
; MemoryBound: 0
; FloatMode: 240
; IeeeMode: 1
; LDSByteSize: 0 bytes/workgroup (compile time only)
; SGPRBlocks: 2
; VGPRBlocks: 3
; NumSGPRsForWavesPerEU: 18
; NumVGPRsForWavesPerEU: 28
; Occupancy: 16
; WaveLimiterHint : 0
; COMPUTE_PGM_RSRC2:SCRATCH_EN: 0
; COMPUTE_PGM_RSRC2:USER_SGPR: 15
; COMPUTE_PGM_RSRC2:TRAP_HANDLER: 0
; COMPUTE_PGM_RSRC2:TGID_X_EN: 1
; COMPUTE_PGM_RSRC2:TGID_Y_EN: 0
; COMPUTE_PGM_RSRC2:TGID_Z_EN: 0
; COMPUTE_PGM_RSRC2:TIDIG_COMP_CNT: 1
	.section	.text._ZN12_GLOBAL__N_121softmax_warp_backwardIdddLi7ELb0ELb0ELi64EEEvPT0_PKT_S5_iiiPKb,"axG",@progbits,_ZN12_GLOBAL__N_121softmax_warp_backwardIdddLi7ELb0ELb0ELi64EEEvPT0_PKT_S5_iiiPKb,comdat
	.globl	_ZN12_GLOBAL__N_121softmax_warp_backwardIdddLi7ELb0ELb0ELi64EEEvPT0_PKT_S5_iiiPKb ; -- Begin function _ZN12_GLOBAL__N_121softmax_warp_backwardIdddLi7ELb0ELb0ELi64EEEvPT0_PKT_S5_iiiPKb
	.p2align	8
	.type	_ZN12_GLOBAL__N_121softmax_warp_backwardIdddLi7ELb0ELb0ELi64EEEvPT0_PKT_S5_iiiPKb,@function
_ZN12_GLOBAL__N_121softmax_warp_backwardIdddLi7ELb0ELb0ELi64EEEvPT0_PKT_S5_iiiPKb: ; @_ZN12_GLOBAL__N_121softmax_warp_backwardIdddLi7ELb0ELb0ELi64EEEvPT0_PKT_S5_iiiPKb
; %bb.0:
	s_clause 0x1
	s_load_b32 s2, s[0:1], 0x3c
	s_load_b128 s[4:7], s[0:1], 0x18
	v_bfe_u32 v1, v0, 10, 10
	v_and_b32_e32 v6, 63, v0
	s_load_b128 s[8:11], s[0:1], 0x0
	s_waitcnt lgkmcnt(0)
	s_lshr_b32 s2, s2, 16
	s_delay_alu instid0(SALU_CYCLE_1)
	s_mul_i32 s15, s15, s2
	s_load_b64 s[2:3], s[0:1], 0x10
	v_add_lshl_u32 v4, s15, v1, 1
	v_mov_b32_e32 v0, 0
	v_mov_b32_e32 v1, 0
	v_cmp_gt_i32_e32 vcc_lo, s6, v6
	s_delay_alu instid0(VALU_DEP_4) | instskip(SKIP_1) | instid1(VALU_DEP_4)
	v_mad_u64_u32 v[2:3], null, v4, s5, v[6:7]
	v_sub_nc_u32_e32 v26, s4, v4
	v_dual_mov_b32 v9, v1 :: v_dual_mov_b32 v8, v0
	s_delay_alu instid0(VALU_DEP_2) | instskip(NEXT) | instid1(VALU_DEP_4)
	v_cmp_lt_i32_e64 s1, 0, v26
	v_ashrrev_i32_e32 v3, 31, v2
	s_delay_alu instid0(VALU_DEP_1) | instskip(SKIP_1) | instid1(VALU_DEP_2)
	v_lshlrev_b64 v[4:5], 3, v[2:3]
	v_dual_mov_b32 v3, v1 :: v_dual_mov_b32 v2, v0
	v_add_co_u32 v20, s0, s10, v4
	s_delay_alu instid0(VALU_DEP_1) | instskip(SKIP_2) | instid1(VALU_DEP_1)
	v_add_co_ci_u32_e64 v21, s0, s11, v5, s0
	s_waitcnt lgkmcnt(0)
	v_add_co_u32 v18, s0, s2, v4
	v_add_co_ci_u32_e64 v19, s0, s3, v5, s0
	s_and_b32 s2, s1, vcc_lo
	s_delay_alu instid0(SALU_CYCLE_1)
	s_and_saveexec_b32 s0, s2
	s_cbranch_execz .LBB536_2
; %bb.1:
	global_load_b64 v[2:3], v[20:21], off
	global_load_b64 v[8:9], v[18:19], off
.LBB536_2:
	s_or_b32 exec_lo, exec_lo, s0
	v_or_b32_e32 v6, 64, v6
	v_dual_mov_b32 v11, v1 :: v_dual_mov_b32 v10, v0
	s_delay_alu instid0(VALU_DEP_2) | instskip(NEXT) | instid1(VALU_DEP_1)
	v_cmp_gt_i32_e64 s0, s6, v6
	s_and_b32 s3, s1, s0
	s_delay_alu instid0(SALU_CYCLE_1)
	s_and_saveexec_b32 s2, s3
	s_cbranch_execz .LBB536_4
; %bb.3:
	global_load_b64 v[0:1], v[20:21], off offset:512
	global_load_b64 v[10:11], v[18:19], off offset:512
.LBB536_4:
	s_or_b32 exec_lo, exec_lo, s2
	v_mov_b32_e32 v6, 0
	v_mov_b32_e32 v7, 0
	v_cmp_lt_i32_e64 s2, 1, v26
	s_delay_alu instid0(VALU_DEP_2) | instskip(SKIP_1) | instid1(VALU_DEP_3)
	v_dual_mov_b32 v13, v7 :: v_dual_mov_b32 v12, v6
	v_dual_mov_b32 v15, v7 :: v_dual_mov_b32 v14, v6
	s_and_b32 s3, s2, vcc_lo
	s_delay_alu instid0(SALU_CYCLE_1)
	s_and_saveexec_b32 s4, s3
	s_cbranch_execz .LBB536_6
; %bb.5:
	s_mov_b32 s7, 0
	s_delay_alu instid0(SALU_CYCLE_1) | instskip(NEXT) | instid1(SALU_CYCLE_1)
	s_lshl_b64 s[10:11], s[6:7], 3
	v_add_co_u32 v12, s3, v20, s10
	s_delay_alu instid0(VALU_DEP_1) | instskip(SKIP_1) | instid1(VALU_DEP_1)
	v_add_co_ci_u32_e64 v13, s3, s11, v21, s3
	v_add_co_u32 v14, s3, v18, s10
	v_add_co_ci_u32_e64 v15, s3, s11, v19, s3
	global_load_b64 v[12:13], v[12:13], off
	global_load_b64 v[14:15], v[14:15], off
.LBB536_6:
	s_or_b32 exec_lo, exec_lo, s4
	v_dual_mov_b32 v17, v7 :: v_dual_mov_b32 v16, v6
	s_and_b32 s2, s2, s0
	s_delay_alu instid0(SALU_CYCLE_1)
	s_and_saveexec_b32 s3, s2
	s_cbranch_execz .LBB536_8
; %bb.7:
	s_mov_b32 s7, 0
	s_delay_alu instid0(SALU_CYCLE_1) | instskip(NEXT) | instid1(SALU_CYCLE_1)
	s_lshl_b64 s[4:5], s[6:7], 3
	v_add_co_u32 v6, s2, v20, s4
	s_delay_alu instid0(VALU_DEP_1) | instskip(SKIP_1) | instid1(VALU_DEP_1)
	v_add_co_ci_u32_e64 v7, s2, s5, v21, s2
	v_add_co_u32 v16, s2, v18, s4
	v_add_co_ci_u32_e64 v17, s2, s5, v19, s2
	global_load_b64 v[6:7], v[6:7], off offset:512
	global_load_b64 v[16:17], v[16:17], off offset:512
.LBB536_8:
	s_or_b32 exec_lo, exec_lo, s3
	s_waitcnt vmcnt(1)
	v_add_f64 v[18:19], v[2:3], 0
	v_add_f64 v[20:21], v[12:13], 0
	v_mbcnt_lo_u32_b32 v27, -1, 0
	s_delay_alu instid0(VALU_DEP_1) | instskip(NEXT) | instid1(VALU_DEP_1)
	v_or_b32_e32 v22, 32, v27
	v_cmp_gt_i32_e64 s2, 64, v22
	s_delay_alu instid0(VALU_DEP_1) | instskip(NEXT) | instid1(VALU_DEP_1)
	v_cndmask_b32_e64 v22, v27, v22, s2
	v_lshlrev_b32_e32 v25, 2, v22
	v_add_f64 v[18:19], v[18:19], v[0:1]
	v_add_f64 v[20:21], v[20:21], v[6:7]
	ds_bpermute_b32 v22, v25, v18
	ds_bpermute_b32 v23, v25, v19
	ds_bpermute_b32 v24, v25, v20
	ds_bpermute_b32 v25, v25, v21
	s_waitcnt lgkmcnt(2)
	v_add_f64 v[18:19], v[18:19], v[22:23]
	v_xor_b32_e32 v22, 16, v27
	s_waitcnt lgkmcnt(0)
	v_add_f64 v[20:21], v[20:21], v[24:25]
	s_delay_alu instid0(VALU_DEP_2) | instskip(NEXT) | instid1(VALU_DEP_1)
	v_cmp_gt_i32_e64 s2, 64, v22
	v_cndmask_b32_e64 v22, v27, v22, s2
	s_delay_alu instid0(VALU_DEP_1)
	v_lshlrev_b32_e32 v25, 2, v22
	ds_bpermute_b32 v22, v25, v18
	ds_bpermute_b32 v23, v25, v19
	ds_bpermute_b32 v24, v25, v20
	ds_bpermute_b32 v25, v25, v21
	s_waitcnt lgkmcnt(2)
	v_add_f64 v[18:19], v[18:19], v[22:23]
	v_xor_b32_e32 v22, 8, v27
	s_waitcnt lgkmcnt(0)
	v_add_f64 v[20:21], v[20:21], v[24:25]
	s_delay_alu instid0(VALU_DEP_2) | instskip(NEXT) | instid1(VALU_DEP_1)
	v_cmp_gt_i32_e64 s2, 64, v22
	v_cndmask_b32_e64 v22, v27, v22, s2
	s_delay_alu instid0(VALU_DEP_1)
	v_lshlrev_b32_e32 v25, 2, v22
	;; [unrolled: 14-line block ×4, first 2 shown]
	ds_bpermute_b32 v22, v25, v18
	ds_bpermute_b32 v23, v25, v19
	;; [unrolled: 1-line block ×4, first 2 shown]
	s_waitcnt lgkmcnt(2)
	v_add_f64 v[22:23], v[18:19], v[22:23]
	s_waitcnt lgkmcnt(0)
	v_add_f64 v[18:19], v[20:21], v[24:25]
	v_xor_b32_e32 v20, 1, v27
	s_delay_alu instid0(VALU_DEP_1) | instskip(NEXT) | instid1(VALU_DEP_1)
	v_cmp_gt_i32_e64 s2, 64, v20
	v_cndmask_b32_e64 v20, v27, v20, s2
	s_delay_alu instid0(VALU_DEP_1)
	v_lshlrev_b32_e32 v21, 2, v20
	ds_bpermute_b32 v24, v21, v22
	ds_bpermute_b32 v25, v21, v23
	;; [unrolled: 1-line block ×4, first 2 shown]
	s_and_saveexec_b32 s2, s1
	s_cbranch_execz .LBB536_12
; %bb.9:
	s_waitcnt lgkmcnt(2)
	v_add_f64 v[22:23], v[22:23], v[24:25]
	v_add_co_u32 v4, s1, s8, v4
	s_delay_alu instid0(VALU_DEP_1)
	v_add_co_ci_u32_e64 v5, s1, s9, v5, s1
	s_and_saveexec_b32 s1, vcc_lo
	s_cbranch_execnz .LBB536_13
; %bb.10:
	s_or_b32 exec_lo, exec_lo, s1
	s_and_saveexec_b32 s1, s0
	s_cbranch_execnz .LBB536_14
.LBB536_11:
	s_or_b32 exec_lo, exec_lo, s1
	v_cmp_ne_u32_e64 s1, 1, v26
	s_delay_alu instid0(VALU_DEP_1)
	s_and_b32 exec_lo, exec_lo, s1
	s_cbranch_execnz .LBB536_15
.LBB536_12:
	s_nop 0
	s_sendmsg sendmsg(MSG_DEALLOC_VGPRS)
	s_endpgm
.LBB536_13:
	s_waitcnt vmcnt(0)
	s_delay_alu instid0(VALU_DEP_3)
	v_fma_f64 v[2:3], -v[22:23], v[8:9], v[2:3]
	global_store_b64 v[4:5], v[2:3], off
	s_or_b32 exec_lo, exec_lo, s1
	s_and_saveexec_b32 s1, s0
	s_cbranch_execz .LBB536_11
.LBB536_14:
	s_waitcnt vmcnt(0)
	s_delay_alu instid0(VALU_DEP_3) | instskip(SKIP_3) | instid1(VALU_DEP_1)
	v_fma_f64 v[0:1], -v[22:23], v[10:11], v[0:1]
	global_store_b64 v[4:5], v[0:1], off offset:512
	s_or_b32 exec_lo, exec_lo, s1
	v_cmp_ne_u32_e64 s1, 1, v26
	s_and_b32 exec_lo, exec_lo, s1
	s_cbranch_execz .LBB536_12
.LBB536_15:
	s_waitcnt lgkmcnt(0)
	v_add_f64 v[0:1], v[18:19], v[20:21]
	s_and_saveexec_b32 s1, vcc_lo
	s_cbranch_execz .LBB536_17
; %bb.16:
	s_waitcnt vmcnt(0)
	s_delay_alu instid0(VALU_DEP_1) | instskip(SKIP_1) | instid1(SALU_CYCLE_1)
	v_fma_f64 v[2:3], -v[0:1], v[14:15], v[12:13]
	s_mov_b32 s7, 0
	s_lshl_b64 s[2:3], s[6:7], 3
	s_delay_alu instid0(SALU_CYCLE_1)
	v_add_co_u32 v8, vcc_lo, v4, s2
	v_add_co_ci_u32_e32 v9, vcc_lo, s3, v5, vcc_lo
	global_store_b64 v[8:9], v[2:3], off
.LBB536_17:
	s_or_b32 exec_lo, exec_lo, s1
	s_delay_alu instid0(SALU_CYCLE_1)
	s_and_b32 exec_lo, exec_lo, s0
	s_cbranch_execz .LBB536_12
; %bb.18:
	s_waitcnt vmcnt(0)
	s_delay_alu instid0(VALU_DEP_1) | instskip(SKIP_1) | instid1(SALU_CYCLE_1)
	v_fma_f64 v[0:1], -v[0:1], v[16:17], v[6:7]
	s_ashr_i32 s7, s6, 31
	s_lshl_b64 s[0:1], s[6:7], 3
	s_delay_alu instid0(SALU_CYCLE_1)
	v_add_co_u32 v2, vcc_lo, v4, s0
	v_add_co_ci_u32_e32 v3, vcc_lo, s1, v5, vcc_lo
	global_store_b64 v[2:3], v[0:1], off offset:512
	s_nop 0
	s_sendmsg sendmsg(MSG_DEALLOC_VGPRS)
	s_endpgm
	.section	.rodata,"a",@progbits
	.p2align	6, 0x0
	.amdhsa_kernel _ZN12_GLOBAL__N_121softmax_warp_backwardIdddLi7ELb0ELb0ELi64EEEvPT0_PKT_S5_iiiPKb
		.amdhsa_group_segment_fixed_size 0
		.amdhsa_private_segment_fixed_size 0
		.amdhsa_kernarg_size 304
		.amdhsa_user_sgpr_count 15
		.amdhsa_user_sgpr_dispatch_ptr 0
		.amdhsa_user_sgpr_queue_ptr 0
		.amdhsa_user_sgpr_kernarg_segment_ptr 1
		.amdhsa_user_sgpr_dispatch_id 0
		.amdhsa_user_sgpr_private_segment_size 0
		.amdhsa_wavefront_size32 1
		.amdhsa_uses_dynamic_stack 0
		.amdhsa_enable_private_segment 0
		.amdhsa_system_sgpr_workgroup_id_x 1
		.amdhsa_system_sgpr_workgroup_id_y 0
		.amdhsa_system_sgpr_workgroup_id_z 0
		.amdhsa_system_sgpr_workgroup_info 0
		.amdhsa_system_vgpr_workitem_id 1
		.amdhsa_next_free_vgpr 28
		.amdhsa_next_free_sgpr 16
		.amdhsa_reserve_vcc 1
		.amdhsa_float_round_mode_32 0
		.amdhsa_float_round_mode_16_64 0
		.amdhsa_float_denorm_mode_32 3
		.amdhsa_float_denorm_mode_16_64 3
		.amdhsa_dx10_clamp 1
		.amdhsa_ieee_mode 1
		.amdhsa_fp16_overflow 0
		.amdhsa_workgroup_processor_mode 1
		.amdhsa_memory_ordered 1
		.amdhsa_forward_progress 0
		.amdhsa_shared_vgpr_count 0
		.amdhsa_exception_fp_ieee_invalid_op 0
		.amdhsa_exception_fp_denorm_src 0
		.amdhsa_exception_fp_ieee_div_zero 0
		.amdhsa_exception_fp_ieee_overflow 0
		.amdhsa_exception_fp_ieee_underflow 0
		.amdhsa_exception_fp_ieee_inexact 0
		.amdhsa_exception_int_div_zero 0
	.end_amdhsa_kernel
	.section	.text._ZN12_GLOBAL__N_121softmax_warp_backwardIdddLi7ELb0ELb0ELi64EEEvPT0_PKT_S5_iiiPKb,"axG",@progbits,_ZN12_GLOBAL__N_121softmax_warp_backwardIdddLi7ELb0ELb0ELi64EEEvPT0_PKT_S5_iiiPKb,comdat
.Lfunc_end536:
	.size	_ZN12_GLOBAL__N_121softmax_warp_backwardIdddLi7ELb0ELb0ELi64EEEvPT0_PKT_S5_iiiPKb, .Lfunc_end536-_ZN12_GLOBAL__N_121softmax_warp_backwardIdddLi7ELb0ELb0ELi64EEEvPT0_PKT_S5_iiiPKb
                                        ; -- End function
	.section	.AMDGPU.csdata,"",@progbits
; Kernel info:
; codeLenInByte = 1360
; NumSgprs: 18
; NumVgprs: 28
; ScratchSize: 0
; MemoryBound: 0
; FloatMode: 240
; IeeeMode: 1
; LDSByteSize: 0 bytes/workgroup (compile time only)
; SGPRBlocks: 2
; VGPRBlocks: 3
; NumSGPRsForWavesPerEU: 18
; NumVGPRsForWavesPerEU: 28
; Occupancy: 16
; WaveLimiterHint : 0
; COMPUTE_PGM_RSRC2:SCRATCH_EN: 0
; COMPUTE_PGM_RSRC2:USER_SGPR: 15
; COMPUTE_PGM_RSRC2:TRAP_HANDLER: 0
; COMPUTE_PGM_RSRC2:TGID_X_EN: 1
; COMPUTE_PGM_RSRC2:TGID_Y_EN: 0
; COMPUTE_PGM_RSRC2:TGID_Z_EN: 0
; COMPUTE_PGM_RSRC2:TIDIG_COMP_CNT: 1
	.section	.text._ZN12_GLOBAL__N_121softmax_warp_backwardIdddLi7ELb0ELb0ELi32EEEvPT0_PKT_S5_iiiPKb,"axG",@progbits,_ZN12_GLOBAL__N_121softmax_warp_backwardIdddLi7ELb0ELb0ELi32EEEvPT0_PKT_S5_iiiPKb,comdat
	.globl	_ZN12_GLOBAL__N_121softmax_warp_backwardIdddLi7ELb0ELb0ELi32EEEvPT0_PKT_S5_iiiPKb ; -- Begin function _ZN12_GLOBAL__N_121softmax_warp_backwardIdddLi7ELb0ELb0ELi32EEEvPT0_PKT_S5_iiiPKb
	.p2align	8
	.type	_ZN12_GLOBAL__N_121softmax_warp_backwardIdddLi7ELb0ELb0ELi32EEEvPT0_PKT_S5_iiiPKb,@function
_ZN12_GLOBAL__N_121softmax_warp_backwardIdddLi7ELb0ELb0ELi32EEEvPT0_PKT_S5_iiiPKb: ; @_ZN12_GLOBAL__N_121softmax_warp_backwardIdddLi7ELb0ELb0ELi32EEEvPT0_PKT_S5_iiiPKb
; %bb.0:
	s_clause 0x1
	s_load_b32 s2, s[0:1], 0x3c
	s_load_b128 s[4:7], s[0:1], 0x18
	v_bfe_u32 v1, v0, 10, 10
	v_and_b32_e32 v14, 31, v0
	s_clause 0x1
	s_load_b128 s[8:11], s[0:1], 0x0
	s_load_b64 s[12:13], s[0:1], 0x10
	s_waitcnt lgkmcnt(0)
	s_lshr_b32 s2, s2, 16
	s_delay_alu instid0(SALU_CYCLE_1) | instskip(NEXT) | instid1(SALU_CYCLE_1)
	s_mul_i32 s15, s15, s2
	v_add_lshl_u32 v4, s15, v1, 1
	v_mov_b32_e32 v0, 0
	v_mov_b32_e32 v1, 0
	v_cmp_gt_i32_e32 vcc_lo, s6, v14
	s_delay_alu instid0(VALU_DEP_4) | instskip(SKIP_1) | instid1(VALU_DEP_4)
	v_mad_u64_u32 v[2:3], null, v4, s5, v[14:15]
	v_sub_nc_u32_e32 v42, s4, v4
	v_dual_mov_b32 v7, v1 :: v_dual_mov_b32 v6, v0
	s_delay_alu instid0(VALU_DEP_2) | instskip(NEXT) | instid1(VALU_DEP_4)
	v_cmp_lt_i32_e64 s3, 0, v42
	v_ashrrev_i32_e32 v3, 31, v2
	s_delay_alu instid0(VALU_DEP_2) | instskip(NEXT) | instid1(VALU_DEP_1)
	s_and_b32 s1, s3, vcc_lo
	v_lshlrev_b64 v[4:5], 3, v[2:3]
	v_dual_mov_b32 v3, v1 :: v_dual_mov_b32 v2, v0
	s_delay_alu instid0(VALU_DEP_2) | instskip(NEXT) | instid1(VALU_DEP_1)
	v_add_co_u32 v36, s0, s10, v4
	v_add_co_ci_u32_e64 v37, s0, s11, v5, s0
	v_add_co_u32 v34, s0, s12, v4
	s_delay_alu instid0(VALU_DEP_1)
	v_add_co_ci_u32_e64 v35, s0, s13, v5, s0
	s_and_saveexec_b32 s0, s1
	s_cbranch_execz .LBB537_2
; %bb.1:
	global_load_b64 v[2:3], v[36:37], off
	global_load_b64 v[6:7], v[34:35], off
.LBB537_2:
	s_or_b32 exec_lo, exec_lo, s0
	v_or_b32_e32 v8, 32, v14
	v_dual_mov_b32 v11, v1 :: v_dual_mov_b32 v10, v0
	s_delay_alu instid0(VALU_DEP_2) | instskip(NEXT) | instid1(VALU_DEP_1)
	v_cmp_gt_i32_e64 s0, s6, v8
	s_and_b32 s2, s3, s0
	s_delay_alu instid0(SALU_CYCLE_1)
	s_and_saveexec_b32 s1, s2
	s_cbranch_execz .LBB537_4
; %bb.3:
	global_load_b64 v[0:1], v[36:37], off offset:256
	global_load_b64 v[10:11], v[34:35], off offset:256
.LBB537_4:
	s_or_b32 exec_lo, exec_lo, s1
	v_or_b32_e32 v12, 64, v14
	v_mov_b32_e32 v8, 0
	v_mov_b32_e32 v9, 0
	s_delay_alu instid0(VALU_DEP_3) | instskip(NEXT) | instid1(VALU_DEP_2)
	v_cmp_gt_i32_e64 s1, s6, v12
	v_dual_mov_b32 v13, v9 :: v_dual_mov_b32 v12, v8
	v_dual_mov_b32 v17, v9 :: v_dual_mov_b32 v16, v8
	s_delay_alu instid0(VALU_DEP_3) | instskip(NEXT) | instid1(SALU_CYCLE_1)
	s_and_b32 s4, s3, s1
	s_and_saveexec_b32 s2, s4
	s_cbranch_execz .LBB537_6
; %bb.5:
	global_load_b64 v[12:13], v[36:37], off offset:512
	global_load_b64 v[16:17], v[34:35], off offset:512
.LBB537_6:
	s_or_b32 exec_lo, exec_lo, s2
	v_or_b32_e32 v14, 0x60, v14
	v_dual_mov_b32 v19, v9 :: v_dual_mov_b32 v18, v8
	s_delay_alu instid0(VALU_DEP_2) | instskip(NEXT) | instid1(VALU_DEP_1)
	v_cmp_gt_i32_e64 s2, s6, v14
	s_and_b32 s5, s3, s2
	s_delay_alu instid0(SALU_CYCLE_1)
	s_and_saveexec_b32 s4, s5
	s_cbranch_execz .LBB537_8
; %bb.7:
	global_load_b64 v[8:9], v[36:37], off offset:768
	global_load_b64 v[18:19], v[34:35], off offset:768
.LBB537_8:
	s_or_b32 exec_lo, exec_lo, s4
	v_mov_b32_e32 v14, 0
	v_mov_b32_e32 v15, 0
	v_cmp_lt_i32_e64 s4, 1, v42
	s_delay_alu instid0(VALU_DEP_2) | instskip(SKIP_1) | instid1(VALU_DEP_3)
	v_dual_mov_b32 v21, v15 :: v_dual_mov_b32 v20, v14
	v_dual_mov_b32 v23, v15 :: v_dual_mov_b32 v22, v14
	s_and_b32 s5, s4, vcc_lo
	s_delay_alu instid0(SALU_CYCLE_1)
	s_and_saveexec_b32 s10, s5
	s_cbranch_execz .LBB537_10
; %bb.9:
	s_mov_b32 s7, 0
	s_delay_alu instid0(SALU_CYCLE_1) | instskip(NEXT) | instid1(SALU_CYCLE_1)
	s_lshl_b64 s[12:13], s[6:7], 3
	v_add_co_u32 v20, s5, v36, s12
	s_delay_alu instid0(VALU_DEP_1) | instskip(SKIP_1) | instid1(VALU_DEP_1)
	v_add_co_ci_u32_e64 v21, s5, s13, v37, s5
	v_add_co_u32 v22, s5, v34, s12
	v_add_co_ci_u32_e64 v23, s5, s13, v35, s5
	global_load_b64 v[20:21], v[20:21], off
	global_load_b64 v[22:23], v[22:23], off
.LBB537_10:
	s_or_b32 exec_lo, exec_lo, s10
	v_dual_mov_b32 v25, v15 :: v_dual_mov_b32 v24, v14
	s_and_b32 s5, s4, s0
	s_delay_alu instid0(SALU_CYCLE_1)
	s_and_saveexec_b32 s10, s5
	s_cbranch_execz .LBB537_12
; %bb.11:
	s_mov_b32 s7, 0
	s_delay_alu instid0(SALU_CYCLE_1) | instskip(NEXT) | instid1(SALU_CYCLE_1)
	s_lshl_b64 s[12:13], s[6:7], 3
	v_add_co_u32 v14, s5, v36, s12
	s_delay_alu instid0(VALU_DEP_1) | instskip(SKIP_1) | instid1(VALU_DEP_1)
	v_add_co_ci_u32_e64 v15, s5, s13, v37, s5
	v_add_co_u32 v24, s5, v34, s12
	v_add_co_ci_u32_e64 v25, s5, s13, v35, s5
	global_load_b64 v[14:15], v[14:15], off offset:256
	global_load_b64 v[24:25], v[24:25], off offset:256
.LBB537_12:
	s_or_b32 exec_lo, exec_lo, s10
	v_mov_b32_e32 v26, 0
	v_mov_b32_e32 v27, 0
	s_and_b32 s5, s4, s1
	s_delay_alu instid0(VALU_DEP_1)
	v_dual_mov_b32 v29, v27 :: v_dual_mov_b32 v28, v26
	v_dual_mov_b32 v31, v27 :: v_dual_mov_b32 v30, v26
	s_and_saveexec_b32 s10, s5
	s_cbranch_execz .LBB537_14
; %bb.13:
	s_mov_b32 s7, 0
	s_delay_alu instid0(SALU_CYCLE_1) | instskip(NEXT) | instid1(SALU_CYCLE_1)
	s_lshl_b64 s[12:13], s[6:7], 3
	v_add_co_u32 v28, s5, v36, s12
	s_delay_alu instid0(VALU_DEP_1) | instskip(SKIP_1) | instid1(VALU_DEP_1)
	v_add_co_ci_u32_e64 v29, s5, s13, v37, s5
	v_add_co_u32 v30, s5, v34, s12
	v_add_co_ci_u32_e64 v31, s5, s13, v35, s5
	global_load_b64 v[28:29], v[28:29], off offset:512
	global_load_b64 v[30:31], v[30:31], off offset:512
.LBB537_14:
	s_or_b32 exec_lo, exec_lo, s10
	v_dual_mov_b32 v33, v27 :: v_dual_mov_b32 v32, v26
	s_and_b32 s4, s4, s2
	s_delay_alu instid0(SALU_CYCLE_1)
	s_and_saveexec_b32 s5, s4
	s_cbranch_execz .LBB537_16
; %bb.15:
	s_mov_b32 s7, 0
	s_delay_alu instid0(SALU_CYCLE_1) | instskip(NEXT) | instid1(SALU_CYCLE_1)
	s_lshl_b64 s[10:11], s[6:7], 3
	v_add_co_u32 v26, s4, v36, s10
	s_delay_alu instid0(VALU_DEP_1) | instskip(SKIP_1) | instid1(VALU_DEP_1)
	v_add_co_ci_u32_e64 v27, s4, s11, v37, s4
	v_add_co_u32 v32, s4, v34, s10
	v_add_co_ci_u32_e64 v33, s4, s11, v35, s4
	global_load_b64 v[26:27], v[26:27], off offset:768
	global_load_b64 v[32:33], v[32:33], off offset:768
.LBB537_16:
	s_or_b32 exec_lo, exec_lo, s5
	s_waitcnt vmcnt(1)
	v_add_f64 v[34:35], v[2:3], 0
	v_add_f64 v[36:37], v[20:21], 0
	v_mbcnt_lo_u32_b32 v43, -1, 0
	s_delay_alu instid0(VALU_DEP_1) | instskip(NEXT) | instid1(VALU_DEP_1)
	v_xor_b32_e32 v38, 16, v43
	v_cmp_gt_i32_e64 s4, 32, v38
	s_delay_alu instid0(VALU_DEP_1) | instskip(NEXT) | instid1(VALU_DEP_1)
	v_cndmask_b32_e64 v38, v43, v38, s4
	v_lshlrev_b32_e32 v41, 2, v38
	v_add_f64 v[34:35], v[34:35], v[0:1]
	v_add_f64 v[36:37], v[36:37], v[14:15]
	s_delay_alu instid0(VALU_DEP_2) | instskip(NEXT) | instid1(VALU_DEP_2)
	v_add_f64 v[34:35], v[34:35], v[12:13]
	v_add_f64 v[36:37], v[36:37], v[28:29]
	s_delay_alu instid0(VALU_DEP_2) | instskip(NEXT) | instid1(VALU_DEP_2)
	v_add_f64 v[34:35], v[34:35], v[8:9]
	v_add_f64 v[36:37], v[36:37], v[26:27]
	ds_bpermute_b32 v38, v41, v34
	ds_bpermute_b32 v39, v41, v35
	ds_bpermute_b32 v40, v41, v36
	ds_bpermute_b32 v41, v41, v37
	s_waitcnt lgkmcnt(2)
	v_add_f64 v[34:35], v[34:35], v[38:39]
	v_xor_b32_e32 v38, 8, v43
	s_waitcnt lgkmcnt(0)
	v_add_f64 v[36:37], v[36:37], v[40:41]
	s_delay_alu instid0(VALU_DEP_2) | instskip(NEXT) | instid1(VALU_DEP_1)
	v_cmp_gt_i32_e64 s4, 32, v38
	v_cndmask_b32_e64 v38, v43, v38, s4
	s_delay_alu instid0(VALU_DEP_1)
	v_lshlrev_b32_e32 v41, 2, v38
	ds_bpermute_b32 v38, v41, v34
	ds_bpermute_b32 v39, v41, v35
	ds_bpermute_b32 v40, v41, v36
	ds_bpermute_b32 v41, v41, v37
	s_waitcnt lgkmcnt(2)
	v_add_f64 v[34:35], v[34:35], v[38:39]
	v_xor_b32_e32 v38, 4, v43
	s_waitcnt lgkmcnt(0)
	v_add_f64 v[36:37], v[36:37], v[40:41]
	s_delay_alu instid0(VALU_DEP_2) | instskip(NEXT) | instid1(VALU_DEP_1)
	v_cmp_gt_i32_e64 s4, 32, v38
	v_cndmask_b32_e64 v38, v43, v38, s4
	s_delay_alu instid0(VALU_DEP_1)
	v_lshlrev_b32_e32 v41, 2, v38
	;; [unrolled: 14-line block ×3, first 2 shown]
	ds_bpermute_b32 v38, v41, v34
	ds_bpermute_b32 v39, v41, v35
	;; [unrolled: 1-line block ×4, first 2 shown]
	s_waitcnt lgkmcnt(2)
	v_add_f64 v[38:39], v[34:35], v[38:39]
	s_waitcnt lgkmcnt(0)
	v_add_f64 v[34:35], v[36:37], v[40:41]
	v_xor_b32_e32 v36, 1, v43
	s_delay_alu instid0(VALU_DEP_1) | instskip(NEXT) | instid1(VALU_DEP_1)
	v_cmp_gt_i32_e64 s4, 32, v36
	v_cndmask_b32_e64 v36, v43, v36, s4
	s_delay_alu instid0(VALU_DEP_1)
	v_lshlrev_b32_e32 v37, 2, v36
	ds_bpermute_b32 v40, v37, v38
	ds_bpermute_b32 v41, v37, v39
	;; [unrolled: 1-line block ×4, first 2 shown]
	s_and_saveexec_b32 s4, s3
	s_cbranch_execz .LBB537_22
; %bb.17:
	s_waitcnt lgkmcnt(2)
	v_add_f64 v[38:39], v[38:39], v[40:41]
	v_add_co_u32 v4, s3, s8, v4
	s_delay_alu instid0(VALU_DEP_1)
	v_add_co_ci_u32_e64 v5, s3, s9, v5, s3
	s_and_saveexec_b32 s3, vcc_lo
	s_cbranch_execnz .LBB537_23
; %bb.18:
	s_or_b32 exec_lo, exec_lo, s3
	s_and_saveexec_b32 s3, s0
	s_cbranch_execnz .LBB537_24
.LBB537_19:
	s_or_b32 exec_lo, exec_lo, s3
	s_and_saveexec_b32 s3, s1
	s_cbranch_execnz .LBB537_25
.LBB537_20:
	s_or_b32 exec_lo, exec_lo, s3
	s_and_saveexec_b32 s3, s2
	s_cbranch_execnz .LBB537_26
.LBB537_21:
	s_or_b32 exec_lo, exec_lo, s3
	v_cmp_ne_u32_e64 s3, 1, v42
	s_delay_alu instid0(VALU_DEP_1)
	s_and_b32 exec_lo, exec_lo, s3
	s_cbranch_execnz .LBB537_27
.LBB537_22:
	s_nop 0
	s_sendmsg sendmsg(MSG_DEALLOC_VGPRS)
	s_endpgm
.LBB537_23:
	s_waitcnt vmcnt(0)
	s_delay_alu instid0(VALU_DEP_3)
	v_fma_f64 v[2:3], -v[38:39], v[6:7], v[2:3]
	global_store_b64 v[4:5], v[2:3], off
	s_or_b32 exec_lo, exec_lo, s3
	s_and_saveexec_b32 s3, s0
	s_cbranch_execz .LBB537_19
.LBB537_24:
	s_waitcnt vmcnt(0)
	s_delay_alu instid0(VALU_DEP_3)
	v_fma_f64 v[0:1], -v[38:39], v[10:11], v[0:1]
	global_store_b64 v[4:5], v[0:1], off offset:256
	s_or_b32 exec_lo, exec_lo, s3
	s_and_saveexec_b32 s3, s1
	s_cbranch_execz .LBB537_20
.LBB537_25:
	s_waitcnt vmcnt(0)
	s_delay_alu instid0(VALU_DEP_3)
	v_fma_f64 v[0:1], -v[38:39], v[16:17], v[12:13]
	global_store_b64 v[4:5], v[0:1], off offset:512
	s_or_b32 exec_lo, exec_lo, s3
	s_and_saveexec_b32 s3, s2
	s_cbranch_execz .LBB537_21
.LBB537_26:
	s_waitcnt vmcnt(0)
	s_delay_alu instid0(VALU_DEP_3) | instskip(SKIP_3) | instid1(VALU_DEP_1)
	v_fma_f64 v[0:1], -v[38:39], v[18:19], v[8:9]
	global_store_b64 v[4:5], v[0:1], off offset:768
	s_or_b32 exec_lo, exec_lo, s3
	v_cmp_ne_u32_e64 s3, 1, v42
	s_and_b32 exec_lo, exec_lo, s3
	s_cbranch_execz .LBB537_22
.LBB537_27:
	s_waitcnt lgkmcnt(0)
	v_add_f64 v[0:1], v[34:35], v[36:37]
	s_ashr_i32 s7, s6, 31
	s_delay_alu instid0(SALU_CYCLE_1) | instskip(NEXT) | instid1(SALU_CYCLE_1)
	s_lshl_b64 s[4:5], s[6:7], 3
	v_add_co_u32 v2, s3, v4, s4
	s_delay_alu instid0(VALU_DEP_1)
	v_add_co_ci_u32_e64 v3, s3, s5, v5, s3
	s_and_saveexec_b32 s3, vcc_lo
	s_cbranch_execnz .LBB537_31
; %bb.28:
	s_or_b32 exec_lo, exec_lo, s3
	s_and_saveexec_b32 s3, s0
	s_cbranch_execnz .LBB537_32
.LBB537_29:
	s_or_b32 exec_lo, exec_lo, s3
	s_and_saveexec_b32 s0, s1
	s_cbranch_execnz .LBB537_33
.LBB537_30:
	s_or_b32 exec_lo, exec_lo, s0
	s_delay_alu instid0(SALU_CYCLE_1)
	s_and_b32 exec_lo, exec_lo, s2
	s_cbranch_execz .LBB537_22
	s_branch .LBB537_34
.LBB537_31:
	s_waitcnt vmcnt(0)
	s_delay_alu instid0(VALU_DEP_3)
	v_fma_f64 v[4:5], -v[0:1], v[22:23], v[20:21]
	global_store_b64 v[2:3], v[4:5], off
	s_or_b32 exec_lo, exec_lo, s3
	s_and_saveexec_b32 s3, s0
	s_cbranch_execz .LBB537_29
.LBB537_32:
	s_waitcnt vmcnt(0)
	s_delay_alu instid0(VALU_DEP_3)
	v_fma_f64 v[4:5], -v[0:1], v[24:25], v[14:15]
	global_store_b64 v[2:3], v[4:5], off offset:256
	s_or_b32 exec_lo, exec_lo, s3
	s_and_saveexec_b32 s0, s1
	s_cbranch_execz .LBB537_30
.LBB537_33:
	s_waitcnt vmcnt(0)
	s_delay_alu instid0(VALU_DEP_3) | instskip(SKIP_2) | instid1(SALU_CYCLE_1)
	v_fma_f64 v[4:5], -v[0:1], v[30:31], v[28:29]
	global_store_b64 v[2:3], v[4:5], off offset:512
	s_or_b32 exec_lo, exec_lo, s0
	s_and_b32 exec_lo, exec_lo, s2
	s_cbranch_execz .LBB537_22
.LBB537_34:
	s_waitcnt vmcnt(0)
	s_delay_alu instid0(VALU_DEP_3)
	v_fma_f64 v[0:1], -v[0:1], v[32:33], v[26:27]
	global_store_b64 v[2:3], v[0:1], off offset:768
	s_nop 0
	s_sendmsg sendmsg(MSG_DEALLOC_VGPRS)
	s_endpgm
	.section	.rodata,"a",@progbits
	.p2align	6, 0x0
	.amdhsa_kernel _ZN12_GLOBAL__N_121softmax_warp_backwardIdddLi7ELb0ELb0ELi32EEEvPT0_PKT_S5_iiiPKb
		.amdhsa_group_segment_fixed_size 0
		.amdhsa_private_segment_fixed_size 0
		.amdhsa_kernarg_size 304
		.amdhsa_user_sgpr_count 15
		.amdhsa_user_sgpr_dispatch_ptr 0
		.amdhsa_user_sgpr_queue_ptr 0
		.amdhsa_user_sgpr_kernarg_segment_ptr 1
		.amdhsa_user_sgpr_dispatch_id 0
		.amdhsa_user_sgpr_private_segment_size 0
		.amdhsa_wavefront_size32 1
		.amdhsa_uses_dynamic_stack 0
		.amdhsa_enable_private_segment 0
		.amdhsa_system_sgpr_workgroup_id_x 1
		.amdhsa_system_sgpr_workgroup_id_y 0
		.amdhsa_system_sgpr_workgroup_id_z 0
		.amdhsa_system_sgpr_workgroup_info 0
		.amdhsa_system_vgpr_workitem_id 1
		.amdhsa_next_free_vgpr 44
		.amdhsa_next_free_sgpr 16
		.amdhsa_reserve_vcc 1
		.amdhsa_float_round_mode_32 0
		.amdhsa_float_round_mode_16_64 0
		.amdhsa_float_denorm_mode_32 3
		.amdhsa_float_denorm_mode_16_64 3
		.amdhsa_dx10_clamp 1
		.amdhsa_ieee_mode 1
		.amdhsa_fp16_overflow 0
		.amdhsa_workgroup_processor_mode 1
		.amdhsa_memory_ordered 1
		.amdhsa_forward_progress 0
		.amdhsa_shared_vgpr_count 0
		.amdhsa_exception_fp_ieee_invalid_op 0
		.amdhsa_exception_fp_denorm_src 0
		.amdhsa_exception_fp_ieee_div_zero 0
		.amdhsa_exception_fp_ieee_overflow 0
		.amdhsa_exception_fp_ieee_underflow 0
		.amdhsa_exception_fp_ieee_inexact 0
		.amdhsa_exception_int_div_zero 0
	.end_amdhsa_kernel
	.section	.text._ZN12_GLOBAL__N_121softmax_warp_backwardIdddLi7ELb0ELb0ELi32EEEvPT0_PKT_S5_iiiPKb,"axG",@progbits,_ZN12_GLOBAL__N_121softmax_warp_backwardIdddLi7ELb0ELb0ELi32EEEvPT0_PKT_S5_iiiPKb,comdat
.Lfunc_end537:
	.size	_ZN12_GLOBAL__N_121softmax_warp_backwardIdddLi7ELb0ELb0ELi32EEEvPT0_PKT_S5_iiiPKb, .Lfunc_end537-_ZN12_GLOBAL__N_121softmax_warp_backwardIdddLi7ELb0ELb0ELi32EEEvPT0_PKT_S5_iiiPKb
                                        ; -- End function
	.section	.AMDGPU.csdata,"",@progbits
; Kernel info:
; codeLenInByte = 1844
; NumSgprs: 18
; NumVgprs: 44
; ScratchSize: 0
; MemoryBound: 0
; FloatMode: 240
; IeeeMode: 1
; LDSByteSize: 0 bytes/workgroup (compile time only)
; SGPRBlocks: 2
; VGPRBlocks: 5
; NumSGPRsForWavesPerEU: 18
; NumVGPRsForWavesPerEU: 44
; Occupancy: 16
; WaveLimiterHint : 0
; COMPUTE_PGM_RSRC2:SCRATCH_EN: 0
; COMPUTE_PGM_RSRC2:USER_SGPR: 15
; COMPUTE_PGM_RSRC2:TRAP_HANDLER: 0
; COMPUTE_PGM_RSRC2:TGID_X_EN: 1
; COMPUTE_PGM_RSRC2:TGID_Y_EN: 0
; COMPUTE_PGM_RSRC2:TGID_Z_EN: 0
; COMPUTE_PGM_RSRC2:TIDIG_COMP_CNT: 1
	.section	.text._ZN12_GLOBAL__N_121softmax_warp_backwardIdddLi8ELb0ELb0ELi64EEEvPT0_PKT_S5_iiiPKb,"axG",@progbits,_ZN12_GLOBAL__N_121softmax_warp_backwardIdddLi8ELb0ELb0ELi64EEEvPT0_PKT_S5_iiiPKb,comdat
	.globl	_ZN12_GLOBAL__N_121softmax_warp_backwardIdddLi8ELb0ELb0ELi64EEEvPT0_PKT_S5_iiiPKb ; -- Begin function _ZN12_GLOBAL__N_121softmax_warp_backwardIdddLi8ELb0ELb0ELi64EEEvPT0_PKT_S5_iiiPKb
	.p2align	8
	.type	_ZN12_GLOBAL__N_121softmax_warp_backwardIdddLi8ELb0ELb0ELi64EEEvPT0_PKT_S5_iiiPKb,@function
_ZN12_GLOBAL__N_121softmax_warp_backwardIdddLi8ELb0ELb0ELi64EEEvPT0_PKT_S5_iiiPKb: ; @_ZN12_GLOBAL__N_121softmax_warp_backwardIdddLi8ELb0ELb0ELi64EEEvPT0_PKT_S5_iiiPKb
; %bb.0:
	s_clause 0x1
	s_load_b32 s2, s[0:1], 0x3c
	s_load_b128 s[8:11], s[0:1], 0x18
	v_bfe_u32 v1, v0, 10, 10
	v_and_b32_e32 v16, 63, v0
	s_clause 0x1
	s_load_b128 s[4:7], s[0:1], 0x0
	s_load_b64 s[12:13], s[0:1], 0x10
	s_waitcnt lgkmcnt(0)
	s_lshr_b32 s2, s2, 16
	s_delay_alu instid0(SALU_CYCLE_1) | instskip(SKIP_3) | instid1(VALU_DEP_2)
	v_mad_u64_u32 v[2:3], null, s15, s2, v[1:2]
	v_mov_b32_e32 v0, 0
	v_mov_b32_e32 v1, 0
	v_cmp_gt_i32_e32 vcc_lo, s10, v16
	v_dual_mov_b32 v7, v1 :: v_dual_mov_b32 v6, v0
	v_mad_u64_u32 v[3:4], null, v2, s9, v[16:17]
	v_sub_nc_u32_e32 v22, s8, v2
	s_delay_alu instid0(VALU_DEP_1) | instskip(NEXT) | instid1(VALU_DEP_3)
	v_cmp_lt_i32_e64 s3, 0, v22
	v_ashrrev_i32_e32 v4, 31, v3
	s_delay_alu instid0(VALU_DEP_2) | instskip(NEXT) | instid1(VALU_DEP_1)
	s_and_b32 s1, s3, vcc_lo
	v_lshlrev_b64 v[4:5], 3, v[3:4]
	v_dual_mov_b32 v3, v1 :: v_dual_mov_b32 v2, v0
	s_delay_alu instid0(VALU_DEP_2) | instskip(NEXT) | instid1(VALU_DEP_1)
	v_add_co_u32 v18, s0, s6, v4
	v_add_co_ci_u32_e64 v19, s0, s7, v5, s0
	v_add_co_u32 v20, s0, s12, v4
	s_delay_alu instid0(VALU_DEP_1)
	v_add_co_ci_u32_e64 v21, s0, s13, v5, s0
	s_and_saveexec_b32 s0, s1
	s_cbranch_execz .LBB538_2
; %bb.1:
	global_load_b64 v[2:3], v[18:19], off
	global_load_b64 v[6:7], v[20:21], off
.LBB538_2:
	s_or_b32 exec_lo, exec_lo, s0
	v_or_b32_e32 v8, 64, v16
	v_dual_mov_b32 v11, v1 :: v_dual_mov_b32 v10, v0
	s_delay_alu instid0(VALU_DEP_2) | instskip(NEXT) | instid1(VALU_DEP_1)
	v_cmp_gt_i32_e64 s0, s10, v8
	s_and_b32 s2, s3, s0
	s_delay_alu instid0(SALU_CYCLE_1)
	s_and_saveexec_b32 s1, s2
	s_cbranch_execz .LBB538_4
; %bb.3:
	global_load_b64 v[0:1], v[18:19], off offset:512
	global_load_b64 v[10:11], v[20:21], off offset:512
.LBB538_4:
	s_or_b32 exec_lo, exec_lo, s1
	v_or_b32_e32 v12, 0x80, v16
	v_mov_b32_e32 v8, 0
	v_mov_b32_e32 v9, 0
	s_delay_alu instid0(VALU_DEP_3) | instskip(NEXT) | instid1(VALU_DEP_2)
	v_cmp_gt_i32_e64 s1, s10, v12
	v_dual_mov_b32 v13, v9 :: v_dual_mov_b32 v12, v8
	v_dual_mov_b32 v15, v9 :: v_dual_mov_b32 v14, v8
	s_delay_alu instid0(VALU_DEP_3) | instskip(NEXT) | instid1(SALU_CYCLE_1)
	s_and_b32 s6, s3, s1
	s_and_saveexec_b32 s2, s6
	s_cbranch_execz .LBB538_6
; %bb.5:
	global_load_b64 v[12:13], v[18:19], off offset:1024
	global_load_b64 v[14:15], v[20:21], off offset:1024
.LBB538_6:
	s_or_b32 exec_lo, exec_lo, s2
	v_or_b32_e32 v16, 0xc0, v16
	s_delay_alu instid0(VALU_DEP_1) | instskip(SKIP_1) | instid1(VALU_DEP_2)
	v_cmp_gt_i32_e64 s2, s10, v16
	v_dual_mov_b32 v17, v9 :: v_dual_mov_b32 v16, v8
	s_and_b32 s6, s3, s2
	s_delay_alu instid0(SALU_CYCLE_1)
	s_and_saveexec_b32 s3, s6
	s_cbranch_execz .LBB538_8
; %bb.7:
	global_load_b64 v[8:9], v[18:19], off offset:1536
	global_load_b64 v[16:17], v[20:21], off offset:1536
.LBB538_8:
	s_or_b32 exec_lo, exec_lo, s3
	s_waitcnt vmcnt(1)
	v_add_f64 v[18:19], v[2:3], 0
	v_mbcnt_lo_u32_b32 v23, -1, 0
	s_mov_b32 s6, exec_lo
	s_delay_alu instid0(VALU_DEP_1) | instskip(NEXT) | instid1(VALU_DEP_1)
	v_or_b32_e32 v20, 32, v23
	v_cmp_gt_i32_e64 s3, 64, v20
	s_delay_alu instid0(VALU_DEP_1) | instskip(NEXT) | instid1(VALU_DEP_1)
	v_cndmask_b32_e64 v20, v23, v20, s3
	v_lshlrev_b32_e32 v21, 2, v20
	v_add_f64 v[18:19], v[18:19], v[0:1]
	s_delay_alu instid0(VALU_DEP_1) | instskip(NEXT) | instid1(VALU_DEP_1)
	v_add_f64 v[18:19], v[18:19], v[12:13]
	v_add_f64 v[18:19], v[18:19], v[8:9]
	ds_bpermute_b32 v20, v21, v18
	ds_bpermute_b32 v21, v21, v19
	s_waitcnt lgkmcnt(0)
	v_add_f64 v[18:19], v[18:19], v[20:21]
	v_xor_b32_e32 v20, 16, v23
	s_delay_alu instid0(VALU_DEP_1) | instskip(NEXT) | instid1(VALU_DEP_1)
	v_cmp_gt_i32_e64 s3, 64, v20
	v_cndmask_b32_e64 v20, v23, v20, s3
	s_delay_alu instid0(VALU_DEP_1)
	v_lshlrev_b32_e32 v21, 2, v20
	ds_bpermute_b32 v20, v21, v18
	ds_bpermute_b32 v21, v21, v19
	s_waitcnt lgkmcnt(0)
	v_add_f64 v[18:19], v[18:19], v[20:21]
	v_xor_b32_e32 v20, 8, v23
	s_delay_alu instid0(VALU_DEP_1) | instskip(NEXT) | instid1(VALU_DEP_1)
	v_cmp_gt_i32_e64 s3, 64, v20
	v_cndmask_b32_e64 v20, v23, v20, s3
	s_delay_alu instid0(VALU_DEP_1)
	v_lshlrev_b32_e32 v21, 2, v20
	;; [unrolled: 10-line block ×5, first 2 shown]
	ds_bpermute_b32 v20, v21, v18
	ds_bpermute_b32 v21, v21, v19
	v_cmpx_lt_i32_e32 0, v22
	s_cbranch_execz .LBB538_14
; %bb.9:
	s_waitcnt lgkmcnt(0)
	v_add_f64 v[18:19], v[18:19], v[20:21]
	v_add_co_u32 v4, s3, s4, v4
	s_delay_alu instid0(VALU_DEP_1)
	v_add_co_ci_u32_e64 v5, s3, s5, v5, s3
	s_and_saveexec_b32 s3, vcc_lo
	s_cbranch_execnz .LBB538_15
; %bb.10:
	s_or_b32 exec_lo, exec_lo, s3
	s_and_saveexec_b32 s3, s0
	s_cbranch_execnz .LBB538_16
.LBB538_11:
	s_or_b32 exec_lo, exec_lo, s3
	s_and_saveexec_b32 s0, s1
	s_cbranch_execnz .LBB538_17
.LBB538_12:
	s_or_b32 exec_lo, exec_lo, s0
	s_delay_alu instid0(SALU_CYCLE_1)
	s_and_b32 exec_lo, exec_lo, s2
	s_cbranch_execz .LBB538_14
.LBB538_13:
	s_waitcnt vmcnt(0)
	s_delay_alu instid0(VALU_DEP_3)
	v_fma_f64 v[0:1], -v[18:19], v[16:17], v[8:9]
	global_store_b64 v[4:5], v[0:1], off offset:1536
.LBB538_14:
	s_nop 0
	s_sendmsg sendmsg(MSG_DEALLOC_VGPRS)
	s_endpgm
.LBB538_15:
	s_waitcnt vmcnt(0)
	s_delay_alu instid0(VALU_DEP_3)
	v_fma_f64 v[2:3], -v[18:19], v[6:7], v[2:3]
	global_store_b64 v[4:5], v[2:3], off
	s_or_b32 exec_lo, exec_lo, s3
	s_and_saveexec_b32 s3, s0
	s_cbranch_execz .LBB538_11
.LBB538_16:
	s_waitcnt vmcnt(0)
	s_delay_alu instid0(VALU_DEP_3)
	v_fma_f64 v[0:1], -v[18:19], v[10:11], v[0:1]
	global_store_b64 v[4:5], v[0:1], off offset:512
	s_or_b32 exec_lo, exec_lo, s3
	s_and_saveexec_b32 s0, s1
	s_cbranch_execz .LBB538_12
.LBB538_17:
	s_waitcnt vmcnt(0)
	s_delay_alu instid0(VALU_DEP_3) | instskip(SKIP_2) | instid1(SALU_CYCLE_1)
	v_fma_f64 v[0:1], -v[18:19], v[14:15], v[12:13]
	global_store_b64 v[4:5], v[0:1], off offset:1024
	s_or_b32 exec_lo, exec_lo, s0
	s_and_b32 exec_lo, exec_lo, s2
	s_cbranch_execnz .LBB538_13
	s_branch .LBB538_14
	.section	.rodata,"a",@progbits
	.p2align	6, 0x0
	.amdhsa_kernel _ZN12_GLOBAL__N_121softmax_warp_backwardIdddLi8ELb0ELb0ELi64EEEvPT0_PKT_S5_iiiPKb
		.amdhsa_group_segment_fixed_size 0
		.amdhsa_private_segment_fixed_size 0
		.amdhsa_kernarg_size 304
		.amdhsa_user_sgpr_count 15
		.amdhsa_user_sgpr_dispatch_ptr 0
		.amdhsa_user_sgpr_queue_ptr 0
		.amdhsa_user_sgpr_kernarg_segment_ptr 1
		.amdhsa_user_sgpr_dispatch_id 0
		.amdhsa_user_sgpr_private_segment_size 0
		.amdhsa_wavefront_size32 1
		.amdhsa_uses_dynamic_stack 0
		.amdhsa_enable_private_segment 0
		.amdhsa_system_sgpr_workgroup_id_x 1
		.amdhsa_system_sgpr_workgroup_id_y 0
		.amdhsa_system_sgpr_workgroup_id_z 0
		.amdhsa_system_sgpr_workgroup_info 0
		.amdhsa_system_vgpr_workitem_id 1
		.amdhsa_next_free_vgpr 24
		.amdhsa_next_free_sgpr 16
		.amdhsa_reserve_vcc 1
		.amdhsa_float_round_mode_32 0
		.amdhsa_float_round_mode_16_64 0
		.amdhsa_float_denorm_mode_32 3
		.amdhsa_float_denorm_mode_16_64 3
		.amdhsa_dx10_clamp 1
		.amdhsa_ieee_mode 1
		.amdhsa_fp16_overflow 0
		.amdhsa_workgroup_processor_mode 1
		.amdhsa_memory_ordered 1
		.amdhsa_forward_progress 0
		.amdhsa_shared_vgpr_count 0
		.amdhsa_exception_fp_ieee_invalid_op 0
		.amdhsa_exception_fp_denorm_src 0
		.amdhsa_exception_fp_ieee_div_zero 0
		.amdhsa_exception_fp_ieee_overflow 0
		.amdhsa_exception_fp_ieee_underflow 0
		.amdhsa_exception_fp_ieee_inexact 0
		.amdhsa_exception_int_div_zero 0
	.end_amdhsa_kernel
	.section	.text._ZN12_GLOBAL__N_121softmax_warp_backwardIdddLi8ELb0ELb0ELi64EEEvPT0_PKT_S5_iiiPKb,"axG",@progbits,_ZN12_GLOBAL__N_121softmax_warp_backwardIdddLi8ELb0ELb0ELi64EEEvPT0_PKT_S5_iiiPKb,comdat
.Lfunc_end538:
	.size	_ZN12_GLOBAL__N_121softmax_warp_backwardIdddLi8ELb0ELb0ELi64EEEvPT0_PKT_S5_iiiPKb, .Lfunc_end538-_ZN12_GLOBAL__N_121softmax_warp_backwardIdddLi8ELb0ELb0ELi64EEEvPT0_PKT_S5_iiiPKb
                                        ; -- End function
	.section	.AMDGPU.csdata,"",@progbits
; Kernel info:
; codeLenInByte = 1052
; NumSgprs: 18
; NumVgprs: 24
; ScratchSize: 0
; MemoryBound: 0
; FloatMode: 240
; IeeeMode: 1
; LDSByteSize: 0 bytes/workgroup (compile time only)
; SGPRBlocks: 2
; VGPRBlocks: 2
; NumSGPRsForWavesPerEU: 18
; NumVGPRsForWavesPerEU: 24
; Occupancy: 16
; WaveLimiterHint : 0
; COMPUTE_PGM_RSRC2:SCRATCH_EN: 0
; COMPUTE_PGM_RSRC2:USER_SGPR: 15
; COMPUTE_PGM_RSRC2:TRAP_HANDLER: 0
; COMPUTE_PGM_RSRC2:TGID_X_EN: 1
; COMPUTE_PGM_RSRC2:TGID_Y_EN: 0
; COMPUTE_PGM_RSRC2:TGID_Z_EN: 0
; COMPUTE_PGM_RSRC2:TIDIG_COMP_CNT: 1
	.section	.text._ZN12_GLOBAL__N_121softmax_warp_backwardIdddLi8ELb0ELb0ELi32EEEvPT0_PKT_S5_iiiPKb,"axG",@progbits,_ZN12_GLOBAL__N_121softmax_warp_backwardIdddLi8ELb0ELb0ELi32EEEvPT0_PKT_S5_iiiPKb,comdat
	.globl	_ZN12_GLOBAL__N_121softmax_warp_backwardIdddLi8ELb0ELb0ELi32EEEvPT0_PKT_S5_iiiPKb ; -- Begin function _ZN12_GLOBAL__N_121softmax_warp_backwardIdddLi8ELb0ELb0ELi32EEEvPT0_PKT_S5_iiiPKb
	.p2align	8
	.type	_ZN12_GLOBAL__N_121softmax_warp_backwardIdddLi8ELb0ELb0ELi32EEEvPT0_PKT_S5_iiiPKb,@function
_ZN12_GLOBAL__N_121softmax_warp_backwardIdddLi8ELb0ELb0ELi32EEEvPT0_PKT_S5_iiiPKb: ; @_ZN12_GLOBAL__N_121softmax_warp_backwardIdddLi8ELb0ELb0ELi32EEEvPT0_PKT_S5_iiiPKb
; %bb.0:
	s_clause 0x1
	s_load_b32 s2, s[0:1], 0x3c
	s_load_b128 s[4:7], s[0:1], 0x18
	v_bfe_u32 v1, v0, 10, 10
	v_and_b32_e32 v28, 31, v0
	s_load_b128 s[8:11], s[0:1], 0x0
	s_waitcnt lgkmcnt(0)
	s_lshr_b32 s2, s2, 16
	s_delay_alu instid0(SALU_CYCLE_1) | instskip(SKIP_4) | instid1(VALU_DEP_4)
	v_mad_u64_u32 v[2:3], null, s15, s2, v[1:2]
	s_load_b64 s[2:3], s[0:1], 0x10
	v_mov_b32_e32 v0, 0
	v_mov_b32_e32 v1, 0
	v_cmp_gt_i32_e32 vcc_lo, s6, v28
	v_mad_u64_u32 v[3:4], null, v2, s5, v[28:29]
	v_sub_nc_u32_e32 v39, s4, v2
	s_delay_alu instid0(VALU_DEP_4) | instskip(NEXT) | instid1(VALU_DEP_2)
	v_dual_mov_b32 v7, v1 :: v_dual_mov_b32 v6, v0
	v_cmp_lt_i32_e64 s7, 0, v39
	s_delay_alu instid0(VALU_DEP_4) | instskip(NEXT) | instid1(VALU_DEP_2)
	v_ashrrev_i32_e32 v4, 31, v3
	s_and_b32 s1, s7, vcc_lo
	s_delay_alu instid0(VALU_DEP_1) | instskip(SKIP_1) | instid1(VALU_DEP_2)
	v_lshlrev_b64 v[4:5], 3, v[3:4]
	v_dual_mov_b32 v3, v1 :: v_dual_mov_b32 v2, v0
	v_add_co_u32 v33, s0, s10, v4
	s_delay_alu instid0(VALU_DEP_1) | instskip(SKIP_2) | instid1(VALU_DEP_1)
	v_add_co_ci_u32_e64 v34, s0, s11, v5, s0
	s_waitcnt lgkmcnt(0)
	v_add_co_u32 v37, s0, s2, v4
	v_add_co_ci_u32_e64 v38, s0, s3, v5, s0
	s_and_saveexec_b32 s0, s1
	s_cbranch_execz .LBB539_2
; %bb.1:
	global_load_b64 v[2:3], v[33:34], off
	global_load_b64 v[6:7], v[37:38], off
.LBB539_2:
	s_or_b32 exec_lo, exec_lo, s0
	v_or_b32_e32 v8, 32, v28
	v_dual_mov_b32 v11, v1 :: v_dual_mov_b32 v10, v0
	s_delay_alu instid0(VALU_DEP_2) | instskip(NEXT) | instid1(VALU_DEP_1)
	v_cmp_gt_i32_e64 s0, s6, v8
	s_and_b32 s2, s7, s0
	s_delay_alu instid0(SALU_CYCLE_1)
	s_and_saveexec_b32 s1, s2
	s_cbranch_execz .LBB539_4
; %bb.3:
	global_load_b64 v[0:1], v[33:34], off offset:256
	global_load_b64 v[10:11], v[37:38], off offset:256
.LBB539_4:
	s_or_b32 exec_lo, exec_lo, s1
	v_or_b32_e32 v12, 64, v28
	v_mov_b32_e32 v8, 0
	v_mov_b32_e32 v9, 0
	s_delay_alu instid0(VALU_DEP_3) | instskip(NEXT) | instid1(VALU_DEP_2)
	v_cmp_gt_i32_e64 s1, s6, v12
	v_dual_mov_b32 v13, v9 :: v_dual_mov_b32 v12, v8
	v_dual_mov_b32 v15, v9 :: v_dual_mov_b32 v14, v8
	s_delay_alu instid0(VALU_DEP_3) | instskip(NEXT) | instid1(SALU_CYCLE_1)
	s_and_b32 s3, s7, s1
	s_and_saveexec_b32 s2, s3
	s_cbranch_execz .LBB539_6
; %bb.5:
	global_load_b64 v[12:13], v[33:34], off offset:512
	global_load_b64 v[14:15], v[37:38], off offset:512
.LBB539_6:
	s_or_b32 exec_lo, exec_lo, s2
	v_or_b32_e32 v16, 0x60, v28
	v_dual_mov_b32 v19, v9 :: v_dual_mov_b32 v18, v8
	s_delay_alu instid0(VALU_DEP_2) | instskip(NEXT) | instid1(VALU_DEP_1)
	v_cmp_gt_i32_e64 s2, s6, v16
	s_and_b32 s4, s7, s2
	s_delay_alu instid0(SALU_CYCLE_1)
	s_and_saveexec_b32 s3, s4
	s_cbranch_execz .LBB539_8
; %bb.7:
	global_load_b64 v[8:9], v[33:34], off offset:768
	global_load_b64 v[18:19], v[37:38], off offset:768
.LBB539_8:
	s_or_b32 exec_lo, exec_lo, s3
	v_or_b32_e32 v20, 0x80, v28
	v_mov_b32_e32 v16, 0
	v_mov_b32_e32 v17, 0
	s_delay_alu instid0(VALU_DEP_3) | instskip(NEXT) | instid1(VALU_DEP_2)
	v_cmp_gt_i32_e64 s3, s6, v20
	v_dual_mov_b32 v21, v17 :: v_dual_mov_b32 v20, v16
	v_dual_mov_b32 v23, v17 :: v_dual_mov_b32 v22, v16
	s_delay_alu instid0(VALU_DEP_3) | instskip(NEXT) | instid1(SALU_CYCLE_1)
	s_and_b32 s5, s7, s3
	s_and_saveexec_b32 s4, s5
	s_cbranch_execz .LBB539_10
; %bb.9:
	global_load_b64 v[20:21], v[33:34], off offset:1024
	global_load_b64 v[22:23], v[37:38], off offset:1024
.LBB539_10:
	;; [unrolled: 29-line block ×3, first 2 shown]
	s_or_b32 exec_lo, exec_lo, s10
	v_or_b32_e32 v28, 0xe0, v28
	v_dual_mov_b32 v36, v25 :: v_dual_mov_b32 v35, v24
	s_delay_alu instid0(VALU_DEP_2) | instskip(NEXT) | instid1(VALU_DEP_1)
	v_cmp_gt_i32_e64 s6, s6, v28
	s_and_b32 s10, s7, s6
	s_delay_alu instid0(SALU_CYCLE_1)
	s_and_saveexec_b32 s7, s10
	s_cbranch_execz .LBB539_16
; %bb.15:
	global_load_b64 v[24:25], v[33:34], off offset:1792
	global_load_b64 v[35:36], v[37:38], off offset:1792
.LBB539_16:
	s_or_b32 exec_lo, exec_lo, s7
	s_waitcnt vmcnt(1)
	v_add_f64 v[33:34], v[2:3], 0
	v_mbcnt_lo_u32_b32 v28, -1, 0
	s_mov_b32 s10, exec_lo
	s_delay_alu instid0(VALU_DEP_1) | instskip(NEXT) | instid1(VALU_DEP_1)
	v_xor_b32_e32 v37, 16, v28
	v_cmp_gt_i32_e64 s7, 32, v37
	s_delay_alu instid0(VALU_DEP_1) | instskip(NEXT) | instid1(VALU_DEP_1)
	v_cndmask_b32_e64 v37, v28, v37, s7
	v_lshlrev_b32_e32 v38, 2, v37
	v_add_f64 v[33:34], v[33:34], v[0:1]
	s_delay_alu instid0(VALU_DEP_1) | instskip(NEXT) | instid1(VALU_DEP_1)
	v_add_f64 v[33:34], v[33:34], v[12:13]
	v_add_f64 v[33:34], v[33:34], v[8:9]
	s_delay_alu instid0(VALU_DEP_1) | instskip(NEXT) | instid1(VALU_DEP_1)
	v_add_f64 v[33:34], v[33:34], v[20:21]
	;; [unrolled: 3-line block ×3, first 2 shown]
	v_add_f64 v[33:34], v[33:34], v[24:25]
	ds_bpermute_b32 v37, v38, v33
	ds_bpermute_b32 v38, v38, v34
	s_waitcnt lgkmcnt(0)
	v_add_f64 v[33:34], v[33:34], v[37:38]
	v_xor_b32_e32 v37, 8, v28
	s_delay_alu instid0(VALU_DEP_1) | instskip(NEXT) | instid1(VALU_DEP_1)
	v_cmp_gt_i32_e64 s7, 32, v37
	v_cndmask_b32_e64 v37, v28, v37, s7
	s_delay_alu instid0(VALU_DEP_1)
	v_lshlrev_b32_e32 v38, 2, v37
	ds_bpermute_b32 v37, v38, v33
	ds_bpermute_b32 v38, v38, v34
	s_waitcnt lgkmcnt(0)
	v_add_f64 v[33:34], v[33:34], v[37:38]
	v_xor_b32_e32 v37, 4, v28
	s_delay_alu instid0(VALU_DEP_1) | instskip(NEXT) | instid1(VALU_DEP_1)
	v_cmp_gt_i32_e64 s7, 32, v37
	v_cndmask_b32_e64 v37, v28, v37, s7
	s_delay_alu instid0(VALU_DEP_1)
	v_lshlrev_b32_e32 v38, 2, v37
	;; [unrolled: 10-line block ×4, first 2 shown]
	ds_bpermute_b32 v37, v28, v33
	ds_bpermute_b32 v38, v28, v34
	v_cmpx_lt_i32_e32 0, v39
	s_cbranch_execz .LBB539_26
; %bb.17:
	s_waitcnt lgkmcnt(0)
	v_add_f64 v[33:34], v[33:34], v[37:38]
	v_add_co_u32 v4, s7, s8, v4
	s_delay_alu instid0(VALU_DEP_1)
	v_add_co_ci_u32_e64 v5, s7, s9, v5, s7
	s_and_saveexec_b32 s7, vcc_lo
	s_cbranch_execnz .LBB539_27
; %bb.18:
	s_or_b32 exec_lo, exec_lo, s7
	s_and_saveexec_b32 s7, s0
	s_cbranch_execnz .LBB539_28
.LBB539_19:
	s_or_b32 exec_lo, exec_lo, s7
	s_and_saveexec_b32 s0, s1
	s_cbranch_execnz .LBB539_29
.LBB539_20:
	s_or_b32 exec_lo, exec_lo, s0
	s_and_saveexec_b32 s0, s2
	s_cbranch_execnz .LBB539_30
.LBB539_21:
	s_or_b32 exec_lo, exec_lo, s0
	s_and_saveexec_b32 s0, s3
	s_cbranch_execnz .LBB539_31
.LBB539_22:
	s_or_b32 exec_lo, exec_lo, s0
	s_and_saveexec_b32 s0, s4
	s_cbranch_execnz .LBB539_32
.LBB539_23:
	s_or_b32 exec_lo, exec_lo, s0
	s_and_saveexec_b32 s0, s5
	s_cbranch_execnz .LBB539_33
.LBB539_24:
	s_or_b32 exec_lo, exec_lo, s0
	s_delay_alu instid0(SALU_CYCLE_1)
	s_and_b32 exec_lo, exec_lo, s6
	s_cbranch_execz .LBB539_26
.LBB539_25:
	s_waitcnt vmcnt(0)
	s_delay_alu instid0(VALU_DEP_3)
	v_fma_f64 v[0:1], -v[33:34], v[35:36], v[24:25]
	global_store_b64 v[4:5], v[0:1], off offset:1792
.LBB539_26:
	s_nop 0
	s_sendmsg sendmsg(MSG_DEALLOC_VGPRS)
	s_endpgm
.LBB539_27:
	s_waitcnt vmcnt(0)
	s_delay_alu instid0(VALU_DEP_3)
	v_fma_f64 v[2:3], -v[33:34], v[6:7], v[2:3]
	global_store_b64 v[4:5], v[2:3], off
	s_or_b32 exec_lo, exec_lo, s7
	s_and_saveexec_b32 s7, s0
	s_cbranch_execz .LBB539_19
.LBB539_28:
	s_waitcnt vmcnt(0)
	s_delay_alu instid0(VALU_DEP_3)
	v_fma_f64 v[0:1], -v[33:34], v[10:11], v[0:1]
	global_store_b64 v[4:5], v[0:1], off offset:256
	s_or_b32 exec_lo, exec_lo, s7
	s_and_saveexec_b32 s0, s1
	s_cbranch_execz .LBB539_20
.LBB539_29:
	s_waitcnt vmcnt(0)
	s_delay_alu instid0(VALU_DEP_3)
	v_fma_f64 v[0:1], -v[33:34], v[14:15], v[12:13]
	global_store_b64 v[4:5], v[0:1], off offset:512
	s_or_b32 exec_lo, exec_lo, s0
	s_and_saveexec_b32 s0, s2
	s_cbranch_execz .LBB539_21
.LBB539_30:
	s_waitcnt vmcnt(0)
	s_delay_alu instid0(VALU_DEP_3)
	v_fma_f64 v[0:1], -v[33:34], v[18:19], v[8:9]
	global_store_b64 v[4:5], v[0:1], off offset:768
	s_or_b32 exec_lo, exec_lo, s0
	s_and_saveexec_b32 s0, s3
	s_cbranch_execz .LBB539_22
.LBB539_31:
	s_waitcnt vmcnt(0)
	s_delay_alu instid0(VALU_DEP_3)
	v_fma_f64 v[0:1], -v[33:34], v[22:23], v[20:21]
	global_store_b64 v[4:5], v[0:1], off offset:1024
	s_or_b32 exec_lo, exec_lo, s0
	s_and_saveexec_b32 s0, s4
	s_cbranch_execz .LBB539_23
.LBB539_32:
	s_waitcnt vmcnt(0)
	s_delay_alu instid0(VALU_DEP_3)
	v_fma_f64 v[0:1], -v[33:34], v[26:27], v[16:17]
	global_store_b64 v[4:5], v[0:1], off offset:1280
	s_or_b32 exec_lo, exec_lo, s0
	s_and_saveexec_b32 s0, s5
	s_cbranch_execz .LBB539_24
.LBB539_33:
	s_waitcnt vmcnt(0)
	s_delay_alu instid0(VALU_DEP_3) | instskip(SKIP_2) | instid1(SALU_CYCLE_1)
	v_fma_f64 v[0:1], -v[33:34], v[31:32], v[29:30]
	global_store_b64 v[4:5], v[0:1], off offset:1536
	s_or_b32 exec_lo, exec_lo, s0
	s_and_b32 exec_lo, exec_lo, s6
	s_cbranch_execnz .LBB539_25
	s_branch .LBB539_26
	.section	.rodata,"a",@progbits
	.p2align	6, 0x0
	.amdhsa_kernel _ZN12_GLOBAL__N_121softmax_warp_backwardIdddLi8ELb0ELb0ELi32EEEvPT0_PKT_S5_iiiPKb
		.amdhsa_group_segment_fixed_size 0
		.amdhsa_private_segment_fixed_size 0
		.amdhsa_kernarg_size 304
		.amdhsa_user_sgpr_count 15
		.amdhsa_user_sgpr_dispatch_ptr 0
		.amdhsa_user_sgpr_queue_ptr 0
		.amdhsa_user_sgpr_kernarg_segment_ptr 1
		.amdhsa_user_sgpr_dispatch_id 0
		.amdhsa_user_sgpr_private_segment_size 0
		.amdhsa_wavefront_size32 1
		.amdhsa_uses_dynamic_stack 0
		.amdhsa_enable_private_segment 0
		.amdhsa_system_sgpr_workgroup_id_x 1
		.amdhsa_system_sgpr_workgroup_id_y 0
		.amdhsa_system_sgpr_workgroup_id_z 0
		.amdhsa_system_sgpr_workgroup_info 0
		.amdhsa_system_vgpr_workitem_id 1
		.amdhsa_next_free_vgpr 40
		.amdhsa_next_free_sgpr 16
		.amdhsa_reserve_vcc 1
		.amdhsa_float_round_mode_32 0
		.amdhsa_float_round_mode_16_64 0
		.amdhsa_float_denorm_mode_32 3
		.amdhsa_float_denorm_mode_16_64 3
		.amdhsa_dx10_clamp 1
		.amdhsa_ieee_mode 1
		.amdhsa_fp16_overflow 0
		.amdhsa_workgroup_processor_mode 1
		.amdhsa_memory_ordered 1
		.amdhsa_forward_progress 0
		.amdhsa_shared_vgpr_count 0
		.amdhsa_exception_fp_ieee_invalid_op 0
		.amdhsa_exception_fp_denorm_src 0
		.amdhsa_exception_fp_ieee_div_zero 0
		.amdhsa_exception_fp_ieee_overflow 0
		.amdhsa_exception_fp_ieee_underflow 0
		.amdhsa_exception_fp_ieee_inexact 0
		.amdhsa_exception_int_div_zero 0
	.end_amdhsa_kernel
	.section	.text._ZN12_GLOBAL__N_121softmax_warp_backwardIdddLi8ELb0ELb0ELi32EEEvPT0_PKT_S5_iiiPKb,"axG",@progbits,_ZN12_GLOBAL__N_121softmax_warp_backwardIdddLi8ELb0ELb0ELi32EEEvPT0_PKT_S5_iiiPKb,comdat
.Lfunc_end539:
	.size	_ZN12_GLOBAL__N_121softmax_warp_backwardIdddLi8ELb0ELb0ELi32EEEvPT0_PKT_S5_iiiPKb, .Lfunc_end539-_ZN12_GLOBAL__N_121softmax_warp_backwardIdddLi8ELb0ELb0ELi32EEEvPT0_PKT_S5_iiiPKb
                                        ; -- End function
	.section	.AMDGPU.csdata,"",@progbits
; Kernel info:
; codeLenInByte = 1508
; NumSgprs: 18
; NumVgprs: 40
; ScratchSize: 0
; MemoryBound: 0
; FloatMode: 240
; IeeeMode: 1
; LDSByteSize: 0 bytes/workgroup (compile time only)
; SGPRBlocks: 2
; VGPRBlocks: 4
; NumSGPRsForWavesPerEU: 18
; NumVGPRsForWavesPerEU: 40
; Occupancy: 16
; WaveLimiterHint : 0
; COMPUTE_PGM_RSRC2:SCRATCH_EN: 0
; COMPUTE_PGM_RSRC2:USER_SGPR: 15
; COMPUTE_PGM_RSRC2:TRAP_HANDLER: 0
; COMPUTE_PGM_RSRC2:TGID_X_EN: 1
; COMPUTE_PGM_RSRC2:TGID_Y_EN: 0
; COMPUTE_PGM_RSRC2:TGID_Z_EN: 0
; COMPUTE_PGM_RSRC2:TIDIG_COMP_CNT: 1
	.section	.text._ZN12_GLOBAL__N_121softmax_warp_backwardIdddLi9ELb0ELb0ELi64EEEvPT0_PKT_S5_iiiPKb,"axG",@progbits,_ZN12_GLOBAL__N_121softmax_warp_backwardIdddLi9ELb0ELb0ELi64EEEvPT0_PKT_S5_iiiPKb,comdat
	.globl	_ZN12_GLOBAL__N_121softmax_warp_backwardIdddLi9ELb0ELb0ELi64EEEvPT0_PKT_S5_iiiPKb ; -- Begin function _ZN12_GLOBAL__N_121softmax_warp_backwardIdddLi9ELb0ELb0ELi64EEEvPT0_PKT_S5_iiiPKb
	.p2align	8
	.type	_ZN12_GLOBAL__N_121softmax_warp_backwardIdddLi9ELb0ELb0ELi64EEEvPT0_PKT_S5_iiiPKb,@function
_ZN12_GLOBAL__N_121softmax_warp_backwardIdddLi9ELb0ELb0ELi64EEEvPT0_PKT_S5_iiiPKb: ; @_ZN12_GLOBAL__N_121softmax_warp_backwardIdddLi9ELb0ELb0ELi64EEEvPT0_PKT_S5_iiiPKb
; %bb.0:
	s_clause 0x1
	s_load_b32 s2, s[0:1], 0x3c
	s_load_b128 s[4:7], s[0:1], 0x18
	v_bfe_u32 v1, v0, 10, 10
	v_and_b32_e32 v32, 63, v0
	s_load_b128 s[8:11], s[0:1], 0x0
	s_waitcnt lgkmcnt(0)
	s_lshr_b32 s2, s2, 16
	s_delay_alu instid0(SALU_CYCLE_1) | instskip(SKIP_4) | instid1(VALU_DEP_4)
	v_mad_u64_u32 v[2:3], null, s15, s2, v[1:2]
	s_load_b64 s[2:3], s[0:1], 0x10
	v_mov_b32_e32 v0, 0
	v_mov_b32_e32 v1, 0
	v_cmp_gt_i32_e32 vcc_lo, s6, v32
	v_mad_u64_u32 v[3:4], null, v2, s5, v[32:33]
	v_sub_nc_u32_e32 v38, s4, v2
	s_delay_alu instid0(VALU_DEP_4) | instskip(NEXT) | instid1(VALU_DEP_2)
	v_dual_mov_b32 v7, v1 :: v_dual_mov_b32 v6, v0
	v_cmp_lt_i32_e64 s7, 0, v38
	s_delay_alu instid0(VALU_DEP_4) | instskip(NEXT) | instid1(VALU_DEP_2)
	v_ashrrev_i32_e32 v4, 31, v3
	s_and_b32 s1, s7, vcc_lo
	s_delay_alu instid0(VALU_DEP_1) | instskip(SKIP_1) | instid1(VALU_DEP_2)
	v_lshlrev_b64 v[4:5], 3, v[3:4]
	v_dual_mov_b32 v3, v1 :: v_dual_mov_b32 v2, v0
	v_add_co_u32 v34, s0, s10, v4
	s_delay_alu instid0(VALU_DEP_1) | instskip(SKIP_2) | instid1(VALU_DEP_1)
	v_add_co_ci_u32_e64 v35, s0, s11, v5, s0
	s_waitcnt lgkmcnt(0)
	v_add_co_u32 v36, s0, s2, v4
	v_add_co_ci_u32_e64 v37, s0, s3, v5, s0
	s_and_saveexec_b32 s0, s1
	s_cbranch_execz .LBB540_2
; %bb.1:
	global_load_b64 v[2:3], v[34:35], off
	global_load_b64 v[6:7], v[36:37], off
.LBB540_2:
	s_or_b32 exec_lo, exec_lo, s0
	v_or_b32_e32 v8, 64, v32
	v_dual_mov_b32 v11, v1 :: v_dual_mov_b32 v10, v0
	s_delay_alu instid0(VALU_DEP_2) | instskip(NEXT) | instid1(VALU_DEP_1)
	v_cmp_gt_i32_e64 s0, s6, v8
	s_and_b32 s2, s7, s0
	s_delay_alu instid0(SALU_CYCLE_1)
	s_and_saveexec_b32 s1, s2
	s_cbranch_execz .LBB540_4
; %bb.3:
	global_load_b64 v[0:1], v[34:35], off offset:512
	global_load_b64 v[10:11], v[36:37], off offset:512
.LBB540_4:
	s_or_b32 exec_lo, exec_lo, s1
	v_or_b32_e32 v12, 0x80, v32
	v_mov_b32_e32 v8, 0
	v_mov_b32_e32 v9, 0
	s_delay_alu instid0(VALU_DEP_3) | instskip(NEXT) | instid1(VALU_DEP_2)
	v_cmp_gt_i32_e64 s1, s6, v12
	v_dual_mov_b32 v13, v9 :: v_dual_mov_b32 v12, v8
	v_dual_mov_b32 v15, v9 :: v_dual_mov_b32 v14, v8
	s_delay_alu instid0(VALU_DEP_3) | instskip(NEXT) | instid1(SALU_CYCLE_1)
	s_and_b32 s3, s7, s1
	s_and_saveexec_b32 s2, s3
	s_cbranch_execz .LBB540_6
; %bb.5:
	global_load_b64 v[12:13], v[34:35], off offset:1024
	global_load_b64 v[14:15], v[36:37], off offset:1024
.LBB540_6:
	s_or_b32 exec_lo, exec_lo, s2
	v_or_b32_e32 v16, 0xc0, v32
	v_dual_mov_b32 v19, v9 :: v_dual_mov_b32 v18, v8
	s_delay_alu instid0(VALU_DEP_2) | instskip(NEXT) | instid1(VALU_DEP_1)
	v_cmp_gt_i32_e64 s2, s6, v16
	s_and_b32 s4, s7, s2
	s_delay_alu instid0(SALU_CYCLE_1)
	s_and_saveexec_b32 s3, s4
	s_cbranch_execz .LBB540_8
; %bb.7:
	global_load_b64 v[8:9], v[34:35], off offset:1536
	global_load_b64 v[18:19], v[36:37], off offset:1536
.LBB540_8:
	s_or_b32 exec_lo, exec_lo, s3
	v_or_b32_e32 v20, 0x100, v32
	v_mov_b32_e32 v16, 0
	v_mov_b32_e32 v17, 0
	s_delay_alu instid0(VALU_DEP_3) | instskip(NEXT) | instid1(VALU_DEP_2)
	v_cmp_gt_i32_e64 s3, s6, v20
	v_dual_mov_b32 v21, v17 :: v_dual_mov_b32 v20, v16
	v_dual_mov_b32 v23, v17 :: v_dual_mov_b32 v22, v16
	s_delay_alu instid0(VALU_DEP_3) | instskip(NEXT) | instid1(SALU_CYCLE_1)
	s_and_b32 s5, s7, s3
	s_and_saveexec_b32 s4, s5
	s_cbranch_execz .LBB540_10
; %bb.9:
	global_load_b64 v[20:21], v[34:35], off offset:2048
	global_load_b64 v[22:23], v[36:37], off offset:2048
.LBB540_10:
	;; [unrolled: 29-line block ×3, first 2 shown]
	s_or_b32 exec_lo, exec_lo, s10
	v_or_b32_e32 v32, 0x1c0, v32
	s_delay_alu instid0(VALU_DEP_1) | instskip(SKIP_1) | instid1(VALU_DEP_2)
	v_cmp_gt_i32_e64 s6, s6, v32
	v_dual_mov_b32 v33, v25 :: v_dual_mov_b32 v32, v24
	s_and_b32 s10, s7, s6
	s_delay_alu instid0(SALU_CYCLE_1)
	s_and_saveexec_b32 s7, s10
	s_cbranch_execz .LBB540_16
; %bb.15:
	global_load_b64 v[24:25], v[34:35], off offset:3584
	global_load_b64 v[32:33], v[36:37], off offset:3584
.LBB540_16:
	s_or_b32 exec_lo, exec_lo, s7
	s_waitcnt vmcnt(1)
	v_add_f64 v[34:35], v[2:3], 0
	v_mbcnt_lo_u32_b32 v39, -1, 0
	s_mov_b32 s10, exec_lo
	s_delay_alu instid0(VALU_DEP_1) | instskip(NEXT) | instid1(VALU_DEP_1)
	v_or_b32_e32 v36, 32, v39
	v_cmp_gt_i32_e64 s7, 64, v36
	s_delay_alu instid0(VALU_DEP_1) | instskip(NEXT) | instid1(VALU_DEP_1)
	v_cndmask_b32_e64 v36, v39, v36, s7
	v_lshlrev_b32_e32 v37, 2, v36
	v_add_f64 v[34:35], v[34:35], v[0:1]
	s_delay_alu instid0(VALU_DEP_1) | instskip(NEXT) | instid1(VALU_DEP_1)
	v_add_f64 v[34:35], v[34:35], v[12:13]
	v_add_f64 v[34:35], v[34:35], v[8:9]
	s_delay_alu instid0(VALU_DEP_1) | instskip(NEXT) | instid1(VALU_DEP_1)
	v_add_f64 v[34:35], v[34:35], v[20:21]
	;; [unrolled: 3-line block ×3, first 2 shown]
	v_add_f64 v[34:35], v[34:35], v[24:25]
	ds_bpermute_b32 v36, v37, v34
	ds_bpermute_b32 v37, v37, v35
	s_waitcnt lgkmcnt(0)
	v_add_f64 v[34:35], v[34:35], v[36:37]
	v_xor_b32_e32 v36, 16, v39
	s_delay_alu instid0(VALU_DEP_1) | instskip(NEXT) | instid1(VALU_DEP_1)
	v_cmp_gt_i32_e64 s7, 64, v36
	v_cndmask_b32_e64 v36, v39, v36, s7
	s_delay_alu instid0(VALU_DEP_1)
	v_lshlrev_b32_e32 v37, 2, v36
	ds_bpermute_b32 v36, v37, v34
	ds_bpermute_b32 v37, v37, v35
	s_waitcnt lgkmcnt(0)
	v_add_f64 v[34:35], v[34:35], v[36:37]
	v_xor_b32_e32 v36, 8, v39
	s_delay_alu instid0(VALU_DEP_1) | instskip(NEXT) | instid1(VALU_DEP_1)
	v_cmp_gt_i32_e64 s7, 64, v36
	v_cndmask_b32_e64 v36, v39, v36, s7
	s_delay_alu instid0(VALU_DEP_1)
	v_lshlrev_b32_e32 v37, 2, v36
	;; [unrolled: 10-line block ×5, first 2 shown]
	ds_bpermute_b32 v36, v37, v34
	ds_bpermute_b32 v37, v37, v35
	v_cmpx_lt_i32_e32 0, v38
	s_cbranch_execz .LBB540_26
; %bb.17:
	s_waitcnt lgkmcnt(0)
	v_add_f64 v[34:35], v[34:35], v[36:37]
	v_add_co_u32 v4, s7, s8, v4
	s_delay_alu instid0(VALU_DEP_1)
	v_add_co_ci_u32_e64 v5, s7, s9, v5, s7
	s_and_saveexec_b32 s7, vcc_lo
	s_cbranch_execnz .LBB540_27
; %bb.18:
	s_or_b32 exec_lo, exec_lo, s7
	s_and_saveexec_b32 s7, s0
	s_cbranch_execnz .LBB540_28
.LBB540_19:
	s_or_b32 exec_lo, exec_lo, s7
	s_and_saveexec_b32 s0, s1
	s_cbranch_execnz .LBB540_29
.LBB540_20:
	s_or_b32 exec_lo, exec_lo, s0
	s_and_saveexec_b32 s0, s2
	s_cbranch_execnz .LBB540_30
.LBB540_21:
	s_or_b32 exec_lo, exec_lo, s0
	s_and_saveexec_b32 s0, s3
	s_cbranch_execnz .LBB540_31
.LBB540_22:
	s_or_b32 exec_lo, exec_lo, s0
	s_and_saveexec_b32 s0, s4
	s_cbranch_execnz .LBB540_32
.LBB540_23:
	s_or_b32 exec_lo, exec_lo, s0
	s_and_saveexec_b32 s0, s5
	s_cbranch_execnz .LBB540_33
.LBB540_24:
	s_or_b32 exec_lo, exec_lo, s0
	s_delay_alu instid0(SALU_CYCLE_1)
	s_and_b32 exec_lo, exec_lo, s6
	s_cbranch_execz .LBB540_26
.LBB540_25:
	s_waitcnt vmcnt(0)
	s_delay_alu instid0(VALU_DEP_3)
	v_fma_f64 v[0:1], -v[34:35], v[32:33], v[24:25]
	global_store_b64 v[4:5], v[0:1], off offset:3584
.LBB540_26:
	s_nop 0
	s_sendmsg sendmsg(MSG_DEALLOC_VGPRS)
	s_endpgm
.LBB540_27:
	s_waitcnt vmcnt(0)
	s_delay_alu instid0(VALU_DEP_3)
	v_fma_f64 v[2:3], -v[34:35], v[6:7], v[2:3]
	global_store_b64 v[4:5], v[2:3], off
	s_or_b32 exec_lo, exec_lo, s7
	s_and_saveexec_b32 s7, s0
	s_cbranch_execz .LBB540_19
.LBB540_28:
	s_waitcnt vmcnt(0)
	s_delay_alu instid0(VALU_DEP_3)
	v_fma_f64 v[0:1], -v[34:35], v[10:11], v[0:1]
	global_store_b64 v[4:5], v[0:1], off offset:512
	s_or_b32 exec_lo, exec_lo, s7
	s_and_saveexec_b32 s0, s1
	s_cbranch_execz .LBB540_20
.LBB540_29:
	s_waitcnt vmcnt(0)
	s_delay_alu instid0(VALU_DEP_3)
	v_fma_f64 v[0:1], -v[34:35], v[14:15], v[12:13]
	global_store_b64 v[4:5], v[0:1], off offset:1024
	s_or_b32 exec_lo, exec_lo, s0
	s_and_saveexec_b32 s0, s2
	s_cbranch_execz .LBB540_21
.LBB540_30:
	s_waitcnt vmcnt(0)
	s_delay_alu instid0(VALU_DEP_3)
	v_fma_f64 v[0:1], -v[34:35], v[18:19], v[8:9]
	global_store_b64 v[4:5], v[0:1], off offset:1536
	s_or_b32 exec_lo, exec_lo, s0
	s_and_saveexec_b32 s0, s3
	s_cbranch_execz .LBB540_22
.LBB540_31:
	s_waitcnt vmcnt(0)
	s_delay_alu instid0(VALU_DEP_3)
	v_fma_f64 v[0:1], -v[34:35], v[22:23], v[20:21]
	global_store_b64 v[4:5], v[0:1], off offset:2048
	s_or_b32 exec_lo, exec_lo, s0
	s_and_saveexec_b32 s0, s4
	s_cbranch_execz .LBB540_23
.LBB540_32:
	s_waitcnt vmcnt(0)
	s_delay_alu instid0(VALU_DEP_3)
	v_fma_f64 v[0:1], -v[34:35], v[26:27], v[16:17]
	global_store_b64 v[4:5], v[0:1], off offset:2560
	s_or_b32 exec_lo, exec_lo, s0
	s_and_saveexec_b32 s0, s5
	s_cbranch_execz .LBB540_24
.LBB540_33:
	s_waitcnt vmcnt(0)
	s_delay_alu instid0(VALU_DEP_3) | instskip(SKIP_2) | instid1(SALU_CYCLE_1)
	v_fma_f64 v[0:1], -v[34:35], v[30:31], v[28:29]
	global_store_b64 v[4:5], v[0:1], off offset:3072
	s_or_b32 exec_lo, exec_lo, s0
	s_and_b32 exec_lo, exec_lo, s6
	s_cbranch_execnz .LBB540_25
	s_branch .LBB540_26
	.section	.rodata,"a",@progbits
	.p2align	6, 0x0
	.amdhsa_kernel _ZN12_GLOBAL__N_121softmax_warp_backwardIdddLi9ELb0ELb0ELi64EEEvPT0_PKT_S5_iiiPKb
		.amdhsa_group_segment_fixed_size 0
		.amdhsa_private_segment_fixed_size 0
		.amdhsa_kernarg_size 304
		.amdhsa_user_sgpr_count 15
		.amdhsa_user_sgpr_dispatch_ptr 0
		.amdhsa_user_sgpr_queue_ptr 0
		.amdhsa_user_sgpr_kernarg_segment_ptr 1
		.amdhsa_user_sgpr_dispatch_id 0
		.amdhsa_user_sgpr_private_segment_size 0
		.amdhsa_wavefront_size32 1
		.amdhsa_uses_dynamic_stack 0
		.amdhsa_enable_private_segment 0
		.amdhsa_system_sgpr_workgroup_id_x 1
		.amdhsa_system_sgpr_workgroup_id_y 0
		.amdhsa_system_sgpr_workgroup_id_z 0
		.amdhsa_system_sgpr_workgroup_info 0
		.amdhsa_system_vgpr_workitem_id 1
		.amdhsa_next_free_vgpr 40
		.amdhsa_next_free_sgpr 16
		.amdhsa_reserve_vcc 1
		.amdhsa_float_round_mode_32 0
		.amdhsa_float_round_mode_16_64 0
		.amdhsa_float_denorm_mode_32 3
		.amdhsa_float_denorm_mode_16_64 3
		.amdhsa_dx10_clamp 1
		.amdhsa_ieee_mode 1
		.amdhsa_fp16_overflow 0
		.amdhsa_workgroup_processor_mode 1
		.amdhsa_memory_ordered 1
		.amdhsa_forward_progress 0
		.amdhsa_shared_vgpr_count 0
		.amdhsa_exception_fp_ieee_invalid_op 0
		.amdhsa_exception_fp_denorm_src 0
		.amdhsa_exception_fp_ieee_div_zero 0
		.amdhsa_exception_fp_ieee_overflow 0
		.amdhsa_exception_fp_ieee_underflow 0
		.amdhsa_exception_fp_ieee_inexact 0
		.amdhsa_exception_int_div_zero 0
	.end_amdhsa_kernel
	.section	.text._ZN12_GLOBAL__N_121softmax_warp_backwardIdddLi9ELb0ELb0ELi64EEEvPT0_PKT_S5_iiiPKb,"axG",@progbits,_ZN12_GLOBAL__N_121softmax_warp_backwardIdddLi9ELb0ELb0ELi64EEEvPT0_PKT_S5_iiiPKb,comdat
.Lfunc_end540:
	.size	_ZN12_GLOBAL__N_121softmax_warp_backwardIdddLi9ELb0ELb0ELi64EEEvPT0_PKT_S5_iiiPKb, .Lfunc_end540-_ZN12_GLOBAL__N_121softmax_warp_backwardIdddLi9ELb0ELb0ELi64EEEvPT0_PKT_S5_iiiPKb
                                        ; -- End function
	.section	.AMDGPU.csdata,"",@progbits
; Kernel info:
; codeLenInByte = 1572
; NumSgprs: 18
; NumVgprs: 40
; ScratchSize: 0
; MemoryBound: 0
; FloatMode: 240
; IeeeMode: 1
; LDSByteSize: 0 bytes/workgroup (compile time only)
; SGPRBlocks: 2
; VGPRBlocks: 4
; NumSGPRsForWavesPerEU: 18
; NumVGPRsForWavesPerEU: 40
; Occupancy: 16
; WaveLimiterHint : 0
; COMPUTE_PGM_RSRC2:SCRATCH_EN: 0
; COMPUTE_PGM_RSRC2:USER_SGPR: 15
; COMPUTE_PGM_RSRC2:TRAP_HANDLER: 0
; COMPUTE_PGM_RSRC2:TGID_X_EN: 1
; COMPUTE_PGM_RSRC2:TGID_Y_EN: 0
; COMPUTE_PGM_RSRC2:TGID_Z_EN: 0
; COMPUTE_PGM_RSRC2:TIDIG_COMP_CNT: 1
	.section	.text._ZN12_GLOBAL__N_121softmax_warp_backwardIdddLi9ELb0ELb0ELi32EEEvPT0_PKT_S5_iiiPKb,"axG",@progbits,_ZN12_GLOBAL__N_121softmax_warp_backwardIdddLi9ELb0ELb0ELi32EEEvPT0_PKT_S5_iiiPKb,comdat
	.globl	_ZN12_GLOBAL__N_121softmax_warp_backwardIdddLi9ELb0ELb0ELi32EEEvPT0_PKT_S5_iiiPKb ; -- Begin function _ZN12_GLOBAL__N_121softmax_warp_backwardIdddLi9ELb0ELb0ELi32EEEvPT0_PKT_S5_iiiPKb
	.p2align	8
	.type	_ZN12_GLOBAL__N_121softmax_warp_backwardIdddLi9ELb0ELb0ELi32EEEvPT0_PKT_S5_iiiPKb,@function
_ZN12_GLOBAL__N_121softmax_warp_backwardIdddLi9ELb0ELb0ELi32EEEvPT0_PKT_S5_iiiPKb: ; @_ZN12_GLOBAL__N_121softmax_warp_backwardIdddLi9ELb0ELb0ELi32EEEvPT0_PKT_S5_iiiPKb
; %bb.0:
	s_clause 0x1
	s_load_b32 s2, s[0:1], 0x3c
	s_load_b128 s[20:23], s[0:1], 0x18
	v_bfe_u32 v1, v0, 10, 10
	v_and_b32_e32 v32, 31, v0
	s_load_b128 s[16:19], s[0:1], 0x0
	s_waitcnt lgkmcnt(0)
	s_lshr_b32 s2, s2, 16
	s_delay_alu instid0(SALU_CYCLE_1) | instskip(SKIP_4) | instid1(VALU_DEP_4)
	v_mad_u64_u32 v[2:3], null, s15, s2, v[1:2]
	s_load_b64 s[2:3], s[0:1], 0x10
	v_mov_b32_e32 v0, 0
	v_mov_b32_e32 v1, 0
	v_cmp_gt_i32_e32 vcc_lo, s22, v32
	v_mad_u64_u32 v[3:4], null, v2, s21, v[32:33]
	v_sub_nc_u32_e32 v71, s20, v2
	s_delay_alu instid0(VALU_DEP_4) | instskip(NEXT) | instid1(VALU_DEP_2)
	v_dual_mov_b32 v7, v1 :: v_dual_mov_b32 v6, v0
	v_cmp_lt_i32_e64 s8, 0, v71
	s_delay_alu instid0(VALU_DEP_4) | instskip(NEXT) | instid1(VALU_DEP_2)
	v_ashrrev_i32_e32 v4, 31, v3
	s_and_b32 s1, s8, vcc_lo
	s_delay_alu instid0(VALU_DEP_1) | instskip(SKIP_1) | instid1(VALU_DEP_2)
	v_lshlrev_b64 v[4:5], 3, v[3:4]
	v_dual_mov_b32 v3, v1 :: v_dual_mov_b32 v2, v0
	v_add_co_u32 v37, s0, s18, v4
	s_delay_alu instid0(VALU_DEP_1) | instskip(SKIP_2) | instid1(VALU_DEP_1)
	v_add_co_ci_u32_e64 v38, s0, s19, v5, s0
	s_waitcnt lgkmcnt(0)
	v_add_co_u32 v39, s0, s2, v4
	v_add_co_ci_u32_e64 v40, s0, s3, v5, s0
	s_and_saveexec_b32 s0, s1
	s_cbranch_execz .LBB541_2
; %bb.1:
	global_load_b64 v[2:3], v[37:38], off
	global_load_b64 v[6:7], v[39:40], off
.LBB541_2:
	s_or_b32 exec_lo, exec_lo, s0
	v_or_b32_e32 v8, 32, v32
	v_dual_mov_b32 v11, v1 :: v_dual_mov_b32 v10, v0
	s_delay_alu instid0(VALU_DEP_2) | instskip(NEXT) | instid1(VALU_DEP_1)
	v_cmp_gt_i32_e64 s0, s22, v8
	s_and_b32 s2, s8, s0
	s_delay_alu instid0(SALU_CYCLE_1)
	s_and_saveexec_b32 s1, s2
	s_cbranch_execz .LBB541_4
; %bb.3:
	global_load_b64 v[0:1], v[37:38], off offset:256
	global_load_b64 v[10:11], v[39:40], off offset:256
.LBB541_4:
	s_or_b32 exec_lo, exec_lo, s1
	v_or_b32_e32 v12, 64, v32
	v_mov_b32_e32 v8, 0
	v_mov_b32_e32 v9, 0
	s_delay_alu instid0(VALU_DEP_3) | instskip(NEXT) | instid1(VALU_DEP_2)
	v_cmp_gt_i32_e64 s1, s22, v12
	v_dual_mov_b32 v13, v9 :: v_dual_mov_b32 v12, v8
	v_dual_mov_b32 v15, v9 :: v_dual_mov_b32 v14, v8
	s_delay_alu instid0(VALU_DEP_3) | instskip(NEXT) | instid1(SALU_CYCLE_1)
	s_and_b32 s3, s8, s1
	s_and_saveexec_b32 s2, s3
	s_cbranch_execz .LBB541_6
; %bb.5:
	global_load_b64 v[12:13], v[37:38], off offset:512
	global_load_b64 v[14:15], v[39:40], off offset:512
.LBB541_6:
	s_or_b32 exec_lo, exec_lo, s2
	v_or_b32_e32 v16, 0x60, v32
	v_dual_mov_b32 v19, v9 :: v_dual_mov_b32 v18, v8
	s_delay_alu instid0(VALU_DEP_2) | instskip(NEXT) | instid1(VALU_DEP_1)
	v_cmp_gt_i32_e64 s2, s22, v16
	s_and_b32 s4, s8, s2
	s_delay_alu instid0(SALU_CYCLE_1)
	s_and_saveexec_b32 s3, s4
	s_cbranch_execz .LBB541_8
; %bb.7:
	global_load_b64 v[8:9], v[37:38], off offset:768
	global_load_b64 v[18:19], v[39:40], off offset:768
.LBB541_8:
	s_or_b32 exec_lo, exec_lo, s3
	v_or_b32_e32 v20, 0x80, v32
	v_mov_b32_e32 v16, 0
	v_mov_b32_e32 v17, 0
	s_delay_alu instid0(VALU_DEP_3) | instskip(NEXT) | instid1(VALU_DEP_2)
	v_cmp_gt_i32_e64 s3, s22, v20
	v_dual_mov_b32 v21, v17 :: v_dual_mov_b32 v20, v16
	v_dual_mov_b32 v23, v17 :: v_dual_mov_b32 v22, v16
	s_delay_alu instid0(VALU_DEP_3) | instskip(NEXT) | instid1(SALU_CYCLE_1)
	s_and_b32 s5, s8, s3
	s_and_saveexec_b32 s4, s5
	s_cbranch_execz .LBB541_10
; %bb.9:
	global_load_b64 v[20:21], v[37:38], off offset:1024
	global_load_b64 v[22:23], v[39:40], off offset:1024
.LBB541_10:
	;; [unrolled: 29-line block ×7, first 2 shown]
	s_or_b32 exec_lo, exec_lo, s15
	v_or_b32_e32 v32, 0x1e0, v32
	v_dual_mov_b32 v70, v62 :: v_dual_mov_b32 v69, v61
	s_delay_alu instid0(VALU_DEP_2) | instskip(NEXT) | instid1(VALU_DEP_1)
	v_cmp_gt_i32_e64 s15, s22, v32
	s_and_b32 s18, s8, s15
	s_delay_alu instid0(SALU_CYCLE_1)
	s_and_saveexec_b32 s8, s18
	s_cbranch_execz .LBB541_32
; %bb.31:
	global_load_b64 v[61:62], v[37:38], off offset:3840
	global_load_b64 v[69:70], v[39:40], off offset:3840
.LBB541_32:
	s_or_b32 exec_lo, exec_lo, s8
	s_waitcnt vmcnt(1)
	v_add_f64 v[37:38], v[2:3], 0
	v_mbcnt_lo_u32_b32 v32, -1, 0
	s_mov_b32 s18, exec_lo
	s_delay_alu instid0(VALU_DEP_1) | instskip(NEXT) | instid1(VALU_DEP_1)
	v_xor_b32_e32 v39, 16, v32
	v_cmp_gt_i32_e64 s8, 32, v39
	s_delay_alu instid0(VALU_DEP_1) | instskip(NEXT) | instid1(VALU_DEP_1)
	v_cndmask_b32_e64 v39, v32, v39, s8
	v_lshlrev_b32_e32 v40, 2, v39
	v_add_f64 v[37:38], v[37:38], v[0:1]
	s_delay_alu instid0(VALU_DEP_1) | instskip(NEXT) | instid1(VALU_DEP_1)
	v_add_f64 v[37:38], v[37:38], v[12:13]
	v_add_f64 v[37:38], v[37:38], v[8:9]
	s_delay_alu instid0(VALU_DEP_1) | instskip(NEXT) | instid1(VALU_DEP_1)
	v_add_f64 v[37:38], v[37:38], v[20:21]
	;; [unrolled: 3-line block ×7, first 2 shown]
	v_add_f64 v[37:38], v[37:38], v[61:62]
	ds_bpermute_b32 v39, v40, v37
	ds_bpermute_b32 v40, v40, v38
	s_waitcnt lgkmcnt(0)
	v_add_f64 v[37:38], v[37:38], v[39:40]
	v_xor_b32_e32 v39, 8, v32
	s_delay_alu instid0(VALU_DEP_1) | instskip(NEXT) | instid1(VALU_DEP_1)
	v_cmp_gt_i32_e64 s8, 32, v39
	v_cndmask_b32_e64 v39, v32, v39, s8
	s_delay_alu instid0(VALU_DEP_1)
	v_lshlrev_b32_e32 v40, 2, v39
	ds_bpermute_b32 v39, v40, v37
	ds_bpermute_b32 v40, v40, v38
	s_waitcnt lgkmcnt(0)
	v_add_f64 v[37:38], v[37:38], v[39:40]
	v_xor_b32_e32 v39, 4, v32
	s_delay_alu instid0(VALU_DEP_1) | instskip(NEXT) | instid1(VALU_DEP_1)
	v_cmp_gt_i32_e64 s8, 32, v39
	v_cndmask_b32_e64 v39, v32, v39, s8
	s_delay_alu instid0(VALU_DEP_1)
	v_lshlrev_b32_e32 v40, 2, v39
	;; [unrolled: 10-line block ×4, first 2 shown]
	ds_bpermute_b32 v39, v32, v37
	ds_bpermute_b32 v40, v32, v38
	v_cmpx_lt_i32_e32 0, v71
	s_cbranch_execz .LBB541_50
; %bb.33:
	s_waitcnt lgkmcnt(0)
	v_add_f64 v[37:38], v[37:38], v[39:40]
	v_add_co_u32 v4, s8, s16, v4
	s_delay_alu instid0(VALU_DEP_1)
	v_add_co_ci_u32_e64 v5, s8, s17, v5, s8
	s_and_saveexec_b32 s8, vcc_lo
	s_cbranch_execnz .LBB541_51
; %bb.34:
	s_or_b32 exec_lo, exec_lo, s8
	s_and_saveexec_b32 s8, s0
	s_cbranch_execnz .LBB541_52
.LBB541_35:
	s_or_b32 exec_lo, exec_lo, s8
	s_and_saveexec_b32 s0, s1
	s_cbranch_execnz .LBB541_53
.LBB541_36:
	s_or_b32 exec_lo, exec_lo, s0
	s_and_saveexec_b32 s0, s2
	s_cbranch_execnz .LBB541_54
.LBB541_37:
	s_or_b32 exec_lo, exec_lo, s0
	s_and_saveexec_b32 s0, s3
	s_cbranch_execnz .LBB541_55
.LBB541_38:
	s_or_b32 exec_lo, exec_lo, s0
	s_and_saveexec_b32 s0, s4
	s_cbranch_execnz .LBB541_56
.LBB541_39:
	s_or_b32 exec_lo, exec_lo, s0
	s_and_saveexec_b32 s0, s5
	s_cbranch_execnz .LBB541_57
.LBB541_40:
	s_or_b32 exec_lo, exec_lo, s0
	s_and_saveexec_b32 s0, s6
	s_cbranch_execnz .LBB541_58
.LBB541_41:
	s_or_b32 exec_lo, exec_lo, s0
	s_and_saveexec_b32 s0, s7
	s_cbranch_execnz .LBB541_59
.LBB541_42:
	s_or_b32 exec_lo, exec_lo, s0
	s_and_saveexec_b32 s0, s9
	s_cbranch_execnz .LBB541_60
.LBB541_43:
	s_or_b32 exec_lo, exec_lo, s0
	s_and_saveexec_b32 s0, s10
	s_cbranch_execnz .LBB541_61
.LBB541_44:
	s_or_b32 exec_lo, exec_lo, s0
	s_and_saveexec_b32 s0, s11
	s_cbranch_execnz .LBB541_62
.LBB541_45:
	s_or_b32 exec_lo, exec_lo, s0
	s_and_saveexec_b32 s0, s12
	s_cbranch_execnz .LBB541_63
.LBB541_46:
	s_or_b32 exec_lo, exec_lo, s0
	s_and_saveexec_b32 s0, s13
	s_cbranch_execnz .LBB541_64
.LBB541_47:
	s_or_b32 exec_lo, exec_lo, s0
	s_and_saveexec_b32 s0, s14
	s_cbranch_execnz .LBB541_65
.LBB541_48:
	s_or_b32 exec_lo, exec_lo, s0
	s_delay_alu instid0(SALU_CYCLE_1)
	s_and_b32 exec_lo, exec_lo, s15
	s_cbranch_execz .LBB541_50
.LBB541_49:
	s_waitcnt vmcnt(0)
	v_fma_f64 v[0:1], -v[37:38], v[69:70], v[61:62]
	global_store_b64 v[4:5], v[0:1], off offset:3840
.LBB541_50:
	s_nop 0
	s_sendmsg sendmsg(MSG_DEALLOC_VGPRS)
	s_endpgm
.LBB541_51:
	s_waitcnt vmcnt(0)
	s_delay_alu instid0(VALU_DEP_3)
	v_fma_f64 v[2:3], -v[37:38], v[6:7], v[2:3]
	global_store_b64 v[4:5], v[2:3], off
	s_or_b32 exec_lo, exec_lo, s8
	s_and_saveexec_b32 s8, s0
	s_cbranch_execz .LBB541_35
.LBB541_52:
	s_waitcnt vmcnt(0)
	s_delay_alu instid0(VALU_DEP_3)
	v_fma_f64 v[0:1], -v[37:38], v[10:11], v[0:1]
	global_store_b64 v[4:5], v[0:1], off offset:256
	s_or_b32 exec_lo, exec_lo, s8
	s_and_saveexec_b32 s0, s1
	s_cbranch_execz .LBB541_36
.LBB541_53:
	s_waitcnt vmcnt(0)
	s_delay_alu instid0(VALU_DEP_3)
	v_fma_f64 v[0:1], -v[37:38], v[14:15], v[12:13]
	global_store_b64 v[4:5], v[0:1], off offset:512
	s_or_b32 exec_lo, exec_lo, s0
	s_and_saveexec_b32 s0, s2
	s_cbranch_execz .LBB541_37
.LBB541_54:
	s_waitcnt vmcnt(0)
	s_delay_alu instid0(VALU_DEP_3)
	v_fma_f64 v[0:1], -v[37:38], v[18:19], v[8:9]
	global_store_b64 v[4:5], v[0:1], off offset:768
	s_or_b32 exec_lo, exec_lo, s0
	s_and_saveexec_b32 s0, s3
	s_cbranch_execz .LBB541_38
.LBB541_55:
	s_waitcnt vmcnt(0)
	s_delay_alu instid0(VALU_DEP_3)
	v_fma_f64 v[0:1], -v[37:38], v[22:23], v[20:21]
	global_store_b64 v[4:5], v[0:1], off offset:1024
	s_or_b32 exec_lo, exec_lo, s0
	s_and_saveexec_b32 s0, s4
	s_cbranch_execz .LBB541_39
.LBB541_56:
	s_waitcnt vmcnt(0)
	s_delay_alu instid0(VALU_DEP_3)
	v_fma_f64 v[0:1], -v[37:38], v[26:27], v[16:17]
	global_store_b64 v[4:5], v[0:1], off offset:1280
	s_or_b32 exec_lo, exec_lo, s0
	s_and_saveexec_b32 s0, s5
	s_cbranch_execz .LBB541_40
.LBB541_57:
	s_waitcnt vmcnt(0)
	s_delay_alu instid0(VALU_DEP_3)
	v_fma_f64 v[0:1], -v[37:38], v[30:31], v[28:29]
	global_store_b64 v[4:5], v[0:1], off offset:1536
	s_or_b32 exec_lo, exec_lo, s0
	s_and_saveexec_b32 s0, s6
	s_cbranch_execz .LBB541_41
.LBB541_58:
	s_waitcnt vmcnt(0)
	s_delay_alu instid0(VALU_DEP_3)
	v_fma_f64 v[0:1], -v[37:38], v[35:36], v[24:25]
	global_store_b64 v[4:5], v[0:1], off offset:1792
	s_or_b32 exec_lo, exec_lo, s0
	s_and_saveexec_b32 s0, s7
	s_cbranch_execz .LBB541_42
.LBB541_59:
	s_waitcnt vmcnt(0)
	s_delay_alu instid0(VALU_DEP_3)
	v_fma_f64 v[0:1], -v[37:38], v[43:44], v[41:42]
	global_store_b64 v[4:5], v[0:1], off offset:2048
	s_or_b32 exec_lo, exec_lo, s0
	s_and_saveexec_b32 s0, s9
	s_cbranch_execz .LBB541_43
.LBB541_60:
	s_waitcnt vmcnt(0)
	s_delay_alu instid0(VALU_DEP_3)
	v_fma_f64 v[0:1], -v[37:38], v[47:48], v[33:34]
	global_store_b64 v[4:5], v[0:1], off offset:2304
	s_or_b32 exec_lo, exec_lo, s0
	s_and_saveexec_b32 s0, s10
	s_cbranch_execz .LBB541_44
.LBB541_61:
	s_waitcnt vmcnt(0)
	s_delay_alu instid0(VALU_DEP_3)
	v_fma_f64 v[0:1], -v[37:38], v[51:52], v[49:50]
	global_store_b64 v[4:5], v[0:1], off offset:2560
	s_or_b32 exec_lo, exec_lo, s0
	s_and_saveexec_b32 s0, s11
	s_cbranch_execz .LBB541_45
.LBB541_62:
	s_waitcnt vmcnt(0)
	v_fma_f64 v[0:1], -v[37:38], v[55:56], v[45:46]
	global_store_b64 v[4:5], v[0:1], off offset:2816
	s_or_b32 exec_lo, exec_lo, s0
	s_and_saveexec_b32 s0, s12
	s_cbranch_execz .LBB541_46
.LBB541_63:
	s_waitcnt vmcnt(0)
	v_fma_f64 v[0:1], -v[37:38], v[59:60], v[57:58]
	global_store_b64 v[4:5], v[0:1], off offset:3072
	s_or_b32 exec_lo, exec_lo, s0
	s_and_saveexec_b32 s0, s13
	s_cbranch_execz .LBB541_47
.LBB541_64:
	s_waitcnt vmcnt(0)
	v_fma_f64 v[0:1], -v[37:38], v[63:64], v[53:54]
	global_store_b64 v[4:5], v[0:1], off offset:3328
	s_or_b32 exec_lo, exec_lo, s0
	s_and_saveexec_b32 s0, s14
	s_cbranch_execz .LBB541_48
.LBB541_65:
	s_waitcnt vmcnt(0)
	v_fma_f64 v[0:1], -v[37:38], v[67:68], v[65:66]
	global_store_b64 v[4:5], v[0:1], off offset:3584
	s_or_b32 exec_lo, exec_lo, s0
	s_delay_alu instid0(SALU_CYCLE_1)
	s_and_b32 exec_lo, exec_lo, s15
	s_cbranch_execnz .LBB541_49
	s_branch .LBB541_50
	.section	.rodata,"a",@progbits
	.p2align	6, 0x0
	.amdhsa_kernel _ZN12_GLOBAL__N_121softmax_warp_backwardIdddLi9ELb0ELb0ELi32EEEvPT0_PKT_S5_iiiPKb
		.amdhsa_group_segment_fixed_size 0
		.amdhsa_private_segment_fixed_size 0
		.amdhsa_kernarg_size 304
		.amdhsa_user_sgpr_count 15
		.amdhsa_user_sgpr_dispatch_ptr 0
		.amdhsa_user_sgpr_queue_ptr 0
		.amdhsa_user_sgpr_kernarg_segment_ptr 1
		.amdhsa_user_sgpr_dispatch_id 0
		.amdhsa_user_sgpr_private_segment_size 0
		.amdhsa_wavefront_size32 1
		.amdhsa_uses_dynamic_stack 0
		.amdhsa_enable_private_segment 0
		.amdhsa_system_sgpr_workgroup_id_x 1
		.amdhsa_system_sgpr_workgroup_id_y 0
		.amdhsa_system_sgpr_workgroup_id_z 0
		.amdhsa_system_sgpr_workgroup_info 0
		.amdhsa_system_vgpr_workitem_id 1
		.amdhsa_next_free_vgpr 72
		.amdhsa_next_free_sgpr 24
		.amdhsa_reserve_vcc 1
		.amdhsa_float_round_mode_32 0
		.amdhsa_float_round_mode_16_64 0
		.amdhsa_float_denorm_mode_32 3
		.amdhsa_float_denorm_mode_16_64 3
		.amdhsa_dx10_clamp 1
		.amdhsa_ieee_mode 1
		.amdhsa_fp16_overflow 0
		.amdhsa_workgroup_processor_mode 1
		.amdhsa_memory_ordered 1
		.amdhsa_forward_progress 0
		.amdhsa_shared_vgpr_count 0
		.amdhsa_exception_fp_ieee_invalid_op 0
		.amdhsa_exception_fp_denorm_src 0
		.amdhsa_exception_fp_ieee_div_zero 0
		.amdhsa_exception_fp_ieee_overflow 0
		.amdhsa_exception_fp_ieee_underflow 0
		.amdhsa_exception_fp_ieee_inexact 0
		.amdhsa_exception_int_div_zero 0
	.end_amdhsa_kernel
	.section	.text._ZN12_GLOBAL__N_121softmax_warp_backwardIdddLi9ELb0ELb0ELi32EEEvPT0_PKT_S5_iiiPKb,"axG",@progbits,_ZN12_GLOBAL__N_121softmax_warp_backwardIdddLi9ELb0ELb0ELi32EEEvPT0_PKT_S5_iiiPKb,comdat
.Lfunc_end541:
	.size	_ZN12_GLOBAL__N_121softmax_warp_backwardIdddLi9ELb0ELb0ELi32EEEvPT0_PKT_S5_iiiPKb, .Lfunc_end541-_ZN12_GLOBAL__N_121softmax_warp_backwardIdddLi9ELb0ELb0ELi32EEEvPT0_PKT_S5_iiiPKb
                                        ; -- End function
	.section	.AMDGPU.csdata,"",@progbits
; Kernel info:
; codeLenInByte = 2532
; NumSgprs: 26
; NumVgprs: 72
; ScratchSize: 0
; MemoryBound: 0
; FloatMode: 240
; IeeeMode: 1
; LDSByteSize: 0 bytes/workgroup (compile time only)
; SGPRBlocks: 3
; VGPRBlocks: 8
; NumSGPRsForWavesPerEU: 26
; NumVGPRsForWavesPerEU: 72
; Occupancy: 16
; WaveLimiterHint : 0
; COMPUTE_PGM_RSRC2:SCRATCH_EN: 0
; COMPUTE_PGM_RSRC2:USER_SGPR: 15
; COMPUTE_PGM_RSRC2:TRAP_HANDLER: 0
; COMPUTE_PGM_RSRC2:TGID_X_EN: 1
; COMPUTE_PGM_RSRC2:TGID_Y_EN: 0
; COMPUTE_PGM_RSRC2:TGID_Z_EN: 0
; COMPUTE_PGM_RSRC2:TIDIG_COMP_CNT: 1
	.section	.text._ZN12_GLOBAL__N_121softmax_warp_backwardIdddLi10ELb0ELb0ELi64EEEvPT0_PKT_S5_iiiPKb,"axG",@progbits,_ZN12_GLOBAL__N_121softmax_warp_backwardIdddLi10ELb0ELb0ELi64EEEvPT0_PKT_S5_iiiPKb,comdat
	.globl	_ZN12_GLOBAL__N_121softmax_warp_backwardIdddLi10ELb0ELb0ELi64EEEvPT0_PKT_S5_iiiPKb ; -- Begin function _ZN12_GLOBAL__N_121softmax_warp_backwardIdddLi10ELb0ELb0ELi64EEEvPT0_PKT_S5_iiiPKb
	.p2align	8
	.type	_ZN12_GLOBAL__N_121softmax_warp_backwardIdddLi10ELb0ELb0ELi64EEEvPT0_PKT_S5_iiiPKb,@function
_ZN12_GLOBAL__N_121softmax_warp_backwardIdddLi10ELb0ELb0ELi64EEEvPT0_PKT_S5_iiiPKb: ; @_ZN12_GLOBAL__N_121softmax_warp_backwardIdddLi10ELb0ELb0ELi64EEEvPT0_PKT_S5_iiiPKb
; %bb.0:
	s_clause 0x1
	s_load_b32 s2, s[0:1], 0x3c
	s_load_b128 s[20:23], s[0:1], 0x18
	v_bfe_u32 v1, v0, 10, 10
	v_and_b32_e32 v69, 0x3ff, v0
	s_load_b128 s[16:19], s[0:1], 0x0
	s_waitcnt lgkmcnt(0)
	s_lshr_b32 s2, s2, 16
	s_delay_alu instid0(SALU_CYCLE_1) | instskip(SKIP_3) | instid1(VALU_DEP_3)
	v_mad_u64_u32 v[2:3], null, s15, s2, v[1:2]
	s_load_b64 s[2:3], s[0:1], 0x10
	v_mov_b32_e32 v0, 0
	v_dual_mov_b32 v1, 0 :: v_dual_and_b32 v48, 63, v69
	v_sub_nc_u32_e32 v71, s20, v2
	s_delay_alu instid0(VALU_DEP_2) | instskip(SKIP_1) | instid1(VALU_DEP_4)
	v_mad_u64_u32 v[3:4], null, v2, s21, v[48:49]
	v_cmp_gt_i32_e32 vcc_lo, s22, v48
	v_dual_mov_b32 v7, v1 :: v_dual_mov_b32 v6, v0
	s_delay_alu instid0(VALU_DEP_4) | instskip(NEXT) | instid1(VALU_DEP_4)
	v_cmp_lt_i32_e64 s9, 0, v71
	v_ashrrev_i32_e32 v4, 31, v3
	s_delay_alu instid0(VALU_DEP_2) | instskip(NEXT) | instid1(VALU_DEP_1)
	s_and_b32 s1, s9, vcc_lo
	v_lshlrev_b64 v[4:5], 3, v[3:4]
	v_dual_mov_b32 v3, v1 :: v_dual_mov_b32 v2, v0
	s_delay_alu instid0(VALU_DEP_2) | instskip(NEXT) | instid1(VALU_DEP_1)
	v_add_co_u32 v42, s0, s18, v4
	v_add_co_ci_u32_e64 v43, s0, s19, v5, s0
	s_waitcnt lgkmcnt(0)
	v_add_co_u32 v40, s0, s2, v4
	s_delay_alu instid0(VALU_DEP_1)
	v_add_co_ci_u32_e64 v41, s0, s3, v5, s0
	s_and_saveexec_b32 s0, s1
	s_cbranch_execz .LBB542_2
; %bb.1:
	global_load_b64 v[2:3], v[42:43], off
	global_load_b64 v[6:7], v[40:41], off
.LBB542_2:
	s_or_b32 exec_lo, exec_lo, s0
	v_or_b32_e32 v8, 64, v48
	v_dual_mov_b32 v11, v1 :: v_dual_mov_b32 v10, v0
	s_delay_alu instid0(VALU_DEP_2) | instskip(NEXT) | instid1(VALU_DEP_1)
	v_cmp_gt_i32_e64 s0, s22, v8
	s_and_b32 s2, s9, s0
	s_delay_alu instid0(SALU_CYCLE_1)
	s_and_saveexec_b32 s1, s2
	s_cbranch_execz .LBB542_4
; %bb.3:
	global_load_b64 v[0:1], v[42:43], off offset:512
	global_load_b64 v[10:11], v[40:41], off offset:512
.LBB542_4:
	s_or_b32 exec_lo, exec_lo, s1
	v_or_b32_e32 v12, 0x80, v48
	v_mov_b32_e32 v8, 0
	v_mov_b32_e32 v9, 0
	s_delay_alu instid0(VALU_DEP_3) | instskip(NEXT) | instid1(VALU_DEP_2)
	v_cmp_gt_i32_e64 s1, s22, v12
	v_dual_mov_b32 v13, v9 :: v_dual_mov_b32 v12, v8
	v_dual_mov_b32 v15, v9 :: v_dual_mov_b32 v14, v8
	s_delay_alu instid0(VALU_DEP_3) | instskip(NEXT) | instid1(SALU_CYCLE_1)
	s_and_b32 s3, s9, s1
	s_and_saveexec_b32 s2, s3
	s_cbranch_execz .LBB542_6
; %bb.5:
	global_load_b64 v[12:13], v[42:43], off offset:1024
	global_load_b64 v[14:15], v[40:41], off offset:1024
.LBB542_6:
	s_or_b32 exec_lo, exec_lo, s2
	v_or_b32_e32 v16, 0xc0, v48
	v_dual_mov_b32 v19, v9 :: v_dual_mov_b32 v18, v8
	s_delay_alu instid0(VALU_DEP_2) | instskip(NEXT) | instid1(VALU_DEP_1)
	v_cmp_gt_i32_e64 s2, s22, v16
	s_and_b32 s4, s9, s2
	s_delay_alu instid0(SALU_CYCLE_1)
	s_and_saveexec_b32 s3, s4
	s_cbranch_execz .LBB542_8
; %bb.7:
	global_load_b64 v[8:9], v[42:43], off offset:1536
	global_load_b64 v[18:19], v[40:41], off offset:1536
.LBB542_8:
	s_or_b32 exec_lo, exec_lo, s3
	v_or_b32_e32 v20, 0x100, v48
	v_mov_b32_e32 v16, 0
	v_mov_b32_e32 v17, 0
	s_delay_alu instid0(VALU_DEP_3) | instskip(NEXT) | instid1(VALU_DEP_2)
	v_cmp_gt_i32_e64 s3, s22, v20
	v_dual_mov_b32 v21, v17 :: v_dual_mov_b32 v20, v16
	v_dual_mov_b32 v23, v17 :: v_dual_mov_b32 v22, v16
	s_delay_alu instid0(VALU_DEP_3) | instskip(NEXT) | instid1(SALU_CYCLE_1)
	s_and_b32 s5, s9, s3
	s_and_saveexec_b32 s4, s5
	s_cbranch_execz .LBB542_10
; %bb.9:
	global_load_b64 v[20:21], v[42:43], off offset:2048
	global_load_b64 v[22:23], v[40:41], off offset:2048
.LBB542_10:
	;; [unrolled: 29-line block ×3, first 2 shown]
	s_or_b32 exec_lo, exec_lo, s6
	v_or_b32_e32 v32, 0x1c0, v48
	s_delay_alu instid0(VALU_DEP_1) | instskip(SKIP_1) | instid1(VALU_DEP_2)
	v_cmp_gt_i32_e64 s6, s22, v32
	v_dual_mov_b32 v33, v25 :: v_dual_mov_b32 v32, v24
	s_and_b32 s8, s9, s6
	s_delay_alu instid0(SALU_CYCLE_1)
	s_and_saveexec_b32 s7, s8
	s_cbranch_execz .LBB542_16
; %bb.15:
	global_load_b64 v[24:25], v[42:43], off offset:3584
	global_load_b64 v[32:33], v[40:41], off offset:3584
.LBB542_16:
	s_or_b32 exec_lo, exec_lo, s7
	v_or_b32_e32 v36, 0x200, v48
	v_mov_b32_e32 v34, 0
	v_mov_b32_e32 v35, 0
	s_delay_alu instid0(VALU_DEP_3) | instskip(NEXT) | instid1(VALU_DEP_2)
	v_cmp_gt_i32_e64 s7, s22, v36
	v_dual_mov_b32 v37, v35 :: v_dual_mov_b32 v36, v34
	v_dual_mov_b32 v39, v35 :: v_dual_mov_b32 v38, v34
	s_delay_alu instid0(VALU_DEP_3) | instskip(NEXT) | instid1(SALU_CYCLE_1)
	s_and_b32 s8, s9, s7
	s_and_saveexec_b32 s10, s8
	s_cbranch_execz .LBB542_18
; %bb.17:
	v_add_co_u32 v36, s8, 0x1000, v42
	s_delay_alu instid0(VALU_DEP_1) | instskip(SKIP_1) | instid1(VALU_DEP_1)
	v_add_co_ci_u32_e64 v37, s8, 0, v43, s8
	v_add_co_u32 v38, s8, 0x1000, v40
	v_add_co_ci_u32_e64 v39, s8, 0, v41, s8
	global_load_b64 v[36:37], v[36:37], off
	global_load_b64 v[38:39], v[38:39], off
.LBB542_18:
	s_or_b32 exec_lo, exec_lo, s10
	v_or_b32_e32 v44, 0x240, v48
	v_dual_mov_b32 v47, v35 :: v_dual_mov_b32 v46, v34
	s_delay_alu instid0(VALU_DEP_2) | instskip(NEXT) | instid1(VALU_DEP_1)
	v_cmp_gt_i32_e64 s8, s22, v44
	s_and_b32 s10, s9, s8
	s_delay_alu instid0(SALU_CYCLE_1)
	s_and_saveexec_b32 s11, s10
	s_cbranch_execz .LBB542_20
; %bb.19:
	v_add_co_u32 v34, s10, 0x1000, v42
	s_delay_alu instid0(VALU_DEP_1) | instskip(SKIP_1) | instid1(VALU_DEP_1)
	v_add_co_ci_u32_e64 v35, s10, 0, v43, s10
	v_add_co_u32 v44, s10, 0x1000, v40
	v_add_co_ci_u32_e64 v45, s10, 0, v41, s10
	global_load_b64 v[34:35], v[34:35], off offset:512
	global_load_b64 v[46:47], v[44:45], off offset:512
.LBB542_20:
	s_or_b32 exec_lo, exec_lo, s11
	v_or_b32_e32 v49, 0x280, v48
	v_mov_b32_e32 v44, 0
	v_mov_b32_e32 v45, 0
	s_delay_alu instid0(VALU_DEP_3) | instskip(NEXT) | instid1(VALU_DEP_2)
	v_cmp_gt_i32_e64 s10, s22, v49
	v_dual_mov_b32 v50, v45 :: v_dual_mov_b32 v49, v44
	v_dual_mov_b32 v52, v45 :: v_dual_mov_b32 v51, v44
	s_delay_alu instid0(VALU_DEP_3) | instskip(NEXT) | instid1(SALU_CYCLE_1)
	s_and_b32 s11, s9, s10
	s_and_saveexec_b32 s12, s11
	s_cbranch_execz .LBB542_22
; %bb.21:
	v_add_co_u32 v49, s11, 0x1000, v42
	s_delay_alu instid0(VALU_DEP_1) | instskip(SKIP_1) | instid1(VALU_DEP_1)
	v_add_co_ci_u32_e64 v50, s11, 0, v43, s11
	v_add_co_u32 v51, s11, 0x1000, v40
	v_add_co_ci_u32_e64 v52, s11, 0, v41, s11
	global_load_b64 v[49:50], v[49:50], off offset:1024
	global_load_b64 v[51:52], v[51:52], off offset:1024
.LBB542_22:
	s_or_b32 exec_lo, exec_lo, s12
	v_or_b32_e32 v53, 0x2c0, v48
	v_dual_mov_b32 v56, v45 :: v_dual_mov_b32 v55, v44
	s_delay_alu instid0(VALU_DEP_2) | instskip(NEXT) | instid1(VALU_DEP_1)
	v_cmp_gt_i32_e64 s11, s22, v53
	s_and_b32 s12, s9, s11
	s_delay_alu instid0(SALU_CYCLE_1)
	s_and_saveexec_b32 s13, s12
	s_cbranch_execz .LBB542_24
; %bb.23:
	v_add_co_u32 v44, s12, 0x1000, v42
	s_delay_alu instid0(VALU_DEP_1) | instskip(SKIP_1) | instid1(VALU_DEP_1)
	v_add_co_ci_u32_e64 v45, s12, 0, v43, s12
	v_add_co_u32 v53, s12, 0x1000, v40
	v_add_co_ci_u32_e64 v54, s12, 0, v41, s12
	global_load_b64 v[44:45], v[44:45], off offset:1536
	global_load_b64 v[55:56], v[53:54], off offset:1536
.LBB542_24:
	s_or_b32 exec_lo, exec_lo, s13
	v_or_b32_e32 v57, 0x300, v48
	v_mov_b32_e32 v53, 0
	v_mov_b32_e32 v54, 0
	s_delay_alu instid0(VALU_DEP_3) | instskip(NEXT) | instid1(VALU_DEP_2)
	v_cmp_gt_i32_e64 s12, s22, v57
	v_dual_mov_b32 v58, v54 :: v_dual_mov_b32 v57, v53
	v_dual_mov_b32 v60, v54 :: v_dual_mov_b32 v59, v53
	s_delay_alu instid0(VALU_DEP_3) | instskip(NEXT) | instid1(SALU_CYCLE_1)
	s_and_b32 s13, s9, s12
	s_and_saveexec_b32 s14, s13
	s_cbranch_execz .LBB542_26
; %bb.25:
	v_add_co_u32 v57, s13, 0x1000, v42
	s_delay_alu instid0(VALU_DEP_1) | instskip(SKIP_1) | instid1(VALU_DEP_1)
	v_add_co_ci_u32_e64 v58, s13, 0, v43, s13
	v_add_co_u32 v59, s13, 0x1000, v40
	v_add_co_ci_u32_e64 v60, s13, 0, v41, s13
	global_load_b64 v[57:58], v[57:58], off offset:2048
	global_load_b64 v[59:60], v[59:60], off offset:2048
.LBB542_26:
	;; [unrolled: 39-line block ×3, first 2 shown]
	s_or_b32 exec_lo, exec_lo, s18
	v_or_b32_e32 v48, 0x3c0, v69
	v_dual_mov_b32 v70, v62 :: v_dual_mov_b32 v69, v61
	s_delay_alu instid0(VALU_DEP_2) | instskip(NEXT) | instid1(VALU_DEP_1)
	v_cmp_gt_i32_e64 s15, s22, v48
	s_and_b32 s9, s9, s15
	s_delay_alu instid0(SALU_CYCLE_1)
	s_and_saveexec_b32 s18, s9
	s_cbranch_execz .LBB542_32
; %bb.31:
	v_add_co_u32 v42, s9, 0x1000, v42
	s_delay_alu instid0(VALU_DEP_1) | instskip(SKIP_1) | instid1(VALU_DEP_1)
	v_add_co_ci_u32_e64 v43, s9, 0, v43, s9
	v_add_co_u32 v40, s9, 0x1000, v40
	v_add_co_ci_u32_e64 v41, s9, 0, v41, s9
	global_load_b64 v[61:62], v[42:43], off offset:3584
	global_load_b64 v[69:70], v[40:41], off offset:3584
.LBB542_32:
	s_or_b32 exec_lo, exec_lo, s18
	s_waitcnt vmcnt(1)
	v_add_f64 v[40:41], v[2:3], 0
	v_mbcnt_lo_u32_b32 v48, -1, 0
	s_mov_b32 s18, exec_lo
	s_delay_alu instid0(VALU_DEP_1) | instskip(NEXT) | instid1(VALU_DEP_1)
	v_or_b32_e32 v42, 32, v48
	v_cmp_gt_i32_e64 s9, 64, v42
	s_delay_alu instid0(VALU_DEP_1) | instskip(NEXT) | instid1(VALU_DEP_1)
	v_cndmask_b32_e64 v42, v48, v42, s9
	v_lshlrev_b32_e32 v43, 2, v42
	v_add_f64 v[40:41], v[40:41], v[0:1]
	s_delay_alu instid0(VALU_DEP_1) | instskip(NEXT) | instid1(VALU_DEP_1)
	v_add_f64 v[40:41], v[40:41], v[12:13]
	v_add_f64 v[40:41], v[40:41], v[8:9]
	s_delay_alu instid0(VALU_DEP_1) | instskip(NEXT) | instid1(VALU_DEP_1)
	v_add_f64 v[40:41], v[40:41], v[20:21]
	;; [unrolled: 3-line block ×7, first 2 shown]
	v_add_f64 v[40:41], v[40:41], v[61:62]
	ds_bpermute_b32 v42, v43, v40
	ds_bpermute_b32 v43, v43, v41
	s_waitcnt lgkmcnt(0)
	v_add_f64 v[40:41], v[40:41], v[42:43]
	v_xor_b32_e32 v42, 16, v48
	s_delay_alu instid0(VALU_DEP_1) | instskip(NEXT) | instid1(VALU_DEP_1)
	v_cmp_gt_i32_e64 s9, 64, v42
	v_cndmask_b32_e64 v42, v48, v42, s9
	s_delay_alu instid0(VALU_DEP_1)
	v_lshlrev_b32_e32 v43, 2, v42
	ds_bpermute_b32 v42, v43, v40
	ds_bpermute_b32 v43, v43, v41
	s_waitcnt lgkmcnt(0)
	v_add_f64 v[40:41], v[40:41], v[42:43]
	v_xor_b32_e32 v42, 8, v48
	s_delay_alu instid0(VALU_DEP_1) | instskip(NEXT) | instid1(VALU_DEP_1)
	v_cmp_gt_i32_e64 s9, 64, v42
	v_cndmask_b32_e64 v42, v48, v42, s9
	s_delay_alu instid0(VALU_DEP_1)
	v_lshlrev_b32_e32 v43, 2, v42
	;; [unrolled: 10-line block ×5, first 2 shown]
	ds_bpermute_b32 v42, v43, v40
	ds_bpermute_b32 v43, v43, v41
	v_cmpx_lt_i32_e32 0, v71
	s_cbranch_execz .LBB542_50
; %bb.33:
	s_waitcnt lgkmcnt(0)
	v_add_f64 v[40:41], v[40:41], v[42:43]
	v_add_co_u32 v4, s9, s16, v4
	s_delay_alu instid0(VALU_DEP_1)
	v_add_co_ci_u32_e64 v5, s9, s17, v5, s9
	s_and_saveexec_b32 s9, vcc_lo
	s_cbranch_execnz .LBB542_51
; %bb.34:
	s_or_b32 exec_lo, exec_lo, s9
	s_and_saveexec_b32 s9, s0
	s_cbranch_execnz .LBB542_52
.LBB542_35:
	s_or_b32 exec_lo, exec_lo, s9
	s_and_saveexec_b32 s0, s1
	s_cbranch_execnz .LBB542_53
.LBB542_36:
	s_or_b32 exec_lo, exec_lo, s0
	s_and_saveexec_b32 s0, s2
	s_cbranch_execnz .LBB542_54
.LBB542_37:
	s_or_b32 exec_lo, exec_lo, s0
	s_and_saveexec_b32 s0, s3
	s_cbranch_execnz .LBB542_55
.LBB542_38:
	s_or_b32 exec_lo, exec_lo, s0
	s_and_saveexec_b32 s0, s4
	s_cbranch_execnz .LBB542_56
.LBB542_39:
	s_or_b32 exec_lo, exec_lo, s0
	s_and_saveexec_b32 s0, s5
	s_cbranch_execnz .LBB542_57
.LBB542_40:
	s_or_b32 exec_lo, exec_lo, s0
	s_and_saveexec_b32 s0, s6
	s_cbranch_execnz .LBB542_58
.LBB542_41:
	s_or_b32 exec_lo, exec_lo, s0
	s_and_saveexec_b32 s0, s7
	s_cbranch_execnz .LBB542_59
.LBB542_42:
	s_or_b32 exec_lo, exec_lo, s0
	s_and_saveexec_b32 s0, s8
	s_cbranch_execnz .LBB542_60
.LBB542_43:
	s_or_b32 exec_lo, exec_lo, s0
	s_and_saveexec_b32 s0, s10
	s_cbranch_execnz .LBB542_61
.LBB542_44:
	s_or_b32 exec_lo, exec_lo, s0
	s_and_saveexec_b32 s0, s11
	s_cbranch_execnz .LBB542_62
.LBB542_45:
	s_or_b32 exec_lo, exec_lo, s0
	s_and_saveexec_b32 s0, s12
	s_cbranch_execnz .LBB542_63
.LBB542_46:
	s_or_b32 exec_lo, exec_lo, s0
	s_and_saveexec_b32 s0, s13
	s_cbranch_execnz .LBB542_64
.LBB542_47:
	s_or_b32 exec_lo, exec_lo, s0
	s_and_saveexec_b32 s0, s14
	s_cbranch_execnz .LBB542_65
.LBB542_48:
	s_or_b32 exec_lo, exec_lo, s0
	s_delay_alu instid0(SALU_CYCLE_1)
	s_and_b32 exec_lo, exec_lo, s15
	s_cbranch_execz .LBB542_50
.LBB542_49:
	s_waitcnt vmcnt(0)
	v_fma_f64 v[0:1], -v[40:41], v[69:70], v[61:62]
	v_add_co_u32 v2, vcc_lo, 0x1000, v4
	v_add_co_ci_u32_e32 v3, vcc_lo, 0, v5, vcc_lo
	global_store_b64 v[2:3], v[0:1], off offset:3584
.LBB542_50:
	s_nop 0
	s_sendmsg sendmsg(MSG_DEALLOC_VGPRS)
	s_endpgm
.LBB542_51:
	s_waitcnt vmcnt(0)
	s_delay_alu instid0(VALU_DEP_3)
	v_fma_f64 v[2:3], -v[40:41], v[6:7], v[2:3]
	global_store_b64 v[4:5], v[2:3], off
	s_or_b32 exec_lo, exec_lo, s9
	s_and_saveexec_b32 s9, s0
	s_cbranch_execz .LBB542_35
.LBB542_52:
	s_waitcnt vmcnt(0)
	s_delay_alu instid0(VALU_DEP_3)
	v_fma_f64 v[0:1], -v[40:41], v[10:11], v[0:1]
	global_store_b64 v[4:5], v[0:1], off offset:512
	s_or_b32 exec_lo, exec_lo, s9
	s_and_saveexec_b32 s0, s1
	s_cbranch_execz .LBB542_36
.LBB542_53:
	s_waitcnt vmcnt(0)
	s_delay_alu instid0(VALU_DEP_3)
	v_fma_f64 v[0:1], -v[40:41], v[14:15], v[12:13]
	global_store_b64 v[4:5], v[0:1], off offset:1024
	s_or_b32 exec_lo, exec_lo, s0
	s_and_saveexec_b32 s0, s2
	s_cbranch_execz .LBB542_37
.LBB542_54:
	s_waitcnt vmcnt(0)
	s_delay_alu instid0(VALU_DEP_3)
	v_fma_f64 v[0:1], -v[40:41], v[18:19], v[8:9]
	global_store_b64 v[4:5], v[0:1], off offset:1536
	s_or_b32 exec_lo, exec_lo, s0
	s_and_saveexec_b32 s0, s3
	s_cbranch_execz .LBB542_38
.LBB542_55:
	s_waitcnt vmcnt(0)
	s_delay_alu instid0(VALU_DEP_3)
	v_fma_f64 v[0:1], -v[40:41], v[22:23], v[20:21]
	global_store_b64 v[4:5], v[0:1], off offset:2048
	s_or_b32 exec_lo, exec_lo, s0
	s_and_saveexec_b32 s0, s4
	s_cbranch_execz .LBB542_39
.LBB542_56:
	s_waitcnt vmcnt(0)
	s_delay_alu instid0(VALU_DEP_3)
	v_fma_f64 v[0:1], -v[40:41], v[26:27], v[16:17]
	global_store_b64 v[4:5], v[0:1], off offset:2560
	s_or_b32 exec_lo, exec_lo, s0
	s_and_saveexec_b32 s0, s5
	s_cbranch_execz .LBB542_40
.LBB542_57:
	s_waitcnt vmcnt(0)
	s_delay_alu instid0(VALU_DEP_3)
	v_fma_f64 v[0:1], -v[40:41], v[30:31], v[28:29]
	global_store_b64 v[4:5], v[0:1], off offset:3072
	s_or_b32 exec_lo, exec_lo, s0
	s_and_saveexec_b32 s0, s6
	s_cbranch_execz .LBB542_41
.LBB542_58:
	s_waitcnt vmcnt(0)
	s_delay_alu instid0(VALU_DEP_3)
	v_fma_f64 v[0:1], -v[40:41], v[32:33], v[24:25]
	global_store_b64 v[4:5], v[0:1], off offset:3584
	s_or_b32 exec_lo, exec_lo, s0
	s_and_saveexec_b32 s0, s7
	s_cbranch_execz .LBB542_42
.LBB542_59:
	s_waitcnt vmcnt(0)
	s_delay_alu instid0(VALU_DEP_3)
	v_fma_f64 v[0:1], -v[40:41], v[38:39], v[36:37]
	v_add_co_u32 v2, vcc_lo, 0x1000, v4
	v_add_co_ci_u32_e32 v3, vcc_lo, 0, v5, vcc_lo
	global_store_b64 v[2:3], v[0:1], off
	s_or_b32 exec_lo, exec_lo, s0
	s_and_saveexec_b32 s0, s8
	s_cbranch_execz .LBB542_43
.LBB542_60:
	s_waitcnt vmcnt(0)
	s_delay_alu instid0(VALU_DEP_3)
	v_fma_f64 v[0:1], -v[40:41], v[46:47], v[34:35]
	v_add_co_u32 v2, vcc_lo, 0x1000, v4
	v_add_co_ci_u32_e32 v3, vcc_lo, 0, v5, vcc_lo
	global_store_b64 v[2:3], v[0:1], off offset:512
	s_or_b32 exec_lo, exec_lo, s0
	s_and_saveexec_b32 s0, s10
	s_cbranch_execz .LBB542_44
.LBB542_61:
	s_waitcnt vmcnt(0)
	s_delay_alu instid0(VALU_DEP_3)
	v_fma_f64 v[0:1], -v[40:41], v[51:52], v[49:50]
	v_add_co_u32 v2, vcc_lo, 0x1000, v4
	v_add_co_ci_u32_e32 v3, vcc_lo, 0, v5, vcc_lo
	global_store_b64 v[2:3], v[0:1], off offset:1024
	s_or_b32 exec_lo, exec_lo, s0
	s_and_saveexec_b32 s0, s11
	s_cbranch_execz .LBB542_45
.LBB542_62:
	s_waitcnt vmcnt(0)
	v_fma_f64 v[0:1], -v[40:41], v[55:56], v[44:45]
	v_add_co_u32 v2, vcc_lo, 0x1000, v4
	v_add_co_ci_u32_e32 v3, vcc_lo, 0, v5, vcc_lo
	global_store_b64 v[2:3], v[0:1], off offset:1536
	s_or_b32 exec_lo, exec_lo, s0
	s_and_saveexec_b32 s0, s12
	s_cbranch_execz .LBB542_46
.LBB542_63:
	s_waitcnt vmcnt(0)
	v_fma_f64 v[0:1], -v[40:41], v[59:60], v[57:58]
	v_add_co_u32 v2, vcc_lo, 0x1000, v4
	v_add_co_ci_u32_e32 v3, vcc_lo, 0, v5, vcc_lo
	global_store_b64 v[2:3], v[0:1], off offset:2048
	s_or_b32 exec_lo, exec_lo, s0
	s_and_saveexec_b32 s0, s13
	s_cbranch_execz .LBB542_47
.LBB542_64:
	s_waitcnt vmcnt(0)
	v_fma_f64 v[0:1], -v[40:41], v[63:64], v[53:54]
	v_add_co_u32 v2, vcc_lo, 0x1000, v4
	v_add_co_ci_u32_e32 v3, vcc_lo, 0, v5, vcc_lo
	global_store_b64 v[2:3], v[0:1], off offset:2560
	s_or_b32 exec_lo, exec_lo, s0
	s_and_saveexec_b32 s0, s14
	s_cbranch_execz .LBB542_48
.LBB542_65:
	s_waitcnt vmcnt(0)
	v_fma_f64 v[0:1], -v[40:41], v[67:68], v[65:66]
	v_add_co_u32 v2, vcc_lo, 0x1000, v4
	v_add_co_ci_u32_e32 v3, vcc_lo, 0, v5, vcc_lo
	global_store_b64 v[2:3], v[0:1], off offset:3072
	s_or_b32 exec_lo, exec_lo, s0
	s_delay_alu instid0(SALU_CYCLE_1)
	s_and_b32 exec_lo, exec_lo, s15
	s_cbranch_execnz .LBB542_49
	s_branch .LBB542_50
	.section	.rodata,"a",@progbits
	.p2align	6, 0x0
	.amdhsa_kernel _ZN12_GLOBAL__N_121softmax_warp_backwardIdddLi10ELb0ELb0ELi64EEEvPT0_PKT_S5_iiiPKb
		.amdhsa_group_segment_fixed_size 0
		.amdhsa_private_segment_fixed_size 0
		.amdhsa_kernarg_size 304
		.amdhsa_user_sgpr_count 15
		.amdhsa_user_sgpr_dispatch_ptr 0
		.amdhsa_user_sgpr_queue_ptr 0
		.amdhsa_user_sgpr_kernarg_segment_ptr 1
		.amdhsa_user_sgpr_dispatch_id 0
		.amdhsa_user_sgpr_private_segment_size 0
		.amdhsa_wavefront_size32 1
		.amdhsa_uses_dynamic_stack 0
		.amdhsa_enable_private_segment 0
		.amdhsa_system_sgpr_workgroup_id_x 1
		.amdhsa_system_sgpr_workgroup_id_y 0
		.amdhsa_system_sgpr_workgroup_id_z 0
		.amdhsa_system_sgpr_workgroup_info 0
		.amdhsa_system_vgpr_workitem_id 1
		.amdhsa_next_free_vgpr 72
		.amdhsa_next_free_sgpr 24
		.amdhsa_reserve_vcc 1
		.amdhsa_float_round_mode_32 0
		.amdhsa_float_round_mode_16_64 0
		.amdhsa_float_denorm_mode_32 3
		.amdhsa_float_denorm_mode_16_64 3
		.amdhsa_dx10_clamp 1
		.amdhsa_ieee_mode 1
		.amdhsa_fp16_overflow 0
		.amdhsa_workgroup_processor_mode 1
		.amdhsa_memory_ordered 1
		.amdhsa_forward_progress 0
		.amdhsa_shared_vgpr_count 0
		.amdhsa_exception_fp_ieee_invalid_op 0
		.amdhsa_exception_fp_denorm_src 0
		.amdhsa_exception_fp_ieee_div_zero 0
		.amdhsa_exception_fp_ieee_overflow 0
		.amdhsa_exception_fp_ieee_underflow 0
		.amdhsa_exception_fp_ieee_inexact 0
		.amdhsa_exception_int_div_zero 0
	.end_amdhsa_kernel
	.section	.text._ZN12_GLOBAL__N_121softmax_warp_backwardIdddLi10ELb0ELb0ELi64EEEvPT0_PKT_S5_iiiPKb,"axG",@progbits,_ZN12_GLOBAL__N_121softmax_warp_backwardIdddLi10ELb0ELb0ELi64EEEvPT0_PKT_S5_iiiPKb,comdat
.Lfunc_end542:
	.size	_ZN12_GLOBAL__N_121softmax_warp_backwardIdddLi10ELb0ELb0ELi64EEEvPT0_PKT_S5_iiiPKb, .Lfunc_end542-_ZN12_GLOBAL__N_121softmax_warp_backwardIdddLi10ELb0ELb0ELi64EEEvPT0_PKT_S5_iiiPKb
                                        ; -- End function
	.section	.AMDGPU.csdata,"",@progbits
; Kernel info:
; codeLenInByte = 3088
; NumSgprs: 26
; NumVgprs: 72
; ScratchSize: 0
; MemoryBound: 0
; FloatMode: 240
; IeeeMode: 1
; LDSByteSize: 0 bytes/workgroup (compile time only)
; SGPRBlocks: 3
; VGPRBlocks: 8
; NumSGPRsForWavesPerEU: 26
; NumVGPRsForWavesPerEU: 72
; Occupancy: 16
; WaveLimiterHint : 0
; COMPUTE_PGM_RSRC2:SCRATCH_EN: 0
; COMPUTE_PGM_RSRC2:USER_SGPR: 15
; COMPUTE_PGM_RSRC2:TRAP_HANDLER: 0
; COMPUTE_PGM_RSRC2:TGID_X_EN: 1
; COMPUTE_PGM_RSRC2:TGID_Y_EN: 0
; COMPUTE_PGM_RSRC2:TGID_Z_EN: 0
; COMPUTE_PGM_RSRC2:TIDIG_COMP_CNT: 1
	.section	.text._ZN12_GLOBAL__N_121softmax_warp_backwardIdddLi10ELb0ELb0ELi32EEEvPT0_PKT_S5_iiiPKb,"axG",@progbits,_ZN12_GLOBAL__N_121softmax_warp_backwardIdddLi10ELb0ELb0ELi32EEEvPT0_PKT_S5_iiiPKb,comdat
	.globl	_ZN12_GLOBAL__N_121softmax_warp_backwardIdddLi10ELb0ELb0ELi32EEEvPT0_PKT_S5_iiiPKb ; -- Begin function _ZN12_GLOBAL__N_121softmax_warp_backwardIdddLi10ELb0ELb0ELi32EEEvPT0_PKT_S5_iiiPKb
	.p2align	8
	.type	_ZN12_GLOBAL__N_121softmax_warp_backwardIdddLi10ELb0ELb0ELi32EEEvPT0_PKT_S5_iiiPKb,@function
_ZN12_GLOBAL__N_121softmax_warp_backwardIdddLi10ELb0ELb0ELi32EEEvPT0_PKT_S5_iiiPKb: ; @_ZN12_GLOBAL__N_121softmax_warp_backwardIdddLi10ELb0ELb0ELi32EEEvPT0_PKT_S5_iiiPKb
; %bb.0:
	s_clause 0x1
	s_load_b32 s2, s[0:1], 0x3c
	s_load_b128 s[40:43], s[0:1], 0x18
	v_bfe_u32 v1, v0, 10, 10
	v_and_b32_e32 v133, 0x3ff, v0
	s_load_b128 s[36:39], s[0:1], 0x0
	s_waitcnt lgkmcnt(0)
	s_lshr_b32 s2, s2, 16
	s_delay_alu instid0(SALU_CYCLE_1) | instskip(SKIP_3) | instid1(VALU_DEP_3)
	v_mad_u64_u32 v[2:3], null, s15, s2, v[1:2]
	s_load_b64 s[2:3], s[0:1], 0x10
	v_mov_b32_e32 v0, 0
	v_dual_mov_b32 v1, 0 :: v_dual_and_b32 v56, 31, v133
	v_sub_nc_u32_e32 v135, s40, v2
	s_delay_alu instid0(VALU_DEP_2) | instskip(SKIP_1) | instid1(VALU_DEP_4)
	v_mad_u64_u32 v[3:4], null, v2, s41, v[56:57]
	v_cmp_gt_i32_e32 vcc_lo, s42, v56
	v_dual_mov_b32 v7, v1 :: v_dual_mov_b32 v6, v0
	s_delay_alu instid0(VALU_DEP_4) | instskip(NEXT) | instid1(VALU_DEP_4)
	v_cmp_lt_i32_e64 s10, 0, v135
	v_ashrrev_i32_e32 v4, 31, v3
	s_delay_alu instid0(VALU_DEP_2) | instskip(NEXT) | instid1(VALU_DEP_1)
	s_and_b32 s1, s10, vcc_lo
	v_lshlrev_b64 v[4:5], 3, v[3:4]
	v_dual_mov_b32 v3, v1 :: v_dual_mov_b32 v2, v0
	s_delay_alu instid0(VALU_DEP_2) | instskip(NEXT) | instid1(VALU_DEP_1)
	v_add_co_u32 v46, s0, s38, v4
	v_add_co_ci_u32_e64 v47, s0, s39, v5, s0
	s_waitcnt lgkmcnt(0)
	v_add_co_u32 v44, s0, s2, v4
	s_delay_alu instid0(VALU_DEP_1)
	v_add_co_ci_u32_e64 v45, s0, s3, v5, s0
	s_and_saveexec_b32 s0, s1
	s_cbranch_execz .LBB543_2
; %bb.1:
	global_load_b64 v[2:3], v[46:47], off
	global_load_b64 v[6:7], v[44:45], off
.LBB543_2:
	s_or_b32 exec_lo, exec_lo, s0
	v_or_b32_e32 v8, 32, v56
	v_dual_mov_b32 v11, v1 :: v_dual_mov_b32 v10, v0
	s_delay_alu instid0(VALU_DEP_2) | instskip(NEXT) | instid1(VALU_DEP_1)
	v_cmp_gt_i32_e64 s0, s42, v8
	s_and_b32 s2, s10, s0
	s_delay_alu instid0(SALU_CYCLE_1)
	s_and_saveexec_b32 s1, s2
	s_cbranch_execz .LBB543_4
; %bb.3:
	global_load_b64 v[0:1], v[46:47], off offset:256
	global_load_b64 v[10:11], v[44:45], off offset:256
.LBB543_4:
	s_or_b32 exec_lo, exec_lo, s1
	v_or_b32_e32 v12, 64, v56
	v_mov_b32_e32 v8, 0
	v_mov_b32_e32 v9, 0
	s_delay_alu instid0(VALU_DEP_3) | instskip(NEXT) | instid1(VALU_DEP_2)
	v_cmp_gt_i32_e64 s1, s42, v12
	v_dual_mov_b32 v13, v9 :: v_dual_mov_b32 v12, v8
	v_dual_mov_b32 v15, v9 :: v_dual_mov_b32 v14, v8
	s_delay_alu instid0(VALU_DEP_3) | instskip(NEXT) | instid1(SALU_CYCLE_1)
	s_and_b32 s3, s10, s1
	s_and_saveexec_b32 s2, s3
	s_cbranch_execz .LBB543_6
; %bb.5:
	global_load_b64 v[12:13], v[46:47], off offset:512
	global_load_b64 v[14:15], v[44:45], off offset:512
.LBB543_6:
	s_or_b32 exec_lo, exec_lo, s2
	v_or_b32_e32 v16, 0x60, v56
	v_dual_mov_b32 v19, v9 :: v_dual_mov_b32 v18, v8
	s_delay_alu instid0(VALU_DEP_2) | instskip(NEXT) | instid1(VALU_DEP_1)
	v_cmp_gt_i32_e64 s2, s42, v16
	s_and_b32 s4, s10, s2
	s_delay_alu instid0(SALU_CYCLE_1)
	s_and_saveexec_b32 s3, s4
	s_cbranch_execz .LBB543_8
; %bb.7:
	global_load_b64 v[8:9], v[46:47], off offset:768
	global_load_b64 v[18:19], v[44:45], off offset:768
.LBB543_8:
	s_or_b32 exec_lo, exec_lo, s3
	v_or_b32_e32 v20, 0x80, v56
	v_mov_b32_e32 v16, 0
	v_mov_b32_e32 v17, 0
	s_delay_alu instid0(VALU_DEP_3) | instskip(NEXT) | instid1(VALU_DEP_2)
	v_cmp_gt_i32_e64 s3, s42, v20
	v_dual_mov_b32 v21, v17 :: v_dual_mov_b32 v20, v16
	v_dual_mov_b32 v23, v17 :: v_dual_mov_b32 v22, v16
	s_delay_alu instid0(VALU_DEP_3) | instskip(NEXT) | instid1(SALU_CYCLE_1)
	s_and_b32 s5, s10, s3
	s_and_saveexec_b32 s4, s5
	s_cbranch_execz .LBB543_10
; %bb.9:
	global_load_b64 v[20:21], v[46:47], off offset:1024
	global_load_b64 v[22:23], v[44:45], off offset:1024
.LBB543_10:
	;; [unrolled: 29-line block ×7, first 2 shown]
	s_or_b32 exec_lo, exec_lo, s15
	v_or_b32_e32 v69, 0x1e0, v56
	s_delay_alu instid0(VALU_DEP_1) | instskip(SKIP_1) | instid1(VALU_DEP_2)
	v_cmp_gt_i32_e64 s15, s42, v69
	v_dual_mov_b32 v70, v62 :: v_dual_mov_b32 v69, v61
	s_and_b32 s17, s10, s15
	s_delay_alu instid0(SALU_CYCLE_1)
	s_and_saveexec_b32 s16, s17
	s_cbranch_execz .LBB543_32
; %bb.31:
	global_load_b64 v[61:62], v[46:47], off offset:3840
	global_load_b64 v[69:70], v[44:45], off offset:3840
.LBB543_32:
	s_or_b32 exec_lo, exec_lo, s16
	v_or_b32_e32 v73, 0x200, v56
	v_mov_b32_e32 v71, 0
	v_mov_b32_e32 v72, 0
	s_delay_alu instid0(VALU_DEP_3) | instskip(NEXT) | instid1(VALU_DEP_2)
	v_cmp_gt_i32_e64 s16, s42, v73
	v_dual_mov_b32 v74, v72 :: v_dual_mov_b32 v73, v71
	v_dual_mov_b32 v76, v72 :: v_dual_mov_b32 v75, v71
	s_delay_alu instid0(VALU_DEP_3) | instskip(NEXT) | instid1(SALU_CYCLE_1)
	s_and_b32 s17, s10, s16
	s_and_saveexec_b32 s18, s17
	s_cbranch_execz .LBB543_34
; %bb.33:
	v_add_co_u32 v73, s17, 0x1000, v46
	s_delay_alu instid0(VALU_DEP_1) | instskip(SKIP_1) | instid1(VALU_DEP_1)
	v_add_co_ci_u32_e64 v74, s17, 0, v47, s17
	v_add_co_u32 v75, s17, 0x1000, v44
	v_add_co_ci_u32_e64 v76, s17, 0, v45, s17
	global_load_b64 v[73:74], v[73:74], off
	global_load_b64 v[75:76], v[75:76], off
.LBB543_34:
	s_or_b32 exec_lo, exec_lo, s18
	v_or_b32_e32 v77, 0x220, v56
	v_dual_mov_b32 v80, v72 :: v_dual_mov_b32 v79, v71
	s_delay_alu instid0(VALU_DEP_2) | instskip(NEXT) | instid1(VALU_DEP_1)
	v_cmp_gt_i32_e64 s17, s42, v77
	s_and_b32 s18, s10, s17
	s_delay_alu instid0(SALU_CYCLE_1)
	s_and_saveexec_b32 s19, s18
	s_cbranch_execz .LBB543_36
; %bb.35:
	v_add_co_u32 v71, s18, 0x1000, v46
	s_delay_alu instid0(VALU_DEP_1) | instskip(SKIP_1) | instid1(VALU_DEP_1)
	v_add_co_ci_u32_e64 v72, s18, 0, v47, s18
	v_add_co_u32 v77, s18, 0x1000, v44
	v_add_co_ci_u32_e64 v78, s18, 0, v45, s18
	global_load_b64 v[71:72], v[71:72], off offset:256
	global_load_b64 v[79:80], v[77:78], off offset:256
.LBB543_36:
	s_or_b32 exec_lo, exec_lo, s19
	v_or_b32_e32 v81, 0x240, v56
	v_mov_b32_e32 v77, 0
	v_mov_b32_e32 v78, 0
	s_delay_alu instid0(VALU_DEP_3) | instskip(NEXT) | instid1(VALU_DEP_2)
	v_cmp_gt_i32_e64 s18, s42, v81
	v_dual_mov_b32 v82, v78 :: v_dual_mov_b32 v81, v77
	v_dual_mov_b32 v84, v78 :: v_dual_mov_b32 v83, v77
	s_delay_alu instid0(VALU_DEP_3) | instskip(NEXT) | instid1(SALU_CYCLE_1)
	s_and_b32 s19, s10, s18
	s_and_saveexec_b32 s20, s19
	s_cbranch_execz .LBB543_38
; %bb.37:
	v_add_co_u32 v81, s19, 0x1000, v46
	s_delay_alu instid0(VALU_DEP_1) | instskip(SKIP_1) | instid1(VALU_DEP_1)
	v_add_co_ci_u32_e64 v82, s19, 0, v47, s19
	v_add_co_u32 v83, s19, 0x1000, v44
	v_add_co_ci_u32_e64 v84, s19, 0, v45, s19
	global_load_b64 v[81:82], v[81:82], off offset:512
	global_load_b64 v[83:84], v[83:84], off offset:512
.LBB543_38:
	s_or_b32 exec_lo, exec_lo, s20
	v_or_b32_e32 v85, 0x260, v56
	v_dual_mov_b32 v88, v78 :: v_dual_mov_b32 v87, v77
	s_delay_alu instid0(VALU_DEP_2) | instskip(NEXT) | instid1(VALU_DEP_1)
	v_cmp_gt_i32_e64 s19, s42, v85
	s_and_b32 s20, s10, s19
	s_delay_alu instid0(SALU_CYCLE_1)
	s_and_saveexec_b32 s21, s20
	s_cbranch_execz .LBB543_40
; %bb.39:
	v_add_co_u32 v77, s20, 0x1000, v46
	s_delay_alu instid0(VALU_DEP_1) | instskip(SKIP_1) | instid1(VALU_DEP_1)
	v_add_co_ci_u32_e64 v78, s20, 0, v47, s20
	v_add_co_u32 v85, s20, 0x1000, v44
	v_add_co_ci_u32_e64 v86, s20, 0, v45, s20
	global_load_b64 v[77:78], v[77:78], off offset:768
	global_load_b64 v[87:88], v[85:86], off offset:768
.LBB543_40:
	s_or_b32 exec_lo, exec_lo, s21
	v_or_b32_e32 v89, 0x280, v56
	v_mov_b32_e32 v85, 0
	v_mov_b32_e32 v86, 0
	s_delay_alu instid0(VALU_DEP_3) | instskip(NEXT) | instid1(VALU_DEP_2)
	v_cmp_gt_i32_e64 s20, s42, v89
	v_dual_mov_b32 v90, v86 :: v_dual_mov_b32 v89, v85
	v_dual_mov_b32 v92, v86 :: v_dual_mov_b32 v91, v85
	s_delay_alu instid0(VALU_DEP_3) | instskip(NEXT) | instid1(SALU_CYCLE_1)
	s_and_b32 s21, s10, s20
	s_and_saveexec_b32 s22, s21
	s_cbranch_execz .LBB543_42
; %bb.41:
	v_add_co_u32 v89, s21, 0x1000, v46
	s_delay_alu instid0(VALU_DEP_1) | instskip(SKIP_1) | instid1(VALU_DEP_1)
	v_add_co_ci_u32_e64 v90, s21, 0, v47, s21
	v_add_co_u32 v91, s21, 0x1000, v44
	v_add_co_ci_u32_e64 v92, s21, 0, v45, s21
	global_load_b64 v[89:90], v[89:90], off offset:1024
	global_load_b64 v[91:92], v[91:92], off offset:1024
.LBB543_42:
	s_or_b32 exec_lo, exec_lo, s22
	v_or_b32_e32 v93, 0x2a0, v56
	v_dual_mov_b32 v96, v86 :: v_dual_mov_b32 v95, v85
	s_delay_alu instid0(VALU_DEP_2) | instskip(NEXT) | instid1(VALU_DEP_1)
	v_cmp_gt_i32_e64 s21, s42, v93
	s_and_b32 s22, s10, s21
	s_delay_alu instid0(SALU_CYCLE_1)
	s_and_saveexec_b32 s23, s22
	s_cbranch_execz .LBB543_44
; %bb.43:
	v_add_co_u32 v85, s22, 0x1000, v46
	s_delay_alu instid0(VALU_DEP_1) | instskip(SKIP_1) | instid1(VALU_DEP_1)
	v_add_co_ci_u32_e64 v86, s22, 0, v47, s22
	v_add_co_u32 v93, s22, 0x1000, v44
	v_add_co_ci_u32_e64 v94, s22, 0, v45, s22
	global_load_b64 v[85:86], v[85:86], off offset:1280
	global_load_b64 v[95:96], v[93:94], off offset:1280
.LBB543_44:
	s_or_b32 exec_lo, exec_lo, s23
	v_or_b32_e32 v97, 0x2c0, v56
	v_mov_b32_e32 v93, 0
	v_mov_b32_e32 v94, 0
	s_delay_alu instid0(VALU_DEP_3) | instskip(NEXT) | instid1(VALU_DEP_2)
	v_cmp_gt_i32_e64 s22, s42, v97
	v_dual_mov_b32 v98, v94 :: v_dual_mov_b32 v97, v93
	v_dual_mov_b32 v100, v94 :: v_dual_mov_b32 v99, v93
	s_delay_alu instid0(VALU_DEP_3) | instskip(NEXT) | instid1(SALU_CYCLE_1)
	s_and_b32 s23, s10, s22
	s_and_saveexec_b32 s24, s23
	s_cbranch_execz .LBB543_46
; %bb.45:
	v_add_co_u32 v97, s23, 0x1000, v46
	s_delay_alu instid0(VALU_DEP_1) | instskip(SKIP_1) | instid1(VALU_DEP_1)
	v_add_co_ci_u32_e64 v98, s23, 0, v47, s23
	v_add_co_u32 v99, s23, 0x1000, v44
	v_add_co_ci_u32_e64 v100, s23, 0, v45, s23
	global_load_b64 v[97:98], v[97:98], off offset:1536
	global_load_b64 v[99:100], v[99:100], off offset:1536
.LBB543_46:
	s_or_b32 exec_lo, exec_lo, s24
	v_or_b32_e32 v101, 0x2e0, v56
	v_dual_mov_b32 v104, v94 :: v_dual_mov_b32 v103, v93
	s_delay_alu instid0(VALU_DEP_2) | instskip(NEXT) | instid1(VALU_DEP_1)
	v_cmp_gt_i32_e64 s23, s42, v101
	s_and_b32 s24, s10, s23
	s_delay_alu instid0(SALU_CYCLE_1)
	s_and_saveexec_b32 s25, s24
	s_cbranch_execz .LBB543_48
; %bb.47:
	v_add_co_u32 v93, s24, 0x1000, v46
	s_delay_alu instid0(VALU_DEP_1) | instskip(SKIP_1) | instid1(VALU_DEP_1)
	v_add_co_ci_u32_e64 v94, s24, 0, v47, s24
	v_add_co_u32 v101, s24, 0x1000, v44
	v_add_co_ci_u32_e64 v102, s24, 0, v45, s24
	global_load_b64 v[93:94], v[93:94], off offset:1792
	global_load_b64 v[103:104], v[101:102], off offset:1792
.LBB543_48:
	s_or_b32 exec_lo, exec_lo, s25
	v_or_b32_e32 v105, 0x300, v56
	v_mov_b32_e32 v101, 0
	v_mov_b32_e32 v102, 0
	s_delay_alu instid0(VALU_DEP_3) | instskip(NEXT) | instid1(VALU_DEP_2)
	v_cmp_gt_i32_e64 s24, s42, v105
	v_dual_mov_b32 v106, v102 :: v_dual_mov_b32 v105, v101
	v_dual_mov_b32 v108, v102 :: v_dual_mov_b32 v107, v101
	s_delay_alu instid0(VALU_DEP_3) | instskip(NEXT) | instid1(SALU_CYCLE_1)
	s_and_b32 s25, s10, s24
	s_and_saveexec_b32 s26, s25
	s_cbranch_execz .LBB543_50
; %bb.49:
	v_add_co_u32 v105, s25, 0x1000, v46
	s_delay_alu instid0(VALU_DEP_1) | instskip(SKIP_1) | instid1(VALU_DEP_1)
	v_add_co_ci_u32_e64 v106, s25, 0, v47, s25
	v_add_co_u32 v107, s25, 0x1000, v44
	v_add_co_ci_u32_e64 v108, s25, 0, v45, s25
	global_load_b64 v[105:106], v[105:106], off offset:2048
	global_load_b64 v[107:108], v[107:108], off offset:2048
.LBB543_50:
	s_or_b32 exec_lo, exec_lo, s26
	v_or_b32_e32 v109, 0x320, v56
	v_dual_mov_b32 v112, v102 :: v_dual_mov_b32 v111, v101
	s_delay_alu instid0(VALU_DEP_2) | instskip(NEXT) | instid1(VALU_DEP_1)
	v_cmp_gt_i32_e64 s25, s42, v109
	s_and_b32 s26, s10, s25
	s_delay_alu instid0(SALU_CYCLE_1)
	s_and_saveexec_b32 s27, s26
	s_cbranch_execz .LBB543_52
; %bb.51:
	v_add_co_u32 v101, s26, 0x1000, v46
	s_delay_alu instid0(VALU_DEP_1) | instskip(SKIP_1) | instid1(VALU_DEP_1)
	v_add_co_ci_u32_e64 v102, s26, 0, v47, s26
	v_add_co_u32 v109, s26, 0x1000, v44
	v_add_co_ci_u32_e64 v110, s26, 0, v45, s26
	global_load_b64 v[101:102], v[101:102], off offset:2304
	global_load_b64 v[111:112], v[109:110], off offset:2304
.LBB543_52:
	s_or_b32 exec_lo, exec_lo, s27
	v_or_b32_e32 v113, 0x340, v56
	v_mov_b32_e32 v109, 0
	v_mov_b32_e32 v110, 0
	s_delay_alu instid0(VALU_DEP_3) | instskip(NEXT) | instid1(VALU_DEP_2)
	v_cmp_gt_i32_e64 s26, s42, v113
	v_dual_mov_b32 v114, v110 :: v_dual_mov_b32 v113, v109
	v_dual_mov_b32 v116, v110 :: v_dual_mov_b32 v115, v109
	s_delay_alu instid0(VALU_DEP_3) | instskip(NEXT) | instid1(SALU_CYCLE_1)
	s_and_b32 s27, s10, s26
	s_and_saveexec_b32 s28, s27
	s_cbranch_execz .LBB543_54
; %bb.53:
	v_add_co_u32 v113, s27, 0x1000, v46
	s_delay_alu instid0(VALU_DEP_1) | instskip(SKIP_1) | instid1(VALU_DEP_1)
	v_add_co_ci_u32_e64 v114, s27, 0, v47, s27
	v_add_co_u32 v115, s27, 0x1000, v44
	v_add_co_ci_u32_e64 v116, s27, 0, v45, s27
	global_load_b64 v[113:114], v[113:114], off offset:2560
	global_load_b64 v[115:116], v[115:116], off offset:2560
.LBB543_54:
	s_or_b32 exec_lo, exec_lo, s28
	v_or_b32_e32 v117, 0x360, v56
	v_dual_mov_b32 v120, v110 :: v_dual_mov_b32 v119, v109
	s_delay_alu instid0(VALU_DEP_2) | instskip(NEXT) | instid1(VALU_DEP_1)
	v_cmp_gt_i32_e64 s27, s42, v117
	s_and_b32 s28, s10, s27
	s_delay_alu instid0(SALU_CYCLE_1)
	s_and_saveexec_b32 s29, s28
	s_cbranch_execz .LBB543_56
; %bb.55:
	v_add_co_u32 v109, s28, 0x1000, v46
	s_delay_alu instid0(VALU_DEP_1) | instskip(SKIP_1) | instid1(VALU_DEP_1)
	v_add_co_ci_u32_e64 v110, s28, 0, v47, s28
	v_add_co_u32 v117, s28, 0x1000, v44
	v_add_co_ci_u32_e64 v118, s28, 0, v45, s28
	global_load_b64 v[109:110], v[109:110], off offset:2816
	global_load_b64 v[119:120], v[117:118], off offset:2816
.LBB543_56:
	s_or_b32 exec_lo, exec_lo, s29
	v_or_b32_e32 v121, 0x380, v56
	v_mov_b32_e32 v117, 0
	v_mov_b32_e32 v118, 0
	s_delay_alu instid0(VALU_DEP_3) | instskip(NEXT) | instid1(VALU_DEP_2)
	v_cmp_gt_i32_e64 s28, s42, v121
	v_dual_mov_b32 v122, v118 :: v_dual_mov_b32 v121, v117
	v_dual_mov_b32 v124, v118 :: v_dual_mov_b32 v123, v117
	s_delay_alu instid0(VALU_DEP_3) | instskip(NEXT) | instid1(SALU_CYCLE_1)
	s_and_b32 s29, s10, s28
	s_and_saveexec_b32 s30, s29
	s_cbranch_execz .LBB543_58
; %bb.57:
	v_add_co_u32 v121, s29, 0x1000, v46
	s_delay_alu instid0(VALU_DEP_1) | instskip(SKIP_1) | instid1(VALU_DEP_1)
	v_add_co_ci_u32_e64 v122, s29, 0, v47, s29
	v_add_co_u32 v123, s29, 0x1000, v44
	v_add_co_ci_u32_e64 v124, s29, 0, v45, s29
	global_load_b64 v[121:122], v[121:122], off offset:3072
	global_load_b64 v[123:124], v[123:124], off offset:3072
.LBB543_58:
	s_or_b32 exec_lo, exec_lo, s30
	v_or_b32_e32 v125, 0x3a0, v56
	v_dual_mov_b32 v128, v118 :: v_dual_mov_b32 v127, v117
	s_delay_alu instid0(VALU_DEP_2) | instskip(NEXT) | instid1(VALU_DEP_1)
	v_cmp_gt_i32_e64 s29, s42, v125
	s_and_b32 s30, s10, s29
	s_delay_alu instid0(SALU_CYCLE_1)
	s_and_saveexec_b32 s31, s30
	s_cbranch_execz .LBB543_60
; %bb.59:
	v_add_co_u32 v117, s30, 0x1000, v46
	s_delay_alu instid0(VALU_DEP_1) | instskip(SKIP_1) | instid1(VALU_DEP_1)
	v_add_co_ci_u32_e64 v118, s30, 0, v47, s30
	v_add_co_u32 v125, s30, 0x1000, v44
	v_add_co_ci_u32_e64 v126, s30, 0, v45, s30
	global_load_b64 v[117:118], v[117:118], off offset:3328
	global_load_b64 v[127:128], v[125:126], off offset:3328
.LBB543_60:
	s_or_b32 exec_lo, exec_lo, s31
	v_or_b32_e32 v56, 0x3c0, v56
	v_mov_b32_e32 v125, 0
	v_mov_b32_e32 v126, 0
	s_delay_alu instid0(VALU_DEP_3) | instskip(NEXT) | instid1(VALU_DEP_2)
	v_cmp_gt_i32_e64 s30, s42, v56
	v_dual_mov_b32 v130, v126 :: v_dual_mov_b32 v129, v125
	v_dual_mov_b32 v132, v126 :: v_dual_mov_b32 v131, v125
	s_delay_alu instid0(VALU_DEP_3) | instskip(NEXT) | instid1(SALU_CYCLE_1)
	s_and_b32 s31, s10, s30
	s_and_saveexec_b32 s33, s31
	s_cbranch_execz .LBB543_62
; %bb.61:
	v_add_co_u32 v129, s31, 0x1000, v46
	s_delay_alu instid0(VALU_DEP_1) | instskip(SKIP_1) | instid1(VALU_DEP_1)
	v_add_co_ci_u32_e64 v130, s31, 0, v47, s31
	v_add_co_u32 v131, s31, 0x1000, v44
	v_add_co_ci_u32_e64 v132, s31, 0, v45, s31
	global_load_b64 v[129:130], v[129:130], off offset:3584
	global_load_b64 v[131:132], v[131:132], off offset:3584
.LBB543_62:
	s_or_b32 exec_lo, exec_lo, s33
	v_or_b32_e32 v56, 0x3e0, v133
	v_dual_mov_b32 v134, v126 :: v_dual_mov_b32 v133, v125
	s_delay_alu instid0(VALU_DEP_2) | instskip(NEXT) | instid1(VALU_DEP_1)
	v_cmp_gt_i32_e64 s31, s42, v56
	s_and_b32 s10, s10, s31
	s_delay_alu instid0(SALU_CYCLE_1)
	s_and_saveexec_b32 s33, s10
	s_cbranch_execz .LBB543_64
; %bb.63:
	v_add_co_u32 v46, s10, 0x1000, v46
	s_delay_alu instid0(VALU_DEP_1) | instskip(SKIP_1) | instid1(VALU_DEP_1)
	v_add_co_ci_u32_e64 v47, s10, 0, v47, s10
	v_add_co_u32 v44, s10, 0x1000, v44
	v_add_co_ci_u32_e64 v45, s10, 0, v45, s10
	global_load_b64 v[125:126], v[46:47], off offset:3840
	global_load_b64 v[133:134], v[44:45], off offset:3840
.LBB543_64:
	s_or_b32 exec_lo, exec_lo, s33
	s_waitcnt vmcnt(1)
	v_add_f64 v[44:45], v[2:3], 0
	v_mbcnt_lo_u32_b32 v56, -1, 0
	s_mov_b32 s33, exec_lo
	s_delay_alu instid0(VALU_DEP_1) | instskip(NEXT) | instid1(VALU_DEP_1)
	v_xor_b32_e32 v46, 16, v56
	v_cmp_gt_i32_e64 s10, 32, v46
	s_delay_alu instid0(VALU_DEP_1) | instskip(NEXT) | instid1(VALU_DEP_1)
	v_cndmask_b32_e64 v46, v56, v46, s10
	v_lshlrev_b32_e32 v47, 2, v46
	v_add_f64 v[44:45], v[44:45], v[0:1]
	s_delay_alu instid0(VALU_DEP_1) | instskip(NEXT) | instid1(VALU_DEP_1)
	v_add_f64 v[44:45], v[44:45], v[12:13]
	v_add_f64 v[44:45], v[44:45], v[8:9]
	s_delay_alu instid0(VALU_DEP_1) | instskip(NEXT) | instid1(VALU_DEP_1)
	v_add_f64 v[44:45], v[44:45], v[20:21]
	;; [unrolled: 3-line block ×15, first 2 shown]
	v_add_f64 v[44:45], v[44:45], v[125:126]
	ds_bpermute_b32 v46, v47, v44
	ds_bpermute_b32 v47, v47, v45
	s_waitcnt lgkmcnt(0)
	v_add_f64 v[44:45], v[44:45], v[46:47]
	v_xor_b32_e32 v46, 8, v56
	s_delay_alu instid0(VALU_DEP_1) | instskip(NEXT) | instid1(VALU_DEP_1)
	v_cmp_gt_i32_e64 s10, 32, v46
	v_cndmask_b32_e64 v46, v56, v46, s10
	s_delay_alu instid0(VALU_DEP_1)
	v_lshlrev_b32_e32 v47, 2, v46
	ds_bpermute_b32 v46, v47, v44
	ds_bpermute_b32 v47, v47, v45
	s_waitcnt lgkmcnt(0)
	v_add_f64 v[44:45], v[44:45], v[46:47]
	v_xor_b32_e32 v46, 4, v56
	s_delay_alu instid0(VALU_DEP_1) | instskip(NEXT) | instid1(VALU_DEP_1)
	v_cmp_gt_i32_e64 s10, 32, v46
	v_cndmask_b32_e64 v46, v56, v46, s10
	s_delay_alu instid0(VALU_DEP_1)
	v_lshlrev_b32_e32 v47, 2, v46
	;; [unrolled: 10-line block ×4, first 2 shown]
	ds_bpermute_b32 v46, v47, v44
	ds_bpermute_b32 v47, v47, v45
	v_cmpx_lt_i32_e32 0, v135
	s_cbranch_execz .LBB543_98
; %bb.65:
	s_waitcnt lgkmcnt(0)
	v_add_f64 v[44:45], v[44:45], v[46:47]
	v_add_co_u32 v4, s10, s36, v4
	s_delay_alu instid0(VALU_DEP_1)
	v_add_co_ci_u32_e64 v5, s10, s37, v5, s10
	s_and_saveexec_b32 s10, vcc_lo
	s_cbranch_execnz .LBB543_99
; %bb.66:
	s_or_b32 exec_lo, exec_lo, s10
	s_and_saveexec_b32 s10, s0
	s_cbranch_execnz .LBB543_100
.LBB543_67:
	s_or_b32 exec_lo, exec_lo, s10
	s_and_saveexec_b32 s0, s1
	s_cbranch_execnz .LBB543_101
.LBB543_68:
	s_or_b32 exec_lo, exec_lo, s0
	s_and_saveexec_b32 s0, s2
	s_cbranch_execnz .LBB543_102
.LBB543_69:
	s_or_b32 exec_lo, exec_lo, s0
	s_and_saveexec_b32 s0, s3
	s_cbranch_execnz .LBB543_103
.LBB543_70:
	s_or_b32 exec_lo, exec_lo, s0
	s_and_saveexec_b32 s0, s4
	s_cbranch_execnz .LBB543_104
.LBB543_71:
	s_or_b32 exec_lo, exec_lo, s0
	s_and_saveexec_b32 s0, s5
	s_cbranch_execnz .LBB543_105
.LBB543_72:
	s_or_b32 exec_lo, exec_lo, s0
	s_and_saveexec_b32 s0, s6
	s_cbranch_execnz .LBB543_106
.LBB543_73:
	s_or_b32 exec_lo, exec_lo, s0
	s_and_saveexec_b32 s0, s7
	s_cbranch_execnz .LBB543_107
.LBB543_74:
	s_or_b32 exec_lo, exec_lo, s0
	s_and_saveexec_b32 s0, s8
	s_cbranch_execnz .LBB543_108
.LBB543_75:
	s_or_b32 exec_lo, exec_lo, s0
	s_and_saveexec_b32 s0, s9
	s_cbranch_execnz .LBB543_109
.LBB543_76:
	s_or_b32 exec_lo, exec_lo, s0
	s_and_saveexec_b32 s0, s11
	s_cbranch_execnz .LBB543_110
.LBB543_77:
	s_or_b32 exec_lo, exec_lo, s0
	s_and_saveexec_b32 s0, s12
	s_cbranch_execnz .LBB543_111
.LBB543_78:
	s_or_b32 exec_lo, exec_lo, s0
	s_and_saveexec_b32 s0, s13
	s_cbranch_execnz .LBB543_112
.LBB543_79:
	s_or_b32 exec_lo, exec_lo, s0
	s_and_saveexec_b32 s0, s14
	s_cbranch_execnz .LBB543_113
.LBB543_80:
	s_or_b32 exec_lo, exec_lo, s0
	s_and_saveexec_b32 s0, s15
	s_cbranch_execnz .LBB543_114
.LBB543_81:
	s_or_b32 exec_lo, exec_lo, s0
	s_and_saveexec_b32 s0, s16
	s_cbranch_execnz .LBB543_115
.LBB543_82:
	s_or_b32 exec_lo, exec_lo, s0
	s_and_saveexec_b32 s0, s17
	s_cbranch_execnz .LBB543_116
.LBB543_83:
	s_or_b32 exec_lo, exec_lo, s0
	s_and_saveexec_b32 s0, s18
	s_cbranch_execnz .LBB543_117
.LBB543_84:
	s_or_b32 exec_lo, exec_lo, s0
	s_and_saveexec_b32 s0, s19
	s_cbranch_execnz .LBB543_118
.LBB543_85:
	s_or_b32 exec_lo, exec_lo, s0
	s_and_saveexec_b32 s0, s20
	s_cbranch_execnz .LBB543_119
.LBB543_86:
	s_or_b32 exec_lo, exec_lo, s0
	s_and_saveexec_b32 s0, s21
	s_cbranch_execnz .LBB543_120
.LBB543_87:
	s_or_b32 exec_lo, exec_lo, s0
	s_and_saveexec_b32 s0, s22
	s_cbranch_execnz .LBB543_121
.LBB543_88:
	s_or_b32 exec_lo, exec_lo, s0
	s_and_saveexec_b32 s0, s23
	s_cbranch_execnz .LBB543_122
.LBB543_89:
	s_or_b32 exec_lo, exec_lo, s0
	s_and_saveexec_b32 s0, s24
	s_cbranch_execnz .LBB543_123
.LBB543_90:
	s_or_b32 exec_lo, exec_lo, s0
	s_and_saveexec_b32 s0, s25
	s_cbranch_execnz .LBB543_124
.LBB543_91:
	s_or_b32 exec_lo, exec_lo, s0
	s_and_saveexec_b32 s0, s26
	s_cbranch_execnz .LBB543_125
.LBB543_92:
	s_or_b32 exec_lo, exec_lo, s0
	s_and_saveexec_b32 s0, s27
	s_cbranch_execnz .LBB543_126
.LBB543_93:
	s_or_b32 exec_lo, exec_lo, s0
	s_and_saveexec_b32 s0, s28
	s_cbranch_execnz .LBB543_127
.LBB543_94:
	s_or_b32 exec_lo, exec_lo, s0
	s_and_saveexec_b32 s0, s29
	s_cbranch_execnz .LBB543_128
.LBB543_95:
	s_or_b32 exec_lo, exec_lo, s0
	s_and_saveexec_b32 s0, s30
	s_cbranch_execnz .LBB543_129
.LBB543_96:
	s_or_b32 exec_lo, exec_lo, s0
	s_delay_alu instid0(SALU_CYCLE_1)
	s_and_b32 exec_lo, exec_lo, s31
	s_cbranch_execz .LBB543_98
.LBB543_97:
	s_waitcnt vmcnt(0)
	v_fma_f64 v[0:1], -v[44:45], v[133:134], v[125:126]
	v_add_co_u32 v2, vcc_lo, 0x1000, v4
	v_add_co_ci_u32_e32 v3, vcc_lo, 0, v5, vcc_lo
	global_store_b64 v[2:3], v[0:1], off offset:3840
.LBB543_98:
	s_nop 0
	s_sendmsg sendmsg(MSG_DEALLOC_VGPRS)
	s_endpgm
.LBB543_99:
	s_waitcnt vmcnt(0)
	s_delay_alu instid0(VALU_DEP_3)
	v_fma_f64 v[2:3], -v[44:45], v[6:7], v[2:3]
	global_store_b64 v[4:5], v[2:3], off
	s_or_b32 exec_lo, exec_lo, s10
	s_and_saveexec_b32 s10, s0
	s_cbranch_execz .LBB543_67
.LBB543_100:
	s_waitcnt vmcnt(0)
	s_delay_alu instid0(VALU_DEP_3)
	v_fma_f64 v[0:1], -v[44:45], v[10:11], v[0:1]
	global_store_b64 v[4:5], v[0:1], off offset:256
	s_or_b32 exec_lo, exec_lo, s10
	s_and_saveexec_b32 s0, s1
	s_cbranch_execz .LBB543_68
.LBB543_101:
	s_waitcnt vmcnt(0)
	s_delay_alu instid0(VALU_DEP_3)
	v_fma_f64 v[0:1], -v[44:45], v[14:15], v[12:13]
	global_store_b64 v[4:5], v[0:1], off offset:512
	s_or_b32 exec_lo, exec_lo, s0
	s_and_saveexec_b32 s0, s2
	s_cbranch_execz .LBB543_69
.LBB543_102:
	s_waitcnt vmcnt(0)
	s_delay_alu instid0(VALU_DEP_3)
	v_fma_f64 v[0:1], -v[44:45], v[18:19], v[8:9]
	global_store_b64 v[4:5], v[0:1], off offset:768
	s_or_b32 exec_lo, exec_lo, s0
	s_and_saveexec_b32 s0, s3
	s_cbranch_execz .LBB543_70
.LBB543_103:
	s_waitcnt vmcnt(0)
	s_delay_alu instid0(VALU_DEP_3)
	v_fma_f64 v[0:1], -v[44:45], v[22:23], v[20:21]
	global_store_b64 v[4:5], v[0:1], off offset:1024
	s_or_b32 exec_lo, exec_lo, s0
	s_and_saveexec_b32 s0, s4
	s_cbranch_execz .LBB543_71
.LBB543_104:
	s_waitcnt vmcnt(0)
	s_delay_alu instid0(VALU_DEP_3)
	v_fma_f64 v[0:1], -v[44:45], v[26:27], v[16:17]
	global_store_b64 v[4:5], v[0:1], off offset:1280
	s_or_b32 exec_lo, exec_lo, s0
	s_and_saveexec_b32 s0, s5
	s_cbranch_execz .LBB543_72
.LBB543_105:
	s_waitcnt vmcnt(0)
	s_delay_alu instid0(VALU_DEP_3)
	v_fma_f64 v[0:1], -v[44:45], v[30:31], v[28:29]
	global_store_b64 v[4:5], v[0:1], off offset:1536
	s_or_b32 exec_lo, exec_lo, s0
	s_and_saveexec_b32 s0, s6
	s_cbranch_execz .LBB543_73
.LBB543_106:
	s_waitcnt vmcnt(0)
	s_delay_alu instid0(VALU_DEP_3)
	v_fma_f64 v[0:1], -v[44:45], v[34:35], v[24:25]
	global_store_b64 v[4:5], v[0:1], off offset:1792
	s_or_b32 exec_lo, exec_lo, s0
	s_and_saveexec_b32 s0, s7
	s_cbranch_execz .LBB543_74
.LBB543_107:
	s_waitcnt vmcnt(0)
	s_delay_alu instid0(VALU_DEP_3)
	v_fma_f64 v[0:1], -v[44:45], v[38:39], v[36:37]
	global_store_b64 v[4:5], v[0:1], off offset:2048
	s_or_b32 exec_lo, exec_lo, s0
	s_and_saveexec_b32 s0, s8
	s_cbranch_execz .LBB543_75
.LBB543_108:
	s_waitcnt vmcnt(0)
	s_delay_alu instid0(VALU_DEP_3)
	v_fma_f64 v[0:1], -v[44:45], v[42:43], v[32:33]
	global_store_b64 v[4:5], v[0:1], off offset:2304
	s_or_b32 exec_lo, exec_lo, s0
	s_and_saveexec_b32 s0, s9
	s_cbranch_execz .LBB543_76
.LBB543_109:
	s_waitcnt vmcnt(0)
	s_delay_alu instid0(VALU_DEP_3)
	v_fma_f64 v[0:1], -v[44:45], v[50:51], v[48:49]
	global_store_b64 v[4:5], v[0:1], off offset:2560
	s_or_b32 exec_lo, exec_lo, s0
	s_and_saveexec_b32 s0, s11
	s_cbranch_execz .LBB543_77
.LBB543_110:
	s_waitcnt vmcnt(0)
	v_fma_f64 v[0:1], -v[44:45], v[54:55], v[40:41]
	global_store_b64 v[4:5], v[0:1], off offset:2816
	s_or_b32 exec_lo, exec_lo, s0
	s_and_saveexec_b32 s0, s12
	s_cbranch_execz .LBB543_78
.LBB543_111:
	s_waitcnt vmcnt(0)
	v_fma_f64 v[0:1], -v[44:45], v[59:60], v[57:58]
	global_store_b64 v[4:5], v[0:1], off offset:3072
	s_or_b32 exec_lo, exec_lo, s0
	s_and_saveexec_b32 s0, s13
	s_cbranch_execz .LBB543_79
.LBB543_112:
	s_waitcnt vmcnt(0)
	v_fma_f64 v[0:1], -v[44:45], v[63:64], v[52:53]
	global_store_b64 v[4:5], v[0:1], off offset:3328
	s_or_b32 exec_lo, exec_lo, s0
	s_and_saveexec_b32 s0, s14
	s_cbranch_execz .LBB543_80
.LBB543_113:
	s_waitcnt vmcnt(0)
	v_fma_f64 v[0:1], -v[44:45], v[67:68], v[65:66]
	global_store_b64 v[4:5], v[0:1], off offset:3584
	s_or_b32 exec_lo, exec_lo, s0
	s_and_saveexec_b32 s0, s15
	s_cbranch_execz .LBB543_81
.LBB543_114:
	s_waitcnt vmcnt(0)
	v_fma_f64 v[0:1], -v[44:45], v[69:70], v[61:62]
	global_store_b64 v[4:5], v[0:1], off offset:3840
	s_or_b32 exec_lo, exec_lo, s0
	s_and_saveexec_b32 s0, s16
	s_cbranch_execz .LBB543_82
.LBB543_115:
	s_waitcnt vmcnt(0)
	v_fma_f64 v[0:1], -v[44:45], v[75:76], v[73:74]
	v_add_co_u32 v2, vcc_lo, 0x1000, v4
	v_add_co_ci_u32_e32 v3, vcc_lo, 0, v5, vcc_lo
	global_store_b64 v[2:3], v[0:1], off
	s_or_b32 exec_lo, exec_lo, s0
	s_and_saveexec_b32 s0, s17
	s_cbranch_execz .LBB543_83
.LBB543_116:
	s_waitcnt vmcnt(0)
	v_fma_f64 v[0:1], -v[44:45], v[79:80], v[71:72]
	v_add_co_u32 v2, vcc_lo, 0x1000, v4
	v_add_co_ci_u32_e32 v3, vcc_lo, 0, v5, vcc_lo
	global_store_b64 v[2:3], v[0:1], off offset:256
	s_or_b32 exec_lo, exec_lo, s0
	s_and_saveexec_b32 s0, s18
	s_cbranch_execz .LBB543_84
.LBB543_117:
	s_waitcnt vmcnt(0)
	v_fma_f64 v[0:1], -v[44:45], v[83:84], v[81:82]
	v_add_co_u32 v2, vcc_lo, 0x1000, v4
	v_add_co_ci_u32_e32 v3, vcc_lo, 0, v5, vcc_lo
	global_store_b64 v[2:3], v[0:1], off offset:512
	s_or_b32 exec_lo, exec_lo, s0
	s_and_saveexec_b32 s0, s19
	s_cbranch_execz .LBB543_85
.LBB543_118:
	s_waitcnt vmcnt(0)
	v_fma_f64 v[0:1], -v[44:45], v[87:88], v[77:78]
	v_add_co_u32 v2, vcc_lo, 0x1000, v4
	v_add_co_ci_u32_e32 v3, vcc_lo, 0, v5, vcc_lo
	global_store_b64 v[2:3], v[0:1], off offset:768
	s_or_b32 exec_lo, exec_lo, s0
	s_and_saveexec_b32 s0, s20
	s_cbranch_execz .LBB543_86
.LBB543_119:
	s_waitcnt vmcnt(0)
	v_fma_f64 v[0:1], -v[44:45], v[91:92], v[89:90]
	v_add_co_u32 v2, vcc_lo, 0x1000, v4
	v_add_co_ci_u32_e32 v3, vcc_lo, 0, v5, vcc_lo
	global_store_b64 v[2:3], v[0:1], off offset:1024
	s_or_b32 exec_lo, exec_lo, s0
	s_and_saveexec_b32 s0, s21
	s_cbranch_execz .LBB543_87
.LBB543_120:
	s_waitcnt vmcnt(0)
	v_fma_f64 v[0:1], -v[44:45], v[95:96], v[85:86]
	v_add_co_u32 v2, vcc_lo, 0x1000, v4
	v_add_co_ci_u32_e32 v3, vcc_lo, 0, v5, vcc_lo
	global_store_b64 v[2:3], v[0:1], off offset:1280
	s_or_b32 exec_lo, exec_lo, s0
	s_and_saveexec_b32 s0, s22
	s_cbranch_execz .LBB543_88
.LBB543_121:
	s_waitcnt vmcnt(0)
	v_fma_f64 v[0:1], -v[44:45], v[99:100], v[97:98]
	v_add_co_u32 v2, vcc_lo, 0x1000, v4
	v_add_co_ci_u32_e32 v3, vcc_lo, 0, v5, vcc_lo
	global_store_b64 v[2:3], v[0:1], off offset:1536
	s_or_b32 exec_lo, exec_lo, s0
	s_and_saveexec_b32 s0, s23
	s_cbranch_execz .LBB543_89
.LBB543_122:
	s_waitcnt vmcnt(0)
	v_fma_f64 v[0:1], -v[44:45], v[103:104], v[93:94]
	v_add_co_u32 v2, vcc_lo, 0x1000, v4
	v_add_co_ci_u32_e32 v3, vcc_lo, 0, v5, vcc_lo
	global_store_b64 v[2:3], v[0:1], off offset:1792
	s_or_b32 exec_lo, exec_lo, s0
	s_and_saveexec_b32 s0, s24
	s_cbranch_execz .LBB543_90
.LBB543_123:
	s_waitcnt vmcnt(0)
	v_fma_f64 v[0:1], -v[44:45], v[107:108], v[105:106]
	v_add_co_u32 v2, vcc_lo, 0x1000, v4
	v_add_co_ci_u32_e32 v3, vcc_lo, 0, v5, vcc_lo
	global_store_b64 v[2:3], v[0:1], off offset:2048
	s_or_b32 exec_lo, exec_lo, s0
	s_and_saveexec_b32 s0, s25
	s_cbranch_execz .LBB543_91
.LBB543_124:
	s_waitcnt vmcnt(0)
	v_fma_f64 v[0:1], -v[44:45], v[111:112], v[101:102]
	v_add_co_u32 v2, vcc_lo, 0x1000, v4
	v_add_co_ci_u32_e32 v3, vcc_lo, 0, v5, vcc_lo
	global_store_b64 v[2:3], v[0:1], off offset:2304
	s_or_b32 exec_lo, exec_lo, s0
	s_and_saveexec_b32 s0, s26
	s_cbranch_execz .LBB543_92
.LBB543_125:
	s_waitcnt vmcnt(0)
	v_fma_f64 v[0:1], -v[44:45], v[115:116], v[113:114]
	v_add_co_u32 v2, vcc_lo, 0x1000, v4
	v_add_co_ci_u32_e32 v3, vcc_lo, 0, v5, vcc_lo
	global_store_b64 v[2:3], v[0:1], off offset:2560
	s_or_b32 exec_lo, exec_lo, s0
	s_and_saveexec_b32 s0, s27
	s_cbranch_execz .LBB543_93
.LBB543_126:
	s_waitcnt vmcnt(0)
	v_fma_f64 v[0:1], -v[44:45], v[119:120], v[109:110]
	v_add_co_u32 v2, vcc_lo, 0x1000, v4
	v_add_co_ci_u32_e32 v3, vcc_lo, 0, v5, vcc_lo
	global_store_b64 v[2:3], v[0:1], off offset:2816
	s_or_b32 exec_lo, exec_lo, s0
	s_and_saveexec_b32 s0, s28
	s_cbranch_execz .LBB543_94
.LBB543_127:
	s_waitcnt vmcnt(0)
	v_fma_f64 v[0:1], -v[44:45], v[123:124], v[121:122]
	v_add_co_u32 v2, vcc_lo, 0x1000, v4
	v_add_co_ci_u32_e32 v3, vcc_lo, 0, v5, vcc_lo
	global_store_b64 v[2:3], v[0:1], off offset:3072
	s_or_b32 exec_lo, exec_lo, s0
	s_and_saveexec_b32 s0, s29
	s_cbranch_execz .LBB543_95
.LBB543_128:
	s_waitcnt vmcnt(0)
	v_fma_f64 v[0:1], -v[44:45], v[127:128], v[117:118]
	v_add_co_u32 v2, vcc_lo, 0x1000, v4
	v_add_co_ci_u32_e32 v3, vcc_lo, 0, v5, vcc_lo
	global_store_b64 v[2:3], v[0:1], off offset:3328
	s_or_b32 exec_lo, exec_lo, s0
	s_and_saveexec_b32 s0, s30
	s_cbranch_execz .LBB543_96
.LBB543_129:
	s_waitcnt vmcnt(0)
	v_fma_f64 v[0:1], -v[44:45], v[131:132], v[129:130]
	v_add_co_u32 v2, vcc_lo, 0x1000, v4
	v_add_co_ci_u32_e32 v3, vcc_lo, 0, v5, vcc_lo
	global_store_b64 v[2:3], v[0:1], off offset:3584
	s_or_b32 exec_lo, exec_lo, s0
	s_delay_alu instid0(SALU_CYCLE_1)
	s_and_b32 exec_lo, exec_lo, s31
	s_cbranch_execnz .LBB543_97
	s_branch .LBB543_98
	.section	.rodata,"a",@progbits
	.p2align	6, 0x0
	.amdhsa_kernel _ZN12_GLOBAL__N_121softmax_warp_backwardIdddLi10ELb0ELb0ELi32EEEvPT0_PKT_S5_iiiPKb
		.amdhsa_group_segment_fixed_size 0
		.amdhsa_private_segment_fixed_size 0
		.amdhsa_kernarg_size 304
		.amdhsa_user_sgpr_count 15
		.amdhsa_user_sgpr_dispatch_ptr 0
		.amdhsa_user_sgpr_queue_ptr 0
		.amdhsa_user_sgpr_kernarg_segment_ptr 1
		.amdhsa_user_sgpr_dispatch_id 0
		.amdhsa_user_sgpr_private_segment_size 0
		.amdhsa_wavefront_size32 1
		.amdhsa_uses_dynamic_stack 0
		.amdhsa_enable_private_segment 0
		.amdhsa_system_sgpr_workgroup_id_x 1
		.amdhsa_system_sgpr_workgroup_id_y 0
		.amdhsa_system_sgpr_workgroup_id_z 0
		.amdhsa_system_sgpr_workgroup_info 0
		.amdhsa_system_vgpr_workitem_id 1
		.amdhsa_next_free_vgpr 136
		.amdhsa_next_free_sgpr 44
		.amdhsa_reserve_vcc 1
		.amdhsa_float_round_mode_32 0
		.amdhsa_float_round_mode_16_64 0
		.amdhsa_float_denorm_mode_32 3
		.amdhsa_float_denorm_mode_16_64 3
		.amdhsa_dx10_clamp 1
		.amdhsa_ieee_mode 1
		.amdhsa_fp16_overflow 0
		.amdhsa_workgroup_processor_mode 1
		.amdhsa_memory_ordered 1
		.amdhsa_forward_progress 0
		.amdhsa_shared_vgpr_count 0
		.amdhsa_exception_fp_ieee_invalid_op 0
		.amdhsa_exception_fp_denorm_src 0
		.amdhsa_exception_fp_ieee_div_zero 0
		.amdhsa_exception_fp_ieee_overflow 0
		.amdhsa_exception_fp_ieee_underflow 0
		.amdhsa_exception_fp_ieee_inexact 0
		.amdhsa_exception_int_div_zero 0
	.end_amdhsa_kernel
	.section	.text._ZN12_GLOBAL__N_121softmax_warp_backwardIdddLi10ELb0ELb0ELi32EEEvPT0_PKT_S5_iiiPKb,"axG",@progbits,_ZN12_GLOBAL__N_121softmax_warp_backwardIdddLi10ELb0ELb0ELi32EEEvPT0_PKT_S5_iiiPKb,comdat
.Lfunc_end543:
	.size	_ZN12_GLOBAL__N_121softmax_warp_backwardIdddLi10ELb0ELb0ELi32EEEvPT0_PKT_S5_iiiPKb, .Lfunc_end543-_ZN12_GLOBAL__N_121softmax_warp_backwardIdddLi10ELb0ELb0ELi32EEEvPT0_PKT_S5_iiiPKb
                                        ; -- End function
	.section	.AMDGPU.csdata,"",@progbits
; Kernel info:
; codeLenInByte = 5520
; NumSgprs: 46
; NumVgprs: 136
; ScratchSize: 0
; MemoryBound: 0
; FloatMode: 240
; IeeeMode: 1
; LDSByteSize: 0 bytes/workgroup (compile time only)
; SGPRBlocks: 5
; VGPRBlocks: 16
; NumSGPRsForWavesPerEU: 46
; NumVGPRsForWavesPerEU: 136
; Occupancy: 10
; WaveLimiterHint : 0
; COMPUTE_PGM_RSRC2:SCRATCH_EN: 0
; COMPUTE_PGM_RSRC2:USER_SGPR: 15
; COMPUTE_PGM_RSRC2:TRAP_HANDLER: 0
; COMPUTE_PGM_RSRC2:TGID_X_EN: 1
; COMPUTE_PGM_RSRC2:TGID_Y_EN: 0
; COMPUTE_PGM_RSRC2:TGID_Z_EN: 0
; COMPUTE_PGM_RSRC2:TIDIG_COMP_CNT: 1
	.section	.text._ZN2at6native12_GLOBAL__N_124cunn_SoftMaxBackwardSmemILi2EdddNS1_23SoftMaxBackwardEpilogueEEEvPT0_PKT2_S8_l,"axG",@progbits,_ZN2at6native12_GLOBAL__N_124cunn_SoftMaxBackwardSmemILi2EdddNS1_23SoftMaxBackwardEpilogueEEEvPT0_PKT2_S8_l,comdat
	.globl	_ZN2at6native12_GLOBAL__N_124cunn_SoftMaxBackwardSmemILi2EdddNS1_23SoftMaxBackwardEpilogueEEEvPT0_PKT2_S8_l ; -- Begin function _ZN2at6native12_GLOBAL__N_124cunn_SoftMaxBackwardSmemILi2EdddNS1_23SoftMaxBackwardEpilogueEEEvPT0_PKT2_S8_l
	.p2align	8
	.type	_ZN2at6native12_GLOBAL__N_124cunn_SoftMaxBackwardSmemILi2EdddNS1_23SoftMaxBackwardEpilogueEEEvPT0_PKT2_S8_l,@function
_ZN2at6native12_GLOBAL__N_124cunn_SoftMaxBackwardSmemILi2EdddNS1_23SoftMaxBackwardEpilogueEEEvPT0_PKT2_S8_l: ; @_ZN2at6native12_GLOBAL__N_124cunn_SoftMaxBackwardSmemILi2EdddNS1_23SoftMaxBackwardEpilogueEEEvPT0_PKT2_S8_l
; %bb.0:
	s_load_b256 s[4:11], s[0:1], 0x0
	v_dual_mov_b32 v2, 0 :: v_dual_lshlrev_b32 v1, 1, v0
	v_lshl_add_u32 v7, v0, 4, 0
	s_waitcnt lgkmcnt(0)
	s_delay_alu instid0(VALU_DEP_2)
	v_cmp_gt_i64_e32 vcc_lo, s[10:11], v[1:2]
	v_mov_b32_e32 v1, 0
	v_mov_b32_e32 v2, 0
	s_mul_i32 s2, s15, s11
	s_mul_hi_u32 s3, s15, s10
	s_mul_i32 s12, s15, s10
	s_add_i32 s13, s3, s2
	s_and_saveexec_b32 s3, vcc_lo
	s_cbranch_execz .LBB544_4
; %bb.1:
	s_load_b32 s2, s[0:1], 0x2c
	s_lshl_b64 s[14:15], s[12:13], 3
	v_mov_b32_e32 v1, 0
	s_add_u32 s8, s8, s14
	s_addc_u32 s9, s9, s15
	v_lshl_add_u32 v8, v0, 4, 0
	v_dual_mov_b32 v2, 0 :: v_dual_mov_b32 v5, v0
	s_mov_b32 s15, 0
	s_waitcnt lgkmcnt(0)
	s_and_b32 s14, s2, 0xffff
	s_delay_alu instid0(SALU_CYCLE_1)
	v_add_lshl_u32 v3, v0, s14, 1
	s_lshl_b32 s16, s14, 1
	s_lshl_b32 s17, s14, 4
	.p2align	6
.LBB544_2:                              ; =>This Inner Loop Header: Depth=1
	v_ashrrev_i32_e32 v6, 31, v5
	s_delay_alu instid0(VALU_DEP_2) | instskip(NEXT) | instid1(VALU_DEP_2)
	v_ashrrev_i32_e32 v4, 31, v3
	v_lshlrev_b64 v[9:10], 4, v[5:6]
	v_add_nc_u32_e32 v5, s14, v5
	s_delay_alu instid0(VALU_DEP_2) | instskip(NEXT) | instid1(VALU_DEP_1)
	v_add_co_u32 v9, s2, s8, v9
	v_add_co_ci_u32_e64 v10, s2, s9, v10, s2
	v_cmp_le_i64_e64 s2, s[10:11], v[3:4]
	v_add_nc_u32_e32 v3, s16, v3
	global_load_b128 v[9:12], v[9:10], off
	s_or_b32 s15, s2, s15
	s_waitcnt vmcnt(0)
	v_add_f64 v[1:2], v[1:2], v[9:10]
	ds_store_b128 v8, v[9:12]
	v_add_nc_u32_e32 v8, s17, v8
	v_add_f64 v[1:2], v[1:2], v[11:12]
	s_and_not1_b32 exec_lo, exec_lo, s15
	s_cbranch_execnz .LBB544_2
; %bb.3:
	s_or_b32 exec_lo, exec_lo, s15
.LBB544_4:
	s_delay_alu instid0(SALU_CYCLE_1)
	s_or_b32 exec_lo, exec_lo, s3
	v_mbcnt_lo_u32_b32 v10, -1, 0
	v_and_b32_e32 v11, 31, v0
	s_lshl_b32 s3, s10, 3
	s_mov_b32 s8, exec_lo
	s_add_i32 s3, s3, 0
	v_cmp_gt_u32_e64 s2, 16, v10
	s_waitcnt lgkmcnt(0)
	s_barrier
	buffer_gl0_inv
	v_cndmask_b32_e64 v3, 0, 1, s2
	v_cmp_gt_u32_e64 s2, 24, v10
	s_delay_alu instid0(VALU_DEP_2) | instskip(NEXT) | instid1(VALU_DEP_1)
	v_lshlrev_b32_e32 v3, 4, v3
	v_add_lshl_u32 v5, v3, v10, 2
	ds_bpermute_b32 v3, v5, v1
	ds_bpermute_b32 v4, v5, v2
	s_waitcnt lgkmcnt(0)
	v_add_f64 v[1:2], v[1:2], v[3:4]
	v_cndmask_b32_e64 v3, 0, 1, s2
	v_cmp_gt_u32_e64 s2, 28, v10
	s_delay_alu instid0(VALU_DEP_2) | instskip(NEXT) | instid1(VALU_DEP_1)
	v_lshlrev_b32_e32 v3, 3, v3
	v_add_lshl_u32 v6, v3, v10, 2
	ds_bpermute_b32 v3, v6, v1
	ds_bpermute_b32 v4, v6, v2
	s_waitcnt lgkmcnt(0)
	v_add_f64 v[1:2], v[1:2], v[3:4]
	v_cndmask_b32_e64 v3, 0, 1, s2
	v_cmp_gt_u32_e64 s2, 30, v10
	s_delay_alu instid0(VALU_DEP_2) | instskip(NEXT) | instid1(VALU_DEP_1)
	v_lshlrev_b32_e32 v3, 2, v3
	v_add_lshl_u32 v8, v3, v10, 2
	ds_bpermute_b32 v3, v8, v1
	ds_bpermute_b32 v4, v8, v2
	s_waitcnt lgkmcnt(0)
	v_add_f64 v[1:2], v[1:2], v[3:4]
	v_cndmask_b32_e64 v3, 0, 1, s2
	v_cmp_ne_u32_e64 s2, 31, v10
	s_delay_alu instid0(VALU_DEP_2) | instskip(NEXT) | instid1(VALU_DEP_1)
	v_lshlrev_b32_e32 v3, 1, v3
	v_add_lshl_u32 v9, v3, v10, 2
	ds_bpermute_b32 v3, v9, v1
	ds_bpermute_b32 v4, v9, v2
	s_waitcnt lgkmcnt(0)
	v_add_f64 v[1:2], v[1:2], v[3:4]
	v_add_co_ci_u32_e64 v3, s2, 0, v10, s2
	s_delay_alu instid0(VALU_DEP_1)
	v_lshlrev_b32_e32 v10, 2, v3
	ds_bpermute_b32 v3, v10, v1
	ds_bpermute_b32 v4, v10, v2
	v_cmpx_eq_u32_e32 0, v11
	s_cbranch_execz .LBB544_6
; %bb.5:
	s_waitcnt lgkmcnt(0)
	v_add_f64 v[1:2], v[1:2], v[3:4]
	v_lshrrev_b32_e32 v3, 2, v0
	s_delay_alu instid0(VALU_DEP_1)
	v_add_nc_u32_e32 v3, s3, v3
	ds_store_b64 v3, v[1:2]
.LBB544_6:
	s_or_b32 exec_lo, exec_lo, s8
	s_waitcnt lgkmcnt(0)
	s_barrier
	buffer_gl0_inv
	s_load_b32 s1, s[0:1], 0x2c
	v_mov_b32_e32 v1, 0
	v_mov_b32_e32 v2, 0
	s_mov_b32 s2, exec_lo
	s_waitcnt lgkmcnt(0)
	s_bfe_u32 s0, s1, 0xb0005
	s_delay_alu instid0(SALU_CYCLE_1)
	v_cmpx_gt_u32_e64 s0, v0
	s_cbranch_execz .LBB544_8
; %bb.7:
	v_lshl_add_u32 v1, v11, 3, s3
	ds_load_b64 v[1:2], v1
.LBB544_8:
	s_or_b32 exec_lo, exec_lo, s2
	s_delay_alu instid0(SALU_CYCLE_1)
	s_mov_b32 s2, exec_lo
	v_cmpx_gt_u32_e32 32, v0
	s_cbranch_execz .LBB544_10
; %bb.9:
	s_waitcnt lgkmcnt(0)
	ds_bpermute_b32 v3, v5, v1
	ds_bpermute_b32 v4, v5, v2
	s_waitcnt lgkmcnt(0)
	v_add_f64 v[1:2], v[1:2], v[3:4]
	ds_bpermute_b32 v3, v6, v1
	ds_bpermute_b32 v4, v6, v2
	s_waitcnt lgkmcnt(0)
	v_add_f64 v[1:2], v[1:2], v[3:4]
	;; [unrolled: 4-line block ×5, first 2 shown]
.LBB544_10:
	s_or_b32 exec_lo, exec_lo, s2
	s_delay_alu instid0(SALU_CYCLE_1)
	s_mov_b32 s2, exec_lo
	v_cmpx_eq_u32_e32 0, v0
	s_cbranch_execz .LBB544_12
; %bb.11:
	v_mov_b32_e32 v3, s3
	s_waitcnt lgkmcnt(0)
	ds_store_b64 v3, v[1:2]
.LBB544_12:
	s_or_b32 exec_lo, exec_lo, s2
	s_waitcnt lgkmcnt(0)
	s_barrier
	buffer_gl0_inv
	s_and_saveexec_b32 s0, vcc_lo
	s_cbranch_execz .LBB544_15
; %bb.13:
	v_mov_b32_e32 v1, s3
	s_lshl_b64 s[8:9], s[12:13], 3
	s_and_b32 s1, s1, 0xffff
	s_add_u32 s2, s4, s8
	v_add_lshl_u32 v4, v0, s1, 1
	ds_load_b64 v[2:3], v1
	s_addc_u32 s3, s5, s9
	s_add_u32 s4, s6, s8
	s_addc_u32 s5, s7, s9
	s_lshl_b32 s6, s1, 1
	s_mov_b32 s7, 0
	s_lshl_b32 s8, s1, 4
	.p2align	6
.LBB544_14:                             ; =>This Inner Loop Header: Depth=1
	v_ashrrev_i32_e32 v1, 31, v0
	ds_load_b128 v[12:15], v7
	v_add_nc_u32_e32 v7, s8, v7
	v_lshlrev_b64 v[16:17], 4, v[0:1]
	v_add_nc_u32_e32 v0, s1, v0
	s_delay_alu instid0(VALU_DEP_2) | instskip(NEXT) | instid1(VALU_DEP_3)
	v_add_co_u32 v5, vcc_lo, s4, v16
	v_add_co_ci_u32_e32 v6, vcc_lo, s5, v17, vcc_lo
	global_load_b128 v[8:11], v[5:6], off
	v_ashrrev_i32_e32 v5, 31, v4
	s_delay_alu instid0(VALU_DEP_1) | instskip(SKIP_1) | instid1(VALU_DEP_1)
	v_cmp_le_i64_e32 vcc_lo, s[10:11], v[4:5]
	v_add_co_u32 v5, s0, s2, v16
	v_add_co_ci_u32_e64 v6, s0, s3, v17, s0
	v_add_nc_u32_e32 v4, s6, v4
	s_or_b32 s7, vcc_lo, s7
	s_waitcnt vmcnt(0) lgkmcnt(0)
	v_fma_f64 v[8:9], -v[2:3], v[8:9], v[12:13]
	v_fma_f64 v[10:11], -v[2:3], v[10:11], v[14:15]
	global_store_b128 v[5:6], v[8:11], off
	s_and_not1_b32 exec_lo, exec_lo, s7
	s_cbranch_execnz .LBB544_14
.LBB544_15:
	s_nop 0
	s_sendmsg sendmsg(MSG_DEALLOC_VGPRS)
	s_endpgm
	.section	.rodata,"a",@progbits
	.p2align	6, 0x0
	.amdhsa_kernel _ZN2at6native12_GLOBAL__N_124cunn_SoftMaxBackwardSmemILi2EdddNS1_23SoftMaxBackwardEpilogueEEEvPT0_PKT2_S8_l
		.amdhsa_group_segment_fixed_size 0
		.amdhsa_private_segment_fixed_size 0
		.amdhsa_kernarg_size 288
		.amdhsa_user_sgpr_count 15
		.amdhsa_user_sgpr_dispatch_ptr 0
		.amdhsa_user_sgpr_queue_ptr 0
		.amdhsa_user_sgpr_kernarg_segment_ptr 1
		.amdhsa_user_sgpr_dispatch_id 0
		.amdhsa_user_sgpr_private_segment_size 0
		.amdhsa_wavefront_size32 1
		.amdhsa_uses_dynamic_stack 0
		.amdhsa_enable_private_segment 0
		.amdhsa_system_sgpr_workgroup_id_x 1
		.amdhsa_system_sgpr_workgroup_id_y 0
		.amdhsa_system_sgpr_workgroup_id_z 0
		.amdhsa_system_sgpr_workgroup_info 0
		.amdhsa_system_vgpr_workitem_id 0
		.amdhsa_next_free_vgpr 18
		.amdhsa_next_free_sgpr 18
		.amdhsa_reserve_vcc 1
		.amdhsa_float_round_mode_32 0
		.amdhsa_float_round_mode_16_64 0
		.amdhsa_float_denorm_mode_32 3
		.amdhsa_float_denorm_mode_16_64 3
		.amdhsa_dx10_clamp 1
		.amdhsa_ieee_mode 1
		.amdhsa_fp16_overflow 0
		.amdhsa_workgroup_processor_mode 1
		.amdhsa_memory_ordered 1
		.amdhsa_forward_progress 0
		.amdhsa_shared_vgpr_count 0
		.amdhsa_exception_fp_ieee_invalid_op 0
		.amdhsa_exception_fp_denorm_src 0
		.amdhsa_exception_fp_ieee_div_zero 0
		.amdhsa_exception_fp_ieee_overflow 0
		.amdhsa_exception_fp_ieee_underflow 0
		.amdhsa_exception_fp_ieee_inexact 0
		.amdhsa_exception_int_div_zero 0
	.end_amdhsa_kernel
	.section	.text._ZN2at6native12_GLOBAL__N_124cunn_SoftMaxBackwardSmemILi2EdddNS1_23SoftMaxBackwardEpilogueEEEvPT0_PKT2_S8_l,"axG",@progbits,_ZN2at6native12_GLOBAL__N_124cunn_SoftMaxBackwardSmemILi2EdddNS1_23SoftMaxBackwardEpilogueEEEvPT0_PKT2_S8_l,comdat
.Lfunc_end544:
	.size	_ZN2at6native12_GLOBAL__N_124cunn_SoftMaxBackwardSmemILi2EdddNS1_23SoftMaxBackwardEpilogueEEEvPT0_PKT2_S8_l, .Lfunc_end544-_ZN2at6native12_GLOBAL__N_124cunn_SoftMaxBackwardSmemILi2EdddNS1_23SoftMaxBackwardEpilogueEEEvPT0_PKT2_S8_l
                                        ; -- End function
	.section	.AMDGPU.csdata,"",@progbits
; Kernel info:
; codeLenInByte = 1132
; NumSgprs: 20
; NumVgprs: 18
; ScratchSize: 0
; MemoryBound: 0
; FloatMode: 240
; IeeeMode: 1
; LDSByteSize: 0 bytes/workgroup (compile time only)
; SGPRBlocks: 2
; VGPRBlocks: 2
; NumSGPRsForWavesPerEU: 20
; NumVGPRsForWavesPerEU: 18
; Occupancy: 16
; WaveLimiterHint : 0
; COMPUTE_PGM_RSRC2:SCRATCH_EN: 0
; COMPUTE_PGM_RSRC2:USER_SGPR: 15
; COMPUTE_PGM_RSRC2:TRAP_HANDLER: 0
; COMPUTE_PGM_RSRC2:TGID_X_EN: 1
; COMPUTE_PGM_RSRC2:TGID_Y_EN: 0
; COMPUTE_PGM_RSRC2:TGID_Z_EN: 0
; COMPUTE_PGM_RSRC2:TIDIG_COMP_CNT: 0
	.section	.text._ZN2at6native12_GLOBAL__N_120cunn_SoftMaxBackwardILi2EdddNS1_23SoftMaxBackwardEpilogueEEEvPT0_PKT2_S8_l,"axG",@progbits,_ZN2at6native12_GLOBAL__N_120cunn_SoftMaxBackwardILi2EdddNS1_23SoftMaxBackwardEpilogueEEEvPT0_PKT2_S8_l,comdat
	.globl	_ZN2at6native12_GLOBAL__N_120cunn_SoftMaxBackwardILi2EdddNS1_23SoftMaxBackwardEpilogueEEEvPT0_PKT2_S8_l ; -- Begin function _ZN2at6native12_GLOBAL__N_120cunn_SoftMaxBackwardILi2EdddNS1_23SoftMaxBackwardEpilogueEEEvPT0_PKT2_S8_l
	.p2align	8
	.type	_ZN2at6native12_GLOBAL__N_120cunn_SoftMaxBackwardILi2EdddNS1_23SoftMaxBackwardEpilogueEEEvPT0_PKT2_S8_l,@function
_ZN2at6native12_GLOBAL__N_120cunn_SoftMaxBackwardILi2EdddNS1_23SoftMaxBackwardEpilogueEEEvPT0_PKT2_S8_l: ; @_ZN2at6native12_GLOBAL__N_120cunn_SoftMaxBackwardILi2EdddNS1_23SoftMaxBackwardEpilogueEEEvPT0_PKT2_S8_l
; %bb.0:
	s_load_b256 s[4:11], s[0:1], 0x0
	s_waitcnt lgkmcnt(0)
	s_mul_i32 s3, s15, s11
	s_mul_hi_u32 s12, s15, s10
	s_mul_i32 s2, s15, s10
	s_add_i32 s3, s12, s3
	v_cmp_lt_i64_e64 s14, 0x7ffffffe, s[10:11]
	s_lshl_b64 s[16:17], s[2:3], 3
	s_delay_alu instid0(SALU_CYCLE_1)
	s_add_u32 s12, s8, s16
	s_addc_u32 s13, s9, s17
	s_bitcmp1_b32 s12, 3
	s_cselect_b32 s24, -1, 0
	s_and_b32 vcc_lo, exec_lo, s14
	s_cbranch_vccz .LBB545_5
; %bb.1:
	v_mov_b32_e32 v1, 0
	s_and_b32 vcc_lo, exec_lo, s24
	s_cbranch_vccz .LBB545_6
; %bb.2:
	v_mov_b32_e32 v2, 0
	v_mov_b32_e32 v3, 0
	s_mov_b32 s22, 0
	s_mov_b32 s2, exec_lo
	v_cmpx_ne_u32_e32 0, v0
	s_cbranch_execz .LBB545_4
; %bb.3:
	v_lshlrev_b32_e32 v2, 3, v0
	global_load_b64 v[2:3], v2, s[12:13] offset:-8
	s_waitcnt vmcnt(0)
	v_add_f64 v[2:3], v[2:3], 0
.LBB545_4:
	s_or_b32 exec_lo, exec_lo, s2
	s_load_b32 s18, s[0:1], 0x2c
	s_add_u32 s2, s0, 32
	s_addc_u32 s3, s1, 0
	s_waitcnt lgkmcnt(0)
	s_and_b32 s20, s18, 0xffff
	s_delay_alu instid0(SALU_CYCLE_1) | instskip(SKIP_4) | instid1(SALU_CYCLE_1)
	s_sub_u32 s18, s10, s20
	s_subb_u32 s19, s11, 0
	s_add_u32 s18, s18, 1
	s_addc_u32 s19, s19, 0
	s_lshl_b32 s20, s20, 3
	s_add_u32 s20, s12, s20
	s_addc_u32 s21, s13, 0
	s_add_u32 s20, s20, -8
	s_addc_u32 s21, s21, -1
	s_and_b32 vcc_lo, exec_lo, s22
	s_cbranch_vccnz .LBB545_7
	s_branch .LBB545_8
.LBB545_5:
                                        ; implicit-def: $vgpr2_vgpr3
	s_bfe_u32 s22, s12, 0x10003
	s_mov_b32 s23, 0
	s_cbranch_execnz .LBB545_18
	s_branch .LBB545_33
.LBB545_6:
                                        ; implicit-def: $sgpr20_sgpr21
                                        ; implicit-def: $sgpr18_sgpr19
                                        ; implicit-def: $vgpr2_vgpr3
                                        ; implicit-def: $sgpr2_sgpr3
	s_cbranch_execz .LBB545_8
.LBB545_7:
	v_mov_b32_e32 v2, 0
	v_mov_b32_e32 v3, 0
	s_add_u32 s2, s0, 32
	s_addc_u32 s3, s1, 0
	s_mov_b64 s[18:19], s[10:11]
	s_mov_b64 s[20:21], s[12:13]
.LBB545_8:
	s_load_b32 s22, s[2:3], 0x0
	v_mov_b32_e32 v4, 0
	s_mov_b32 s23, s19
	s_waitcnt lgkmcnt(0)
	s_cmp_lt_u32 s15, s22
	s_cselect_b32 s22, 12, 18
	s_delay_alu instid0(SALU_CYCLE_1)
	s_add_u32 s2, s2, s22
	s_addc_u32 s3, s3, 0
	s_mov_b32 s22, 0
	global_load_u16 v4, v4, s[2:3]
	s_waitcnt vmcnt(0)
	v_readfirstlane_b32 s2, v4
	v_and_b32_e32 v10, 0xffff, v4
	s_delay_alu instid0(VALU_DEP_2) | instskip(NEXT) | instid1(SALU_CYCLE_1)
	s_and_b32 s2, 0xffff, s2
	s_lshl_b32 s3, s2, 1
	s_cmp_lg_u64 s[22:23], 0
	s_cbranch_scc0 .LBB545_41
; %bb.9:
	v_cvt_f32_u32_e32 v4, s3
	s_sub_u32 s25, 0, s3
	s_subb_u32 s26, 0, 0
	s_delay_alu instid0(VALU_DEP_1) | instskip(NEXT) | instid1(VALU_DEP_1)
	v_fmamk_f32 v4, 0, 0x4f800000, v4
	v_rcp_f32_e32 v4, v4
	s_waitcnt_depctr 0xfff
	v_mul_f32_e32 v4, 0x5f7ffffc, v4
	s_delay_alu instid0(VALU_DEP_1) | instskip(NEXT) | instid1(VALU_DEP_1)
	v_mul_f32_e32 v5, 0x2f800000, v4
	v_trunc_f32_e32 v5, v5
	s_delay_alu instid0(VALU_DEP_1) | instskip(SKIP_1) | instid1(VALU_DEP_2)
	v_fmamk_f32 v4, v5, 0xcf800000, v4
	v_cvt_u32_f32_e32 v5, v5
	v_cvt_u32_f32_e32 v4, v4
	s_delay_alu instid0(VALU_DEP_2) | instskip(NEXT) | instid1(VALU_DEP_2)
	v_readfirstlane_b32 s2, v5
	v_readfirstlane_b32 s23, v4
	s_delay_alu instid0(VALU_DEP_2) | instskip(NEXT) | instid1(VALU_DEP_1)
	s_mul_i32 s27, s25, s2
	s_mul_hi_u32 s29, s25, s23
	s_mul_i32 s28, s26, s23
	s_add_i32 s27, s29, s27
	s_mul_i32 s30, s25, s23
	s_add_i32 s27, s27, s28
	s_mul_hi_u32 s29, s23, s30
	s_mul_hi_u32 s31, s2, s30
	s_mul_i32 s28, s2, s30
	s_mul_hi_u32 s30, s23, s27
	s_mul_i32 s23, s23, s27
	s_mul_hi_u32 s33, s2, s27
	s_add_u32 s23, s29, s23
	s_addc_u32 s29, 0, s30
	s_add_u32 s23, s23, s28
	s_mul_i32 s27, s2, s27
	s_addc_u32 s23, s29, s31
	s_addc_u32 s28, s33, 0
	s_add_u32 s23, s23, s27
	s_addc_u32 s27, 0, s28
	v_add_co_u32 v4, s23, v4, s23
	s_delay_alu instid0(VALU_DEP_1) | instskip(SKIP_1) | instid1(VALU_DEP_1)
	s_cmp_lg_u32 s23, 0
	s_addc_u32 s2, s2, s27
	v_readfirstlane_b32 s23, v4
	s_mul_i32 s27, s25, s2
	s_delay_alu instid0(VALU_DEP_1)
	s_mul_hi_u32 s28, s25, s23
	s_mul_i32 s26, s26, s23
	s_add_i32 s27, s28, s27
	s_mul_i32 s25, s25, s23
	s_add_i32 s27, s27, s26
	s_mul_hi_u32 s28, s2, s25
	s_mul_i32 s29, s2, s25
	s_mul_hi_u32 s25, s23, s25
	s_mul_hi_u32 s30, s23, s27
	s_mul_i32 s23, s23, s27
	s_mul_hi_u32 s26, s2, s27
	s_add_u32 s23, s25, s23
	s_addc_u32 s25, 0, s30
	s_add_u32 s23, s23, s29
	s_mul_i32 s27, s2, s27
	s_addc_u32 s23, s25, s28
	s_addc_u32 s25, s26, 0
	s_add_u32 s23, s23, s27
	s_addc_u32 s25, 0, s25
	v_add_co_u32 v4, s23, v4, s23
	s_delay_alu instid0(VALU_DEP_1) | instskip(SKIP_1) | instid1(VALU_DEP_1)
	s_cmp_lg_u32 s23, 0
	s_addc_u32 s2, s2, s25
	v_readfirstlane_b32 s23, v4
	s_mul_i32 s26, s18, s2
	s_mul_hi_u32 s25, s18, s2
	s_mul_hi_u32 s27, s19, s2
	s_mul_i32 s2, s19, s2
	s_mul_hi_u32 s28, s18, s23
	s_mul_hi_u32 s29, s19, s23
	s_mul_i32 s23, s19, s23
	s_add_u32 s26, s28, s26
	s_addc_u32 s25, 0, s25
	s_add_u32 s23, s26, s23
	s_addc_u32 s23, s25, s29
	s_addc_u32 s25, s27, 0
	s_add_u32 s2, s23, s2
	s_addc_u32 s23, 0, s25
	s_mul_hi_u32 s25, s3, s2
	s_mul_i32 s2, s3, s2
	s_mul_i32 s23, s3, s23
	v_sub_co_u32 v4, s2, s18, s2
	s_add_i32 s25, s25, s23
	s_cmp_lg_u32 s2, 0
	s_delay_alu instid0(VALU_DEP_1) | instskip(SKIP_2) | instid1(VALU_DEP_1)
	v_sub_co_u32 v5, s2, v4, s3
	s_subb_u32 s23, s19, s25
	s_cmp_lg_u32 s2, 0
	v_cmp_le_u32_e32 vcc_lo, s3, v5
	v_sub_co_u32 v6, s2, v5, s3
	s_subb_u32 s25, s23, 0
	s_cmp_lg_u32 s2, 0
	v_cndmask_b32_e64 v7, 0, -1, vcc_lo
	s_subb_u32 s2, s25, 0
	s_cmp_eq_u32 s25, 0
	v_mov_b32_e32 v9, s2
	s_cselect_b32 vcc_lo, -1, 0
	s_cmp_eq_u32 s23, 0
	v_cndmask_b32_e32 v7, -1, v7, vcc_lo
	v_cmp_le_u32_e32 vcc_lo, s3, v4
	s_cselect_b32 s2, -1, 0
	v_cndmask_b32_e64 v8, 0, -1, vcc_lo
	s_delay_alu instid0(VALU_DEP_3) | instskip(NEXT) | instid1(VALU_DEP_2)
	v_cmp_ne_u32_e32 vcc_lo, 0, v7
	v_cndmask_b32_e64 v7, -1, v8, s2
	v_cndmask_b32_e32 v8, s25, v9, vcc_lo
	v_cndmask_b32_e32 v6, v5, v6, vcc_lo
	s_delay_alu instid0(VALU_DEP_3) | instskip(NEXT) | instid1(VALU_DEP_2)
	v_cmp_ne_u32_e32 vcc_lo, 0, v7
	v_cndmask_b32_e32 v4, v4, v6, vcc_lo
	s_delay_alu instid0(VALU_DEP_4)
	v_cndmask_b32_e32 v5, s23, v8, vcc_lo
	s_and_not1_b32 vcc_lo, exec_lo, s22
	s_cbranch_vccnz .LBB545_11
.LBB545_10:
	v_cvt_f32_u32_e32 v4, s3
	s_sub_i32 s2, 0, s3
	s_delay_alu instid0(VALU_DEP_1) | instskip(SKIP_2) | instid1(VALU_DEP_1)
	v_rcp_iflag_f32_e32 v4, v4
	s_waitcnt_depctr 0xfff
	v_mul_f32_e32 v4, 0x4f7ffffe, v4
	v_cvt_u32_f32_e32 v4, v4
	s_delay_alu instid0(VALU_DEP_1) | instskip(NEXT) | instid1(VALU_DEP_1)
	v_mul_lo_u32 v5, s2, v4
	v_mul_hi_u32 v5, v4, v5
	s_delay_alu instid0(VALU_DEP_1) | instskip(NEXT) | instid1(VALU_DEP_1)
	v_add_nc_u32_e32 v4, v4, v5
	v_mul_hi_u32 v4, s18, v4
	s_delay_alu instid0(VALU_DEP_1) | instskip(NEXT) | instid1(VALU_DEP_1)
	v_mul_lo_u32 v4, v4, s3
	v_sub_nc_u32_e32 v4, s18, v4
	s_delay_alu instid0(VALU_DEP_1) | instskip(SKIP_1) | instid1(VALU_DEP_2)
	v_subrev_nc_u32_e32 v5, s3, v4
	v_cmp_le_u32_e32 vcc_lo, s3, v4
	v_cndmask_b32_e32 v4, v4, v5, vcc_lo
	s_delay_alu instid0(VALU_DEP_1) | instskip(SKIP_1) | instid1(VALU_DEP_2)
	v_subrev_nc_u32_e32 v5, s3, v4
	v_cmp_le_u32_e32 vcc_lo, s3, v4
	v_dual_cndmask_b32 v4, v4, v5 :: v_dual_mov_b32 v5, 0
.LBB545_11:
	v_dual_mov_b32 v9, v1 :: v_dual_lshlrev_b32 v6, 4, v0
	s_delay_alu instid0(VALU_DEP_2) | instskip(NEXT) | instid1(VALU_DEP_3)
	v_sub_co_u32 v4, vcc_lo, s18, v4
	v_sub_co_ci_u32_e32 v5, vcc_lo, s19, v5, vcc_lo
	s_delay_alu instid0(VALU_DEP_3) | instskip(NEXT) | instid1(VALU_DEP_1)
	v_add_co_u32 v6, s2, v6, s20
	v_add_co_ci_u32_e64 v7, null, 0, s21, s2
	v_dual_mov_b32 v8, v0 :: v_dual_lshlrev_b32 v11, 4, v10
	s_delay_alu instid0(VALU_DEP_3) | instskip(NEXT) | instid1(VALU_DEP_3)
	v_add_co_u32 v6, vcc_lo, v6, 8
	v_add_co_ci_u32_e32 v7, vcc_lo, 0, v7, vcc_lo
	s_mov_b32 s3, 0
	.p2align	6
.LBB545_12:                             ; =>This Inner Loop Header: Depth=1
	global_load_b128 v[12:15], v[6:7], off offset:-8
	v_add_co_u32 v8, vcc_lo, v8, v10
	v_add_co_ci_u32_e32 v9, vcc_lo, 0, v9, vcc_lo
	v_add_co_u32 v6, s2, v6, v11
	s_delay_alu instid0(VALU_DEP_1) | instskip(SKIP_3) | instid1(VALU_DEP_1)
	v_add_co_ci_u32_e64 v7, s2, 0, v7, s2
	s_waitcnt vmcnt(0)
	v_add_f64 v[1:2], v[2:3], v[12:13]
	v_lshlrev_b64 v[12:13], 1, v[8:9]
	v_cmp_ge_i64_e32 vcc_lo, v[12:13], v[4:5]
	s_or_b32 s3, vcc_lo, s3
	s_delay_alu instid0(VALU_DEP_3)
	v_add_f64 v[2:3], v[1:2], v[14:15]
	s_and_not1_b32 exec_lo, exec_lo, s3
	s_cbranch_execnz .LBB545_12
; %bb.13:
	s_or_b32 exec_lo, exec_lo, s3
	v_add_co_u32 v4, vcc_lo, v4, v0
	v_add_co_ci_u32_e32 v5, vcc_lo, 0, v5, vcc_lo
	s_mov_b32 s2, exec_lo
	s_delay_alu instid0(VALU_DEP_1)
	v_cmpx_gt_i64_e64 s[18:19], v[4:5]
	s_cbranch_execz .LBB545_17
; %bb.14:
	s_mov_b32 s3, 0
.LBB545_15:                             ; =>This Inner Loop Header: Depth=1
	v_lshlrev_b64 v[6:7], 3, v[4:5]
	s_delay_alu instid0(VALU_DEP_1) | instskip(NEXT) | instid1(VALU_DEP_2)
	v_add_co_u32 v6, vcc_lo, s20, v6
	v_add_co_ci_u32_e32 v7, vcc_lo, s21, v7, vcc_lo
	v_add_co_u32 v4, vcc_lo, v4, v10
	v_add_co_ci_u32_e32 v5, vcc_lo, 0, v5, vcc_lo
	global_load_b64 v[6:7], v[6:7], off
	v_cmp_le_i64_e32 vcc_lo, s[18:19], v[4:5]
	s_or_b32 s3, vcc_lo, s3
	s_waitcnt vmcnt(0)
	v_add_f64 v[2:3], v[2:3], v[6:7]
	s_and_not1_b32 exec_lo, exec_lo, s3
	s_cbranch_execnz .LBB545_15
; %bb.16:
	s_or_b32 exec_lo, exec_lo, s3
.LBB545_17:
	s_delay_alu instid0(SALU_CYCLE_1)
	s_or_b32 exec_lo, exec_lo, s2
	s_bfe_u32 s22, s12, 0x10003
	s_mov_b32 s23, 0
	s_branch .LBB545_33
.LBB545_18:
	s_and_b32 vcc_lo, exec_lo, s24
	s_cbranch_vccz .LBB545_22
; %bb.19:
	v_cmp_ne_u32_e32 vcc_lo, 0, v0
	v_cmp_ge_i32_e64 s2, s10, v0
	v_mov_b32_e32 v2, 0
	v_mov_b32_e32 v3, 0
	s_mov_b32 s21, 0
	s_delay_alu instid0(VALU_DEP_3) | instskip(NEXT) | instid1(SALU_CYCLE_1)
	s_and_b32 s3, vcc_lo, s2
	s_and_saveexec_b32 s2, s3
	s_cbranch_execz .LBB545_21
; %bb.20:
	v_lshlrev_b32_e32 v1, 3, v0
	global_load_b64 v[1:2], v1, s[12:13] offset:-8
	s_waitcnt vmcnt(0)
	v_add_f64 v[2:3], v[1:2], 0
.LBB545_21:
	s_or_b32 exec_lo, exec_lo, s2
	s_load_b32 s2, s[0:1], 0x2c
	s_add_i32 s3, s10, 1
	s_add_u32 s18, s0, 32
	s_addc_u32 s19, s1, 0
	s_waitcnt lgkmcnt(0)
	s_and_b32 s2, s2, 0xffff
	s_delay_alu instid0(SALU_CYCLE_1) | instskip(SKIP_1) | instid1(SALU_CYCLE_1)
	v_sub_nc_u32_e64 v1, s3, s2 clamp
	s_lshl_b32 s2, s2, 3
	s_add_u32 s2, s12, s2
	s_addc_u32 s3, s13, 0
	s_add_u32 s2, s2, -8
	v_readfirstlane_b32 s20, v1
	s_addc_u32 s3, s3, -1
	s_and_b32 vcc_lo, exec_lo, s21
	s_cbranch_vccnz .LBB545_23
	s_branch .LBB545_24
.LBB545_22:
                                        ; implicit-def: $sgpr2_sgpr3
                                        ; implicit-def: $sgpr20
                                        ; implicit-def: $vgpr2_vgpr3
                                        ; implicit-def: $sgpr18_sgpr19
	s_cbranch_execz .LBB545_24
.LBB545_23:
	v_mov_b32_e32 v2, 0
	v_mov_b32_e32 v3, 0
	s_add_u32 s18, s0, 32
	s_addc_u32 s19, s1, 0
	s_mov_b32 s20, s10
	s_mov_b64 s[2:3], s[12:13]
.LBB545_24:
	s_load_b32 s21, s[18:19], 0x0
	v_mov_b32_e32 v1, 0
	s_waitcnt lgkmcnt(0)
	s_cmp_lt_u32 s15, s21
	s_cselect_b32 s21, 12, 18
	s_delay_alu instid0(SALU_CYCLE_1) | instskip(SKIP_4) | instid1(VALU_DEP_1)
	s_add_u32 s18, s18, s21
	s_addc_u32 s19, s19, 0
	global_load_u16 v1, v1, s[18:19]
	s_waitcnt vmcnt(0)
	v_readfirstlane_b32 s18, v1
	s_lshl_b32 s18, s18, 1
	s_delay_alu instid0(SALU_CYCLE_1) | instskip(SKIP_1) | instid1(VALU_DEP_1)
	v_cvt_f32_u32_e32 v4, s18
	s_sub_i32 s21, 0, s18
	v_rcp_iflag_f32_e32 v4, v4
	s_waitcnt_depctr 0xfff
	v_mul_f32_e32 v4, 0x4f7ffffe, v4
	s_delay_alu instid0(VALU_DEP_1) | instskip(NEXT) | instid1(VALU_DEP_1)
	v_cvt_u32_f32_e32 v4, v4
	v_readfirstlane_b32 s19, v4
	v_lshlrev_b32_e32 v4, 1, v0
	s_delay_alu instid0(VALU_DEP_2) | instskip(NEXT) | instid1(SALU_CYCLE_1)
	s_mul_i32 s21, s21, s19
	s_mul_hi_u32 s21, s19, s21
	s_delay_alu instid0(SALU_CYCLE_1) | instskip(NEXT) | instid1(SALU_CYCLE_1)
	s_add_i32 s19, s19, s21
	s_mul_hi_u32 s19, s20, s19
	s_delay_alu instid0(SALU_CYCLE_1) | instskip(NEXT) | instid1(SALU_CYCLE_1)
	s_mul_i32 s19, s19, s18
	s_sub_i32 s19, s20, s19
	s_delay_alu instid0(SALU_CYCLE_1) | instskip(SKIP_2) | instid1(SALU_CYCLE_1)
	s_sub_i32 s21, s19, s18
	s_cmp_ge_u32 s19, s18
	s_cselect_b32 s19, s21, s19
	s_sub_i32 s21, s19, s18
	s_cmp_ge_u32 s19, s18
	s_cselect_b32 s18, s21, s19
	s_mov_b32 s21, 0
	s_sub_i32 s18, s20, s18
	s_mov_b32 s19, exec_lo
	v_cmpx_gt_i32_e64 s18, v4
	s_cbranch_execz .LBB545_28
; %bb.25:
	v_mov_b32_e32 v4, v0
	.p2align	6
.LBB545_26:                             ; =>This Inner Loop Header: Depth=1
	s_delay_alu instid0(VALU_DEP_1) | instskip(NEXT) | instid1(VALU_DEP_1)
	v_ashrrev_i32_e32 v5, 31, v4
	v_lshlrev_b64 v[5:6], 4, v[4:5]
	v_add_nc_u32_e32 v4, v4, v1
	s_delay_alu instid0(VALU_DEP_2) | instskip(NEXT) | instid1(VALU_DEP_3)
	v_add_co_u32 v5, vcc_lo, s2, v5
	v_add_co_ci_u32_e32 v6, vcc_lo, s3, v6, vcc_lo
	global_load_b128 v[5:8], v[5:6], off
	s_waitcnt vmcnt(0)
	v_add_f64 v[2:3], v[2:3], v[5:6]
	v_lshlrev_b32_e32 v5, 1, v4
	s_delay_alu instid0(VALU_DEP_1) | instskip(SKIP_1) | instid1(VALU_DEP_3)
	v_cmp_le_i32_e32 vcc_lo, s18, v5
	s_or_b32 s21, vcc_lo, s21
	v_add_f64 v[2:3], v[2:3], v[7:8]
	s_and_not1_b32 exec_lo, exec_lo, s21
	s_cbranch_execnz .LBB545_26
; %bb.27:
	s_or_b32 exec_lo, exec_lo, s21
.LBB545_28:
	s_delay_alu instid0(SALU_CYCLE_1) | instskip(SKIP_2) | instid1(VALU_DEP_1)
	s_or_b32 exec_lo, exec_lo, s19
	v_add_nc_u32_e32 v4, s18, v0
	s_mov_b32 s18, exec_lo
	v_cmpx_gt_i32_e64 s20, v4
	s_cbranch_execz .LBB545_32
; %bb.29:
	s_mov_b32 s19, 0
.LBB545_30:                             ; =>This Inner Loop Header: Depth=1
	v_ashrrev_i32_e32 v5, 31, v4
	s_delay_alu instid0(VALU_DEP_1) | instskip(SKIP_1) | instid1(VALU_DEP_2)
	v_lshlrev_b64 v[5:6], 3, v[4:5]
	v_add_nc_u32_e32 v4, v4, v1
	v_add_co_u32 v5, vcc_lo, s2, v5
	s_delay_alu instid0(VALU_DEP_3) | instskip(NEXT) | instid1(VALU_DEP_3)
	v_add_co_ci_u32_e32 v6, vcc_lo, s3, v6, vcc_lo
	v_cmp_le_i32_e32 vcc_lo, s20, v4
	global_load_b64 v[5:6], v[5:6], off
	s_or_b32 s19, vcc_lo, s19
	s_waitcnt vmcnt(0)
	v_add_f64 v[2:3], v[2:3], v[5:6]
	s_and_not1_b32 exec_lo, exec_lo, s19
	s_cbranch_execnz .LBB545_30
; %bb.31:
	s_or_b32 exec_lo, exec_lo, s19
.LBB545_32:
	s_delay_alu instid0(SALU_CYCLE_1)
	s_or_b32 exec_lo, exec_lo, s18
.LBB545_33:
	v_lshl_add_u32 v1, v0, 3, 0
	s_barrier
	buffer_gl0_inv
	s_add_u32 s2, s0, 32
	ds_store_b64 v1, v[2:3]
	s_waitcnt lgkmcnt(0)
	s_barrier
	buffer_gl0_inv
	s_load_b32 s18, s[0:1], 0x2c
	s_addc_u32 s3, s1, 0
	s_waitcnt lgkmcnt(0)
	s_bfe_u32 s1, s18, 0xb0005
	s_delay_alu instid0(SALU_CYCLE_1) | instskip(NEXT) | instid1(SALU_CYCLE_1)
	s_min_u32 s0, s1, 32
	v_cmp_gt_u32_e32 vcc_lo, s0, v0
	s_and_saveexec_b32 s0, vcc_lo
	s_cbranch_execz .LBB545_35
; %bb.34:
	v_mad_u32_u24 v12, 0xf8, v0, v1
	ds_load_2addr_b64 v[2:5], v12 offset1:1
	ds_load_2addr_b64 v[6:9], v12 offset0:2 offset1:3
	s_waitcnt lgkmcnt(1)
	v_add_f64 v[2:3], v[2:3], 0
	s_delay_alu instid0(VALU_DEP_1) | instskip(SKIP_1) | instid1(VALU_DEP_1)
	v_add_f64 v[2:3], v[2:3], v[4:5]
	s_waitcnt lgkmcnt(0)
	v_add_f64 v[2:3], v[2:3], v[6:7]
	s_delay_alu instid0(VALU_DEP_1) | instskip(SKIP_4) | instid1(VALU_DEP_1)
	v_add_f64 v[10:11], v[2:3], v[8:9]
	ds_load_2addr_b64 v[2:5], v12 offset0:4 offset1:5
	ds_load_2addr_b64 v[6:9], v12 offset0:6 offset1:7
	s_waitcnt lgkmcnt(1)
	v_add_f64 v[2:3], v[10:11], v[2:3]
	v_add_f64 v[2:3], v[2:3], v[4:5]
	s_waitcnt lgkmcnt(0)
	s_delay_alu instid0(VALU_DEP_1) | instskip(NEXT) | instid1(VALU_DEP_1)
	v_add_f64 v[2:3], v[2:3], v[6:7]
	v_add_f64 v[10:11], v[2:3], v[8:9]
	ds_load_2addr_b64 v[2:5], v12 offset0:8 offset1:9
	ds_load_2addr_b64 v[6:9], v12 offset0:10 offset1:11
	s_waitcnt lgkmcnt(1)
	v_add_f64 v[2:3], v[10:11], v[2:3]
	s_delay_alu instid0(VALU_DEP_1) | instskip(SKIP_1) | instid1(VALU_DEP_1)
	v_add_f64 v[2:3], v[2:3], v[4:5]
	s_waitcnt lgkmcnt(0)
	v_add_f64 v[2:3], v[2:3], v[6:7]
	s_delay_alu instid0(VALU_DEP_1) | instskip(SKIP_4) | instid1(VALU_DEP_1)
	v_add_f64 v[10:11], v[2:3], v[8:9]
	ds_load_2addr_b64 v[2:5], v12 offset0:12 offset1:13
	ds_load_2addr_b64 v[6:9], v12 offset0:14 offset1:15
	s_waitcnt lgkmcnt(1)
	v_add_f64 v[2:3], v[10:11], v[2:3]
	v_add_f64 v[2:3], v[2:3], v[4:5]
	s_waitcnt lgkmcnt(0)
	s_delay_alu instid0(VALU_DEP_1) | instskip(NEXT) | instid1(VALU_DEP_1)
	v_add_f64 v[2:3], v[2:3], v[6:7]
	v_add_f64 v[10:11], v[2:3], v[8:9]
	ds_load_2addr_b64 v[2:5], v12 offset0:16 offset1:17
	;; [unrolled: 19-line block ×3, first 2 shown]
	ds_load_2addr_b64 v[6:9], v12 offset0:26 offset1:27
	s_waitcnt lgkmcnt(1)
	v_add_f64 v[2:3], v[10:11], v[2:3]
	s_delay_alu instid0(VALU_DEP_1) | instskip(SKIP_1) | instid1(VALU_DEP_1)
	v_add_f64 v[2:3], v[2:3], v[4:5]
	s_waitcnt lgkmcnt(0)
	v_add_f64 v[2:3], v[2:3], v[6:7]
	s_delay_alu instid0(VALU_DEP_1) | instskip(SKIP_4) | instid1(VALU_DEP_1)
	v_add_f64 v[10:11], v[2:3], v[8:9]
	ds_load_2addr_b64 v[2:5], v12 offset0:28 offset1:29
	ds_load_2addr_b64 v[6:9], v12 offset0:30 offset1:31
	s_waitcnt lgkmcnt(1)
	v_add_f64 v[2:3], v[10:11], v[2:3]
	v_add_f64 v[2:3], v[2:3], v[4:5]
	s_waitcnt lgkmcnt(0)
	s_delay_alu instid0(VALU_DEP_1) | instskip(NEXT) | instid1(VALU_DEP_1)
	v_add_f64 v[2:3], v[2:3], v[6:7]
	v_add_f64 v[2:3], v[2:3], v[8:9]
	ds_store_b64 v1, v[2:3]
.LBB545_35:
	s_or_b32 exec_lo, exec_lo, s0
	v_cmp_ne_u32_e64 s0, 0, v0
	s_and_b32 s33, s18, 0xffff
	s_mov_b32 s18, exec_lo
	s_waitcnt lgkmcnt(0)
	s_barrier
	buffer_gl0_inv
	v_cmpx_eq_u32_e32 0, v0
	s_cbranch_execz .LBB545_46
; %bb.36:
	v_mov_b32_e32 v1, 0
	v_mov_b32_e32 v2, 0
	s_cmp_lt_u32 s33, 32
	s_cbranch_scc1 .LBB545_45
; %bb.37:
	v_mov_b32_e32 v1, 0
	v_mov_b32_e32 v2, 0
	s_add_i32 s19, s1, -1
	s_delay_alu instid0(SALU_CYCLE_1)
	s_cmp_lt_u32 s19, 7
	s_cbranch_scc1 .LBB545_42
; %bb.38:
	s_and_b32 s19, s1, 0x7f8
	s_mov_b32 s20, 0
	s_mov_b32 s21, 0
	.p2align	6
.LBB545_39:                             ; =>This Inner Loop Header: Depth=1
	s_delay_alu instid0(SALU_CYCLE_1)
	v_mov_b32_e32 v11, s21
	s_add_i32 s20, s20, 8
	s_add_i32 s21, s21, 64
	s_cmp_eq_u32 s19, s20
	ds_load_2addr_b64 v[3:6], v11 offset1:1
	ds_load_2addr_b64 v[7:10], v11 offset0:2 offset1:3
	s_waitcnt lgkmcnt(1)
	v_add_f64 v[1:2], v[1:2], v[3:4]
	s_delay_alu instid0(VALU_DEP_1) | instskip(SKIP_1) | instid1(VALU_DEP_1)
	v_add_f64 v[1:2], v[1:2], v[5:6]
	s_waitcnt lgkmcnt(0)
	v_add_f64 v[1:2], v[1:2], v[7:8]
	s_delay_alu instid0(VALU_DEP_1) | instskip(SKIP_4) | instid1(VALU_DEP_1)
	v_add_f64 v[9:10], v[1:2], v[9:10]
	ds_load_2addr_b64 v[1:4], v11 offset0:4 offset1:5
	ds_load_2addr_b64 v[5:8], v11 offset0:6 offset1:7
	s_waitcnt lgkmcnt(1)
	v_add_f64 v[1:2], v[9:10], v[1:2]
	v_add_f64 v[1:2], v[1:2], v[3:4]
	s_waitcnt lgkmcnt(0)
	s_delay_alu instid0(VALU_DEP_1) | instskip(NEXT) | instid1(VALU_DEP_1)
	v_add_f64 v[1:2], v[1:2], v[5:6]
	v_add_f64 v[1:2], v[1:2], v[7:8]
	s_cbranch_scc0 .LBB545_39
; %bb.40:
	s_and_b32 s1, s1, 7
	s_delay_alu instid0(SALU_CYCLE_1)
	s_cmp_eq_u32 s1, 0
	s_cbranch_scc0 .LBB545_43
	s_branch .LBB545_45
.LBB545_41:
                                        ; implicit-def: $vgpr4_vgpr5
	s_branch .LBB545_10
.LBB545_42:
	s_mov_b32 s19, 0
	s_and_b32 s1, s1, 7
	s_delay_alu instid0(SALU_CYCLE_1)
	s_cmp_eq_u32 s1, 0
	s_cbranch_scc1 .LBB545_45
.LBB545_43:
	s_lshl_b32 s19, s19, 3
	s_delay_alu instid0(SALU_CYCLE_1)
	s_add_i32 s19, s19, 0
.LBB545_44:                             ; =>This Inner Loop Header: Depth=1
	s_delay_alu instid0(SALU_CYCLE_1)
	v_mov_b32_e32 v3, s19
	s_add_i32 s1, s1, -1
	s_add_i32 s19, s19, 8
	s_cmp_lg_u32 s1, 0
	ds_load_b64 v[3:4], v3
	s_waitcnt lgkmcnt(0)
	v_add_f64 v[1:2], v[1:2], v[3:4]
	s_cbranch_scc1 .LBB545_44
.LBB545_45:
	v_mov_b32_e32 v3, 0
	ds_store_b64 v3, v[1:2]
.LBB545_46:
	s_or_b32 exec_lo, exec_lo, s18
	v_mov_b32_e32 v1, 0
	s_waitcnt lgkmcnt(0)
	s_barrier
	buffer_gl0_inv
	s_add_u32 s18, s4, s16
	ds_load_b64 v[2:3], v1
	s_addc_u32 s19, s5, s17
	s_add_u32 s20, s6, s16
	s_mov_b32 s25, 0
	s_addc_u32 s21, s7, s17
	s_bfe_u32 s24, s18, 0x10003
	s_bfe_u32 s26, s20, 0x10003
	s_mov_b32 s27, s25
	s_delay_alu instid0(SALU_CYCLE_1) | instskip(SKIP_3) | instid1(SALU_CYCLE_1)
	s_cmp_eq_u64 s[24:25], s[26:27]
	s_cselect_b32 s1, -1, 0
	s_cmp_eq_u64 s[24:25], s[22:23]
	s_cselect_b32 s22, -1, 0
	s_and_b32 s1, s1, s22
	s_delay_alu instid0(SALU_CYCLE_1)
	s_and_not1_b32 vcc_lo, exec_lo, s1
	s_mov_b32 s1, -1
	s_cbranch_vccz .LBB545_65
; %bb.47:
	s_and_b32 vcc_lo, exec_lo, s14
	s_cbranch_vccz .LBB545_56
; %bb.48:
	s_lshl_b32 s1, s33, 1
	s_mov_b32 s37, 0
	v_cvt_f32_u32_e32 v1, s1
	s_sub_i32 s23, 0, s1
	s_mov_b32 s36, exec_lo
	s_delay_alu instid0(VALU_DEP_1) | instskip(SKIP_2) | instid1(VALU_DEP_1)
	v_rcp_iflag_f32_e32 v1, v1
	s_waitcnt_depctr 0xfff
	v_mul_f32_e32 v1, 0x4f7ffffe, v1
	v_cvt_u32_f32_e32 v1, v1
	s_delay_alu instid0(VALU_DEP_1) | instskip(SKIP_1) | instid1(VALU_DEP_2)
	v_readfirstlane_b32 s22, v1
	v_mov_b32_e32 v1, 0
	s_mul_i32 s23, s23, s22
	s_delay_alu instid0(VALU_DEP_1) | instskip(SKIP_1) | instid1(SALU_CYCLE_1)
	v_dual_mov_b32 v5, v1 :: v_dual_mov_b32 v4, v0
	s_mul_hi_u32 s23, s22, s23
	s_add_i32 s22, s22, s23
	s_delay_alu instid0(SALU_CYCLE_1) | instskip(NEXT) | instid1(SALU_CYCLE_1)
	s_mul_hi_u32 s22, s10, s22
	s_mul_i32 s22, s22, s1
	s_delay_alu instid0(SALU_CYCLE_1) | instskip(NEXT) | instid1(SALU_CYCLE_1)
	s_sub_i32 s22, s10, s22
	s_sub_i32 s23, s22, s1
	s_cmp_ge_u32 s22, s1
	s_cselect_b32 s22, s23, s22
	s_delay_alu instid0(SALU_CYCLE_1) | instskip(SKIP_3) | instid1(SALU_CYCLE_1)
	s_sub_i32 s23, s22, s1
	s_cmp_ge_u32 s22, s1
	s_cselect_b32 s26, s23, s22
	s_bfe_i64 s[22:23], s[10:11], 0x200000
	s_sub_u32 s26, s22, s26
	s_subb_u32 s27, s23, 0
	s_delay_alu instid0(SALU_CYCLE_1)
	v_cmpx_gt_i64_e64 s[26:27], v[0:1]
	s_cbranch_execz .LBB545_52
; %bb.49:
	s_lshl_b32 s28, s33, 3
	s_lshl_b32 s38, s33, 4
	s_add_u32 s28, s16, s28
	s_addc_u32 s29, s17, 0
	s_add_u32 s39, s6, s28
	v_lshlrev_b64 v[6:7], 3, v[0:1]
	s_addc_u32 s40, s7, s29
	s_add_u32 s41, s8, s28
	v_dual_mov_b32 v5, v1 :: v_dual_mov_b32 v4, v0
	s_addc_u32 s42, s9, s29
	s_add_u32 s43, s4, s28
	s_addc_u32 s44, s5, s29
	s_mov_b64 s[28:29], s[18:19]
	s_mov_b64 s[30:31], s[12:13]
	;; [unrolled: 1-line block ×3, first 2 shown]
.LBB545_50:                             ; =>This Inner Loop Header: Depth=1
	s_delay_alu instid0(SALU_CYCLE_1)
	v_add_co_u32 v8, vcc_lo, s34, v6
	v_add_co_ci_u32_e32 v9, vcc_lo, s35, v7, vcc_lo
	v_add_co_u32 v10, vcc_lo, s30, v6
	v_add_co_ci_u32_e32 v11, vcc_lo, s31, v7, vcc_lo
	;; [unrolled: 2-line block ×4, first 2 shown]
	global_load_b64 v[8:9], v[8:9], off
	global_load_b64 v[10:11], v[10:11], off
	;; [unrolled: 1-line block ×4, first 2 shown]
	s_add_u32 s34, s34, s38
	s_addc_u32 s35, s35, 0
	s_add_u32 s39, s39, s38
	s_addc_u32 s40, s40, 0
	;; [unrolled: 2-line block ×4, first 2 shown]
	s_waitcnt vmcnt(2) lgkmcnt(0)
	v_fma_f64 v[8:9], -v[2:3], v[8:9], v[10:11]
	s_waitcnt vmcnt(0)
	v_fma_f64 v[10:11], -v[2:3], v[12:13], v[14:15]
	v_add_co_u32 v12, vcc_lo, s28, v6
	v_add_co_ci_u32_e32 v13, vcc_lo, s29, v7, vcc_lo
	v_add_co_u32 v14, vcc_lo, s43, v6
	v_add_co_ci_u32_e32 v15, vcc_lo, s44, v7, vcc_lo
	;; [unrolled: 2-line block ×3, first 2 shown]
	s_add_u32 s28, s28, s38
	s_addc_u32 s29, s29, 0
	s_add_u32 s43, s43, s38
	s_delay_alu instid0(VALU_DEP_1) | instskip(SKIP_4) | instid1(SALU_CYCLE_1)
	v_cmp_le_i64_e32 vcc_lo, s[26:27], v[4:5]
	s_addc_u32 s44, s44, 0
	global_store_b64 v[12:13], v[8:9], off
	global_store_b64 v[14:15], v[10:11], off
	s_or_b32 s37, vcc_lo, s37
	s_and_not1_b32 exec_lo, exec_lo, s37
	s_cbranch_execnz .LBB545_50
; %bb.51:
	s_or_b32 exec_lo, exec_lo, s37
.LBB545_52:
	s_delay_alu instid0(SALU_CYCLE_1) | instskip(NEXT) | instid1(SALU_CYCLE_1)
	s_or_b32 exec_lo, exec_lo, s36
	s_mov_b32 s26, exec_lo
	v_cmpx_gt_i64_e64 s[22:23], v[4:5]
	s_cbranch_execz .LBB545_55
; %bb.53:
	v_lshlrev_b64 v[6:7], 3, v[4:5]
	s_delay_alu instid0(VALU_DEP_1) | instskip(NEXT) | instid1(VALU_DEP_2)
	v_add_co_u32 v1, vcc_lo, s16, v6
	v_add_co_ci_u32_e32 v6, vcc_lo, s17, v7, vcc_lo
	s_mov_b32 s16, 0
	s_lshl_b32 s17, s33, 3
	.p2align	6
.LBB545_54:                             ; =>This Inner Loop Header: Depth=1
	s_delay_alu instid0(VALU_DEP_2) | instskip(NEXT) | instid1(VALU_DEP_2)
	v_add_co_u32 v7, vcc_lo, s8, v1
	v_add_co_ci_u32_e32 v8, vcc_lo, s9, v6, vcc_lo
	v_add_co_u32 v9, vcc_lo, s6, v1
	v_add_co_ci_u32_e32 v10, vcc_lo, s7, v6, vcc_lo
	v_add_co_u32 v4, vcc_lo, v4, s33
	global_load_b64 v[7:8], v[7:8], off
	global_load_b64 v[9:10], v[9:10], off
	v_add_co_ci_u32_e32 v5, vcc_lo, 0, v5, vcc_lo
	s_waitcnt vmcnt(0) lgkmcnt(0)
	v_fma_f64 v[7:8], -v[2:3], v[9:10], v[7:8]
	v_add_co_u32 v9, vcc_lo, s4, v1
	v_add_co_ci_u32_e32 v10, vcc_lo, s5, v6, vcc_lo
	v_cmp_le_i64_e32 vcc_lo, s[22:23], v[4:5]
	v_add_co_u32 v1, s1, v1, s17
	s_delay_alu instid0(VALU_DEP_1)
	v_add_co_ci_u32_e64 v6, s1, 0, v6, s1
	s_or_b32 s16, vcc_lo, s16
	global_store_b64 v[9:10], v[7:8], off
	s_and_not1_b32 exec_lo, exec_lo, s16
	s_cbranch_execnz .LBB545_54
.LBB545_55:
	s_or_b32 exec_lo, exec_lo, s26
	s_mov_b32 s1, 0
.LBB545_56:
	s_delay_alu instid0(SALU_CYCLE_1)
	s_and_b32 vcc_lo, exec_lo, s1
	s_cbranch_vccz .LBB545_92
; %bb.57:
	s_lshl_b32 s1, s33, 1
	s_mov_b32 s6, 0
	v_cvt_f32_u32_e32 v1, s1
	s_sub_i32 s5, 0, s1
	v_mov_b32_e32 v4, v0
	s_delay_alu instid0(VALU_DEP_2) | instskip(SKIP_2) | instid1(VALU_DEP_1)
	v_rcp_iflag_f32_e32 v1, v1
	s_waitcnt_depctr 0xfff
	v_mul_f32_e32 v1, 0x4f7ffffe, v1
	v_cvt_u32_f32_e32 v1, v1
	s_delay_alu instid0(VALU_DEP_1) | instskip(NEXT) | instid1(VALU_DEP_1)
	v_readfirstlane_b32 s4, v1
	s_mul_i32 s5, s5, s4
	s_delay_alu instid0(SALU_CYCLE_1) | instskip(NEXT) | instid1(SALU_CYCLE_1)
	s_mul_hi_u32 s5, s4, s5
	s_add_i32 s4, s4, s5
	s_delay_alu instid0(SALU_CYCLE_1) | instskip(NEXT) | instid1(SALU_CYCLE_1)
	s_mul_hi_u32 s4, s10, s4
	s_mul_i32 s4, s4, s1
	s_delay_alu instid0(SALU_CYCLE_1) | instskip(NEXT) | instid1(SALU_CYCLE_1)
	s_sub_i32 s4, s10, s4
	s_sub_i32 s5, s4, s1
	s_cmp_ge_u32 s4, s1
	s_cselect_b32 s4, s5, s4
	s_delay_alu instid0(SALU_CYCLE_1) | instskip(SKIP_4) | instid1(SALU_CYCLE_1)
	s_sub_i32 s5, s4, s1
	s_cmp_ge_u32 s4, s1
	s_cselect_b32 s1, s5, s4
	s_mov_b32 s4, exec_lo
	s_sub_i32 s5, s10, s1
	v_cmpx_gt_i32_e64 s5, v0
	s_cbranch_execz .LBB545_61
; %bb.58:
	v_dual_mov_b32 v5, 0 :: v_dual_mov_b32 v4, v0
	s_set_inst_prefetch_distance 0x1
	.p2align	6
.LBB545_59:                             ; =>This Inner Loop Header: Depth=1
	s_delay_alu instid0(VALU_DEP_1) | instskip(SKIP_1) | instid1(VALU_DEP_1)
	v_lshlrev_b64 v[6:7], 3, v[4:5]
	v_add_nc_u32_e32 v4, s33, v4
	v_lshlrev_b64 v[8:9], 3, v[4:5]
	s_delay_alu instid0(VALU_DEP_3) | instskip(NEXT) | instid1(VALU_DEP_4)
	v_add_co_u32 v10, vcc_lo, s20, v6
	v_add_co_ci_u32_e32 v11, vcc_lo, s21, v7, vcc_lo
	v_add_co_u32 v12, vcc_lo, s12, v6
	v_add_co_ci_u32_e32 v13, vcc_lo, s13, v7, vcc_lo
	;; [unrolled: 2-line block ×4, first 2 shown]
	global_load_b64 v[10:11], v[10:11], off
	global_load_b64 v[12:13], v[12:13], off
	;; [unrolled: 1-line block ×4, first 2 shown]
	v_add_nc_u32_e32 v4, s33, v4
	v_add_co_u32 v6, vcc_lo, s18, v6
	v_add_co_ci_u32_e32 v7, vcc_lo, s19, v7, vcc_lo
	s_delay_alu instid0(VALU_DEP_3) | instskip(SKIP_1) | instid1(VALU_DEP_1)
	v_cmp_le_i32_e32 vcc_lo, s5, v4
	v_add_co_u32 v8, s1, s18, v8
	v_add_co_ci_u32_e64 v9, s1, s19, v9, s1
	s_or_b32 s6, vcc_lo, s6
	s_waitcnt vmcnt(2) lgkmcnt(0)
	v_fma_f64 v[10:11], -v[2:3], v[10:11], v[12:13]
	s_waitcnt vmcnt(0)
	v_fma_f64 v[12:13], -v[2:3], v[14:15], v[16:17]
	s_clause 0x1
	global_store_b64 v[6:7], v[10:11], off
	global_store_b64 v[8:9], v[12:13], off
	s_and_not1_b32 exec_lo, exec_lo, s6
	s_cbranch_execnz .LBB545_59
; %bb.60:
	s_set_inst_prefetch_distance 0x2
	s_or_b32 exec_lo, exec_lo, s6
.LBB545_61:
	s_delay_alu instid0(SALU_CYCLE_1) | instskip(NEXT) | instid1(SALU_CYCLE_1)
	s_or_b32 exec_lo, exec_lo, s4
	s_mov_b32 s4, exec_lo
	v_cmpx_gt_i32_e64 s10, v4
	s_cbranch_execz .LBB545_64
; %bb.62:
	s_mov_b32 s5, 0
	.p2align	6
.LBB545_63:                             ; =>This Inner Loop Header: Depth=1
	v_ashrrev_i32_e32 v5, 31, v4
	s_delay_alu instid0(VALU_DEP_1) | instskip(SKIP_1) | instid1(VALU_DEP_2)
	v_lshlrev_b64 v[5:6], 3, v[4:5]
	v_add_nc_u32_e32 v4, s33, v4
	v_add_co_u32 v7, vcc_lo, s12, v5
	s_delay_alu instid0(VALU_DEP_3)
	v_add_co_ci_u32_e32 v8, vcc_lo, s13, v6, vcc_lo
	v_add_co_u32 v9, vcc_lo, s20, v5
	v_add_co_ci_u32_e32 v10, vcc_lo, s21, v6, vcc_lo
	v_cmp_le_i32_e32 vcc_lo, s10, v4
	global_load_b64 v[7:8], v[7:8], off
	global_load_b64 v[9:10], v[9:10], off
	v_add_co_u32 v5, s1, s18, v5
	s_delay_alu instid0(VALU_DEP_1)
	v_add_co_ci_u32_e64 v6, s1, s19, v6, s1
	s_or_b32 s5, vcc_lo, s5
	s_waitcnt vmcnt(0) lgkmcnt(0)
	v_fma_f64 v[7:8], -v[2:3], v[9:10], v[7:8]
	global_store_b64 v[5:6], v[7:8], off
	s_and_not1_b32 exec_lo, exec_lo, s5
	s_cbranch_execnz .LBB545_63
.LBB545_64:
	s_or_b32 exec_lo, exec_lo, s4
	s_mov_b32 s1, 0
.LBB545_65:
	s_delay_alu instid0(SALU_CYCLE_1)
	s_and_not1_b32 vcc_lo, exec_lo, s1
	s_cbranch_vccnz .LBB545_93
.LBB545_66:
	s_cmp_lg_u64 s[24:25], 0
	s_mov_b32 s4, -1
	s_cselect_b32 s24, -1, 0
	s_and_b32 vcc_lo, exec_lo, s14
	v_cndmask_b32_e64 v1, 0, 1, s24
	s_delay_alu instid0(VALU_DEP_1)
	v_cmp_ne_u32_e64 s1, 1, v1
	s_cbranch_vccz .LBB545_81
; %bb.67:
	v_mov_b32_e32 v1, 0
	s_delay_alu instid0(VALU_DEP_2)
	s_and_b32 vcc_lo, exec_lo, s1
	s_mov_b64 s[4:5], s[10:11]
	s_mov_b64 s[6:7], s[18:19]
	;; [unrolled: 1-line block ×4, first 2 shown]
	s_cbranch_vccnz .LBB545_71
; %bb.68:
	s_and_saveexec_b32 s1, s0
	s_cbranch_execz .LBB545_70
; %bb.69:
	v_lshlrev_b64 v[4:5], 3, v[0:1]
	s_delay_alu instid0(VALU_DEP_1) | instskip(NEXT) | instid1(VALU_DEP_2)
	v_add_co_u32 v6, vcc_lo, s12, v4
	v_add_co_ci_u32_e32 v7, vcc_lo, s13, v5, vcc_lo
	v_add_co_u32 v8, vcc_lo, s20, v4
	v_add_co_ci_u32_e32 v9, vcc_lo, s21, v5, vcc_lo
	v_add_co_u32 v4, vcc_lo, s18, v4
	global_load_b64 v[6:7], v[6:7], off offset:-8
	global_load_b64 v[8:9], v[8:9], off offset:-8
	v_add_co_ci_u32_e32 v5, vcc_lo, s19, v5, vcc_lo
	s_waitcnt vmcnt(0) lgkmcnt(0)
	v_fma_f64 v[6:7], -v[2:3], v[8:9], v[6:7]
	global_store_b64 v[4:5], v[6:7], off offset:-8
.LBB545_70:
	s_or_b32 exec_lo, exec_lo, s1
	s_sub_u32 s1, s10, s33
	s_subb_u32 s5, s11, 0
	s_add_u32 s4, s1, 1
	s_addc_u32 s5, s5, 0
	s_lshl_b32 s1, s33, 3
	s_delay_alu instid0(SALU_CYCLE_1)
	s_add_u32 s6, s18, s1
	s_addc_u32 s7, s19, 0
	s_add_u32 s6, s6, -8
	s_addc_u32 s7, s7, -1
	s_add_u32 s8, s20, s1
	s_addc_u32 s9, s21, 0
	s_add_u32 s8, s8, -8
	s_addc_u32 s9, s9, -1
	;; [unrolled: 4-line block ×3, first 2 shown]
.LBB545_71:
	s_load_b32 s1, s[2:3], 0x0
	v_mov_b32_e32 v4, 0
	s_waitcnt lgkmcnt(0)
	s_cmp_lt_u32 s15, s1
	s_cselect_b32 s1, 12, 18
	s_delay_alu instid0(SALU_CYCLE_1)
	s_add_u32 s22, s2, s1
	s_addc_u32 s23, s3, 0
	global_load_u16 v6, v4, s[22:23]
	s_mov_b32 s22, 0
	s_mov_b32 s23, s5
	s_waitcnt vmcnt(0)
	v_readfirstlane_b32 s1, v6
	s_delay_alu instid0(VALU_DEP_1) | instskip(NEXT) | instid1(SALU_CYCLE_1)
	s_and_b32 s1, 0xffff, s1
	s_lshl_b32 s11, s1, 1
	s_cmp_lg_u64 s[22:23], 0
	s_cbranch_scc0 .LBB545_94
; %bb.72:
	v_cvt_f32_u32_e32 v4, s11
	s_sub_u32 s23, 0, s11
	s_subb_u32 s25, 0, 0
	s_delay_alu instid0(VALU_DEP_1) | instskip(NEXT) | instid1(VALU_DEP_1)
	v_fmamk_f32 v4, 0, 0x4f800000, v4
	v_rcp_f32_e32 v4, v4
	s_waitcnt_depctr 0xfff
	v_mul_f32_e32 v4, 0x5f7ffffc, v4
	s_delay_alu instid0(VALU_DEP_1) | instskip(NEXT) | instid1(VALU_DEP_1)
	v_mul_f32_e32 v5, 0x2f800000, v4
	v_trunc_f32_e32 v5, v5
	s_delay_alu instid0(VALU_DEP_1) | instskip(SKIP_1) | instid1(VALU_DEP_2)
	v_fmamk_f32 v4, v5, 0xcf800000, v4
	v_cvt_u32_f32_e32 v5, v5
	v_cvt_u32_f32_e32 v4, v4
	s_delay_alu instid0(VALU_DEP_2) | instskip(NEXT) | instid1(VALU_DEP_2)
	v_readfirstlane_b32 s1, v5
	v_readfirstlane_b32 s14, v4
	s_delay_alu instid0(VALU_DEP_2) | instskip(NEXT) | instid1(VALU_DEP_1)
	s_mul_i32 s26, s23, s1
	s_mul_hi_u32 s28, s23, s14
	s_mul_i32 s27, s25, s14
	s_add_i32 s26, s28, s26
	s_mul_i32 s29, s23, s14
	s_add_i32 s26, s26, s27
	s_mul_hi_u32 s28, s14, s29
	s_mul_hi_u32 s30, s1, s29
	s_mul_i32 s27, s1, s29
	s_mul_hi_u32 s29, s14, s26
	s_mul_i32 s14, s14, s26
	s_mul_hi_u32 s31, s1, s26
	s_add_u32 s14, s28, s14
	s_addc_u32 s28, 0, s29
	s_add_u32 s14, s14, s27
	s_mul_i32 s26, s1, s26
	s_addc_u32 s14, s28, s30
	s_addc_u32 s27, s31, 0
	s_add_u32 s14, s14, s26
	s_addc_u32 s26, 0, s27
	v_add_co_u32 v4, s14, v4, s14
	s_delay_alu instid0(VALU_DEP_1) | instskip(SKIP_1) | instid1(VALU_DEP_1)
	s_cmp_lg_u32 s14, 0
	s_addc_u32 s1, s1, s26
	v_readfirstlane_b32 s14, v4
	s_mul_i32 s26, s23, s1
	s_delay_alu instid0(VALU_DEP_1)
	s_mul_hi_u32 s27, s23, s14
	s_mul_i32 s25, s25, s14
	s_add_i32 s26, s27, s26
	s_mul_i32 s23, s23, s14
	s_add_i32 s26, s26, s25
	s_mul_hi_u32 s27, s1, s23
	s_mul_i32 s28, s1, s23
	s_mul_hi_u32 s23, s14, s23
	s_mul_hi_u32 s29, s14, s26
	s_mul_i32 s14, s14, s26
	s_mul_hi_u32 s25, s1, s26
	s_add_u32 s14, s23, s14
	s_addc_u32 s23, 0, s29
	s_add_u32 s14, s14, s28
	s_mul_i32 s26, s1, s26
	s_addc_u32 s14, s23, s27
	s_addc_u32 s23, s25, 0
	s_add_u32 s14, s14, s26
	s_addc_u32 s23, 0, s23
	v_add_co_u32 v4, s14, v4, s14
	s_delay_alu instid0(VALU_DEP_1) | instskip(SKIP_1) | instid1(VALU_DEP_1)
	s_cmp_lg_u32 s14, 0
	s_addc_u32 s1, s1, s23
	v_readfirstlane_b32 s14, v4
	s_mul_i32 s25, s4, s1
	s_mul_hi_u32 s23, s4, s1
	s_mul_hi_u32 s26, s5, s1
	s_mul_i32 s1, s5, s1
	s_mul_hi_u32 s27, s4, s14
	s_mul_hi_u32 s28, s5, s14
	s_mul_i32 s14, s5, s14
	s_add_u32 s25, s27, s25
	s_addc_u32 s23, 0, s23
	s_add_u32 s14, s25, s14
	s_addc_u32 s14, s23, s28
	s_addc_u32 s23, s26, 0
	s_add_u32 s1, s14, s1
	s_addc_u32 s14, 0, s23
	s_mul_hi_u32 s23, s11, s1
	s_mul_i32 s1, s11, s1
	s_mul_i32 s14, s11, s14
	v_sub_co_u32 v4, s1, s4, s1
	s_add_i32 s23, s23, s14
	s_cmp_lg_u32 s1, 0
	s_delay_alu instid0(VALU_DEP_1) | instskip(SKIP_2) | instid1(VALU_DEP_1)
	v_sub_co_u32 v5, s1, v4, s11
	s_subb_u32 s14, s5, s23
	s_cmp_lg_u32 s1, 0
	v_cmp_le_u32_e32 vcc_lo, s11, v5
	v_sub_co_u32 v7, s1, v5, s11
	s_subb_u32 s23, s14, 0
	s_cmp_lg_u32 s1, 0
	v_cndmask_b32_e64 v8, 0, -1, vcc_lo
	s_subb_u32 s1, s23, 0
	s_cmp_eq_u32 s23, 0
	v_mov_b32_e32 v10, s1
	s_cselect_b32 vcc_lo, -1, 0
	s_cmp_eq_u32 s14, 0
	v_cndmask_b32_e32 v8, -1, v8, vcc_lo
	v_cmp_le_u32_e32 vcc_lo, s11, v4
	s_cselect_b32 s1, -1, 0
	v_cndmask_b32_e64 v9, 0, -1, vcc_lo
	s_delay_alu instid0(VALU_DEP_3) | instskip(NEXT) | instid1(VALU_DEP_2)
	v_cmp_ne_u32_e32 vcc_lo, 0, v8
	v_cndmask_b32_e64 v8, -1, v9, s1
	v_cndmask_b32_e32 v9, s23, v10, vcc_lo
	v_cndmask_b32_e32 v7, v5, v7, vcc_lo
	s_delay_alu instid0(VALU_DEP_3) | instskip(NEXT) | instid1(VALU_DEP_3)
	v_cmp_ne_u32_e32 vcc_lo, 0, v8
	v_cndmask_b32_e32 v5, s14, v9, vcc_lo
	s_delay_alu instid0(VALU_DEP_3)
	v_cndmask_b32_e32 v4, v4, v7, vcc_lo
	v_and_b32_e32 v10, 0xffff, v6
	s_and_not1_b32 vcc_lo, exec_lo, s22
	s_cbranch_vccnz .LBB545_74
.LBB545_73:
	v_cvt_f32_u32_e32 v4, s11
	s_sub_i32 s1, 0, s11
	s_delay_alu instid0(VALU_DEP_1) | instskip(SKIP_2) | instid1(VALU_DEP_1)
	v_rcp_iflag_f32_e32 v4, v4
	s_waitcnt_depctr 0xfff
	v_mul_f32_e32 v4, 0x4f7ffffe, v4
	v_cvt_u32_f32_e32 v4, v4
	s_delay_alu instid0(VALU_DEP_1) | instskip(NEXT) | instid1(VALU_DEP_1)
	v_mul_lo_u32 v5, s1, v4
	v_mul_hi_u32 v5, v4, v5
	s_delay_alu instid0(VALU_DEP_1) | instskip(NEXT) | instid1(VALU_DEP_1)
	v_add_nc_u32_e32 v4, v4, v5
	v_mul_hi_u32 v4, s4, v4
	s_delay_alu instid0(VALU_DEP_1) | instskip(NEXT) | instid1(VALU_DEP_1)
	v_mul_lo_u32 v4, v4, s11
	v_sub_nc_u32_e32 v4, s4, v4
	s_delay_alu instid0(VALU_DEP_1) | instskip(SKIP_1) | instid1(VALU_DEP_2)
	v_subrev_nc_u32_e32 v5, s11, v4
	v_cmp_le_u32_e32 vcc_lo, s11, v4
	v_cndmask_b32_e32 v4, v4, v5, vcc_lo
	s_delay_alu instid0(VALU_DEP_1) | instskip(SKIP_1) | instid1(VALU_DEP_2)
	v_subrev_nc_u32_e32 v5, s11, v4
	v_cmp_le_u32_e32 vcc_lo, s11, v4
	v_dual_cndmask_b32 v4, v4, v5 :: v_dual_mov_b32 v5, 0
.LBB545_74:
	s_delay_alu instid0(VALU_DEP_1) | instskip(SKIP_1) | instid1(VALU_DEP_3)
	v_sub_co_u32 v4, vcc_lo, s4, v4
	v_lshlrev_b64 v[6:7], 1, v[0:1]
	v_sub_co_ci_u32_e32 v5, vcc_lo, s5, v5, vcc_lo
	s_mov_b32 s11, exec_lo
	s_delay_alu instid0(VALU_DEP_1)
	v_cmpx_lt_u64_e64 v[6:7], v[4:5]
	s_cbranch_execz .LBB545_77
; %bb.75:
	v_lshlrev_b64 v[6:7], 4, v[0:1]
	v_mov_b32_e32 v9, v1
	v_dual_mov_b32 v8, v0 :: v_dual_lshlrev_b32 v11, 4, v10
	s_mov_b32 s14, 0
	s_delay_alu instid0(VALU_DEP_3)
	v_or_b32_e32 v6, 8, v6
	.p2align	6
.LBB545_76:                             ; =>This Inner Loop Header: Depth=1
	s_delay_alu instid0(VALU_DEP_1)
	v_add_co_u32 v12, vcc_lo, s8, v6
	v_add_co_ci_u32_e32 v13, vcc_lo, s9, v7, vcc_lo
	v_add_co_u32 v16, vcc_lo, s16, v6
	v_add_co_ci_u32_e32 v17, vcc_lo, s17, v7, vcc_lo
	v_add_co_u32 v8, vcc_lo, v8, v10
	global_load_b128 v[12:15], v[12:13], off offset:-8
	global_load_b128 v[16:19], v[16:17], off offset:-8
	v_add_co_ci_u32_e32 v9, vcc_lo, 0, v9, vcc_lo
	s_waitcnt vmcnt(0)
	v_fma_f64 v[12:13], -v[2:3], v[12:13], v[16:17]
	v_fma_f64 v[14:15], -v[2:3], v[14:15], v[18:19]
	s_delay_alu instid0(VALU_DEP_3) | instskip(SKIP_3) | instid1(VALU_DEP_4)
	v_lshlrev_b64 v[16:17], 1, v[8:9]
	v_add_co_u32 v18, vcc_lo, s6, v6
	v_add_co_ci_u32_e32 v19, vcc_lo, s7, v7, vcc_lo
	v_add_co_u32 v6, s1, v6, v11
	v_cmp_ge_i64_e32 vcc_lo, v[16:17], v[4:5]
	v_add_co_ci_u32_e64 v7, s1, 0, v7, s1
	s_or_b32 s14, vcc_lo, s14
	global_store_b128 v[18:19], v[12:15], off offset:-8
	s_and_not1_b32 exec_lo, exec_lo, s14
	s_cbranch_execnz .LBB545_76
.LBB545_77:
	s_or_b32 exec_lo, exec_lo, s11
	v_add_co_u32 v4, vcc_lo, v4, v0
	v_add_co_ci_u32_e32 v5, vcc_lo, 0, v5, vcc_lo
	s_mov_b32 s11, exec_lo
	s_delay_alu instid0(VALU_DEP_1)
	v_cmpx_gt_i64_e64 s[4:5], v[4:5]
	s_cbranch_execz .LBB545_80
; %bb.78:
	s_mov_b32 s14, 0
	.p2align	6
.LBB545_79:                             ; =>This Inner Loop Header: Depth=1
	v_lshlrev_b64 v[6:7], 3, v[4:5]
	s_delay_alu instid0(VALU_DEP_1) | instskip(NEXT) | instid1(VALU_DEP_2)
	v_add_co_u32 v8, vcc_lo, s16, v6
	v_add_co_ci_u32_e32 v9, vcc_lo, s17, v7, vcc_lo
	v_add_co_u32 v11, vcc_lo, s8, v6
	v_add_co_ci_u32_e32 v12, vcc_lo, s9, v7, vcc_lo
	v_add_co_u32 v4, vcc_lo, v4, v10
	global_load_b64 v[8:9], v[8:9], off
	global_load_b64 v[11:12], v[11:12], off
	v_add_co_ci_u32_e32 v5, vcc_lo, 0, v5, vcc_lo
	v_add_co_u32 v6, s1, s6, v6
	s_delay_alu instid0(VALU_DEP_1) | instskip(NEXT) | instid1(VALU_DEP_3)
	v_add_co_ci_u32_e64 v7, s1, s7, v7, s1
	v_cmp_le_i64_e32 vcc_lo, s[4:5], v[4:5]
	s_or_b32 s14, vcc_lo, s14
	s_waitcnt vmcnt(0)
	v_fma_f64 v[8:9], -v[2:3], v[11:12], v[8:9]
	global_store_b64 v[6:7], v[8:9], off
	s_and_not1_b32 exec_lo, exec_lo, s14
	s_cbranch_execnz .LBB545_79
.LBB545_80:
	s_or_b32 exec_lo, exec_lo, s11
	s_mov_b32 s4, 0
.LBB545_81:
	s_delay_alu instid0(SALU_CYCLE_1)
	s_and_b32 vcc_lo, exec_lo, s4
	s_cbranch_vccz .LBB545_93
; %bb.82:
	s_and_not1_b32 vcc_lo, exec_lo, s24
	s_cbranch_vccnz .LBB545_86
; %bb.83:
	s_and_saveexec_b32 s1, s0
	s_cbranch_execz .LBB545_85
; %bb.84:
	v_mov_b32_e32 v1, 0
	s_delay_alu instid0(VALU_DEP_1) | instskip(NEXT) | instid1(VALU_DEP_1)
	v_lshlrev_b64 v[4:5], 3, v[0:1]
	v_add_co_u32 v6, vcc_lo, s12, v4
	s_delay_alu instid0(VALU_DEP_2)
	v_add_co_ci_u32_e32 v7, vcc_lo, s13, v5, vcc_lo
	v_add_co_u32 v8, vcc_lo, s20, v4
	v_add_co_ci_u32_e32 v9, vcc_lo, s21, v5, vcc_lo
	v_add_co_u32 v4, vcc_lo, s18, v4
	global_load_b64 v[6:7], v[6:7], off offset:-8
	global_load_b64 v[8:9], v[8:9], off offset:-8
	v_add_co_ci_u32_e32 v5, vcc_lo, s19, v5, vcc_lo
	s_waitcnt vmcnt(0) lgkmcnt(0)
	v_fma_f64 v[6:7], -v[2:3], v[8:9], v[6:7]
	global_store_b64 v[4:5], v[6:7], off offset:-8
.LBB545_85:
	s_or_b32 exec_lo, exec_lo, s1
	s_add_i32 s0, s10, 1
	s_lshl_b32 s1, s33, 3
	v_sub_nc_u32_e64 v1, s0, s33 clamp
	s_add_u32 s0, s18, s1
	s_addc_u32 s4, s19, 0
	s_add_u32 s18, s0, -8
	s_addc_u32 s19, s4, -1
	s_add_u32 s0, s20, s1
	s_addc_u32 s4, s21, 0
	s_add_u32 s20, s0, -8
	s_addc_u32 s21, s4, -1
	v_readfirstlane_b32 s10, v1
	s_add_u32 s0, s12, s1
	s_addc_u32 s1, s13, 0
	s_add_u32 s12, s0, -8
	s_addc_u32 s13, s1, -1
.LBB545_86:
	s_load_b32 s0, s[2:3], 0x0
	v_mov_b32_e32 v1, 0
	s_waitcnt lgkmcnt(0)
	s_cmp_lt_u32 s15, s0
	s_cselect_b32 s0, 12, 18
	s_delay_alu instid0(SALU_CYCLE_1)
	s_add_u32 s0, s2, s0
	s_addc_u32 s1, s3, 0
	s_mov_b32 s3, 0
	global_load_u16 v6, v1, s[0:1]
	s_waitcnt vmcnt(0)
	v_readfirstlane_b32 s0, v6
	s_delay_alu instid0(VALU_DEP_1) | instskip(NEXT) | instid1(SALU_CYCLE_1)
	s_lshl_b32 s0, s0, 1
	v_cvt_f32_u32_e32 v1, s0
	s_sub_i32 s2, 0, s0
	s_delay_alu instid0(VALU_DEP_1) | instskip(SKIP_2) | instid1(VALU_DEP_1)
	v_rcp_iflag_f32_e32 v1, v1
	s_waitcnt_depctr 0xfff
	v_mul_f32_e32 v1, 0x4f7ffffe, v1
	v_cvt_u32_f32_e32 v1, v1
	s_delay_alu instid0(VALU_DEP_1) | instskip(SKIP_1) | instid1(VALU_DEP_2)
	v_readfirstlane_b32 s1, v1
	v_lshlrev_b32_e32 v1, 1, v0
	s_mul_i32 s2, s2, s1
	s_delay_alu instid0(SALU_CYCLE_1) | instskip(NEXT) | instid1(SALU_CYCLE_1)
	s_mul_hi_u32 s2, s1, s2
	s_add_i32 s1, s1, s2
	s_delay_alu instid0(SALU_CYCLE_1) | instskip(NEXT) | instid1(SALU_CYCLE_1)
	s_mul_hi_u32 s1, s10, s1
	s_mul_i32 s1, s1, s0
	s_delay_alu instid0(SALU_CYCLE_1) | instskip(NEXT) | instid1(SALU_CYCLE_1)
	s_sub_i32 s1, s10, s1
	s_sub_i32 s2, s1, s0
	s_cmp_ge_u32 s1, s0
	s_cselect_b32 s1, s2, s1
	s_delay_alu instid0(SALU_CYCLE_1) | instskip(SKIP_4) | instid1(SALU_CYCLE_1)
	s_sub_i32 s2, s1, s0
	s_cmp_ge_u32 s1, s0
	s_cselect_b32 s0, s2, s1
	s_mov_b32 s2, exec_lo
	s_sub_i32 s1, s10, s0
	v_cmpx_gt_i32_e64 s1, v1
	s_cbranch_execz .LBB545_89
; %bb.87:
	v_mov_b32_e32 v4, v0
	.p2align	6
.LBB545_88:                             ; =>This Inner Loop Header: Depth=1
	s_delay_alu instid0(VALU_DEP_1) | instskip(NEXT) | instid1(VALU_DEP_1)
	v_ashrrev_i32_e32 v5, 31, v4
	v_lshlrev_b64 v[15:16], 4, v[4:5]
	v_add_nc_u32_e32 v4, v4, v6
	s_delay_alu instid0(VALU_DEP_1) | instskip(NEXT) | instid1(VALU_DEP_3)
	v_lshlrev_b32_e32 v1, 1, v4
	v_add_co_u32 v7, vcc_lo, s20, v15
	s_delay_alu instid0(VALU_DEP_4)
	v_add_co_ci_u32_e32 v8, vcc_lo, s21, v16, vcc_lo
	v_add_co_u32 v11, vcc_lo, s12, v15
	v_add_co_ci_u32_e32 v12, vcc_lo, s13, v16, vcc_lo
	global_load_b128 v[7:10], v[7:8], off
	global_load_b128 v[11:14], v[11:12], off
	v_cmp_le_i32_e32 vcc_lo, s1, v1
	s_or_b32 s3, vcc_lo, s3
	s_waitcnt vmcnt(0)
	v_fma_f64 v[7:8], -v[2:3], v[7:8], v[11:12]
	v_fma_f64 v[9:10], -v[2:3], v[9:10], v[13:14]
	v_add_co_u32 v11, s0, s18, v15
	s_delay_alu instid0(VALU_DEP_1)
	v_add_co_ci_u32_e64 v12, s0, s19, v16, s0
	global_store_b128 v[11:12], v[7:10], off
	s_and_not1_b32 exec_lo, exec_lo, s3
	s_cbranch_execnz .LBB545_88
.LBB545_89:
	s_or_b32 exec_lo, exec_lo, s2
	v_add_nc_u32_e32 v0, s1, v0
	s_mov_b32 s0, exec_lo
	s_delay_alu instid0(VALU_DEP_1)
	v_cmpx_gt_i32_e64 s10, v0
	s_cbranch_execz .LBB545_93
; %bb.90:
	s_mov_b32 s1, 0
	.p2align	6
.LBB545_91:                             ; =>This Inner Loop Header: Depth=1
	v_ashrrev_i32_e32 v1, 31, v0
	s_delay_alu instid0(VALU_DEP_1) | instskip(SKIP_1) | instid1(VALU_DEP_2)
	v_lshlrev_b64 v[4:5], 3, v[0:1]
	v_add_nc_u32_e32 v0, v0, v6
	v_add_co_u32 v7, vcc_lo, s12, v4
	s_delay_alu instid0(VALU_DEP_3)
	v_add_co_ci_u32_e32 v8, vcc_lo, s13, v5, vcc_lo
	v_add_co_u32 v9, vcc_lo, s20, v4
	v_add_co_ci_u32_e32 v10, vcc_lo, s21, v5, vcc_lo
	v_cmp_le_i32_e32 vcc_lo, s10, v0
	global_load_b64 v[7:8], v[7:8], off
	global_load_b64 v[9:10], v[9:10], off
	v_add_co_u32 v4, s0, s18, v4
	s_delay_alu instid0(VALU_DEP_1)
	v_add_co_ci_u32_e64 v5, s0, s19, v5, s0
	s_or_b32 s1, vcc_lo, s1
	s_waitcnt vmcnt(0)
	v_fma_f64 v[7:8], -v[2:3], v[9:10], v[7:8]
	global_store_b64 v[4:5], v[7:8], off
	s_and_not1_b32 exec_lo, exec_lo, s1
	s_cbranch_execnz .LBB545_91
	s_branch .LBB545_93
.LBB545_92:
	s_cbranch_execz .LBB545_66
.LBB545_93:
	s_nop 0
	s_sendmsg sendmsg(MSG_DEALLOC_VGPRS)
	s_endpgm
.LBB545_94:
                                        ; implicit-def: $vgpr4_vgpr5
	v_and_b32_e32 v10, 0xffff, v6
	s_branch .LBB545_73
	.section	.rodata,"a",@progbits
	.p2align	6, 0x0
	.amdhsa_kernel _ZN2at6native12_GLOBAL__N_120cunn_SoftMaxBackwardILi2EdddNS1_23SoftMaxBackwardEpilogueEEEvPT0_PKT2_S8_l
		.amdhsa_group_segment_fixed_size 0
		.amdhsa_private_segment_fixed_size 0
		.amdhsa_kernarg_size 288
		.amdhsa_user_sgpr_count 15
		.amdhsa_user_sgpr_dispatch_ptr 0
		.amdhsa_user_sgpr_queue_ptr 0
		.amdhsa_user_sgpr_kernarg_segment_ptr 1
		.amdhsa_user_sgpr_dispatch_id 0
		.amdhsa_user_sgpr_private_segment_size 0
		.amdhsa_wavefront_size32 1
		.amdhsa_uses_dynamic_stack 0
		.amdhsa_enable_private_segment 0
		.amdhsa_system_sgpr_workgroup_id_x 1
		.amdhsa_system_sgpr_workgroup_id_y 0
		.amdhsa_system_sgpr_workgroup_id_z 0
		.amdhsa_system_sgpr_workgroup_info 0
		.amdhsa_system_vgpr_workitem_id 0
		.amdhsa_next_free_vgpr 20
		.amdhsa_next_free_sgpr 45
		.amdhsa_reserve_vcc 1
		.amdhsa_float_round_mode_32 0
		.amdhsa_float_round_mode_16_64 0
		.amdhsa_float_denorm_mode_32 3
		.amdhsa_float_denorm_mode_16_64 3
		.amdhsa_dx10_clamp 1
		.amdhsa_ieee_mode 1
		.amdhsa_fp16_overflow 0
		.amdhsa_workgroup_processor_mode 1
		.amdhsa_memory_ordered 1
		.amdhsa_forward_progress 0
		.amdhsa_shared_vgpr_count 0
		.amdhsa_exception_fp_ieee_invalid_op 0
		.amdhsa_exception_fp_denorm_src 0
		.amdhsa_exception_fp_ieee_div_zero 0
		.amdhsa_exception_fp_ieee_overflow 0
		.amdhsa_exception_fp_ieee_underflow 0
		.amdhsa_exception_fp_ieee_inexact 0
		.amdhsa_exception_int_div_zero 0
	.end_amdhsa_kernel
	.section	.text._ZN2at6native12_GLOBAL__N_120cunn_SoftMaxBackwardILi2EdddNS1_23SoftMaxBackwardEpilogueEEEvPT0_PKT2_S8_l,"axG",@progbits,_ZN2at6native12_GLOBAL__N_120cunn_SoftMaxBackwardILi2EdddNS1_23SoftMaxBackwardEpilogueEEEvPT0_PKT2_S8_l,comdat
.Lfunc_end545:
	.size	_ZN2at6native12_GLOBAL__N_120cunn_SoftMaxBackwardILi2EdddNS1_23SoftMaxBackwardEpilogueEEEvPT0_PKT2_S8_l, .Lfunc_end545-_ZN2at6native12_GLOBAL__N_120cunn_SoftMaxBackwardILi2EdddNS1_23SoftMaxBackwardEpilogueEEEvPT0_PKT2_S8_l
                                        ; -- End function
	.section	.AMDGPU.csdata,"",@progbits
; Kernel info:
; codeLenInByte = 6240
; NumSgprs: 47
; NumVgprs: 20
; ScratchSize: 0
; MemoryBound: 0
; FloatMode: 240
; IeeeMode: 1
; LDSByteSize: 0 bytes/workgroup (compile time only)
; SGPRBlocks: 5
; VGPRBlocks: 2
; NumSGPRsForWavesPerEU: 47
; NumVGPRsForWavesPerEU: 20
; Occupancy: 16
; WaveLimiterHint : 0
; COMPUTE_PGM_RSRC2:SCRATCH_EN: 0
; COMPUTE_PGM_RSRC2:USER_SGPR: 15
; COMPUTE_PGM_RSRC2:TRAP_HANDLER: 0
; COMPUTE_PGM_RSRC2:TGID_X_EN: 1
; COMPUTE_PGM_RSRC2:TGID_Y_EN: 0
; COMPUTE_PGM_RSRC2:TGID_Z_EN: 0
; COMPUTE_PGM_RSRC2:TIDIG_COMP_CNT: 0
	.section	.text._ZN12_GLOBAL__N_121softmax_warp_backwardIfffLi0ELb0ELb0ELi64EEEvPT0_PKT_S5_iiiPKb,"axG",@progbits,_ZN12_GLOBAL__N_121softmax_warp_backwardIfffLi0ELb0ELb0ELi64EEEvPT0_PKT_S5_iiiPKb,comdat
	.globl	_ZN12_GLOBAL__N_121softmax_warp_backwardIfffLi0ELb0ELb0ELi64EEEvPT0_PKT_S5_iiiPKb ; -- Begin function _ZN12_GLOBAL__N_121softmax_warp_backwardIfffLi0ELb0ELb0ELi64EEEvPT0_PKT_S5_iiiPKb
	.p2align	8
	.type	_ZN12_GLOBAL__N_121softmax_warp_backwardIfffLi0ELb0ELb0ELi64EEEvPT0_PKT_S5_iiiPKb,@function
_ZN12_GLOBAL__N_121softmax_warp_backwardIfffLi0ELb0ELb0ELi64EEEvPT0_PKT_S5_iiiPKb: ; @_ZN12_GLOBAL__N_121softmax_warp_backwardIfffLi0ELb0ELb0ELi64EEEvPT0_PKT_S5_iiiPKb
; %bb.0:
	s_clause 0x1
	s_load_b32 s2, s[0:1], 0x3c
	s_load_b128 s[4:7], s[0:1], 0x18
	v_bfe_u32 v0, v0, 10, 10
	s_load_b128 s[8:11], s[0:1], 0x0
	v_dual_mov_b32 v7, 0 :: v_dual_mov_b32 v8, 0
	v_mov_b32_e32 v9, 0
	s_waitcnt lgkmcnt(0)
	s_lshr_b32 s2, s2, 16
	s_cmp_gt_i32 s6, 0
	s_mul_i32 s15, s15, s2
	s_load_b64 s[2:3], s[0:1], 0x10
	v_add_lshl_u32 v2, s15, v0, 1
	s_cselect_b32 s1, -1, 0
	s_delay_alu instid0(VALU_DEP_1) | instskip(SKIP_1) | instid1(VALU_DEP_1)
	v_mul_lo_u32 v0, v2, s5
	v_sub_nc_u32_e32 v6, s4, v2
	v_cmp_lt_i32_e32 vcc_lo, 0, v6
	s_delay_alu instid0(VALU_DEP_3) | instskip(NEXT) | instid1(VALU_DEP_1)
	v_ashrrev_i32_e32 v1, 31, v0
	v_lshlrev_b64 v[0:1], 2, v[0:1]
	s_delay_alu instid0(VALU_DEP_1) | instskip(NEXT) | instid1(VALU_DEP_1)
	v_add_co_u32 v4, s0, s10, v0
	v_add_co_ci_u32_e64 v5, s0, s11, v1, s0
	s_waitcnt lgkmcnt(0)
	v_add_co_u32 v2, s0, s2, v0
	s_delay_alu instid0(VALU_DEP_1) | instskip(SKIP_1) | instid1(SALU_CYCLE_1)
	v_add_co_ci_u32_e64 v3, s0, s3, v1, s0
	s_and_b32 s2, s1, vcc_lo
	s_and_saveexec_b32 s0, s2
	s_cbranch_execz .LBB546_2
; %bb.1:
	global_load_b32 v8, v[4:5], off
	global_load_b32 v9, v[2:3], off
.LBB546_2:
	s_or_b32 exec_lo, exec_lo, s0
	v_cmp_lt_i32_e64 s0, 1, v6
	v_mov_b32_e32 v10, 0
	s_mov_b32 s7, 0
	s_delay_alu instid0(VALU_DEP_2) | instskip(NEXT) | instid1(SALU_CYCLE_1)
	s_and_b32 s0, s1, s0
	s_and_saveexec_b32 s2, s0
	s_cbranch_execz .LBB546_4
; %bb.3:
	s_lshl_b64 s[4:5], s[6:7], 2
	s_delay_alu instid0(SALU_CYCLE_1) | instskip(NEXT) | instid1(VALU_DEP_1)
	v_add_co_u32 v4, s0, v4, s4
	v_add_co_ci_u32_e64 v5, s0, s5, v5, s0
	v_add_co_u32 v2, s0, v2, s4
	s_delay_alu instid0(VALU_DEP_1)
	v_add_co_ci_u32_e64 v3, s0, s5, v3, s0
	global_load_b32 v7, v[4:5], off
	global_load_b32 v10, v[2:3], off
.LBB546_4:
	s_or_b32 exec_lo, exec_lo, s2
	s_and_saveexec_b32 s0, vcc_lo
	s_cbranch_execz .LBB546_10
; %bb.5:
	v_add_co_u32 v0, vcc_lo, s8, v0
	v_cndmask_b32_e64 v2, 0, 1, s1
	v_add_co_ci_u32_e32 v1, vcc_lo, s9, v1, vcc_lo
	s_and_not1_b32 vcc_lo, exec_lo, s1
	s_cbranch_vccnz .LBB546_7
; %bb.6:
	s_waitcnt vmcnt(1)
	v_add_f32_e32 v3, 0, v8
	s_waitcnt vmcnt(0)
	s_delay_alu instid0(VALU_DEP_1)
	v_fma_f32 v3, -v3, v9, v8
	global_store_b32 v[0:1], v3, off
.LBB546_7:
	v_cmp_ne_u32_e32 vcc_lo, 1, v6
	s_and_b32 exec_lo, exec_lo, vcc_lo
	s_cbranch_execz .LBB546_10
; %bb.8:
	v_cmp_ne_u32_e32 vcc_lo, 1, v2
	s_cbranch_vccnz .LBB546_10
; %bb.9:
	s_waitcnt vmcnt(1)
	v_add_f32_e32 v2, 0, v7
	s_lshl_b64 s[0:1], s[6:7], 2
	s_delay_alu instid0(SALU_CYCLE_1) | instskip(SKIP_1) | instid1(VALU_DEP_2)
	v_add_co_u32 v0, vcc_lo, v0, s0
	s_waitcnt vmcnt(0)
	v_fma_f32 v2, -v2, v10, v7
	v_add_co_ci_u32_e32 v1, vcc_lo, s1, v1, vcc_lo
	global_store_b32 v[0:1], v2, off
.LBB546_10:
	s_nop 0
	s_sendmsg sendmsg(MSG_DEALLOC_VGPRS)
	s_endpgm
	.section	.rodata,"a",@progbits
	.p2align	6, 0x0
	.amdhsa_kernel _ZN12_GLOBAL__N_121softmax_warp_backwardIfffLi0ELb0ELb0ELi64EEEvPT0_PKT_S5_iiiPKb
		.amdhsa_group_segment_fixed_size 0
		.amdhsa_private_segment_fixed_size 0
		.amdhsa_kernarg_size 304
		.amdhsa_user_sgpr_count 15
		.amdhsa_user_sgpr_dispatch_ptr 0
		.amdhsa_user_sgpr_queue_ptr 0
		.amdhsa_user_sgpr_kernarg_segment_ptr 1
		.amdhsa_user_sgpr_dispatch_id 0
		.amdhsa_user_sgpr_private_segment_size 0
		.amdhsa_wavefront_size32 1
		.amdhsa_uses_dynamic_stack 0
		.amdhsa_enable_private_segment 0
		.amdhsa_system_sgpr_workgroup_id_x 1
		.amdhsa_system_sgpr_workgroup_id_y 0
		.amdhsa_system_sgpr_workgroup_id_z 0
		.amdhsa_system_sgpr_workgroup_info 0
		.amdhsa_system_vgpr_workitem_id 1
		.amdhsa_next_free_vgpr 11
		.amdhsa_next_free_sgpr 16
		.amdhsa_reserve_vcc 1
		.amdhsa_float_round_mode_32 0
		.amdhsa_float_round_mode_16_64 0
		.amdhsa_float_denorm_mode_32 3
		.amdhsa_float_denorm_mode_16_64 3
		.amdhsa_dx10_clamp 1
		.amdhsa_ieee_mode 1
		.amdhsa_fp16_overflow 0
		.amdhsa_workgroup_processor_mode 1
		.amdhsa_memory_ordered 1
		.amdhsa_forward_progress 0
		.amdhsa_shared_vgpr_count 0
		.amdhsa_exception_fp_ieee_invalid_op 0
		.amdhsa_exception_fp_denorm_src 0
		.amdhsa_exception_fp_ieee_div_zero 0
		.amdhsa_exception_fp_ieee_overflow 0
		.amdhsa_exception_fp_ieee_underflow 0
		.amdhsa_exception_fp_ieee_inexact 0
		.amdhsa_exception_int_div_zero 0
	.end_amdhsa_kernel
	.section	.text._ZN12_GLOBAL__N_121softmax_warp_backwardIfffLi0ELb0ELb0ELi64EEEvPT0_PKT_S5_iiiPKb,"axG",@progbits,_ZN12_GLOBAL__N_121softmax_warp_backwardIfffLi0ELb0ELb0ELi64EEEvPT0_PKT_S5_iiiPKb,comdat
.Lfunc_end546:
	.size	_ZN12_GLOBAL__N_121softmax_warp_backwardIfffLi0ELb0ELb0ELi64EEEvPT0_PKT_S5_iiiPKb, .Lfunc_end546-_ZN12_GLOBAL__N_121softmax_warp_backwardIfffLi0ELb0ELb0ELi64EEEvPT0_PKT_S5_iiiPKb
                                        ; -- End function
	.section	.AMDGPU.csdata,"",@progbits
; Kernel info:
; codeLenInByte = 440
; NumSgprs: 18
; NumVgprs: 11
; ScratchSize: 0
; MemoryBound: 0
; FloatMode: 240
; IeeeMode: 1
; LDSByteSize: 0 bytes/workgroup (compile time only)
; SGPRBlocks: 2
; VGPRBlocks: 1
; NumSGPRsForWavesPerEU: 18
; NumVGPRsForWavesPerEU: 11
; Occupancy: 16
; WaveLimiterHint : 0
; COMPUTE_PGM_RSRC2:SCRATCH_EN: 0
; COMPUTE_PGM_RSRC2:USER_SGPR: 15
; COMPUTE_PGM_RSRC2:TRAP_HANDLER: 0
; COMPUTE_PGM_RSRC2:TGID_X_EN: 1
; COMPUTE_PGM_RSRC2:TGID_Y_EN: 0
; COMPUTE_PGM_RSRC2:TGID_Z_EN: 0
; COMPUTE_PGM_RSRC2:TIDIG_COMP_CNT: 1
	.section	.text._ZN12_GLOBAL__N_121softmax_warp_backwardIfffLi0ELb0ELb0ELi32EEEvPT0_PKT_S5_iiiPKb,"axG",@progbits,_ZN12_GLOBAL__N_121softmax_warp_backwardIfffLi0ELb0ELb0ELi32EEEvPT0_PKT_S5_iiiPKb,comdat
	.globl	_ZN12_GLOBAL__N_121softmax_warp_backwardIfffLi0ELb0ELb0ELi32EEEvPT0_PKT_S5_iiiPKb ; -- Begin function _ZN12_GLOBAL__N_121softmax_warp_backwardIfffLi0ELb0ELb0ELi32EEEvPT0_PKT_S5_iiiPKb
	.p2align	8
	.type	_ZN12_GLOBAL__N_121softmax_warp_backwardIfffLi0ELb0ELb0ELi32EEEvPT0_PKT_S5_iiiPKb,@function
_ZN12_GLOBAL__N_121softmax_warp_backwardIfffLi0ELb0ELb0ELi32EEEvPT0_PKT_S5_iiiPKb: ; @_ZN12_GLOBAL__N_121softmax_warp_backwardIfffLi0ELb0ELb0ELi32EEEvPT0_PKT_S5_iiiPKb
; %bb.0:
	s_clause 0x1
	s_load_b32 s2, s[0:1], 0x3c
	s_load_b128 s[4:7], s[0:1], 0x18
	v_bfe_u32 v0, v0, 10, 10
	s_load_b128 s[8:11], s[0:1], 0x0
	v_dual_mov_b32 v7, 0 :: v_dual_mov_b32 v8, 0
	v_mov_b32_e32 v9, 0
	s_waitcnt lgkmcnt(0)
	s_lshr_b32 s2, s2, 16
	s_cmp_gt_i32 s6, 0
	s_mul_i32 s15, s15, s2
	s_load_b64 s[2:3], s[0:1], 0x10
	v_add_lshl_u32 v2, s15, v0, 1
	s_cselect_b32 s1, -1, 0
	s_delay_alu instid0(VALU_DEP_1) | instskip(SKIP_1) | instid1(VALU_DEP_1)
	v_mul_lo_u32 v0, v2, s5
	v_sub_nc_u32_e32 v6, s4, v2
	v_cmp_lt_i32_e32 vcc_lo, 0, v6
	s_delay_alu instid0(VALU_DEP_3) | instskip(NEXT) | instid1(VALU_DEP_1)
	v_ashrrev_i32_e32 v1, 31, v0
	v_lshlrev_b64 v[0:1], 2, v[0:1]
	s_delay_alu instid0(VALU_DEP_1) | instskip(NEXT) | instid1(VALU_DEP_1)
	v_add_co_u32 v4, s0, s10, v0
	v_add_co_ci_u32_e64 v5, s0, s11, v1, s0
	s_waitcnt lgkmcnt(0)
	v_add_co_u32 v2, s0, s2, v0
	s_delay_alu instid0(VALU_DEP_1) | instskip(SKIP_1) | instid1(SALU_CYCLE_1)
	v_add_co_ci_u32_e64 v3, s0, s3, v1, s0
	s_and_b32 s2, s1, vcc_lo
	s_and_saveexec_b32 s0, s2
	s_cbranch_execz .LBB547_2
; %bb.1:
	global_load_b32 v8, v[4:5], off
	global_load_b32 v9, v[2:3], off
.LBB547_2:
	s_or_b32 exec_lo, exec_lo, s0
	v_cmp_lt_i32_e64 s0, 1, v6
	v_mov_b32_e32 v10, 0
	s_mov_b32 s7, 0
	s_delay_alu instid0(VALU_DEP_2) | instskip(NEXT) | instid1(SALU_CYCLE_1)
	s_and_b32 s0, s1, s0
	s_and_saveexec_b32 s2, s0
	s_cbranch_execz .LBB547_4
; %bb.3:
	s_lshl_b64 s[4:5], s[6:7], 2
	s_delay_alu instid0(SALU_CYCLE_1) | instskip(NEXT) | instid1(VALU_DEP_1)
	v_add_co_u32 v4, s0, v4, s4
	v_add_co_ci_u32_e64 v5, s0, s5, v5, s0
	v_add_co_u32 v2, s0, v2, s4
	s_delay_alu instid0(VALU_DEP_1)
	v_add_co_ci_u32_e64 v3, s0, s5, v3, s0
	global_load_b32 v7, v[4:5], off
	global_load_b32 v10, v[2:3], off
.LBB547_4:
	s_or_b32 exec_lo, exec_lo, s2
	s_and_saveexec_b32 s0, vcc_lo
	s_cbranch_execz .LBB547_10
; %bb.5:
	v_add_co_u32 v0, vcc_lo, s8, v0
	v_cndmask_b32_e64 v2, 0, 1, s1
	v_add_co_ci_u32_e32 v1, vcc_lo, s9, v1, vcc_lo
	s_and_not1_b32 vcc_lo, exec_lo, s1
	s_cbranch_vccnz .LBB547_7
; %bb.6:
	s_waitcnt vmcnt(1)
	v_add_f32_e32 v3, 0, v8
	s_waitcnt vmcnt(0)
	s_delay_alu instid0(VALU_DEP_1)
	v_fma_f32 v3, -v3, v9, v8
	global_store_b32 v[0:1], v3, off
.LBB547_7:
	v_cmp_ne_u32_e32 vcc_lo, 1, v6
	s_and_b32 exec_lo, exec_lo, vcc_lo
	s_cbranch_execz .LBB547_10
; %bb.8:
	v_cmp_ne_u32_e32 vcc_lo, 1, v2
	s_cbranch_vccnz .LBB547_10
; %bb.9:
	s_waitcnt vmcnt(1)
	v_add_f32_e32 v2, 0, v7
	s_lshl_b64 s[0:1], s[6:7], 2
	s_delay_alu instid0(SALU_CYCLE_1) | instskip(SKIP_1) | instid1(VALU_DEP_2)
	v_add_co_u32 v0, vcc_lo, v0, s0
	s_waitcnt vmcnt(0)
	v_fma_f32 v2, -v2, v10, v7
	v_add_co_ci_u32_e32 v1, vcc_lo, s1, v1, vcc_lo
	global_store_b32 v[0:1], v2, off
.LBB547_10:
	s_nop 0
	s_sendmsg sendmsg(MSG_DEALLOC_VGPRS)
	s_endpgm
	.section	.rodata,"a",@progbits
	.p2align	6, 0x0
	.amdhsa_kernel _ZN12_GLOBAL__N_121softmax_warp_backwardIfffLi0ELb0ELb0ELi32EEEvPT0_PKT_S5_iiiPKb
		.amdhsa_group_segment_fixed_size 0
		.amdhsa_private_segment_fixed_size 0
		.amdhsa_kernarg_size 304
		.amdhsa_user_sgpr_count 15
		.amdhsa_user_sgpr_dispatch_ptr 0
		.amdhsa_user_sgpr_queue_ptr 0
		.amdhsa_user_sgpr_kernarg_segment_ptr 1
		.amdhsa_user_sgpr_dispatch_id 0
		.amdhsa_user_sgpr_private_segment_size 0
		.amdhsa_wavefront_size32 1
		.amdhsa_uses_dynamic_stack 0
		.amdhsa_enable_private_segment 0
		.amdhsa_system_sgpr_workgroup_id_x 1
		.amdhsa_system_sgpr_workgroup_id_y 0
		.amdhsa_system_sgpr_workgroup_id_z 0
		.amdhsa_system_sgpr_workgroup_info 0
		.amdhsa_system_vgpr_workitem_id 1
		.amdhsa_next_free_vgpr 11
		.amdhsa_next_free_sgpr 16
		.amdhsa_reserve_vcc 1
		.amdhsa_float_round_mode_32 0
		.amdhsa_float_round_mode_16_64 0
		.amdhsa_float_denorm_mode_32 3
		.amdhsa_float_denorm_mode_16_64 3
		.amdhsa_dx10_clamp 1
		.amdhsa_ieee_mode 1
		.amdhsa_fp16_overflow 0
		.amdhsa_workgroup_processor_mode 1
		.amdhsa_memory_ordered 1
		.amdhsa_forward_progress 0
		.amdhsa_shared_vgpr_count 0
		.amdhsa_exception_fp_ieee_invalid_op 0
		.amdhsa_exception_fp_denorm_src 0
		.amdhsa_exception_fp_ieee_div_zero 0
		.amdhsa_exception_fp_ieee_overflow 0
		.amdhsa_exception_fp_ieee_underflow 0
		.amdhsa_exception_fp_ieee_inexact 0
		.amdhsa_exception_int_div_zero 0
	.end_amdhsa_kernel
	.section	.text._ZN12_GLOBAL__N_121softmax_warp_backwardIfffLi0ELb0ELb0ELi32EEEvPT0_PKT_S5_iiiPKb,"axG",@progbits,_ZN12_GLOBAL__N_121softmax_warp_backwardIfffLi0ELb0ELb0ELi32EEEvPT0_PKT_S5_iiiPKb,comdat
.Lfunc_end547:
	.size	_ZN12_GLOBAL__N_121softmax_warp_backwardIfffLi0ELb0ELb0ELi32EEEvPT0_PKT_S5_iiiPKb, .Lfunc_end547-_ZN12_GLOBAL__N_121softmax_warp_backwardIfffLi0ELb0ELb0ELi32EEEvPT0_PKT_S5_iiiPKb
                                        ; -- End function
	.section	.AMDGPU.csdata,"",@progbits
; Kernel info:
; codeLenInByte = 440
; NumSgprs: 18
; NumVgprs: 11
; ScratchSize: 0
; MemoryBound: 0
; FloatMode: 240
; IeeeMode: 1
; LDSByteSize: 0 bytes/workgroup (compile time only)
; SGPRBlocks: 2
; VGPRBlocks: 1
; NumSGPRsForWavesPerEU: 18
; NumVGPRsForWavesPerEU: 11
; Occupancy: 16
; WaveLimiterHint : 0
; COMPUTE_PGM_RSRC2:SCRATCH_EN: 0
; COMPUTE_PGM_RSRC2:USER_SGPR: 15
; COMPUTE_PGM_RSRC2:TRAP_HANDLER: 0
; COMPUTE_PGM_RSRC2:TGID_X_EN: 1
; COMPUTE_PGM_RSRC2:TGID_Y_EN: 0
; COMPUTE_PGM_RSRC2:TGID_Z_EN: 0
; COMPUTE_PGM_RSRC2:TIDIG_COMP_CNT: 1
	.section	.text._ZN12_GLOBAL__N_121softmax_warp_backwardIfffLi1ELb0ELb0ELi64EEEvPT0_PKT_S5_iiiPKb,"axG",@progbits,_ZN12_GLOBAL__N_121softmax_warp_backwardIfffLi1ELb0ELb0ELi64EEEvPT0_PKT_S5_iiiPKb,comdat
	.globl	_ZN12_GLOBAL__N_121softmax_warp_backwardIfffLi1ELb0ELb0ELi64EEEvPT0_PKT_S5_iiiPKb ; -- Begin function _ZN12_GLOBAL__N_121softmax_warp_backwardIfffLi1ELb0ELb0ELi64EEEvPT0_PKT_S5_iiiPKb
	.p2align	8
	.type	_ZN12_GLOBAL__N_121softmax_warp_backwardIfffLi1ELb0ELb0ELi64EEEvPT0_PKT_S5_iiiPKb,@function
_ZN12_GLOBAL__N_121softmax_warp_backwardIfffLi1ELb0ELb0ELi64EEEvPT0_PKT_S5_iiiPKb: ; @_ZN12_GLOBAL__N_121softmax_warp_backwardIfffLi1ELb0ELb0ELi64EEEvPT0_PKT_S5_iiiPKb
; %bb.0:
	s_clause 0x1
	s_load_b32 s2, s[0:1], 0x3c
	s_load_b128 s[4:7], s[0:1], 0x18
	v_bfe_u32 v1, v0, 10, 10
	v_dual_mov_b32 v8, 0 :: v_dual_and_b32 v3, 1, v0
	v_mov_b32_e32 v7, 0
	v_mov_b32_e32 v9, 0
	s_waitcnt lgkmcnt(0)
	s_lshr_b32 s2, s2, 16
	v_cmp_gt_i32_e32 vcc_lo, s6, v3
	s_mul_i32 s15, s15, s2
	s_clause 0x1
	s_load_b128 s[8:11], s[0:1], 0x0
	s_load_b64 s[2:3], s[0:1], 0x10
	v_add_lshl_u32 v2, s15, v1, 1
	s_delay_alu instid0(VALU_DEP_1) | instskip(SKIP_1) | instid1(VALU_DEP_1)
	v_mul_lo_u32 v1, v2, s5
	v_sub_nc_u32_e32 v6, s4, v2
	v_cmp_lt_i32_e64 s0, 0, v6
	s_delay_alu instid0(VALU_DEP_3) | instskip(NEXT) | instid1(VALU_DEP_1)
	v_or_b32_e32 v0, v1, v3
	v_ashrrev_i32_e32 v1, 31, v0
	s_delay_alu instid0(VALU_DEP_1) | instskip(SKIP_1) | instid1(VALU_DEP_1)
	v_lshlrev_b64 v[0:1], 2, v[0:1]
	s_waitcnt lgkmcnt(0)
	v_add_co_u32 v4, s1, s10, v0
	s_delay_alu instid0(VALU_DEP_1) | instskip(SKIP_1) | instid1(VALU_DEP_1)
	v_add_co_ci_u32_e64 v5, s1, s11, v1, s1
	v_add_co_u32 v2, s1, s2, v0
	v_add_co_ci_u32_e64 v3, s1, s3, v1, s1
	s_and_b32 s2, vcc_lo, s0
	s_delay_alu instid0(SALU_CYCLE_1)
	s_and_saveexec_b32 s1, s2
	s_cbranch_execz .LBB548_2
; %bb.1:
	global_load_b32 v8, v[4:5], off
	global_load_b32 v9, v[2:3], off
.LBB548_2:
	s_or_b32 exec_lo, exec_lo, s1
	v_cmp_lt_i32_e64 s1, 1, v6
	v_mov_b32_e32 v10, 0
	s_mov_b32 s7, 0
	s_delay_alu instid0(VALU_DEP_2) | instskip(NEXT) | instid1(SALU_CYCLE_1)
	s_and_b32 s1, vcc_lo, s1
	s_and_saveexec_b32 s2, s1
	s_cbranch_execz .LBB548_4
; %bb.3:
	s_lshl_b64 s[4:5], s[6:7], 2
	s_delay_alu instid0(SALU_CYCLE_1) | instskip(NEXT) | instid1(VALU_DEP_1)
	v_add_co_u32 v4, s1, v4, s4
	v_add_co_ci_u32_e64 v5, s1, s5, v5, s1
	v_add_co_u32 v2, s1, v2, s4
	s_delay_alu instid0(VALU_DEP_1)
	v_add_co_ci_u32_e64 v3, s1, s5, v3, s1
	global_load_b32 v7, v[4:5], off
	global_load_b32 v10, v[2:3], off
.LBB548_4:
	s_or_b32 exec_lo, exec_lo, s2
	v_mbcnt_lo_u32_b32 v2, -1, 0
	s_delay_alu instid0(VALU_DEP_1) | instskip(SKIP_1) | instid1(VALU_DEP_2)
	v_and_b32_e32 v3, 30, v2
	v_xor_b32_e32 v4, 1, v2
	v_add_nc_u32_e32 v3, 2, v3
	s_delay_alu instid0(VALU_DEP_1) | instskip(NEXT) | instid1(VALU_DEP_1)
	v_cmp_lt_i32_e64 s1, v4, v3
	v_cndmask_b32_e64 v2, v2, v4, s1
	s_waitcnt vmcnt(1)
	s_delay_alu instid0(VALU_DEP_1)
	v_dual_add_f32 v4, 0, v8 :: v_dual_lshlrev_b32 v3, 2, v2
	v_add_f32_e32 v2, 0, v7
	ds_bpermute_b32 v5, v3, v4
	ds_bpermute_b32 v3, v3, v2
	s_and_saveexec_b32 s1, s0
	s_cbranch_execz .LBB548_10
; %bb.5:
	v_add_co_u32 v0, s0, s8, v0
	s_delay_alu instid0(VALU_DEP_1)
	v_add_co_ci_u32_e64 v1, s0, s9, v1, s0
	s_and_saveexec_b32 s0, vcc_lo
	s_cbranch_execz .LBB548_7
; %bb.6:
	s_waitcnt lgkmcnt(1)
	v_add_f32_e32 v4, v4, v5
	s_waitcnt vmcnt(0)
	s_delay_alu instid0(VALU_DEP_1)
	v_fma_f32 v4, -v4, v9, v8
	global_store_b32 v[0:1], v4, off
.LBB548_7:
	s_or_b32 exec_lo, exec_lo, s0
	v_cmp_ne_u32_e64 s0, 1, v6
	s_delay_alu instid0(VALU_DEP_1)
	s_and_b32 exec_lo, exec_lo, s0
	s_cbranch_execz .LBB548_10
; %bb.8:
	s_and_b32 exec_lo, exec_lo, vcc_lo
	s_cbranch_execz .LBB548_10
; %bb.9:
	s_waitcnt lgkmcnt(0)
	v_add_f32_e32 v2, v2, v3
	s_lshl_b64 s[0:1], s[6:7], 2
	s_delay_alu instid0(SALU_CYCLE_1) | instskip(SKIP_1) | instid1(VALU_DEP_2)
	v_add_co_u32 v0, vcc_lo, v0, s0
	s_waitcnt vmcnt(0)
	v_fma_f32 v2, -v2, v10, v7
	v_add_co_ci_u32_e32 v1, vcc_lo, s1, v1, vcc_lo
	global_store_b32 v[0:1], v2, off
.LBB548_10:
	s_nop 0
	s_sendmsg sendmsg(MSG_DEALLOC_VGPRS)
	s_endpgm
	.section	.rodata,"a",@progbits
	.p2align	6, 0x0
	.amdhsa_kernel _ZN12_GLOBAL__N_121softmax_warp_backwardIfffLi1ELb0ELb0ELi64EEEvPT0_PKT_S5_iiiPKb
		.amdhsa_group_segment_fixed_size 0
		.amdhsa_private_segment_fixed_size 0
		.amdhsa_kernarg_size 304
		.amdhsa_user_sgpr_count 15
		.amdhsa_user_sgpr_dispatch_ptr 0
		.amdhsa_user_sgpr_queue_ptr 0
		.amdhsa_user_sgpr_kernarg_segment_ptr 1
		.amdhsa_user_sgpr_dispatch_id 0
		.amdhsa_user_sgpr_private_segment_size 0
		.amdhsa_wavefront_size32 1
		.amdhsa_uses_dynamic_stack 0
		.amdhsa_enable_private_segment 0
		.amdhsa_system_sgpr_workgroup_id_x 1
		.amdhsa_system_sgpr_workgroup_id_y 0
		.amdhsa_system_sgpr_workgroup_id_z 0
		.amdhsa_system_sgpr_workgroup_info 0
		.amdhsa_system_vgpr_workitem_id 1
		.amdhsa_next_free_vgpr 11
		.amdhsa_next_free_sgpr 16
		.amdhsa_reserve_vcc 1
		.amdhsa_float_round_mode_32 0
		.amdhsa_float_round_mode_16_64 0
		.amdhsa_float_denorm_mode_32 3
		.amdhsa_float_denorm_mode_16_64 3
		.amdhsa_dx10_clamp 1
		.amdhsa_ieee_mode 1
		.amdhsa_fp16_overflow 0
		.amdhsa_workgroup_processor_mode 1
		.amdhsa_memory_ordered 1
		.amdhsa_forward_progress 0
		.amdhsa_shared_vgpr_count 0
		.amdhsa_exception_fp_ieee_invalid_op 0
		.amdhsa_exception_fp_denorm_src 0
		.amdhsa_exception_fp_ieee_div_zero 0
		.amdhsa_exception_fp_ieee_overflow 0
		.amdhsa_exception_fp_ieee_underflow 0
		.amdhsa_exception_fp_ieee_inexact 0
		.amdhsa_exception_int_div_zero 0
	.end_amdhsa_kernel
	.section	.text._ZN12_GLOBAL__N_121softmax_warp_backwardIfffLi1ELb0ELb0ELi64EEEvPT0_PKT_S5_iiiPKb,"axG",@progbits,_ZN12_GLOBAL__N_121softmax_warp_backwardIfffLi1ELb0ELb0ELi64EEEvPT0_PKT_S5_iiiPKb,comdat
.Lfunc_end548:
	.size	_ZN12_GLOBAL__N_121softmax_warp_backwardIfffLi1ELb0ELb0ELi64EEEvPT0_PKT_S5_iiiPKb, .Lfunc_end548-_ZN12_GLOBAL__N_121softmax_warp_backwardIfffLi1ELb0ELb0ELi64EEEvPT0_PKT_S5_iiiPKb
                                        ; -- End function
	.section	.AMDGPU.csdata,"",@progbits
; Kernel info:
; codeLenInByte = 548
; NumSgprs: 18
; NumVgprs: 11
; ScratchSize: 0
; MemoryBound: 0
; FloatMode: 240
; IeeeMode: 1
; LDSByteSize: 0 bytes/workgroup (compile time only)
; SGPRBlocks: 2
; VGPRBlocks: 1
; NumSGPRsForWavesPerEU: 18
; NumVGPRsForWavesPerEU: 11
; Occupancy: 16
; WaveLimiterHint : 0
; COMPUTE_PGM_RSRC2:SCRATCH_EN: 0
; COMPUTE_PGM_RSRC2:USER_SGPR: 15
; COMPUTE_PGM_RSRC2:TRAP_HANDLER: 0
; COMPUTE_PGM_RSRC2:TGID_X_EN: 1
; COMPUTE_PGM_RSRC2:TGID_Y_EN: 0
; COMPUTE_PGM_RSRC2:TGID_Z_EN: 0
; COMPUTE_PGM_RSRC2:TIDIG_COMP_CNT: 1
	.section	.text._ZN12_GLOBAL__N_121softmax_warp_backwardIfffLi1ELb0ELb0ELi32EEEvPT0_PKT_S5_iiiPKb,"axG",@progbits,_ZN12_GLOBAL__N_121softmax_warp_backwardIfffLi1ELb0ELb0ELi32EEEvPT0_PKT_S5_iiiPKb,comdat
	.globl	_ZN12_GLOBAL__N_121softmax_warp_backwardIfffLi1ELb0ELb0ELi32EEEvPT0_PKT_S5_iiiPKb ; -- Begin function _ZN12_GLOBAL__N_121softmax_warp_backwardIfffLi1ELb0ELb0ELi32EEEvPT0_PKT_S5_iiiPKb
	.p2align	8
	.type	_ZN12_GLOBAL__N_121softmax_warp_backwardIfffLi1ELb0ELb0ELi32EEEvPT0_PKT_S5_iiiPKb,@function
_ZN12_GLOBAL__N_121softmax_warp_backwardIfffLi1ELb0ELb0ELi32EEEvPT0_PKT_S5_iiiPKb: ; @_ZN12_GLOBAL__N_121softmax_warp_backwardIfffLi1ELb0ELb0ELi32EEEvPT0_PKT_S5_iiiPKb
; %bb.0:
	s_clause 0x1
	s_load_b32 s2, s[0:1], 0x3c
	s_load_b128 s[4:7], s[0:1], 0x18
	v_bfe_u32 v1, v0, 10, 10
	v_dual_mov_b32 v8, 0 :: v_dual_and_b32 v3, 1, v0
	v_mov_b32_e32 v7, 0
	v_mov_b32_e32 v9, 0
	s_waitcnt lgkmcnt(0)
	s_lshr_b32 s2, s2, 16
	v_cmp_gt_i32_e32 vcc_lo, s6, v3
	s_mul_i32 s15, s15, s2
	s_clause 0x1
	s_load_b128 s[8:11], s[0:1], 0x0
	s_load_b64 s[2:3], s[0:1], 0x10
	v_add_lshl_u32 v2, s15, v1, 1
	s_delay_alu instid0(VALU_DEP_1) | instskip(SKIP_1) | instid1(VALU_DEP_1)
	v_mul_lo_u32 v1, v2, s5
	v_sub_nc_u32_e32 v6, s4, v2
	v_cmp_lt_i32_e64 s0, 0, v6
	s_delay_alu instid0(VALU_DEP_3) | instskip(NEXT) | instid1(VALU_DEP_1)
	v_or_b32_e32 v0, v1, v3
	v_ashrrev_i32_e32 v1, 31, v0
	s_delay_alu instid0(VALU_DEP_1) | instskip(SKIP_1) | instid1(VALU_DEP_1)
	v_lshlrev_b64 v[0:1], 2, v[0:1]
	s_waitcnt lgkmcnt(0)
	v_add_co_u32 v4, s1, s10, v0
	s_delay_alu instid0(VALU_DEP_1) | instskip(SKIP_1) | instid1(VALU_DEP_1)
	v_add_co_ci_u32_e64 v5, s1, s11, v1, s1
	v_add_co_u32 v2, s1, s2, v0
	v_add_co_ci_u32_e64 v3, s1, s3, v1, s1
	s_and_b32 s2, vcc_lo, s0
	s_delay_alu instid0(SALU_CYCLE_1)
	s_and_saveexec_b32 s1, s2
	s_cbranch_execz .LBB549_2
; %bb.1:
	global_load_b32 v8, v[4:5], off
	global_load_b32 v9, v[2:3], off
.LBB549_2:
	s_or_b32 exec_lo, exec_lo, s1
	v_cmp_lt_i32_e64 s1, 1, v6
	v_mov_b32_e32 v10, 0
	s_mov_b32 s7, 0
	s_delay_alu instid0(VALU_DEP_2) | instskip(NEXT) | instid1(SALU_CYCLE_1)
	s_and_b32 s1, vcc_lo, s1
	s_and_saveexec_b32 s2, s1
	s_cbranch_execz .LBB549_4
; %bb.3:
	s_lshl_b64 s[4:5], s[6:7], 2
	s_delay_alu instid0(SALU_CYCLE_1) | instskip(NEXT) | instid1(VALU_DEP_1)
	v_add_co_u32 v4, s1, v4, s4
	v_add_co_ci_u32_e64 v5, s1, s5, v5, s1
	v_add_co_u32 v2, s1, v2, s4
	s_delay_alu instid0(VALU_DEP_1)
	v_add_co_ci_u32_e64 v3, s1, s5, v3, s1
	global_load_b32 v7, v[4:5], off
	global_load_b32 v10, v[2:3], off
.LBB549_4:
	s_or_b32 exec_lo, exec_lo, s2
	v_mbcnt_lo_u32_b32 v2, -1, 0
	s_delay_alu instid0(VALU_DEP_1) | instskip(SKIP_1) | instid1(VALU_DEP_2)
	v_and_b32_e32 v3, 30, v2
	v_xor_b32_e32 v4, 1, v2
	v_add_nc_u32_e32 v3, 2, v3
	s_delay_alu instid0(VALU_DEP_1) | instskip(NEXT) | instid1(VALU_DEP_1)
	v_cmp_lt_i32_e64 s1, v4, v3
	v_cndmask_b32_e64 v2, v2, v4, s1
	s_waitcnt vmcnt(1)
	s_delay_alu instid0(VALU_DEP_1)
	v_dual_add_f32 v4, 0, v8 :: v_dual_lshlrev_b32 v3, 2, v2
	v_add_f32_e32 v2, 0, v7
	ds_bpermute_b32 v5, v3, v4
	ds_bpermute_b32 v3, v3, v2
	s_and_saveexec_b32 s1, s0
	s_cbranch_execz .LBB549_10
; %bb.5:
	v_add_co_u32 v0, s0, s8, v0
	s_delay_alu instid0(VALU_DEP_1)
	v_add_co_ci_u32_e64 v1, s0, s9, v1, s0
	s_and_saveexec_b32 s0, vcc_lo
	s_cbranch_execz .LBB549_7
; %bb.6:
	s_waitcnt lgkmcnt(1)
	v_add_f32_e32 v4, v4, v5
	s_waitcnt vmcnt(0)
	s_delay_alu instid0(VALU_DEP_1)
	v_fma_f32 v4, -v4, v9, v8
	global_store_b32 v[0:1], v4, off
.LBB549_7:
	s_or_b32 exec_lo, exec_lo, s0
	v_cmp_ne_u32_e64 s0, 1, v6
	s_delay_alu instid0(VALU_DEP_1)
	s_and_b32 exec_lo, exec_lo, s0
	s_cbranch_execz .LBB549_10
; %bb.8:
	s_and_b32 exec_lo, exec_lo, vcc_lo
	s_cbranch_execz .LBB549_10
; %bb.9:
	s_waitcnt lgkmcnt(0)
	v_add_f32_e32 v2, v2, v3
	s_lshl_b64 s[0:1], s[6:7], 2
	s_delay_alu instid0(SALU_CYCLE_1) | instskip(SKIP_1) | instid1(VALU_DEP_2)
	v_add_co_u32 v0, vcc_lo, v0, s0
	s_waitcnt vmcnt(0)
	v_fma_f32 v2, -v2, v10, v7
	v_add_co_ci_u32_e32 v1, vcc_lo, s1, v1, vcc_lo
	global_store_b32 v[0:1], v2, off
.LBB549_10:
	s_nop 0
	s_sendmsg sendmsg(MSG_DEALLOC_VGPRS)
	s_endpgm
	.section	.rodata,"a",@progbits
	.p2align	6, 0x0
	.amdhsa_kernel _ZN12_GLOBAL__N_121softmax_warp_backwardIfffLi1ELb0ELb0ELi32EEEvPT0_PKT_S5_iiiPKb
		.amdhsa_group_segment_fixed_size 0
		.amdhsa_private_segment_fixed_size 0
		.amdhsa_kernarg_size 304
		.amdhsa_user_sgpr_count 15
		.amdhsa_user_sgpr_dispatch_ptr 0
		.amdhsa_user_sgpr_queue_ptr 0
		.amdhsa_user_sgpr_kernarg_segment_ptr 1
		.amdhsa_user_sgpr_dispatch_id 0
		.amdhsa_user_sgpr_private_segment_size 0
		.amdhsa_wavefront_size32 1
		.amdhsa_uses_dynamic_stack 0
		.amdhsa_enable_private_segment 0
		.amdhsa_system_sgpr_workgroup_id_x 1
		.amdhsa_system_sgpr_workgroup_id_y 0
		.amdhsa_system_sgpr_workgroup_id_z 0
		.amdhsa_system_sgpr_workgroup_info 0
		.amdhsa_system_vgpr_workitem_id 1
		.amdhsa_next_free_vgpr 11
		.amdhsa_next_free_sgpr 16
		.amdhsa_reserve_vcc 1
		.amdhsa_float_round_mode_32 0
		.amdhsa_float_round_mode_16_64 0
		.amdhsa_float_denorm_mode_32 3
		.amdhsa_float_denorm_mode_16_64 3
		.amdhsa_dx10_clamp 1
		.amdhsa_ieee_mode 1
		.amdhsa_fp16_overflow 0
		.amdhsa_workgroup_processor_mode 1
		.amdhsa_memory_ordered 1
		.amdhsa_forward_progress 0
		.amdhsa_shared_vgpr_count 0
		.amdhsa_exception_fp_ieee_invalid_op 0
		.amdhsa_exception_fp_denorm_src 0
		.amdhsa_exception_fp_ieee_div_zero 0
		.amdhsa_exception_fp_ieee_overflow 0
		.amdhsa_exception_fp_ieee_underflow 0
		.amdhsa_exception_fp_ieee_inexact 0
		.amdhsa_exception_int_div_zero 0
	.end_amdhsa_kernel
	.section	.text._ZN12_GLOBAL__N_121softmax_warp_backwardIfffLi1ELb0ELb0ELi32EEEvPT0_PKT_S5_iiiPKb,"axG",@progbits,_ZN12_GLOBAL__N_121softmax_warp_backwardIfffLi1ELb0ELb0ELi32EEEvPT0_PKT_S5_iiiPKb,comdat
.Lfunc_end549:
	.size	_ZN12_GLOBAL__N_121softmax_warp_backwardIfffLi1ELb0ELb0ELi32EEEvPT0_PKT_S5_iiiPKb, .Lfunc_end549-_ZN12_GLOBAL__N_121softmax_warp_backwardIfffLi1ELb0ELb0ELi32EEEvPT0_PKT_S5_iiiPKb
                                        ; -- End function
	.section	.AMDGPU.csdata,"",@progbits
; Kernel info:
; codeLenInByte = 548
; NumSgprs: 18
; NumVgprs: 11
; ScratchSize: 0
; MemoryBound: 0
; FloatMode: 240
; IeeeMode: 1
; LDSByteSize: 0 bytes/workgroup (compile time only)
; SGPRBlocks: 2
; VGPRBlocks: 1
; NumSGPRsForWavesPerEU: 18
; NumVGPRsForWavesPerEU: 11
; Occupancy: 16
; WaveLimiterHint : 0
; COMPUTE_PGM_RSRC2:SCRATCH_EN: 0
; COMPUTE_PGM_RSRC2:USER_SGPR: 15
; COMPUTE_PGM_RSRC2:TRAP_HANDLER: 0
; COMPUTE_PGM_RSRC2:TGID_X_EN: 1
; COMPUTE_PGM_RSRC2:TGID_Y_EN: 0
; COMPUTE_PGM_RSRC2:TGID_Z_EN: 0
; COMPUTE_PGM_RSRC2:TIDIG_COMP_CNT: 1
	.section	.text._ZN12_GLOBAL__N_121softmax_warp_backwardIfffLi2ELb0ELb0ELi64EEEvPT0_PKT_S5_iiiPKb,"axG",@progbits,_ZN12_GLOBAL__N_121softmax_warp_backwardIfffLi2ELb0ELb0ELi64EEEvPT0_PKT_S5_iiiPKb,comdat
	.globl	_ZN12_GLOBAL__N_121softmax_warp_backwardIfffLi2ELb0ELb0ELi64EEEvPT0_PKT_S5_iiiPKb ; -- Begin function _ZN12_GLOBAL__N_121softmax_warp_backwardIfffLi2ELb0ELb0ELi64EEEvPT0_PKT_S5_iiiPKb
	.p2align	8
	.type	_ZN12_GLOBAL__N_121softmax_warp_backwardIfffLi2ELb0ELb0ELi64EEEvPT0_PKT_S5_iiiPKb,@function
_ZN12_GLOBAL__N_121softmax_warp_backwardIfffLi2ELb0ELb0ELi64EEEvPT0_PKT_S5_iiiPKb: ; @_ZN12_GLOBAL__N_121softmax_warp_backwardIfffLi2ELb0ELb0ELi64EEEvPT0_PKT_S5_iiiPKb
; %bb.0:
	s_clause 0x1
	s_load_b32 s2, s[0:1], 0x3c
	s_load_b128 s[4:7], s[0:1], 0x18
	v_bfe_u32 v1, v0, 10, 10
	v_dual_mov_b32 v7, 0 :: v_dual_and_b32 v2, 3, v0
	s_load_b128 s[8:11], s[0:1], 0x0
	v_dual_mov_b32 v8, 0 :: v_dual_mov_b32 v9, 0
	s_waitcnt lgkmcnt(0)
	s_lshr_b32 s2, s2, 16
	v_cmp_gt_i32_e32 vcc_lo, s6, v2
	s_mul_i32 s15, s15, s2
	s_load_b64 s[2:3], s[0:1], 0x10
	v_add_lshl_u32 v3, s15, v1, 1
	s_delay_alu instid0(VALU_DEP_1) | instskip(SKIP_1) | instid1(VALU_DEP_1)
	v_mad_u64_u32 v[0:1], null, v3, s5, v[2:3]
	v_sub_nc_u32_e32 v6, s4, v3
	v_cmp_lt_i32_e64 s0, 0, v6
	s_delay_alu instid0(VALU_DEP_3) | instskip(NEXT) | instid1(VALU_DEP_1)
	v_ashrrev_i32_e32 v1, 31, v0
	v_lshlrev_b64 v[0:1], 2, v[0:1]
	s_delay_alu instid0(VALU_DEP_1) | instskip(NEXT) | instid1(VALU_DEP_1)
	v_add_co_u32 v4, s1, s10, v0
	v_add_co_ci_u32_e64 v5, s1, s11, v1, s1
	s_waitcnt lgkmcnt(0)
	v_add_co_u32 v2, s1, s2, v0
	s_delay_alu instid0(VALU_DEP_1) | instskip(SKIP_1) | instid1(SALU_CYCLE_1)
	v_add_co_ci_u32_e64 v3, s1, s3, v1, s1
	s_and_b32 s2, vcc_lo, s0
	s_and_saveexec_b32 s1, s2
	s_cbranch_execz .LBB550_2
; %bb.1:
	global_load_b32 v8, v[4:5], off
	global_load_b32 v9, v[2:3], off
.LBB550_2:
	s_or_b32 exec_lo, exec_lo, s1
	v_cmp_lt_i32_e64 s1, 1, v6
	v_mov_b32_e32 v10, 0
	s_mov_b32 s7, 0
	s_delay_alu instid0(VALU_DEP_2) | instskip(NEXT) | instid1(SALU_CYCLE_1)
	s_and_b32 s1, vcc_lo, s1
	s_and_saveexec_b32 s2, s1
	s_cbranch_execz .LBB550_4
; %bb.3:
	s_lshl_b64 s[4:5], s[6:7], 2
	s_delay_alu instid0(SALU_CYCLE_1) | instskip(NEXT) | instid1(VALU_DEP_1)
	v_add_co_u32 v4, s1, v4, s4
	v_add_co_ci_u32_e64 v5, s1, s5, v5, s1
	v_add_co_u32 v2, s1, v2, s4
	s_delay_alu instid0(VALU_DEP_1)
	v_add_co_ci_u32_e64 v3, s1, s5, v3, s1
	global_load_b32 v7, v[4:5], off
	global_load_b32 v10, v[2:3], off
.LBB550_4:
	s_or_b32 exec_lo, exec_lo, s2
	v_mbcnt_lo_u32_b32 v2, -1, 0
	s_waitcnt vmcnt(1)
	v_add_f32_e32 v5, 0, v8
	v_add_f32_e32 v11, 0, v7
	s_delay_alu instid0(VALU_DEP_3) | instskip(SKIP_1) | instid1(VALU_DEP_2)
	v_and_b32_e32 v3, 28, v2
	v_xor_b32_e32 v4, 2, v2
	v_add_nc_u32_e32 v3, 4, v3
	s_delay_alu instid0(VALU_DEP_1) | instskip(NEXT) | instid1(VALU_DEP_1)
	v_cmp_lt_i32_e64 s1, v4, v3
	v_cndmask_b32_e64 v4, v2, v4, s1
	s_delay_alu instid0(VALU_DEP_1) | instskip(SKIP_3) | instid1(VALU_DEP_1)
	v_lshlrev_b32_e32 v4, 2, v4
	ds_bpermute_b32 v12, v4, v5
	ds_bpermute_b32 v13, v4, v11
	v_xor_b32_e32 v4, 1, v2
	v_cmp_lt_i32_e64 s1, v4, v3
	s_delay_alu instid0(VALU_DEP_1) | instskip(SKIP_1) | instid1(VALU_DEP_1)
	v_cndmask_b32_e64 v2, v2, v4, s1
	s_waitcnt lgkmcnt(1)
	v_dual_add_f32 v4, v5, v12 :: v_dual_lshlrev_b32 v3, 2, v2
	s_waitcnt lgkmcnt(0)
	v_add_f32_e32 v2, v11, v13
	ds_bpermute_b32 v5, v3, v4
	ds_bpermute_b32 v3, v3, v2
	s_and_saveexec_b32 s1, s0
	s_cbranch_execz .LBB550_10
; %bb.5:
	v_add_co_u32 v0, s0, s8, v0
	s_delay_alu instid0(VALU_DEP_1)
	v_add_co_ci_u32_e64 v1, s0, s9, v1, s0
	s_and_saveexec_b32 s0, vcc_lo
	s_cbranch_execz .LBB550_7
; %bb.6:
	s_waitcnt lgkmcnt(1)
	v_add_f32_e32 v4, v4, v5
	s_waitcnt vmcnt(0)
	s_delay_alu instid0(VALU_DEP_1)
	v_fma_f32 v4, -v4, v9, v8
	global_store_b32 v[0:1], v4, off
.LBB550_7:
	s_or_b32 exec_lo, exec_lo, s0
	v_cmp_ne_u32_e64 s0, 1, v6
	s_delay_alu instid0(VALU_DEP_1)
	s_and_b32 exec_lo, exec_lo, s0
	s_cbranch_execz .LBB550_10
; %bb.8:
	s_and_b32 exec_lo, exec_lo, vcc_lo
	s_cbranch_execz .LBB550_10
; %bb.9:
	s_waitcnt lgkmcnt(0)
	v_add_f32_e32 v2, v2, v3
	s_lshl_b64 s[0:1], s[6:7], 2
	s_delay_alu instid0(SALU_CYCLE_1) | instskip(SKIP_1) | instid1(VALU_DEP_2)
	v_add_co_u32 v0, vcc_lo, v0, s0
	s_waitcnt vmcnt(0)
	v_fma_f32 v2, -v2, v10, v7
	v_add_co_ci_u32_e32 v1, vcc_lo, s1, v1, vcc_lo
	global_store_b32 v[0:1], v2, off
.LBB550_10:
	s_nop 0
	s_sendmsg sendmsg(MSG_DEALLOC_VGPRS)
	s_endpgm
	.section	.rodata,"a",@progbits
	.p2align	6, 0x0
	.amdhsa_kernel _ZN12_GLOBAL__N_121softmax_warp_backwardIfffLi2ELb0ELb0ELi64EEEvPT0_PKT_S5_iiiPKb
		.amdhsa_group_segment_fixed_size 0
		.amdhsa_private_segment_fixed_size 0
		.amdhsa_kernarg_size 304
		.amdhsa_user_sgpr_count 15
		.amdhsa_user_sgpr_dispatch_ptr 0
		.amdhsa_user_sgpr_queue_ptr 0
		.amdhsa_user_sgpr_kernarg_segment_ptr 1
		.amdhsa_user_sgpr_dispatch_id 0
		.amdhsa_user_sgpr_private_segment_size 0
		.amdhsa_wavefront_size32 1
		.amdhsa_uses_dynamic_stack 0
		.amdhsa_enable_private_segment 0
		.amdhsa_system_sgpr_workgroup_id_x 1
		.amdhsa_system_sgpr_workgroup_id_y 0
		.amdhsa_system_sgpr_workgroup_id_z 0
		.amdhsa_system_sgpr_workgroup_info 0
		.amdhsa_system_vgpr_workitem_id 1
		.amdhsa_next_free_vgpr 14
		.amdhsa_next_free_sgpr 16
		.amdhsa_reserve_vcc 1
		.amdhsa_float_round_mode_32 0
		.amdhsa_float_round_mode_16_64 0
		.amdhsa_float_denorm_mode_32 3
		.amdhsa_float_denorm_mode_16_64 3
		.amdhsa_dx10_clamp 1
		.amdhsa_ieee_mode 1
		.amdhsa_fp16_overflow 0
		.amdhsa_workgroup_processor_mode 1
		.amdhsa_memory_ordered 1
		.amdhsa_forward_progress 0
		.amdhsa_shared_vgpr_count 0
		.amdhsa_exception_fp_ieee_invalid_op 0
		.amdhsa_exception_fp_denorm_src 0
		.amdhsa_exception_fp_ieee_div_zero 0
		.amdhsa_exception_fp_ieee_overflow 0
		.amdhsa_exception_fp_ieee_underflow 0
		.amdhsa_exception_fp_ieee_inexact 0
		.amdhsa_exception_int_div_zero 0
	.end_amdhsa_kernel
	.section	.text._ZN12_GLOBAL__N_121softmax_warp_backwardIfffLi2ELb0ELb0ELi64EEEvPT0_PKT_S5_iiiPKb,"axG",@progbits,_ZN12_GLOBAL__N_121softmax_warp_backwardIfffLi2ELb0ELb0ELi64EEEvPT0_PKT_S5_iiiPKb,comdat
.Lfunc_end550:
	.size	_ZN12_GLOBAL__N_121softmax_warp_backwardIfffLi2ELb0ELb0ELi64EEEvPT0_PKT_S5_iiiPKb, .Lfunc_end550-_ZN12_GLOBAL__N_121softmax_warp_backwardIfffLi2ELb0ELb0ELi64EEEvPT0_PKT_S5_iiiPKb
                                        ; -- End function
	.section	.AMDGPU.csdata,"",@progbits
; Kernel info:
; codeLenInByte = 596
; NumSgprs: 18
; NumVgprs: 14
; ScratchSize: 0
; MemoryBound: 0
; FloatMode: 240
; IeeeMode: 1
; LDSByteSize: 0 bytes/workgroup (compile time only)
; SGPRBlocks: 2
; VGPRBlocks: 1
; NumSGPRsForWavesPerEU: 18
; NumVGPRsForWavesPerEU: 14
; Occupancy: 16
; WaveLimiterHint : 0
; COMPUTE_PGM_RSRC2:SCRATCH_EN: 0
; COMPUTE_PGM_RSRC2:USER_SGPR: 15
; COMPUTE_PGM_RSRC2:TRAP_HANDLER: 0
; COMPUTE_PGM_RSRC2:TGID_X_EN: 1
; COMPUTE_PGM_RSRC2:TGID_Y_EN: 0
; COMPUTE_PGM_RSRC2:TGID_Z_EN: 0
; COMPUTE_PGM_RSRC2:TIDIG_COMP_CNT: 1
	.section	.text._ZN12_GLOBAL__N_121softmax_warp_backwardIfffLi2ELb0ELb0ELi32EEEvPT0_PKT_S5_iiiPKb,"axG",@progbits,_ZN12_GLOBAL__N_121softmax_warp_backwardIfffLi2ELb0ELb0ELi32EEEvPT0_PKT_S5_iiiPKb,comdat
	.globl	_ZN12_GLOBAL__N_121softmax_warp_backwardIfffLi2ELb0ELb0ELi32EEEvPT0_PKT_S5_iiiPKb ; -- Begin function _ZN12_GLOBAL__N_121softmax_warp_backwardIfffLi2ELb0ELb0ELi32EEEvPT0_PKT_S5_iiiPKb
	.p2align	8
	.type	_ZN12_GLOBAL__N_121softmax_warp_backwardIfffLi2ELb0ELb0ELi32EEEvPT0_PKT_S5_iiiPKb,@function
_ZN12_GLOBAL__N_121softmax_warp_backwardIfffLi2ELb0ELb0ELi32EEEvPT0_PKT_S5_iiiPKb: ; @_ZN12_GLOBAL__N_121softmax_warp_backwardIfffLi2ELb0ELb0ELi32EEEvPT0_PKT_S5_iiiPKb
; %bb.0:
	s_clause 0x1
	s_load_b32 s2, s[0:1], 0x3c
	s_load_b128 s[4:7], s[0:1], 0x18
	v_bfe_u32 v1, v0, 10, 10
	v_dual_mov_b32 v7, 0 :: v_dual_and_b32 v2, 3, v0
	s_load_b128 s[8:11], s[0:1], 0x0
	v_dual_mov_b32 v8, 0 :: v_dual_mov_b32 v9, 0
	s_waitcnt lgkmcnt(0)
	s_lshr_b32 s2, s2, 16
	v_cmp_gt_i32_e32 vcc_lo, s6, v2
	s_mul_i32 s15, s15, s2
	s_load_b64 s[2:3], s[0:1], 0x10
	v_add_lshl_u32 v3, s15, v1, 1
	s_delay_alu instid0(VALU_DEP_1) | instskip(SKIP_1) | instid1(VALU_DEP_1)
	v_mad_u64_u32 v[0:1], null, v3, s5, v[2:3]
	v_sub_nc_u32_e32 v6, s4, v3
	v_cmp_lt_i32_e64 s0, 0, v6
	s_delay_alu instid0(VALU_DEP_3) | instskip(NEXT) | instid1(VALU_DEP_1)
	v_ashrrev_i32_e32 v1, 31, v0
	v_lshlrev_b64 v[0:1], 2, v[0:1]
	s_delay_alu instid0(VALU_DEP_1) | instskip(NEXT) | instid1(VALU_DEP_1)
	v_add_co_u32 v4, s1, s10, v0
	v_add_co_ci_u32_e64 v5, s1, s11, v1, s1
	s_waitcnt lgkmcnt(0)
	v_add_co_u32 v2, s1, s2, v0
	s_delay_alu instid0(VALU_DEP_1) | instskip(SKIP_1) | instid1(SALU_CYCLE_1)
	v_add_co_ci_u32_e64 v3, s1, s3, v1, s1
	s_and_b32 s2, vcc_lo, s0
	s_and_saveexec_b32 s1, s2
	s_cbranch_execz .LBB551_2
; %bb.1:
	global_load_b32 v8, v[4:5], off
	global_load_b32 v9, v[2:3], off
.LBB551_2:
	s_or_b32 exec_lo, exec_lo, s1
	v_cmp_lt_i32_e64 s1, 1, v6
	v_mov_b32_e32 v10, 0
	s_mov_b32 s7, 0
	s_delay_alu instid0(VALU_DEP_2) | instskip(NEXT) | instid1(SALU_CYCLE_1)
	s_and_b32 s1, vcc_lo, s1
	s_and_saveexec_b32 s2, s1
	s_cbranch_execz .LBB551_4
; %bb.3:
	s_lshl_b64 s[4:5], s[6:7], 2
	s_delay_alu instid0(SALU_CYCLE_1) | instskip(NEXT) | instid1(VALU_DEP_1)
	v_add_co_u32 v4, s1, v4, s4
	v_add_co_ci_u32_e64 v5, s1, s5, v5, s1
	v_add_co_u32 v2, s1, v2, s4
	s_delay_alu instid0(VALU_DEP_1)
	v_add_co_ci_u32_e64 v3, s1, s5, v3, s1
	global_load_b32 v7, v[4:5], off
	global_load_b32 v10, v[2:3], off
.LBB551_4:
	s_or_b32 exec_lo, exec_lo, s2
	v_mbcnt_lo_u32_b32 v2, -1, 0
	s_waitcnt vmcnt(1)
	v_add_f32_e32 v5, 0, v8
	v_add_f32_e32 v11, 0, v7
	s_delay_alu instid0(VALU_DEP_3) | instskip(SKIP_1) | instid1(VALU_DEP_2)
	v_and_b32_e32 v3, 28, v2
	v_xor_b32_e32 v4, 2, v2
	v_add_nc_u32_e32 v3, 4, v3
	s_delay_alu instid0(VALU_DEP_1) | instskip(NEXT) | instid1(VALU_DEP_1)
	v_cmp_lt_i32_e64 s1, v4, v3
	v_cndmask_b32_e64 v4, v2, v4, s1
	s_delay_alu instid0(VALU_DEP_1) | instskip(SKIP_3) | instid1(VALU_DEP_1)
	v_lshlrev_b32_e32 v4, 2, v4
	ds_bpermute_b32 v12, v4, v5
	ds_bpermute_b32 v13, v4, v11
	v_xor_b32_e32 v4, 1, v2
	v_cmp_lt_i32_e64 s1, v4, v3
	s_delay_alu instid0(VALU_DEP_1) | instskip(SKIP_1) | instid1(VALU_DEP_1)
	v_cndmask_b32_e64 v2, v2, v4, s1
	s_waitcnt lgkmcnt(1)
	v_dual_add_f32 v4, v5, v12 :: v_dual_lshlrev_b32 v3, 2, v2
	s_waitcnt lgkmcnt(0)
	v_add_f32_e32 v2, v11, v13
	ds_bpermute_b32 v5, v3, v4
	ds_bpermute_b32 v3, v3, v2
	s_and_saveexec_b32 s1, s0
	s_cbranch_execz .LBB551_10
; %bb.5:
	v_add_co_u32 v0, s0, s8, v0
	s_delay_alu instid0(VALU_DEP_1)
	v_add_co_ci_u32_e64 v1, s0, s9, v1, s0
	s_and_saveexec_b32 s0, vcc_lo
	s_cbranch_execz .LBB551_7
; %bb.6:
	s_waitcnt lgkmcnt(1)
	v_add_f32_e32 v4, v4, v5
	s_waitcnt vmcnt(0)
	s_delay_alu instid0(VALU_DEP_1)
	v_fma_f32 v4, -v4, v9, v8
	global_store_b32 v[0:1], v4, off
.LBB551_7:
	s_or_b32 exec_lo, exec_lo, s0
	v_cmp_ne_u32_e64 s0, 1, v6
	s_delay_alu instid0(VALU_DEP_1)
	s_and_b32 exec_lo, exec_lo, s0
	s_cbranch_execz .LBB551_10
; %bb.8:
	s_and_b32 exec_lo, exec_lo, vcc_lo
	s_cbranch_execz .LBB551_10
; %bb.9:
	s_waitcnt lgkmcnt(0)
	v_add_f32_e32 v2, v2, v3
	s_lshl_b64 s[0:1], s[6:7], 2
	s_delay_alu instid0(SALU_CYCLE_1) | instskip(SKIP_1) | instid1(VALU_DEP_2)
	v_add_co_u32 v0, vcc_lo, v0, s0
	s_waitcnt vmcnt(0)
	v_fma_f32 v2, -v2, v10, v7
	v_add_co_ci_u32_e32 v1, vcc_lo, s1, v1, vcc_lo
	global_store_b32 v[0:1], v2, off
.LBB551_10:
	s_nop 0
	s_sendmsg sendmsg(MSG_DEALLOC_VGPRS)
	s_endpgm
	.section	.rodata,"a",@progbits
	.p2align	6, 0x0
	.amdhsa_kernel _ZN12_GLOBAL__N_121softmax_warp_backwardIfffLi2ELb0ELb0ELi32EEEvPT0_PKT_S5_iiiPKb
		.amdhsa_group_segment_fixed_size 0
		.amdhsa_private_segment_fixed_size 0
		.amdhsa_kernarg_size 304
		.amdhsa_user_sgpr_count 15
		.amdhsa_user_sgpr_dispatch_ptr 0
		.amdhsa_user_sgpr_queue_ptr 0
		.amdhsa_user_sgpr_kernarg_segment_ptr 1
		.amdhsa_user_sgpr_dispatch_id 0
		.amdhsa_user_sgpr_private_segment_size 0
		.amdhsa_wavefront_size32 1
		.amdhsa_uses_dynamic_stack 0
		.amdhsa_enable_private_segment 0
		.amdhsa_system_sgpr_workgroup_id_x 1
		.amdhsa_system_sgpr_workgroup_id_y 0
		.amdhsa_system_sgpr_workgroup_id_z 0
		.amdhsa_system_sgpr_workgroup_info 0
		.amdhsa_system_vgpr_workitem_id 1
		.amdhsa_next_free_vgpr 14
		.amdhsa_next_free_sgpr 16
		.amdhsa_reserve_vcc 1
		.amdhsa_float_round_mode_32 0
		.amdhsa_float_round_mode_16_64 0
		.amdhsa_float_denorm_mode_32 3
		.amdhsa_float_denorm_mode_16_64 3
		.amdhsa_dx10_clamp 1
		.amdhsa_ieee_mode 1
		.amdhsa_fp16_overflow 0
		.amdhsa_workgroup_processor_mode 1
		.amdhsa_memory_ordered 1
		.amdhsa_forward_progress 0
		.amdhsa_shared_vgpr_count 0
		.amdhsa_exception_fp_ieee_invalid_op 0
		.amdhsa_exception_fp_denorm_src 0
		.amdhsa_exception_fp_ieee_div_zero 0
		.amdhsa_exception_fp_ieee_overflow 0
		.amdhsa_exception_fp_ieee_underflow 0
		.amdhsa_exception_fp_ieee_inexact 0
		.amdhsa_exception_int_div_zero 0
	.end_amdhsa_kernel
	.section	.text._ZN12_GLOBAL__N_121softmax_warp_backwardIfffLi2ELb0ELb0ELi32EEEvPT0_PKT_S5_iiiPKb,"axG",@progbits,_ZN12_GLOBAL__N_121softmax_warp_backwardIfffLi2ELb0ELb0ELi32EEEvPT0_PKT_S5_iiiPKb,comdat
.Lfunc_end551:
	.size	_ZN12_GLOBAL__N_121softmax_warp_backwardIfffLi2ELb0ELb0ELi32EEEvPT0_PKT_S5_iiiPKb, .Lfunc_end551-_ZN12_GLOBAL__N_121softmax_warp_backwardIfffLi2ELb0ELb0ELi32EEEvPT0_PKT_S5_iiiPKb
                                        ; -- End function
	.section	.AMDGPU.csdata,"",@progbits
; Kernel info:
; codeLenInByte = 596
; NumSgprs: 18
; NumVgprs: 14
; ScratchSize: 0
; MemoryBound: 0
; FloatMode: 240
; IeeeMode: 1
; LDSByteSize: 0 bytes/workgroup (compile time only)
; SGPRBlocks: 2
; VGPRBlocks: 1
; NumSGPRsForWavesPerEU: 18
; NumVGPRsForWavesPerEU: 14
; Occupancy: 16
; WaveLimiterHint : 0
; COMPUTE_PGM_RSRC2:SCRATCH_EN: 0
; COMPUTE_PGM_RSRC2:USER_SGPR: 15
; COMPUTE_PGM_RSRC2:TRAP_HANDLER: 0
; COMPUTE_PGM_RSRC2:TGID_X_EN: 1
; COMPUTE_PGM_RSRC2:TGID_Y_EN: 0
; COMPUTE_PGM_RSRC2:TGID_Z_EN: 0
; COMPUTE_PGM_RSRC2:TIDIG_COMP_CNT: 1
	.section	.text._ZN12_GLOBAL__N_121softmax_warp_backwardIfffLi3ELb0ELb0ELi64EEEvPT0_PKT_S5_iiiPKb,"axG",@progbits,_ZN12_GLOBAL__N_121softmax_warp_backwardIfffLi3ELb0ELb0ELi64EEEvPT0_PKT_S5_iiiPKb,comdat
	.globl	_ZN12_GLOBAL__N_121softmax_warp_backwardIfffLi3ELb0ELb0ELi64EEEvPT0_PKT_S5_iiiPKb ; -- Begin function _ZN12_GLOBAL__N_121softmax_warp_backwardIfffLi3ELb0ELb0ELi64EEEvPT0_PKT_S5_iiiPKb
	.p2align	8
	.type	_ZN12_GLOBAL__N_121softmax_warp_backwardIfffLi3ELb0ELb0ELi64EEEvPT0_PKT_S5_iiiPKb,@function
_ZN12_GLOBAL__N_121softmax_warp_backwardIfffLi3ELb0ELb0ELi64EEEvPT0_PKT_S5_iiiPKb: ; @_ZN12_GLOBAL__N_121softmax_warp_backwardIfffLi3ELb0ELb0ELi64EEEvPT0_PKT_S5_iiiPKb
; %bb.0:
	s_clause 0x1
	s_load_b32 s2, s[0:1], 0x3c
	s_load_b128 s[4:7], s[0:1], 0x18
	v_bfe_u32 v1, v0, 10, 10
	v_dual_mov_b32 v7, 0 :: v_dual_and_b32 v2, 7, v0
	s_load_b128 s[8:11], s[0:1], 0x0
	v_dual_mov_b32 v8, 0 :: v_dual_mov_b32 v9, 0
	s_waitcnt lgkmcnt(0)
	s_lshr_b32 s2, s2, 16
	v_cmp_gt_i32_e32 vcc_lo, s6, v2
	s_mul_i32 s15, s15, s2
	s_load_b64 s[2:3], s[0:1], 0x10
	v_add_lshl_u32 v3, s15, v1, 1
	s_delay_alu instid0(VALU_DEP_1) | instskip(SKIP_1) | instid1(VALU_DEP_1)
	v_mad_u64_u32 v[0:1], null, v3, s5, v[2:3]
	v_sub_nc_u32_e32 v6, s4, v3
	v_cmp_lt_i32_e64 s0, 0, v6
	s_delay_alu instid0(VALU_DEP_3) | instskip(NEXT) | instid1(VALU_DEP_1)
	v_ashrrev_i32_e32 v1, 31, v0
	v_lshlrev_b64 v[0:1], 2, v[0:1]
	s_delay_alu instid0(VALU_DEP_1) | instskip(NEXT) | instid1(VALU_DEP_1)
	v_add_co_u32 v4, s1, s10, v0
	v_add_co_ci_u32_e64 v5, s1, s11, v1, s1
	s_waitcnt lgkmcnt(0)
	v_add_co_u32 v2, s1, s2, v0
	s_delay_alu instid0(VALU_DEP_1) | instskip(SKIP_1) | instid1(SALU_CYCLE_1)
	v_add_co_ci_u32_e64 v3, s1, s3, v1, s1
	s_and_b32 s2, vcc_lo, s0
	s_and_saveexec_b32 s1, s2
	s_cbranch_execz .LBB552_2
; %bb.1:
	global_load_b32 v8, v[4:5], off
	global_load_b32 v9, v[2:3], off
.LBB552_2:
	s_or_b32 exec_lo, exec_lo, s1
	v_cmp_lt_i32_e64 s1, 1, v6
	v_mov_b32_e32 v10, 0
	s_mov_b32 s7, 0
	s_delay_alu instid0(VALU_DEP_2) | instskip(NEXT) | instid1(SALU_CYCLE_1)
	s_and_b32 s1, vcc_lo, s1
	s_and_saveexec_b32 s2, s1
	s_cbranch_execz .LBB552_4
; %bb.3:
	s_lshl_b64 s[4:5], s[6:7], 2
	s_delay_alu instid0(SALU_CYCLE_1) | instskip(NEXT) | instid1(VALU_DEP_1)
	v_add_co_u32 v4, s1, v4, s4
	v_add_co_ci_u32_e64 v5, s1, s5, v5, s1
	v_add_co_u32 v2, s1, v2, s4
	s_delay_alu instid0(VALU_DEP_1)
	v_add_co_ci_u32_e64 v3, s1, s5, v3, s1
	global_load_b32 v7, v[4:5], off
	global_load_b32 v10, v[2:3], off
.LBB552_4:
	s_or_b32 exec_lo, exec_lo, s2
	v_mbcnt_lo_u32_b32 v2, -1, 0
	s_waitcnt vmcnt(1)
	v_add_f32_e32 v5, 0, v8
	v_add_f32_e32 v11, 0, v7
	s_delay_alu instid0(VALU_DEP_3) | instskip(SKIP_2) | instid1(VALU_DEP_3)
	v_and_b32_e32 v3, 24, v2
	v_xor_b32_e32 v4, 4, v2
	v_xor_b32_e32 v13, 2, v2
	v_add_nc_u32_e32 v3, 8, v3
	s_delay_alu instid0(VALU_DEP_1) | instskip(NEXT) | instid1(VALU_DEP_1)
	v_cmp_lt_i32_e64 s1, v4, v3
	v_cndmask_b32_e64 v4, v2, v4, s1
	s_delay_alu instid0(VALU_DEP_4) | instskip(NEXT) | instid1(VALU_DEP_2)
	v_cmp_lt_i32_e64 s1, v13, v3
	v_lshlrev_b32_e32 v4, 2, v4
	s_delay_alu instid0(VALU_DEP_2)
	v_cndmask_b32_e64 v13, v2, v13, s1
	ds_bpermute_b32 v12, v4, v5
	ds_bpermute_b32 v4, v4, v11
	v_lshlrev_b32_e32 v13, 2, v13
	s_waitcnt lgkmcnt(1)
	v_add_f32_e32 v5, v5, v12
	s_waitcnt lgkmcnt(0)
	v_add_f32_e32 v11, v11, v4
	ds_bpermute_b32 v4, v13, v5
	ds_bpermute_b32 v12, v13, v11
	v_xor_b32_e32 v13, 1, v2
	s_delay_alu instid0(VALU_DEP_1) | instskip(NEXT) | instid1(VALU_DEP_1)
	v_cmp_lt_i32_e64 s1, v13, v3
	v_cndmask_b32_e64 v2, v2, v13, s1
	s_waitcnt lgkmcnt(1)
	s_delay_alu instid0(VALU_DEP_1)
	v_dual_add_f32 v4, v5, v4 :: v_dual_lshlrev_b32 v3, 2, v2
	s_waitcnt lgkmcnt(0)
	v_add_f32_e32 v2, v11, v12
	ds_bpermute_b32 v5, v3, v4
	ds_bpermute_b32 v3, v3, v2
	s_and_saveexec_b32 s1, s0
	s_cbranch_execz .LBB552_10
; %bb.5:
	v_add_co_u32 v0, s0, s8, v0
	s_delay_alu instid0(VALU_DEP_1)
	v_add_co_ci_u32_e64 v1, s0, s9, v1, s0
	s_and_saveexec_b32 s0, vcc_lo
	s_cbranch_execz .LBB552_7
; %bb.6:
	s_waitcnt lgkmcnt(1)
	v_add_f32_e32 v4, v4, v5
	s_waitcnt vmcnt(0)
	s_delay_alu instid0(VALU_DEP_1)
	v_fma_f32 v4, -v4, v9, v8
	global_store_b32 v[0:1], v4, off
.LBB552_7:
	s_or_b32 exec_lo, exec_lo, s0
	v_cmp_ne_u32_e64 s0, 1, v6
	s_delay_alu instid0(VALU_DEP_1)
	s_and_b32 exec_lo, exec_lo, s0
	s_cbranch_execz .LBB552_10
; %bb.8:
	s_and_b32 exec_lo, exec_lo, vcc_lo
	s_cbranch_execz .LBB552_10
; %bb.9:
	s_waitcnt lgkmcnt(0)
	v_add_f32_e32 v2, v2, v3
	s_lshl_b64 s[0:1], s[6:7], 2
	s_delay_alu instid0(SALU_CYCLE_1) | instskip(SKIP_1) | instid1(VALU_DEP_2)
	v_add_co_u32 v0, vcc_lo, v0, s0
	s_waitcnt vmcnt(0)
	v_fma_f32 v2, -v2, v10, v7
	v_add_co_ci_u32_e32 v1, vcc_lo, s1, v1, vcc_lo
	global_store_b32 v[0:1], v2, off
.LBB552_10:
	s_nop 0
	s_sendmsg sendmsg(MSG_DEALLOC_VGPRS)
	s_endpgm
	.section	.rodata,"a",@progbits
	.p2align	6, 0x0
	.amdhsa_kernel _ZN12_GLOBAL__N_121softmax_warp_backwardIfffLi3ELb0ELb0ELi64EEEvPT0_PKT_S5_iiiPKb
		.amdhsa_group_segment_fixed_size 0
		.amdhsa_private_segment_fixed_size 0
		.amdhsa_kernarg_size 304
		.amdhsa_user_sgpr_count 15
		.amdhsa_user_sgpr_dispatch_ptr 0
		.amdhsa_user_sgpr_queue_ptr 0
		.amdhsa_user_sgpr_kernarg_segment_ptr 1
		.amdhsa_user_sgpr_dispatch_id 0
		.amdhsa_user_sgpr_private_segment_size 0
		.amdhsa_wavefront_size32 1
		.amdhsa_uses_dynamic_stack 0
		.amdhsa_enable_private_segment 0
		.amdhsa_system_sgpr_workgroup_id_x 1
		.amdhsa_system_sgpr_workgroup_id_y 0
		.amdhsa_system_sgpr_workgroup_id_z 0
		.amdhsa_system_sgpr_workgroup_info 0
		.amdhsa_system_vgpr_workitem_id 1
		.amdhsa_next_free_vgpr 14
		.amdhsa_next_free_sgpr 16
		.amdhsa_reserve_vcc 1
		.amdhsa_float_round_mode_32 0
		.amdhsa_float_round_mode_16_64 0
		.amdhsa_float_denorm_mode_32 3
		.amdhsa_float_denorm_mode_16_64 3
		.amdhsa_dx10_clamp 1
		.amdhsa_ieee_mode 1
		.amdhsa_fp16_overflow 0
		.amdhsa_workgroup_processor_mode 1
		.amdhsa_memory_ordered 1
		.amdhsa_forward_progress 0
		.amdhsa_shared_vgpr_count 0
		.amdhsa_exception_fp_ieee_invalid_op 0
		.amdhsa_exception_fp_denorm_src 0
		.amdhsa_exception_fp_ieee_div_zero 0
		.amdhsa_exception_fp_ieee_overflow 0
		.amdhsa_exception_fp_ieee_underflow 0
		.amdhsa_exception_fp_ieee_inexact 0
		.amdhsa_exception_int_div_zero 0
	.end_amdhsa_kernel
	.section	.text._ZN12_GLOBAL__N_121softmax_warp_backwardIfffLi3ELb0ELb0ELi64EEEvPT0_PKT_S5_iiiPKb,"axG",@progbits,_ZN12_GLOBAL__N_121softmax_warp_backwardIfffLi3ELb0ELb0ELi64EEEvPT0_PKT_S5_iiiPKb,comdat
.Lfunc_end552:
	.size	_ZN12_GLOBAL__N_121softmax_warp_backwardIfffLi3ELb0ELb0ELi64EEEvPT0_PKT_S5_iiiPKb, .Lfunc_end552-_ZN12_GLOBAL__N_121softmax_warp_backwardIfffLi3ELb0ELb0ELi64EEEvPT0_PKT_S5_iiiPKb
                                        ; -- End function
	.section	.AMDGPU.csdata,"",@progbits
; Kernel info:
; codeLenInByte = 660
; NumSgprs: 18
; NumVgprs: 14
; ScratchSize: 0
; MemoryBound: 0
; FloatMode: 240
; IeeeMode: 1
; LDSByteSize: 0 bytes/workgroup (compile time only)
; SGPRBlocks: 2
; VGPRBlocks: 1
; NumSGPRsForWavesPerEU: 18
; NumVGPRsForWavesPerEU: 14
; Occupancy: 16
; WaveLimiterHint : 0
; COMPUTE_PGM_RSRC2:SCRATCH_EN: 0
; COMPUTE_PGM_RSRC2:USER_SGPR: 15
; COMPUTE_PGM_RSRC2:TRAP_HANDLER: 0
; COMPUTE_PGM_RSRC2:TGID_X_EN: 1
; COMPUTE_PGM_RSRC2:TGID_Y_EN: 0
; COMPUTE_PGM_RSRC2:TGID_Z_EN: 0
; COMPUTE_PGM_RSRC2:TIDIG_COMP_CNT: 1
	.section	.text._ZN12_GLOBAL__N_121softmax_warp_backwardIfffLi3ELb0ELb0ELi32EEEvPT0_PKT_S5_iiiPKb,"axG",@progbits,_ZN12_GLOBAL__N_121softmax_warp_backwardIfffLi3ELb0ELb0ELi32EEEvPT0_PKT_S5_iiiPKb,comdat
	.globl	_ZN12_GLOBAL__N_121softmax_warp_backwardIfffLi3ELb0ELb0ELi32EEEvPT0_PKT_S5_iiiPKb ; -- Begin function _ZN12_GLOBAL__N_121softmax_warp_backwardIfffLi3ELb0ELb0ELi32EEEvPT0_PKT_S5_iiiPKb
	.p2align	8
	.type	_ZN12_GLOBAL__N_121softmax_warp_backwardIfffLi3ELb0ELb0ELi32EEEvPT0_PKT_S5_iiiPKb,@function
_ZN12_GLOBAL__N_121softmax_warp_backwardIfffLi3ELb0ELb0ELi32EEEvPT0_PKT_S5_iiiPKb: ; @_ZN12_GLOBAL__N_121softmax_warp_backwardIfffLi3ELb0ELb0ELi32EEEvPT0_PKT_S5_iiiPKb
; %bb.0:
	s_clause 0x1
	s_load_b32 s2, s[0:1], 0x3c
	s_load_b128 s[4:7], s[0:1], 0x18
	v_bfe_u32 v1, v0, 10, 10
	v_dual_mov_b32 v7, 0 :: v_dual_and_b32 v2, 7, v0
	s_load_b128 s[8:11], s[0:1], 0x0
	v_dual_mov_b32 v8, 0 :: v_dual_mov_b32 v9, 0
	s_waitcnt lgkmcnt(0)
	s_lshr_b32 s2, s2, 16
	v_cmp_gt_i32_e32 vcc_lo, s6, v2
	s_mul_i32 s15, s15, s2
	s_load_b64 s[2:3], s[0:1], 0x10
	v_add_lshl_u32 v3, s15, v1, 1
	s_delay_alu instid0(VALU_DEP_1) | instskip(SKIP_1) | instid1(VALU_DEP_1)
	v_mad_u64_u32 v[0:1], null, v3, s5, v[2:3]
	v_sub_nc_u32_e32 v6, s4, v3
	v_cmp_lt_i32_e64 s0, 0, v6
	s_delay_alu instid0(VALU_DEP_3) | instskip(NEXT) | instid1(VALU_DEP_1)
	v_ashrrev_i32_e32 v1, 31, v0
	v_lshlrev_b64 v[0:1], 2, v[0:1]
	s_delay_alu instid0(VALU_DEP_1) | instskip(NEXT) | instid1(VALU_DEP_1)
	v_add_co_u32 v4, s1, s10, v0
	v_add_co_ci_u32_e64 v5, s1, s11, v1, s1
	s_waitcnt lgkmcnt(0)
	v_add_co_u32 v2, s1, s2, v0
	s_delay_alu instid0(VALU_DEP_1) | instskip(SKIP_1) | instid1(SALU_CYCLE_1)
	v_add_co_ci_u32_e64 v3, s1, s3, v1, s1
	s_and_b32 s2, vcc_lo, s0
	s_and_saveexec_b32 s1, s2
	s_cbranch_execz .LBB553_2
; %bb.1:
	global_load_b32 v8, v[4:5], off
	global_load_b32 v9, v[2:3], off
.LBB553_2:
	s_or_b32 exec_lo, exec_lo, s1
	v_cmp_lt_i32_e64 s1, 1, v6
	v_mov_b32_e32 v10, 0
	s_mov_b32 s7, 0
	s_delay_alu instid0(VALU_DEP_2) | instskip(NEXT) | instid1(SALU_CYCLE_1)
	s_and_b32 s1, vcc_lo, s1
	s_and_saveexec_b32 s2, s1
	s_cbranch_execz .LBB553_4
; %bb.3:
	s_lshl_b64 s[4:5], s[6:7], 2
	s_delay_alu instid0(SALU_CYCLE_1) | instskip(NEXT) | instid1(VALU_DEP_1)
	v_add_co_u32 v4, s1, v4, s4
	v_add_co_ci_u32_e64 v5, s1, s5, v5, s1
	v_add_co_u32 v2, s1, v2, s4
	s_delay_alu instid0(VALU_DEP_1)
	v_add_co_ci_u32_e64 v3, s1, s5, v3, s1
	global_load_b32 v7, v[4:5], off
	global_load_b32 v10, v[2:3], off
.LBB553_4:
	s_or_b32 exec_lo, exec_lo, s2
	v_mbcnt_lo_u32_b32 v2, -1, 0
	s_waitcnt vmcnt(1)
	v_add_f32_e32 v5, 0, v8
	v_add_f32_e32 v11, 0, v7
	s_delay_alu instid0(VALU_DEP_3) | instskip(SKIP_2) | instid1(VALU_DEP_3)
	v_and_b32_e32 v3, 24, v2
	v_xor_b32_e32 v4, 4, v2
	v_xor_b32_e32 v13, 2, v2
	v_add_nc_u32_e32 v3, 8, v3
	s_delay_alu instid0(VALU_DEP_1) | instskip(NEXT) | instid1(VALU_DEP_1)
	v_cmp_lt_i32_e64 s1, v4, v3
	v_cndmask_b32_e64 v4, v2, v4, s1
	s_delay_alu instid0(VALU_DEP_4) | instskip(NEXT) | instid1(VALU_DEP_2)
	v_cmp_lt_i32_e64 s1, v13, v3
	v_lshlrev_b32_e32 v4, 2, v4
	s_delay_alu instid0(VALU_DEP_2)
	v_cndmask_b32_e64 v13, v2, v13, s1
	ds_bpermute_b32 v12, v4, v5
	ds_bpermute_b32 v4, v4, v11
	v_lshlrev_b32_e32 v13, 2, v13
	s_waitcnt lgkmcnt(1)
	v_add_f32_e32 v5, v5, v12
	s_waitcnt lgkmcnt(0)
	v_add_f32_e32 v11, v11, v4
	ds_bpermute_b32 v4, v13, v5
	ds_bpermute_b32 v12, v13, v11
	v_xor_b32_e32 v13, 1, v2
	s_delay_alu instid0(VALU_DEP_1) | instskip(NEXT) | instid1(VALU_DEP_1)
	v_cmp_lt_i32_e64 s1, v13, v3
	v_cndmask_b32_e64 v2, v2, v13, s1
	s_waitcnt lgkmcnt(1)
	s_delay_alu instid0(VALU_DEP_1)
	v_dual_add_f32 v4, v5, v4 :: v_dual_lshlrev_b32 v3, 2, v2
	s_waitcnt lgkmcnt(0)
	v_add_f32_e32 v2, v11, v12
	ds_bpermute_b32 v5, v3, v4
	ds_bpermute_b32 v3, v3, v2
	s_and_saveexec_b32 s1, s0
	s_cbranch_execz .LBB553_10
; %bb.5:
	v_add_co_u32 v0, s0, s8, v0
	s_delay_alu instid0(VALU_DEP_1)
	v_add_co_ci_u32_e64 v1, s0, s9, v1, s0
	s_and_saveexec_b32 s0, vcc_lo
	s_cbranch_execz .LBB553_7
; %bb.6:
	s_waitcnt lgkmcnt(1)
	v_add_f32_e32 v4, v4, v5
	s_waitcnt vmcnt(0)
	s_delay_alu instid0(VALU_DEP_1)
	v_fma_f32 v4, -v4, v9, v8
	global_store_b32 v[0:1], v4, off
.LBB553_7:
	s_or_b32 exec_lo, exec_lo, s0
	v_cmp_ne_u32_e64 s0, 1, v6
	s_delay_alu instid0(VALU_DEP_1)
	s_and_b32 exec_lo, exec_lo, s0
	s_cbranch_execz .LBB553_10
; %bb.8:
	s_and_b32 exec_lo, exec_lo, vcc_lo
	s_cbranch_execz .LBB553_10
; %bb.9:
	s_waitcnt lgkmcnt(0)
	v_add_f32_e32 v2, v2, v3
	s_lshl_b64 s[0:1], s[6:7], 2
	s_delay_alu instid0(SALU_CYCLE_1) | instskip(SKIP_1) | instid1(VALU_DEP_2)
	v_add_co_u32 v0, vcc_lo, v0, s0
	s_waitcnt vmcnt(0)
	v_fma_f32 v2, -v2, v10, v7
	v_add_co_ci_u32_e32 v1, vcc_lo, s1, v1, vcc_lo
	global_store_b32 v[0:1], v2, off
.LBB553_10:
	s_nop 0
	s_sendmsg sendmsg(MSG_DEALLOC_VGPRS)
	s_endpgm
	.section	.rodata,"a",@progbits
	.p2align	6, 0x0
	.amdhsa_kernel _ZN12_GLOBAL__N_121softmax_warp_backwardIfffLi3ELb0ELb0ELi32EEEvPT0_PKT_S5_iiiPKb
		.amdhsa_group_segment_fixed_size 0
		.amdhsa_private_segment_fixed_size 0
		.amdhsa_kernarg_size 304
		.amdhsa_user_sgpr_count 15
		.amdhsa_user_sgpr_dispatch_ptr 0
		.amdhsa_user_sgpr_queue_ptr 0
		.amdhsa_user_sgpr_kernarg_segment_ptr 1
		.amdhsa_user_sgpr_dispatch_id 0
		.amdhsa_user_sgpr_private_segment_size 0
		.amdhsa_wavefront_size32 1
		.amdhsa_uses_dynamic_stack 0
		.amdhsa_enable_private_segment 0
		.amdhsa_system_sgpr_workgroup_id_x 1
		.amdhsa_system_sgpr_workgroup_id_y 0
		.amdhsa_system_sgpr_workgroup_id_z 0
		.amdhsa_system_sgpr_workgroup_info 0
		.amdhsa_system_vgpr_workitem_id 1
		.amdhsa_next_free_vgpr 14
		.amdhsa_next_free_sgpr 16
		.amdhsa_reserve_vcc 1
		.amdhsa_float_round_mode_32 0
		.amdhsa_float_round_mode_16_64 0
		.amdhsa_float_denorm_mode_32 3
		.amdhsa_float_denorm_mode_16_64 3
		.amdhsa_dx10_clamp 1
		.amdhsa_ieee_mode 1
		.amdhsa_fp16_overflow 0
		.amdhsa_workgroup_processor_mode 1
		.amdhsa_memory_ordered 1
		.amdhsa_forward_progress 0
		.amdhsa_shared_vgpr_count 0
		.amdhsa_exception_fp_ieee_invalid_op 0
		.amdhsa_exception_fp_denorm_src 0
		.amdhsa_exception_fp_ieee_div_zero 0
		.amdhsa_exception_fp_ieee_overflow 0
		.amdhsa_exception_fp_ieee_underflow 0
		.amdhsa_exception_fp_ieee_inexact 0
		.amdhsa_exception_int_div_zero 0
	.end_amdhsa_kernel
	.section	.text._ZN12_GLOBAL__N_121softmax_warp_backwardIfffLi3ELb0ELb0ELi32EEEvPT0_PKT_S5_iiiPKb,"axG",@progbits,_ZN12_GLOBAL__N_121softmax_warp_backwardIfffLi3ELb0ELb0ELi32EEEvPT0_PKT_S5_iiiPKb,comdat
.Lfunc_end553:
	.size	_ZN12_GLOBAL__N_121softmax_warp_backwardIfffLi3ELb0ELb0ELi32EEEvPT0_PKT_S5_iiiPKb, .Lfunc_end553-_ZN12_GLOBAL__N_121softmax_warp_backwardIfffLi3ELb0ELb0ELi32EEEvPT0_PKT_S5_iiiPKb
                                        ; -- End function
	.section	.AMDGPU.csdata,"",@progbits
; Kernel info:
; codeLenInByte = 660
; NumSgprs: 18
; NumVgprs: 14
; ScratchSize: 0
; MemoryBound: 0
; FloatMode: 240
; IeeeMode: 1
; LDSByteSize: 0 bytes/workgroup (compile time only)
; SGPRBlocks: 2
; VGPRBlocks: 1
; NumSGPRsForWavesPerEU: 18
; NumVGPRsForWavesPerEU: 14
; Occupancy: 16
; WaveLimiterHint : 0
; COMPUTE_PGM_RSRC2:SCRATCH_EN: 0
; COMPUTE_PGM_RSRC2:USER_SGPR: 15
; COMPUTE_PGM_RSRC2:TRAP_HANDLER: 0
; COMPUTE_PGM_RSRC2:TGID_X_EN: 1
; COMPUTE_PGM_RSRC2:TGID_Y_EN: 0
; COMPUTE_PGM_RSRC2:TGID_Z_EN: 0
; COMPUTE_PGM_RSRC2:TIDIG_COMP_CNT: 1
	.section	.text._ZN12_GLOBAL__N_121softmax_warp_backwardIfffLi4ELb0ELb0ELi64EEEvPT0_PKT_S5_iiiPKb,"axG",@progbits,_ZN12_GLOBAL__N_121softmax_warp_backwardIfffLi4ELb0ELb0ELi64EEEvPT0_PKT_S5_iiiPKb,comdat
	.globl	_ZN12_GLOBAL__N_121softmax_warp_backwardIfffLi4ELb0ELb0ELi64EEEvPT0_PKT_S5_iiiPKb ; -- Begin function _ZN12_GLOBAL__N_121softmax_warp_backwardIfffLi4ELb0ELb0ELi64EEEvPT0_PKT_S5_iiiPKb
	.p2align	8
	.type	_ZN12_GLOBAL__N_121softmax_warp_backwardIfffLi4ELb0ELb0ELi64EEEvPT0_PKT_S5_iiiPKb,@function
_ZN12_GLOBAL__N_121softmax_warp_backwardIfffLi4ELb0ELb0ELi64EEEvPT0_PKT_S5_iiiPKb: ; @_ZN12_GLOBAL__N_121softmax_warp_backwardIfffLi4ELb0ELb0ELi64EEEvPT0_PKT_S5_iiiPKb
; %bb.0:
	s_clause 0x1
	s_load_b32 s2, s[0:1], 0x3c
	s_load_b128 s[4:7], s[0:1], 0x18
	v_bfe_u32 v1, v0, 10, 10
	v_dual_mov_b32 v7, 0 :: v_dual_and_b32 v2, 15, v0
	s_load_b128 s[8:11], s[0:1], 0x0
	v_dual_mov_b32 v8, 0 :: v_dual_mov_b32 v9, 0
	s_waitcnt lgkmcnt(0)
	s_lshr_b32 s2, s2, 16
	v_cmp_gt_i32_e32 vcc_lo, s6, v2
	s_mul_i32 s15, s15, s2
	s_load_b64 s[2:3], s[0:1], 0x10
	v_add_lshl_u32 v3, s15, v1, 1
	s_delay_alu instid0(VALU_DEP_1) | instskip(SKIP_1) | instid1(VALU_DEP_1)
	v_mad_u64_u32 v[0:1], null, v3, s5, v[2:3]
	v_sub_nc_u32_e32 v6, s4, v3
	v_cmp_lt_i32_e64 s0, 0, v6
	s_delay_alu instid0(VALU_DEP_3) | instskip(NEXT) | instid1(VALU_DEP_1)
	v_ashrrev_i32_e32 v1, 31, v0
	v_lshlrev_b64 v[0:1], 2, v[0:1]
	s_delay_alu instid0(VALU_DEP_1) | instskip(NEXT) | instid1(VALU_DEP_1)
	v_add_co_u32 v4, s1, s10, v0
	v_add_co_ci_u32_e64 v5, s1, s11, v1, s1
	s_waitcnt lgkmcnt(0)
	v_add_co_u32 v2, s1, s2, v0
	s_delay_alu instid0(VALU_DEP_1) | instskip(SKIP_1) | instid1(SALU_CYCLE_1)
	v_add_co_ci_u32_e64 v3, s1, s3, v1, s1
	s_and_b32 s2, vcc_lo, s0
	s_and_saveexec_b32 s1, s2
	s_cbranch_execz .LBB554_2
; %bb.1:
	global_load_b32 v8, v[4:5], off
	global_load_b32 v9, v[2:3], off
.LBB554_2:
	s_or_b32 exec_lo, exec_lo, s1
	v_cmp_lt_i32_e64 s1, 1, v6
	v_mov_b32_e32 v10, 0
	s_mov_b32 s7, 0
	s_delay_alu instid0(VALU_DEP_2) | instskip(NEXT) | instid1(SALU_CYCLE_1)
	s_and_b32 s1, vcc_lo, s1
	s_and_saveexec_b32 s2, s1
	s_cbranch_execz .LBB554_4
; %bb.3:
	s_lshl_b64 s[4:5], s[6:7], 2
	s_delay_alu instid0(SALU_CYCLE_1) | instskip(NEXT) | instid1(VALU_DEP_1)
	v_add_co_u32 v4, s1, v4, s4
	v_add_co_ci_u32_e64 v5, s1, s5, v5, s1
	v_add_co_u32 v2, s1, v2, s4
	s_delay_alu instid0(VALU_DEP_1)
	v_add_co_ci_u32_e64 v3, s1, s5, v3, s1
	global_load_b32 v7, v[4:5], off
	global_load_b32 v10, v[2:3], off
.LBB554_4:
	s_or_b32 exec_lo, exec_lo, s2
	v_mbcnt_lo_u32_b32 v2, -1, 0
	s_waitcnt vmcnt(1)
	v_add_f32_e32 v11, 0, v7
	v_add_f32_e32 v5, 0, v8
	s_delay_alu instid0(VALU_DEP_3) | instskip(SKIP_2) | instid1(VALU_DEP_3)
	v_and_b32_e32 v3, 16, v2
	v_xor_b32_e32 v4, 8, v2
	v_xor_b32_e32 v13, 4, v2
	v_add_nc_u32_e32 v3, 16, v3
	s_delay_alu instid0(VALU_DEP_1) | instskip(NEXT) | instid1(VALU_DEP_1)
	v_cmp_lt_i32_e64 s1, v4, v3
	v_cndmask_b32_e64 v4, v2, v4, s1
	s_delay_alu instid0(VALU_DEP_4) | instskip(NEXT) | instid1(VALU_DEP_2)
	v_cmp_lt_i32_e64 s1, v13, v3
	v_lshlrev_b32_e32 v4, 2, v4
	s_delay_alu instid0(VALU_DEP_2)
	v_cndmask_b32_e64 v13, v2, v13, s1
	ds_bpermute_b32 v12, v4, v5
	ds_bpermute_b32 v4, v4, v11
	v_lshlrev_b32_e32 v13, 2, v13
	s_waitcnt lgkmcnt(1)
	v_add_f32_e32 v5, v5, v12
	s_waitcnt lgkmcnt(0)
	v_add_f32_e32 v4, v11, v4
	ds_bpermute_b32 v11, v13, v5
	ds_bpermute_b32 v12, v13, v4
	v_xor_b32_e32 v13, 2, v2
	s_delay_alu instid0(VALU_DEP_1) | instskip(NEXT) | instid1(VALU_DEP_1)
	v_cmp_lt_i32_e64 s1, v13, v3
	v_cndmask_b32_e64 v13, v2, v13, s1
	s_delay_alu instid0(VALU_DEP_1)
	v_lshlrev_b32_e32 v13, 2, v13
	s_waitcnt lgkmcnt(1)
	v_add_f32_e32 v5, v5, v11
	s_waitcnt lgkmcnt(0)
	v_add_f32_e32 v11, v4, v12
	ds_bpermute_b32 v4, v13, v5
	ds_bpermute_b32 v12, v13, v11
	v_xor_b32_e32 v13, 1, v2
	s_waitcnt lgkmcnt(1)
	v_add_f32_e32 v4, v5, v4
	s_delay_alu instid0(VALU_DEP_2) | instskip(NEXT) | instid1(VALU_DEP_1)
	v_cmp_lt_i32_e64 s1, v13, v3
	v_cndmask_b32_e64 v2, v2, v13, s1
	s_waitcnt lgkmcnt(0)
	s_delay_alu instid0(VALU_DEP_1)
	v_dual_add_f32 v2, v11, v12 :: v_dual_lshlrev_b32 v3, 2, v2
	ds_bpermute_b32 v5, v3, v4
	ds_bpermute_b32 v3, v3, v2
	s_and_saveexec_b32 s1, s0
	s_cbranch_execz .LBB554_10
; %bb.5:
	v_add_co_u32 v0, s0, s8, v0
	s_delay_alu instid0(VALU_DEP_1)
	v_add_co_ci_u32_e64 v1, s0, s9, v1, s0
	s_and_saveexec_b32 s0, vcc_lo
	s_cbranch_execz .LBB554_7
; %bb.6:
	s_waitcnt lgkmcnt(1)
	v_add_f32_e32 v4, v4, v5
	s_waitcnt vmcnt(0)
	s_delay_alu instid0(VALU_DEP_1)
	v_fma_f32 v4, -v4, v9, v8
	global_store_b32 v[0:1], v4, off
.LBB554_7:
	s_or_b32 exec_lo, exec_lo, s0
	v_cmp_ne_u32_e64 s0, 1, v6
	s_delay_alu instid0(VALU_DEP_1)
	s_and_b32 exec_lo, exec_lo, s0
	s_cbranch_execz .LBB554_10
; %bb.8:
	s_and_b32 exec_lo, exec_lo, vcc_lo
	s_cbranch_execz .LBB554_10
; %bb.9:
	s_waitcnt lgkmcnt(0)
	v_add_f32_e32 v2, v2, v3
	s_lshl_b64 s[0:1], s[6:7], 2
	s_delay_alu instid0(SALU_CYCLE_1) | instskip(SKIP_1) | instid1(VALU_DEP_2)
	v_add_co_u32 v0, vcc_lo, v0, s0
	s_waitcnt vmcnt(0)
	v_fma_f32 v2, -v2, v10, v7
	v_add_co_ci_u32_e32 v1, vcc_lo, s1, v1, vcc_lo
	global_store_b32 v[0:1], v2, off
.LBB554_10:
	s_nop 0
	s_sendmsg sendmsg(MSG_DEALLOC_VGPRS)
	s_endpgm
	.section	.rodata,"a",@progbits
	.p2align	6, 0x0
	.amdhsa_kernel _ZN12_GLOBAL__N_121softmax_warp_backwardIfffLi4ELb0ELb0ELi64EEEvPT0_PKT_S5_iiiPKb
		.amdhsa_group_segment_fixed_size 0
		.amdhsa_private_segment_fixed_size 0
		.amdhsa_kernarg_size 304
		.amdhsa_user_sgpr_count 15
		.amdhsa_user_sgpr_dispatch_ptr 0
		.amdhsa_user_sgpr_queue_ptr 0
		.amdhsa_user_sgpr_kernarg_segment_ptr 1
		.amdhsa_user_sgpr_dispatch_id 0
		.amdhsa_user_sgpr_private_segment_size 0
		.amdhsa_wavefront_size32 1
		.amdhsa_uses_dynamic_stack 0
		.amdhsa_enable_private_segment 0
		.amdhsa_system_sgpr_workgroup_id_x 1
		.amdhsa_system_sgpr_workgroup_id_y 0
		.amdhsa_system_sgpr_workgroup_id_z 0
		.amdhsa_system_sgpr_workgroup_info 0
		.amdhsa_system_vgpr_workitem_id 1
		.amdhsa_next_free_vgpr 14
		.amdhsa_next_free_sgpr 16
		.amdhsa_reserve_vcc 1
		.amdhsa_float_round_mode_32 0
		.amdhsa_float_round_mode_16_64 0
		.amdhsa_float_denorm_mode_32 3
		.amdhsa_float_denorm_mode_16_64 3
		.amdhsa_dx10_clamp 1
		.amdhsa_ieee_mode 1
		.amdhsa_fp16_overflow 0
		.amdhsa_workgroup_processor_mode 1
		.amdhsa_memory_ordered 1
		.amdhsa_forward_progress 0
		.amdhsa_shared_vgpr_count 0
		.amdhsa_exception_fp_ieee_invalid_op 0
		.amdhsa_exception_fp_denorm_src 0
		.amdhsa_exception_fp_ieee_div_zero 0
		.amdhsa_exception_fp_ieee_overflow 0
		.amdhsa_exception_fp_ieee_underflow 0
		.amdhsa_exception_fp_ieee_inexact 0
		.amdhsa_exception_int_div_zero 0
	.end_amdhsa_kernel
	.section	.text._ZN12_GLOBAL__N_121softmax_warp_backwardIfffLi4ELb0ELb0ELi64EEEvPT0_PKT_S5_iiiPKb,"axG",@progbits,_ZN12_GLOBAL__N_121softmax_warp_backwardIfffLi4ELb0ELb0ELi64EEEvPT0_PKT_S5_iiiPKb,comdat
.Lfunc_end554:
	.size	_ZN12_GLOBAL__N_121softmax_warp_backwardIfffLi4ELb0ELb0ELi64EEEvPT0_PKT_S5_iiiPKb, .Lfunc_end554-_ZN12_GLOBAL__N_121softmax_warp_backwardIfffLi4ELb0ELb0ELi64EEEvPT0_PKT_S5_iiiPKb
                                        ; -- End function
	.section	.AMDGPU.csdata,"",@progbits
; Kernel info:
; codeLenInByte = 724
; NumSgprs: 18
; NumVgprs: 14
; ScratchSize: 0
; MemoryBound: 0
; FloatMode: 240
; IeeeMode: 1
; LDSByteSize: 0 bytes/workgroup (compile time only)
; SGPRBlocks: 2
; VGPRBlocks: 1
; NumSGPRsForWavesPerEU: 18
; NumVGPRsForWavesPerEU: 14
; Occupancy: 16
; WaveLimiterHint : 0
; COMPUTE_PGM_RSRC2:SCRATCH_EN: 0
; COMPUTE_PGM_RSRC2:USER_SGPR: 15
; COMPUTE_PGM_RSRC2:TRAP_HANDLER: 0
; COMPUTE_PGM_RSRC2:TGID_X_EN: 1
; COMPUTE_PGM_RSRC2:TGID_Y_EN: 0
; COMPUTE_PGM_RSRC2:TGID_Z_EN: 0
; COMPUTE_PGM_RSRC2:TIDIG_COMP_CNT: 1
	.section	.text._ZN12_GLOBAL__N_121softmax_warp_backwardIfffLi4ELb0ELb0ELi32EEEvPT0_PKT_S5_iiiPKb,"axG",@progbits,_ZN12_GLOBAL__N_121softmax_warp_backwardIfffLi4ELb0ELb0ELi32EEEvPT0_PKT_S5_iiiPKb,comdat
	.globl	_ZN12_GLOBAL__N_121softmax_warp_backwardIfffLi4ELb0ELb0ELi32EEEvPT0_PKT_S5_iiiPKb ; -- Begin function _ZN12_GLOBAL__N_121softmax_warp_backwardIfffLi4ELb0ELb0ELi32EEEvPT0_PKT_S5_iiiPKb
	.p2align	8
	.type	_ZN12_GLOBAL__N_121softmax_warp_backwardIfffLi4ELb0ELb0ELi32EEEvPT0_PKT_S5_iiiPKb,@function
_ZN12_GLOBAL__N_121softmax_warp_backwardIfffLi4ELb0ELb0ELi32EEEvPT0_PKT_S5_iiiPKb: ; @_ZN12_GLOBAL__N_121softmax_warp_backwardIfffLi4ELb0ELb0ELi32EEEvPT0_PKT_S5_iiiPKb
; %bb.0:
	s_clause 0x1
	s_load_b32 s2, s[0:1], 0x3c
	s_load_b128 s[4:7], s[0:1], 0x18
	v_bfe_u32 v1, v0, 10, 10
	v_dual_mov_b32 v7, 0 :: v_dual_and_b32 v2, 15, v0
	s_load_b128 s[8:11], s[0:1], 0x0
	v_dual_mov_b32 v8, 0 :: v_dual_mov_b32 v9, 0
	s_waitcnt lgkmcnt(0)
	s_lshr_b32 s2, s2, 16
	v_cmp_gt_i32_e32 vcc_lo, s6, v2
	s_mul_i32 s15, s15, s2
	s_load_b64 s[2:3], s[0:1], 0x10
	v_add_lshl_u32 v3, s15, v1, 1
	s_delay_alu instid0(VALU_DEP_1) | instskip(SKIP_1) | instid1(VALU_DEP_1)
	v_mad_u64_u32 v[0:1], null, v3, s5, v[2:3]
	v_sub_nc_u32_e32 v6, s4, v3
	v_cmp_lt_i32_e64 s0, 0, v6
	s_delay_alu instid0(VALU_DEP_3) | instskip(NEXT) | instid1(VALU_DEP_1)
	v_ashrrev_i32_e32 v1, 31, v0
	v_lshlrev_b64 v[0:1], 2, v[0:1]
	s_delay_alu instid0(VALU_DEP_1) | instskip(NEXT) | instid1(VALU_DEP_1)
	v_add_co_u32 v4, s1, s10, v0
	v_add_co_ci_u32_e64 v5, s1, s11, v1, s1
	s_waitcnt lgkmcnt(0)
	v_add_co_u32 v2, s1, s2, v0
	s_delay_alu instid0(VALU_DEP_1) | instskip(SKIP_1) | instid1(SALU_CYCLE_1)
	v_add_co_ci_u32_e64 v3, s1, s3, v1, s1
	s_and_b32 s2, vcc_lo, s0
	s_and_saveexec_b32 s1, s2
	s_cbranch_execz .LBB555_2
; %bb.1:
	global_load_b32 v8, v[4:5], off
	global_load_b32 v9, v[2:3], off
.LBB555_2:
	s_or_b32 exec_lo, exec_lo, s1
	v_cmp_lt_i32_e64 s1, 1, v6
	v_mov_b32_e32 v10, 0
	s_mov_b32 s7, 0
	s_delay_alu instid0(VALU_DEP_2) | instskip(NEXT) | instid1(SALU_CYCLE_1)
	s_and_b32 s1, vcc_lo, s1
	s_and_saveexec_b32 s2, s1
	s_cbranch_execz .LBB555_4
; %bb.3:
	s_lshl_b64 s[4:5], s[6:7], 2
	s_delay_alu instid0(SALU_CYCLE_1) | instskip(NEXT) | instid1(VALU_DEP_1)
	v_add_co_u32 v4, s1, v4, s4
	v_add_co_ci_u32_e64 v5, s1, s5, v5, s1
	v_add_co_u32 v2, s1, v2, s4
	s_delay_alu instid0(VALU_DEP_1)
	v_add_co_ci_u32_e64 v3, s1, s5, v3, s1
	global_load_b32 v7, v[4:5], off
	global_load_b32 v10, v[2:3], off
.LBB555_4:
	s_or_b32 exec_lo, exec_lo, s2
	v_mbcnt_lo_u32_b32 v2, -1, 0
	s_waitcnt vmcnt(1)
	v_add_f32_e32 v11, 0, v7
	v_add_f32_e32 v5, 0, v8
	s_delay_alu instid0(VALU_DEP_3) | instskip(SKIP_2) | instid1(VALU_DEP_3)
	v_and_b32_e32 v3, 16, v2
	v_xor_b32_e32 v4, 8, v2
	v_xor_b32_e32 v13, 4, v2
	v_add_nc_u32_e32 v3, 16, v3
	s_delay_alu instid0(VALU_DEP_1) | instskip(NEXT) | instid1(VALU_DEP_1)
	v_cmp_lt_i32_e64 s1, v4, v3
	v_cndmask_b32_e64 v4, v2, v4, s1
	s_delay_alu instid0(VALU_DEP_4) | instskip(NEXT) | instid1(VALU_DEP_2)
	v_cmp_lt_i32_e64 s1, v13, v3
	v_lshlrev_b32_e32 v4, 2, v4
	s_delay_alu instid0(VALU_DEP_2)
	v_cndmask_b32_e64 v13, v2, v13, s1
	ds_bpermute_b32 v12, v4, v5
	ds_bpermute_b32 v4, v4, v11
	v_lshlrev_b32_e32 v13, 2, v13
	s_waitcnt lgkmcnt(1)
	v_add_f32_e32 v5, v5, v12
	s_waitcnt lgkmcnt(0)
	v_add_f32_e32 v4, v11, v4
	ds_bpermute_b32 v11, v13, v5
	ds_bpermute_b32 v12, v13, v4
	v_xor_b32_e32 v13, 2, v2
	s_delay_alu instid0(VALU_DEP_1) | instskip(NEXT) | instid1(VALU_DEP_1)
	v_cmp_lt_i32_e64 s1, v13, v3
	v_cndmask_b32_e64 v13, v2, v13, s1
	s_delay_alu instid0(VALU_DEP_1)
	v_lshlrev_b32_e32 v13, 2, v13
	s_waitcnt lgkmcnt(1)
	v_add_f32_e32 v5, v5, v11
	s_waitcnt lgkmcnt(0)
	v_add_f32_e32 v11, v4, v12
	ds_bpermute_b32 v4, v13, v5
	ds_bpermute_b32 v12, v13, v11
	v_xor_b32_e32 v13, 1, v2
	s_waitcnt lgkmcnt(1)
	v_add_f32_e32 v4, v5, v4
	s_delay_alu instid0(VALU_DEP_2) | instskip(NEXT) | instid1(VALU_DEP_1)
	v_cmp_lt_i32_e64 s1, v13, v3
	v_cndmask_b32_e64 v2, v2, v13, s1
	s_waitcnt lgkmcnt(0)
	s_delay_alu instid0(VALU_DEP_1)
	v_dual_add_f32 v2, v11, v12 :: v_dual_lshlrev_b32 v3, 2, v2
	ds_bpermute_b32 v5, v3, v4
	ds_bpermute_b32 v3, v3, v2
	s_and_saveexec_b32 s1, s0
	s_cbranch_execz .LBB555_10
; %bb.5:
	v_add_co_u32 v0, s0, s8, v0
	s_delay_alu instid0(VALU_DEP_1)
	v_add_co_ci_u32_e64 v1, s0, s9, v1, s0
	s_and_saveexec_b32 s0, vcc_lo
	s_cbranch_execz .LBB555_7
; %bb.6:
	s_waitcnt lgkmcnt(1)
	v_add_f32_e32 v4, v4, v5
	s_waitcnt vmcnt(0)
	s_delay_alu instid0(VALU_DEP_1)
	v_fma_f32 v4, -v4, v9, v8
	global_store_b32 v[0:1], v4, off
.LBB555_7:
	s_or_b32 exec_lo, exec_lo, s0
	v_cmp_ne_u32_e64 s0, 1, v6
	s_delay_alu instid0(VALU_DEP_1)
	s_and_b32 exec_lo, exec_lo, s0
	s_cbranch_execz .LBB555_10
; %bb.8:
	s_and_b32 exec_lo, exec_lo, vcc_lo
	s_cbranch_execz .LBB555_10
; %bb.9:
	s_waitcnt lgkmcnt(0)
	v_add_f32_e32 v2, v2, v3
	s_lshl_b64 s[0:1], s[6:7], 2
	s_delay_alu instid0(SALU_CYCLE_1) | instskip(SKIP_1) | instid1(VALU_DEP_2)
	v_add_co_u32 v0, vcc_lo, v0, s0
	s_waitcnt vmcnt(0)
	v_fma_f32 v2, -v2, v10, v7
	v_add_co_ci_u32_e32 v1, vcc_lo, s1, v1, vcc_lo
	global_store_b32 v[0:1], v2, off
.LBB555_10:
	s_nop 0
	s_sendmsg sendmsg(MSG_DEALLOC_VGPRS)
	s_endpgm
	.section	.rodata,"a",@progbits
	.p2align	6, 0x0
	.amdhsa_kernel _ZN12_GLOBAL__N_121softmax_warp_backwardIfffLi4ELb0ELb0ELi32EEEvPT0_PKT_S5_iiiPKb
		.amdhsa_group_segment_fixed_size 0
		.amdhsa_private_segment_fixed_size 0
		.amdhsa_kernarg_size 304
		.amdhsa_user_sgpr_count 15
		.amdhsa_user_sgpr_dispatch_ptr 0
		.amdhsa_user_sgpr_queue_ptr 0
		.amdhsa_user_sgpr_kernarg_segment_ptr 1
		.amdhsa_user_sgpr_dispatch_id 0
		.amdhsa_user_sgpr_private_segment_size 0
		.amdhsa_wavefront_size32 1
		.amdhsa_uses_dynamic_stack 0
		.amdhsa_enable_private_segment 0
		.amdhsa_system_sgpr_workgroup_id_x 1
		.amdhsa_system_sgpr_workgroup_id_y 0
		.amdhsa_system_sgpr_workgroup_id_z 0
		.amdhsa_system_sgpr_workgroup_info 0
		.amdhsa_system_vgpr_workitem_id 1
		.amdhsa_next_free_vgpr 14
		.amdhsa_next_free_sgpr 16
		.amdhsa_reserve_vcc 1
		.amdhsa_float_round_mode_32 0
		.amdhsa_float_round_mode_16_64 0
		.amdhsa_float_denorm_mode_32 3
		.amdhsa_float_denorm_mode_16_64 3
		.amdhsa_dx10_clamp 1
		.amdhsa_ieee_mode 1
		.amdhsa_fp16_overflow 0
		.amdhsa_workgroup_processor_mode 1
		.amdhsa_memory_ordered 1
		.amdhsa_forward_progress 0
		.amdhsa_shared_vgpr_count 0
		.amdhsa_exception_fp_ieee_invalid_op 0
		.amdhsa_exception_fp_denorm_src 0
		.amdhsa_exception_fp_ieee_div_zero 0
		.amdhsa_exception_fp_ieee_overflow 0
		.amdhsa_exception_fp_ieee_underflow 0
		.amdhsa_exception_fp_ieee_inexact 0
		.amdhsa_exception_int_div_zero 0
	.end_amdhsa_kernel
	.section	.text._ZN12_GLOBAL__N_121softmax_warp_backwardIfffLi4ELb0ELb0ELi32EEEvPT0_PKT_S5_iiiPKb,"axG",@progbits,_ZN12_GLOBAL__N_121softmax_warp_backwardIfffLi4ELb0ELb0ELi32EEEvPT0_PKT_S5_iiiPKb,comdat
.Lfunc_end555:
	.size	_ZN12_GLOBAL__N_121softmax_warp_backwardIfffLi4ELb0ELb0ELi32EEEvPT0_PKT_S5_iiiPKb, .Lfunc_end555-_ZN12_GLOBAL__N_121softmax_warp_backwardIfffLi4ELb0ELb0ELi32EEEvPT0_PKT_S5_iiiPKb
                                        ; -- End function
	.section	.AMDGPU.csdata,"",@progbits
; Kernel info:
; codeLenInByte = 724
; NumSgprs: 18
; NumVgprs: 14
; ScratchSize: 0
; MemoryBound: 0
; FloatMode: 240
; IeeeMode: 1
; LDSByteSize: 0 bytes/workgroup (compile time only)
; SGPRBlocks: 2
; VGPRBlocks: 1
; NumSGPRsForWavesPerEU: 18
; NumVGPRsForWavesPerEU: 14
; Occupancy: 16
; WaveLimiterHint : 0
; COMPUTE_PGM_RSRC2:SCRATCH_EN: 0
; COMPUTE_PGM_RSRC2:USER_SGPR: 15
; COMPUTE_PGM_RSRC2:TRAP_HANDLER: 0
; COMPUTE_PGM_RSRC2:TGID_X_EN: 1
; COMPUTE_PGM_RSRC2:TGID_Y_EN: 0
; COMPUTE_PGM_RSRC2:TGID_Z_EN: 0
; COMPUTE_PGM_RSRC2:TIDIG_COMP_CNT: 1
	.section	.text._ZN12_GLOBAL__N_121softmax_warp_backwardIfffLi5ELb0ELb0ELi64EEEvPT0_PKT_S5_iiiPKb,"axG",@progbits,_ZN12_GLOBAL__N_121softmax_warp_backwardIfffLi5ELb0ELb0ELi64EEEvPT0_PKT_S5_iiiPKb,comdat
	.globl	_ZN12_GLOBAL__N_121softmax_warp_backwardIfffLi5ELb0ELb0ELi64EEEvPT0_PKT_S5_iiiPKb ; -- Begin function _ZN12_GLOBAL__N_121softmax_warp_backwardIfffLi5ELb0ELb0ELi64EEEvPT0_PKT_S5_iiiPKb
	.p2align	8
	.type	_ZN12_GLOBAL__N_121softmax_warp_backwardIfffLi5ELb0ELb0ELi64EEEvPT0_PKT_S5_iiiPKb,@function
_ZN12_GLOBAL__N_121softmax_warp_backwardIfffLi5ELb0ELb0ELi64EEEvPT0_PKT_S5_iiiPKb: ; @_ZN12_GLOBAL__N_121softmax_warp_backwardIfffLi5ELb0ELb0ELi64EEEvPT0_PKT_S5_iiiPKb
; %bb.0:
	s_clause 0x1
	s_load_b32 s2, s[0:1], 0x3c
	s_load_b128 s[4:7], s[0:1], 0x18
	v_bfe_u32 v1, v0, 10, 10
	v_dual_mov_b32 v7, 0 :: v_dual_and_b32 v2, 31, v0
	s_load_b128 s[8:11], s[0:1], 0x0
	v_dual_mov_b32 v8, 0 :: v_dual_mov_b32 v9, 0
	s_waitcnt lgkmcnt(0)
	s_lshr_b32 s2, s2, 16
	v_cmp_gt_i32_e32 vcc_lo, s6, v2
	s_mul_i32 s15, s15, s2
	s_load_b64 s[2:3], s[0:1], 0x10
	v_add_lshl_u32 v3, s15, v1, 1
	s_delay_alu instid0(VALU_DEP_1) | instskip(SKIP_1) | instid1(VALU_DEP_1)
	v_mad_u64_u32 v[0:1], null, v3, s5, v[2:3]
	v_sub_nc_u32_e32 v6, s4, v3
	v_cmp_lt_i32_e64 s0, 0, v6
	s_delay_alu instid0(VALU_DEP_3) | instskip(NEXT) | instid1(VALU_DEP_1)
	v_ashrrev_i32_e32 v1, 31, v0
	v_lshlrev_b64 v[0:1], 2, v[0:1]
	s_delay_alu instid0(VALU_DEP_1) | instskip(NEXT) | instid1(VALU_DEP_1)
	v_add_co_u32 v4, s1, s10, v0
	v_add_co_ci_u32_e64 v5, s1, s11, v1, s1
	s_waitcnt lgkmcnt(0)
	v_add_co_u32 v2, s1, s2, v0
	s_delay_alu instid0(VALU_DEP_1) | instskip(SKIP_1) | instid1(SALU_CYCLE_1)
	v_add_co_ci_u32_e64 v3, s1, s3, v1, s1
	s_and_b32 s2, vcc_lo, s0
	s_and_saveexec_b32 s1, s2
	s_cbranch_execz .LBB556_2
; %bb.1:
	global_load_b32 v8, v[4:5], off
	global_load_b32 v9, v[2:3], off
.LBB556_2:
	s_or_b32 exec_lo, exec_lo, s1
	v_cmp_lt_i32_e64 s1, 1, v6
	v_mov_b32_e32 v10, 0
	s_mov_b32 s7, 0
	s_delay_alu instid0(VALU_DEP_2) | instskip(NEXT) | instid1(SALU_CYCLE_1)
	s_and_b32 s1, vcc_lo, s1
	s_and_saveexec_b32 s2, s1
	s_cbranch_execz .LBB556_4
; %bb.3:
	s_lshl_b64 s[4:5], s[6:7], 2
	s_delay_alu instid0(SALU_CYCLE_1) | instskip(NEXT) | instid1(VALU_DEP_1)
	v_add_co_u32 v4, s1, v4, s4
	v_add_co_ci_u32_e64 v5, s1, s5, v5, s1
	v_add_co_u32 v2, s1, v2, s4
	s_delay_alu instid0(VALU_DEP_1)
	v_add_co_ci_u32_e64 v3, s1, s5, v3, s1
	global_load_b32 v7, v[4:5], off
	global_load_b32 v10, v[2:3], off
.LBB556_4:
	s_or_b32 exec_lo, exec_lo, s2
	v_mbcnt_lo_u32_b32 v2, -1, 0
	s_delay_alu instid0(VALU_DEP_1) | instskip(SKIP_1) | instid1(VALU_DEP_2)
	v_xor_b32_e32 v3, 16, v2
	v_xor_b32_e32 v12, 8, v2
	v_cmp_gt_i32_e64 s1, 32, v3
	s_delay_alu instid0(VALU_DEP_1) | instskip(NEXT) | instid1(VALU_DEP_3)
	v_cndmask_b32_e64 v3, v2, v3, s1
	v_cmp_gt_i32_e64 s1, 32, v12
	s_waitcnt vmcnt(1)
	s_delay_alu instid0(VALU_DEP_2) | instskip(NEXT) | instid1(VALU_DEP_2)
	v_dual_add_f32 v4, 0, v8 :: v_dual_lshlrev_b32 v3, 2, v3
	v_cndmask_b32_e64 v12, v2, v12, s1
	v_add_f32_e32 v5, 0, v7
	ds_bpermute_b32 v11, v3, v4
	v_lshlrev_b32_e32 v12, 2, v12
	ds_bpermute_b32 v3, v3, v5
	s_waitcnt lgkmcnt(1)
	v_add_f32_e32 v4, v4, v11
	s_waitcnt lgkmcnt(0)
	v_add_f32_e32 v3, v5, v3
	ds_bpermute_b32 v5, v12, v4
	ds_bpermute_b32 v11, v12, v3
	v_xor_b32_e32 v12, 4, v2
	s_delay_alu instid0(VALU_DEP_1) | instskip(NEXT) | instid1(VALU_DEP_1)
	v_cmp_gt_i32_e64 s1, 32, v12
	v_cndmask_b32_e64 v12, v2, v12, s1
	s_delay_alu instid0(VALU_DEP_1)
	v_lshlrev_b32_e32 v12, 2, v12
	s_waitcnt lgkmcnt(0)
	v_dual_add_f32 v4, v4, v5 :: v_dual_add_f32 v3, v3, v11
	ds_bpermute_b32 v5, v12, v4
	ds_bpermute_b32 v11, v12, v3
	v_xor_b32_e32 v12, 2, v2
	s_delay_alu instid0(VALU_DEP_1) | instskip(NEXT) | instid1(VALU_DEP_1)
	v_cmp_gt_i32_e64 s1, 32, v12
	v_cndmask_b32_e64 v12, v2, v12, s1
	s_delay_alu instid0(VALU_DEP_1)
	v_lshlrev_b32_e32 v12, 2, v12
	s_waitcnt lgkmcnt(0)
	v_dual_add_f32 v4, v4, v5 :: v_dual_add_f32 v3, v3, v11
	ds_bpermute_b32 v5, v12, v4
	ds_bpermute_b32 v11, v12, v3
	v_xor_b32_e32 v12, 1, v2
	s_delay_alu instid0(VALU_DEP_1) | instskip(NEXT) | instid1(VALU_DEP_1)
	v_cmp_gt_i32_e64 s1, 32, v12
	v_cndmask_b32_e64 v2, v2, v12, s1
	s_delay_alu instid0(VALU_DEP_1)
	v_lshlrev_b32_e32 v12, 2, v2
	s_waitcnt lgkmcnt(1)
	v_add_f32_e32 v4, v4, v5
	s_waitcnt lgkmcnt(0)
	v_add_f32_e32 v2, v3, v11
	ds_bpermute_b32 v5, v12, v4
	ds_bpermute_b32 v3, v12, v2
	s_and_saveexec_b32 s1, s0
	s_cbranch_execz .LBB556_10
; %bb.5:
	v_add_co_u32 v0, s0, s8, v0
	s_delay_alu instid0(VALU_DEP_1)
	v_add_co_ci_u32_e64 v1, s0, s9, v1, s0
	s_and_saveexec_b32 s0, vcc_lo
	s_cbranch_execz .LBB556_7
; %bb.6:
	s_waitcnt lgkmcnt(1)
	v_add_f32_e32 v4, v4, v5
	s_waitcnt vmcnt(0)
	s_delay_alu instid0(VALU_DEP_1)
	v_fma_f32 v4, -v4, v9, v8
	global_store_b32 v[0:1], v4, off
.LBB556_7:
	s_or_b32 exec_lo, exec_lo, s0
	v_cmp_ne_u32_e64 s0, 1, v6
	s_delay_alu instid0(VALU_DEP_1)
	s_and_b32 exec_lo, exec_lo, s0
	s_cbranch_execz .LBB556_10
; %bb.8:
	s_and_b32 exec_lo, exec_lo, vcc_lo
	s_cbranch_execz .LBB556_10
; %bb.9:
	s_waitcnt lgkmcnt(0)
	v_add_f32_e32 v2, v2, v3
	s_lshl_b64 s[0:1], s[6:7], 2
	s_delay_alu instid0(SALU_CYCLE_1) | instskip(SKIP_1) | instid1(VALU_DEP_2)
	v_add_co_u32 v0, vcc_lo, v0, s0
	s_waitcnt vmcnt(0)
	v_fma_f32 v2, -v2, v10, v7
	v_add_co_ci_u32_e32 v1, vcc_lo, s1, v1, vcc_lo
	global_store_b32 v[0:1], v2, off
.LBB556_10:
	s_nop 0
	s_sendmsg sendmsg(MSG_DEALLOC_VGPRS)
	s_endpgm
	.section	.rodata,"a",@progbits
	.p2align	6, 0x0
	.amdhsa_kernel _ZN12_GLOBAL__N_121softmax_warp_backwardIfffLi5ELb0ELb0ELi64EEEvPT0_PKT_S5_iiiPKb
		.amdhsa_group_segment_fixed_size 0
		.amdhsa_private_segment_fixed_size 0
		.amdhsa_kernarg_size 304
		.amdhsa_user_sgpr_count 15
		.amdhsa_user_sgpr_dispatch_ptr 0
		.amdhsa_user_sgpr_queue_ptr 0
		.amdhsa_user_sgpr_kernarg_segment_ptr 1
		.amdhsa_user_sgpr_dispatch_id 0
		.amdhsa_user_sgpr_private_segment_size 0
		.amdhsa_wavefront_size32 1
		.amdhsa_uses_dynamic_stack 0
		.amdhsa_enable_private_segment 0
		.amdhsa_system_sgpr_workgroup_id_x 1
		.amdhsa_system_sgpr_workgroup_id_y 0
		.amdhsa_system_sgpr_workgroup_id_z 0
		.amdhsa_system_sgpr_workgroup_info 0
		.amdhsa_system_vgpr_workitem_id 1
		.amdhsa_next_free_vgpr 13
		.amdhsa_next_free_sgpr 16
		.amdhsa_reserve_vcc 1
		.amdhsa_float_round_mode_32 0
		.amdhsa_float_round_mode_16_64 0
		.amdhsa_float_denorm_mode_32 3
		.amdhsa_float_denorm_mode_16_64 3
		.amdhsa_dx10_clamp 1
		.amdhsa_ieee_mode 1
		.amdhsa_fp16_overflow 0
		.amdhsa_workgroup_processor_mode 1
		.amdhsa_memory_ordered 1
		.amdhsa_forward_progress 0
		.amdhsa_shared_vgpr_count 0
		.amdhsa_exception_fp_ieee_invalid_op 0
		.amdhsa_exception_fp_denorm_src 0
		.amdhsa_exception_fp_ieee_div_zero 0
		.amdhsa_exception_fp_ieee_overflow 0
		.amdhsa_exception_fp_ieee_underflow 0
		.amdhsa_exception_fp_ieee_inexact 0
		.amdhsa_exception_int_div_zero 0
	.end_amdhsa_kernel
	.section	.text._ZN12_GLOBAL__N_121softmax_warp_backwardIfffLi5ELb0ELb0ELi64EEEvPT0_PKT_S5_iiiPKb,"axG",@progbits,_ZN12_GLOBAL__N_121softmax_warp_backwardIfffLi5ELb0ELb0ELi64EEEvPT0_PKT_S5_iiiPKb,comdat
.Lfunc_end556:
	.size	_ZN12_GLOBAL__N_121softmax_warp_backwardIfffLi5ELb0ELb0ELi64EEEvPT0_PKT_S5_iiiPKb, .Lfunc_end556-_ZN12_GLOBAL__N_121softmax_warp_backwardIfffLi5ELb0ELb0ELi64EEEvPT0_PKT_S5_iiiPKb
                                        ; -- End function
	.section	.AMDGPU.csdata,"",@progbits
; Kernel info:
; codeLenInByte = 768
; NumSgprs: 18
; NumVgprs: 13
; ScratchSize: 0
; MemoryBound: 0
; FloatMode: 240
; IeeeMode: 1
; LDSByteSize: 0 bytes/workgroup (compile time only)
; SGPRBlocks: 2
; VGPRBlocks: 1
; NumSGPRsForWavesPerEU: 18
; NumVGPRsForWavesPerEU: 13
; Occupancy: 16
; WaveLimiterHint : 0
; COMPUTE_PGM_RSRC2:SCRATCH_EN: 0
; COMPUTE_PGM_RSRC2:USER_SGPR: 15
; COMPUTE_PGM_RSRC2:TRAP_HANDLER: 0
; COMPUTE_PGM_RSRC2:TGID_X_EN: 1
; COMPUTE_PGM_RSRC2:TGID_Y_EN: 0
; COMPUTE_PGM_RSRC2:TGID_Z_EN: 0
; COMPUTE_PGM_RSRC2:TIDIG_COMP_CNT: 1
	.section	.text._ZN12_GLOBAL__N_121softmax_warp_backwardIfffLi5ELb0ELb0ELi32EEEvPT0_PKT_S5_iiiPKb,"axG",@progbits,_ZN12_GLOBAL__N_121softmax_warp_backwardIfffLi5ELb0ELb0ELi32EEEvPT0_PKT_S5_iiiPKb,comdat
	.globl	_ZN12_GLOBAL__N_121softmax_warp_backwardIfffLi5ELb0ELb0ELi32EEEvPT0_PKT_S5_iiiPKb ; -- Begin function _ZN12_GLOBAL__N_121softmax_warp_backwardIfffLi5ELb0ELb0ELi32EEEvPT0_PKT_S5_iiiPKb
	.p2align	8
	.type	_ZN12_GLOBAL__N_121softmax_warp_backwardIfffLi5ELb0ELb0ELi32EEEvPT0_PKT_S5_iiiPKb,@function
_ZN12_GLOBAL__N_121softmax_warp_backwardIfffLi5ELb0ELb0ELi32EEEvPT0_PKT_S5_iiiPKb: ; @_ZN12_GLOBAL__N_121softmax_warp_backwardIfffLi5ELb0ELb0ELi32EEEvPT0_PKT_S5_iiiPKb
; %bb.0:
	s_clause 0x1
	s_load_b32 s2, s[0:1], 0x3c
	s_load_b128 s[4:7], s[0:1], 0x18
	v_bfe_u32 v1, v0, 10, 10
	v_dual_mov_b32 v7, 0 :: v_dual_and_b32 v2, 31, v0
	s_load_b128 s[8:11], s[0:1], 0x0
	v_dual_mov_b32 v8, 0 :: v_dual_mov_b32 v9, 0
	s_waitcnt lgkmcnt(0)
	s_lshr_b32 s2, s2, 16
	v_cmp_gt_i32_e32 vcc_lo, s6, v2
	s_mul_i32 s15, s15, s2
	s_load_b64 s[2:3], s[0:1], 0x10
	v_add_lshl_u32 v3, s15, v1, 1
	s_delay_alu instid0(VALU_DEP_1) | instskip(SKIP_1) | instid1(VALU_DEP_1)
	v_mad_u64_u32 v[0:1], null, v3, s5, v[2:3]
	v_sub_nc_u32_e32 v6, s4, v3
	v_cmp_lt_i32_e64 s0, 0, v6
	s_delay_alu instid0(VALU_DEP_3) | instskip(NEXT) | instid1(VALU_DEP_1)
	v_ashrrev_i32_e32 v1, 31, v0
	v_lshlrev_b64 v[0:1], 2, v[0:1]
	s_delay_alu instid0(VALU_DEP_1) | instskip(NEXT) | instid1(VALU_DEP_1)
	v_add_co_u32 v4, s1, s10, v0
	v_add_co_ci_u32_e64 v5, s1, s11, v1, s1
	s_waitcnt lgkmcnt(0)
	v_add_co_u32 v2, s1, s2, v0
	s_delay_alu instid0(VALU_DEP_1) | instskip(SKIP_1) | instid1(SALU_CYCLE_1)
	v_add_co_ci_u32_e64 v3, s1, s3, v1, s1
	s_and_b32 s2, vcc_lo, s0
	s_and_saveexec_b32 s1, s2
	s_cbranch_execz .LBB557_2
; %bb.1:
	global_load_b32 v8, v[4:5], off
	global_load_b32 v9, v[2:3], off
.LBB557_2:
	s_or_b32 exec_lo, exec_lo, s1
	v_cmp_lt_i32_e64 s1, 1, v6
	v_mov_b32_e32 v10, 0
	s_mov_b32 s7, 0
	s_delay_alu instid0(VALU_DEP_2) | instskip(NEXT) | instid1(SALU_CYCLE_1)
	s_and_b32 s1, vcc_lo, s1
	s_and_saveexec_b32 s2, s1
	s_cbranch_execz .LBB557_4
; %bb.3:
	s_lshl_b64 s[4:5], s[6:7], 2
	s_delay_alu instid0(SALU_CYCLE_1) | instskip(NEXT) | instid1(VALU_DEP_1)
	v_add_co_u32 v4, s1, v4, s4
	v_add_co_ci_u32_e64 v5, s1, s5, v5, s1
	v_add_co_u32 v2, s1, v2, s4
	s_delay_alu instid0(VALU_DEP_1)
	v_add_co_ci_u32_e64 v3, s1, s5, v3, s1
	global_load_b32 v7, v[4:5], off
	global_load_b32 v10, v[2:3], off
.LBB557_4:
	s_or_b32 exec_lo, exec_lo, s2
	v_mbcnt_lo_u32_b32 v2, -1, 0
	s_delay_alu instid0(VALU_DEP_1) | instskip(SKIP_1) | instid1(VALU_DEP_2)
	v_xor_b32_e32 v3, 16, v2
	v_xor_b32_e32 v12, 8, v2
	v_cmp_gt_i32_e64 s1, 32, v3
	s_delay_alu instid0(VALU_DEP_1) | instskip(NEXT) | instid1(VALU_DEP_3)
	v_cndmask_b32_e64 v3, v2, v3, s1
	v_cmp_gt_i32_e64 s1, 32, v12
	s_waitcnt vmcnt(1)
	s_delay_alu instid0(VALU_DEP_2) | instskip(NEXT) | instid1(VALU_DEP_2)
	v_dual_add_f32 v4, 0, v8 :: v_dual_lshlrev_b32 v3, 2, v3
	v_cndmask_b32_e64 v12, v2, v12, s1
	v_add_f32_e32 v5, 0, v7
	ds_bpermute_b32 v11, v3, v4
	v_lshlrev_b32_e32 v12, 2, v12
	ds_bpermute_b32 v3, v3, v5
	s_waitcnt lgkmcnt(1)
	v_add_f32_e32 v4, v4, v11
	s_waitcnt lgkmcnt(0)
	v_add_f32_e32 v3, v5, v3
	ds_bpermute_b32 v5, v12, v4
	ds_bpermute_b32 v11, v12, v3
	v_xor_b32_e32 v12, 4, v2
	s_delay_alu instid0(VALU_DEP_1) | instskip(NEXT) | instid1(VALU_DEP_1)
	v_cmp_gt_i32_e64 s1, 32, v12
	v_cndmask_b32_e64 v12, v2, v12, s1
	s_delay_alu instid0(VALU_DEP_1)
	v_lshlrev_b32_e32 v12, 2, v12
	s_waitcnt lgkmcnt(0)
	v_dual_add_f32 v4, v4, v5 :: v_dual_add_f32 v3, v3, v11
	ds_bpermute_b32 v5, v12, v4
	ds_bpermute_b32 v11, v12, v3
	v_xor_b32_e32 v12, 2, v2
	s_delay_alu instid0(VALU_DEP_1) | instskip(NEXT) | instid1(VALU_DEP_1)
	v_cmp_gt_i32_e64 s1, 32, v12
	v_cndmask_b32_e64 v12, v2, v12, s1
	s_delay_alu instid0(VALU_DEP_1)
	v_lshlrev_b32_e32 v12, 2, v12
	s_waitcnt lgkmcnt(0)
	v_dual_add_f32 v4, v4, v5 :: v_dual_add_f32 v3, v3, v11
	ds_bpermute_b32 v5, v12, v4
	ds_bpermute_b32 v11, v12, v3
	v_xor_b32_e32 v12, 1, v2
	s_delay_alu instid0(VALU_DEP_1) | instskip(NEXT) | instid1(VALU_DEP_1)
	v_cmp_gt_i32_e64 s1, 32, v12
	v_cndmask_b32_e64 v2, v2, v12, s1
	s_delay_alu instid0(VALU_DEP_1)
	v_lshlrev_b32_e32 v12, 2, v2
	s_waitcnt lgkmcnt(1)
	v_add_f32_e32 v4, v4, v5
	s_waitcnt lgkmcnt(0)
	v_add_f32_e32 v2, v3, v11
	ds_bpermute_b32 v5, v12, v4
	ds_bpermute_b32 v3, v12, v2
	s_and_saveexec_b32 s1, s0
	s_cbranch_execz .LBB557_10
; %bb.5:
	v_add_co_u32 v0, s0, s8, v0
	s_delay_alu instid0(VALU_DEP_1)
	v_add_co_ci_u32_e64 v1, s0, s9, v1, s0
	s_and_saveexec_b32 s0, vcc_lo
	s_cbranch_execz .LBB557_7
; %bb.6:
	s_waitcnt lgkmcnt(1)
	v_add_f32_e32 v4, v4, v5
	s_waitcnt vmcnt(0)
	s_delay_alu instid0(VALU_DEP_1)
	v_fma_f32 v4, -v4, v9, v8
	global_store_b32 v[0:1], v4, off
.LBB557_7:
	s_or_b32 exec_lo, exec_lo, s0
	v_cmp_ne_u32_e64 s0, 1, v6
	s_delay_alu instid0(VALU_DEP_1)
	s_and_b32 exec_lo, exec_lo, s0
	s_cbranch_execz .LBB557_10
; %bb.8:
	s_and_b32 exec_lo, exec_lo, vcc_lo
	s_cbranch_execz .LBB557_10
; %bb.9:
	s_waitcnt lgkmcnt(0)
	v_add_f32_e32 v2, v2, v3
	s_lshl_b64 s[0:1], s[6:7], 2
	s_delay_alu instid0(SALU_CYCLE_1) | instskip(SKIP_1) | instid1(VALU_DEP_2)
	v_add_co_u32 v0, vcc_lo, v0, s0
	s_waitcnt vmcnt(0)
	v_fma_f32 v2, -v2, v10, v7
	v_add_co_ci_u32_e32 v1, vcc_lo, s1, v1, vcc_lo
	global_store_b32 v[0:1], v2, off
.LBB557_10:
	s_nop 0
	s_sendmsg sendmsg(MSG_DEALLOC_VGPRS)
	s_endpgm
	.section	.rodata,"a",@progbits
	.p2align	6, 0x0
	.amdhsa_kernel _ZN12_GLOBAL__N_121softmax_warp_backwardIfffLi5ELb0ELb0ELi32EEEvPT0_PKT_S5_iiiPKb
		.amdhsa_group_segment_fixed_size 0
		.amdhsa_private_segment_fixed_size 0
		.amdhsa_kernarg_size 304
		.amdhsa_user_sgpr_count 15
		.amdhsa_user_sgpr_dispatch_ptr 0
		.amdhsa_user_sgpr_queue_ptr 0
		.amdhsa_user_sgpr_kernarg_segment_ptr 1
		.amdhsa_user_sgpr_dispatch_id 0
		.amdhsa_user_sgpr_private_segment_size 0
		.amdhsa_wavefront_size32 1
		.amdhsa_uses_dynamic_stack 0
		.amdhsa_enable_private_segment 0
		.amdhsa_system_sgpr_workgroup_id_x 1
		.amdhsa_system_sgpr_workgroup_id_y 0
		.amdhsa_system_sgpr_workgroup_id_z 0
		.amdhsa_system_sgpr_workgroup_info 0
		.amdhsa_system_vgpr_workitem_id 1
		.amdhsa_next_free_vgpr 13
		.amdhsa_next_free_sgpr 16
		.amdhsa_reserve_vcc 1
		.amdhsa_float_round_mode_32 0
		.amdhsa_float_round_mode_16_64 0
		.amdhsa_float_denorm_mode_32 3
		.amdhsa_float_denorm_mode_16_64 3
		.amdhsa_dx10_clamp 1
		.amdhsa_ieee_mode 1
		.amdhsa_fp16_overflow 0
		.amdhsa_workgroup_processor_mode 1
		.amdhsa_memory_ordered 1
		.amdhsa_forward_progress 0
		.amdhsa_shared_vgpr_count 0
		.amdhsa_exception_fp_ieee_invalid_op 0
		.amdhsa_exception_fp_denorm_src 0
		.amdhsa_exception_fp_ieee_div_zero 0
		.amdhsa_exception_fp_ieee_overflow 0
		.amdhsa_exception_fp_ieee_underflow 0
		.amdhsa_exception_fp_ieee_inexact 0
		.amdhsa_exception_int_div_zero 0
	.end_amdhsa_kernel
	.section	.text._ZN12_GLOBAL__N_121softmax_warp_backwardIfffLi5ELb0ELb0ELi32EEEvPT0_PKT_S5_iiiPKb,"axG",@progbits,_ZN12_GLOBAL__N_121softmax_warp_backwardIfffLi5ELb0ELb0ELi32EEEvPT0_PKT_S5_iiiPKb,comdat
.Lfunc_end557:
	.size	_ZN12_GLOBAL__N_121softmax_warp_backwardIfffLi5ELb0ELb0ELi32EEEvPT0_PKT_S5_iiiPKb, .Lfunc_end557-_ZN12_GLOBAL__N_121softmax_warp_backwardIfffLi5ELb0ELb0ELi32EEEvPT0_PKT_S5_iiiPKb
                                        ; -- End function
	.section	.AMDGPU.csdata,"",@progbits
; Kernel info:
; codeLenInByte = 768
; NumSgprs: 18
; NumVgprs: 13
; ScratchSize: 0
; MemoryBound: 0
; FloatMode: 240
; IeeeMode: 1
; LDSByteSize: 0 bytes/workgroup (compile time only)
; SGPRBlocks: 2
; VGPRBlocks: 1
; NumSGPRsForWavesPerEU: 18
; NumVGPRsForWavesPerEU: 13
; Occupancy: 16
; WaveLimiterHint : 0
; COMPUTE_PGM_RSRC2:SCRATCH_EN: 0
; COMPUTE_PGM_RSRC2:USER_SGPR: 15
; COMPUTE_PGM_RSRC2:TRAP_HANDLER: 0
; COMPUTE_PGM_RSRC2:TGID_X_EN: 1
; COMPUTE_PGM_RSRC2:TGID_Y_EN: 0
; COMPUTE_PGM_RSRC2:TGID_Z_EN: 0
; COMPUTE_PGM_RSRC2:TIDIG_COMP_CNT: 1
	.section	.text._ZN12_GLOBAL__N_121softmax_warp_backwardIfffLi6ELb0ELb0ELi64EEEvPT0_PKT_S5_iiiPKb,"axG",@progbits,_ZN12_GLOBAL__N_121softmax_warp_backwardIfffLi6ELb0ELb0ELi64EEEvPT0_PKT_S5_iiiPKb,comdat
	.globl	_ZN12_GLOBAL__N_121softmax_warp_backwardIfffLi6ELb0ELb0ELi64EEEvPT0_PKT_S5_iiiPKb ; -- Begin function _ZN12_GLOBAL__N_121softmax_warp_backwardIfffLi6ELb0ELb0ELi64EEEvPT0_PKT_S5_iiiPKb
	.p2align	8
	.type	_ZN12_GLOBAL__N_121softmax_warp_backwardIfffLi6ELb0ELb0ELi64EEEvPT0_PKT_S5_iiiPKb,@function
_ZN12_GLOBAL__N_121softmax_warp_backwardIfffLi6ELb0ELb0ELi64EEEvPT0_PKT_S5_iiiPKb: ; @_ZN12_GLOBAL__N_121softmax_warp_backwardIfffLi6ELb0ELb0ELi64EEEvPT0_PKT_S5_iiiPKb
; %bb.0:
	s_clause 0x1
	s_load_b32 s2, s[0:1], 0x3c
	s_load_b128 s[4:7], s[0:1], 0x18
	v_bfe_u32 v1, v0, 10, 10
	v_dual_mov_b32 v7, 0 :: v_dual_and_b32 v2, 63, v0
	s_load_b128 s[8:11], s[0:1], 0x0
	v_dual_mov_b32 v8, 0 :: v_dual_mov_b32 v9, 0
	s_waitcnt lgkmcnt(0)
	s_lshr_b32 s2, s2, 16
	v_cmp_gt_i32_e32 vcc_lo, s6, v2
	s_mul_i32 s15, s15, s2
	s_load_b64 s[2:3], s[0:1], 0x10
	v_add_lshl_u32 v3, s15, v1, 1
	s_delay_alu instid0(VALU_DEP_1) | instskip(SKIP_1) | instid1(VALU_DEP_1)
	v_mad_u64_u32 v[0:1], null, v3, s5, v[2:3]
	v_sub_nc_u32_e32 v6, s4, v3
	v_cmp_lt_i32_e64 s0, 0, v6
	s_delay_alu instid0(VALU_DEP_3) | instskip(NEXT) | instid1(VALU_DEP_1)
	v_ashrrev_i32_e32 v1, 31, v0
	v_lshlrev_b64 v[0:1], 2, v[0:1]
	s_delay_alu instid0(VALU_DEP_1) | instskip(NEXT) | instid1(VALU_DEP_1)
	v_add_co_u32 v4, s1, s10, v0
	v_add_co_ci_u32_e64 v5, s1, s11, v1, s1
	s_waitcnt lgkmcnt(0)
	v_add_co_u32 v2, s1, s2, v0
	s_delay_alu instid0(VALU_DEP_1) | instskip(SKIP_1) | instid1(SALU_CYCLE_1)
	v_add_co_ci_u32_e64 v3, s1, s3, v1, s1
	s_and_b32 s2, vcc_lo, s0
	s_and_saveexec_b32 s1, s2
	s_cbranch_execz .LBB558_2
; %bb.1:
	global_load_b32 v8, v[4:5], off
	global_load_b32 v9, v[2:3], off
.LBB558_2:
	s_or_b32 exec_lo, exec_lo, s1
	v_cmp_lt_i32_e64 s1, 1, v6
	v_mov_b32_e32 v10, 0
	s_mov_b32 s7, 0
	s_delay_alu instid0(VALU_DEP_2) | instskip(NEXT) | instid1(SALU_CYCLE_1)
	s_and_b32 s1, vcc_lo, s1
	s_and_saveexec_b32 s2, s1
	s_cbranch_execz .LBB558_4
; %bb.3:
	s_lshl_b64 s[4:5], s[6:7], 2
	s_delay_alu instid0(SALU_CYCLE_1) | instskip(NEXT) | instid1(VALU_DEP_1)
	v_add_co_u32 v4, s1, v4, s4
	v_add_co_ci_u32_e64 v5, s1, s5, v5, s1
	v_add_co_u32 v2, s1, v2, s4
	s_delay_alu instid0(VALU_DEP_1)
	v_add_co_ci_u32_e64 v3, s1, s5, v3, s1
	global_load_b32 v7, v[4:5], off
	global_load_b32 v10, v[2:3], off
.LBB558_4:
	s_or_b32 exec_lo, exec_lo, s2
	v_mbcnt_lo_u32_b32 v2, -1, 0
	s_delay_alu instid0(VALU_DEP_1) | instskip(SKIP_1) | instid1(VALU_DEP_2)
	v_or_b32_e32 v3, 32, v2
	v_xor_b32_e32 v12, 16, v2
	v_cmp_gt_i32_e64 s1, 64, v3
	s_delay_alu instid0(VALU_DEP_1) | instskip(NEXT) | instid1(VALU_DEP_3)
	v_cndmask_b32_e64 v3, v2, v3, s1
	v_cmp_gt_i32_e64 s1, 64, v12
	s_waitcnt vmcnt(1)
	s_delay_alu instid0(VALU_DEP_2) | instskip(NEXT) | instid1(VALU_DEP_2)
	v_dual_add_f32 v4, 0, v8 :: v_dual_lshlrev_b32 v3, 2, v3
	v_cndmask_b32_e64 v12, v2, v12, s1
	v_add_f32_e32 v5, 0, v7
	ds_bpermute_b32 v11, v3, v4
	v_lshlrev_b32_e32 v12, 2, v12
	ds_bpermute_b32 v3, v3, v5
	s_waitcnt lgkmcnt(1)
	v_add_f32_e32 v4, v4, v11
	s_waitcnt lgkmcnt(0)
	v_add_f32_e32 v3, v5, v3
	ds_bpermute_b32 v5, v12, v4
	ds_bpermute_b32 v11, v12, v3
	v_xor_b32_e32 v12, 8, v2
	s_delay_alu instid0(VALU_DEP_1) | instskip(NEXT) | instid1(VALU_DEP_1)
	v_cmp_gt_i32_e64 s1, 64, v12
	v_cndmask_b32_e64 v12, v2, v12, s1
	s_delay_alu instid0(VALU_DEP_1)
	v_lshlrev_b32_e32 v12, 2, v12
	s_waitcnt lgkmcnt(0)
	v_dual_add_f32 v4, v4, v5 :: v_dual_add_f32 v3, v3, v11
	ds_bpermute_b32 v5, v12, v4
	ds_bpermute_b32 v11, v12, v3
	v_xor_b32_e32 v12, 4, v2
	s_delay_alu instid0(VALU_DEP_1) | instskip(NEXT) | instid1(VALU_DEP_1)
	v_cmp_gt_i32_e64 s1, 64, v12
	v_cndmask_b32_e64 v12, v2, v12, s1
	s_waitcnt lgkmcnt(0)
	s_delay_alu instid0(VALU_DEP_1)
	v_dual_add_f32 v3, v3, v11 :: v_dual_lshlrev_b32 v12, 2, v12
	ds_bpermute_b32 v11, v12, v3
	s_waitcnt lgkmcnt(0)
	v_dual_add_f32 v4, v4, v5 :: v_dual_add_f32 v3, v3, v11
	ds_bpermute_b32 v5, v12, v4
	v_xor_b32_e32 v12, 2, v2
	s_delay_alu instid0(VALU_DEP_1) | instskip(NEXT) | instid1(VALU_DEP_1)
	v_cmp_gt_i32_e64 s1, 64, v12
	v_cndmask_b32_e64 v12, v2, v12, s1
	s_delay_alu instid0(VALU_DEP_1)
	v_lshlrev_b32_e32 v12, 2, v12
	s_waitcnt lgkmcnt(0)
	v_add_f32_e32 v4, v4, v5
	ds_bpermute_b32 v11, v12, v3
	ds_bpermute_b32 v5, v12, v4
	v_xor_b32_e32 v12, 1, v2
	s_delay_alu instid0(VALU_DEP_1) | instskip(NEXT) | instid1(VALU_DEP_1)
	v_cmp_gt_i32_e64 s1, 64, v12
	v_cndmask_b32_e64 v2, v2, v12, s1
	s_delay_alu instid0(VALU_DEP_1)
	v_lshlrev_b32_e32 v12, 2, v2
	s_waitcnt lgkmcnt(1)
	v_add_f32_e32 v2, v3, v11
	s_waitcnt lgkmcnt(0)
	v_add_f32_e32 v4, v4, v5
	ds_bpermute_b32 v3, v12, v2
	ds_bpermute_b32 v5, v12, v4
	s_and_saveexec_b32 s1, s0
	s_cbranch_execz .LBB558_10
; %bb.5:
	v_add_co_u32 v0, s0, s8, v0
	s_delay_alu instid0(VALU_DEP_1)
	v_add_co_ci_u32_e64 v1, s0, s9, v1, s0
	s_and_saveexec_b32 s0, vcc_lo
	s_cbranch_execz .LBB558_7
; %bb.6:
	s_waitcnt lgkmcnt(0)
	v_add_f32_e32 v4, v4, v5
	s_waitcnt vmcnt(0)
	s_delay_alu instid0(VALU_DEP_1)
	v_fma_f32 v4, -v4, v9, v8
	global_store_b32 v[0:1], v4, off
.LBB558_7:
	s_or_b32 exec_lo, exec_lo, s0
	v_cmp_ne_u32_e64 s0, 1, v6
	s_delay_alu instid0(VALU_DEP_1)
	s_and_b32 exec_lo, exec_lo, s0
	s_cbranch_execz .LBB558_10
; %bb.8:
	s_and_b32 exec_lo, exec_lo, vcc_lo
	s_cbranch_execz .LBB558_10
; %bb.9:
	s_waitcnt lgkmcnt(1)
	v_add_f32_e32 v2, v2, v3
	s_lshl_b64 s[0:1], s[6:7], 2
	s_delay_alu instid0(SALU_CYCLE_1) | instskip(SKIP_1) | instid1(VALU_DEP_2)
	v_add_co_u32 v0, vcc_lo, v0, s0
	s_waitcnt vmcnt(0)
	v_fma_f32 v2, -v2, v10, v7
	v_add_co_ci_u32_e32 v1, vcc_lo, s1, v1, vcc_lo
	global_store_b32 v[0:1], v2, off
.LBB558_10:
	s_nop 0
	s_sendmsg sendmsg(MSG_DEALLOC_VGPRS)
	s_endpgm
	.section	.rodata,"a",@progbits
	.p2align	6, 0x0
	.amdhsa_kernel _ZN12_GLOBAL__N_121softmax_warp_backwardIfffLi6ELb0ELb0ELi64EEEvPT0_PKT_S5_iiiPKb
		.amdhsa_group_segment_fixed_size 0
		.amdhsa_private_segment_fixed_size 0
		.amdhsa_kernarg_size 304
		.amdhsa_user_sgpr_count 15
		.amdhsa_user_sgpr_dispatch_ptr 0
		.amdhsa_user_sgpr_queue_ptr 0
		.amdhsa_user_sgpr_kernarg_segment_ptr 1
		.amdhsa_user_sgpr_dispatch_id 0
		.amdhsa_user_sgpr_private_segment_size 0
		.amdhsa_wavefront_size32 1
		.amdhsa_uses_dynamic_stack 0
		.amdhsa_enable_private_segment 0
		.amdhsa_system_sgpr_workgroup_id_x 1
		.amdhsa_system_sgpr_workgroup_id_y 0
		.amdhsa_system_sgpr_workgroup_id_z 0
		.amdhsa_system_sgpr_workgroup_info 0
		.amdhsa_system_vgpr_workitem_id 1
		.amdhsa_next_free_vgpr 13
		.amdhsa_next_free_sgpr 16
		.amdhsa_reserve_vcc 1
		.amdhsa_float_round_mode_32 0
		.amdhsa_float_round_mode_16_64 0
		.amdhsa_float_denorm_mode_32 3
		.amdhsa_float_denorm_mode_16_64 3
		.amdhsa_dx10_clamp 1
		.amdhsa_ieee_mode 1
		.amdhsa_fp16_overflow 0
		.amdhsa_workgroup_processor_mode 1
		.amdhsa_memory_ordered 1
		.amdhsa_forward_progress 0
		.amdhsa_shared_vgpr_count 0
		.amdhsa_exception_fp_ieee_invalid_op 0
		.amdhsa_exception_fp_denorm_src 0
		.amdhsa_exception_fp_ieee_div_zero 0
		.amdhsa_exception_fp_ieee_overflow 0
		.amdhsa_exception_fp_ieee_underflow 0
		.amdhsa_exception_fp_ieee_inexact 0
		.amdhsa_exception_int_div_zero 0
	.end_amdhsa_kernel
	.section	.text._ZN12_GLOBAL__N_121softmax_warp_backwardIfffLi6ELb0ELb0ELi64EEEvPT0_PKT_S5_iiiPKb,"axG",@progbits,_ZN12_GLOBAL__N_121softmax_warp_backwardIfffLi6ELb0ELb0ELi64EEEvPT0_PKT_S5_iiiPKb,comdat
.Lfunc_end558:
	.size	_ZN12_GLOBAL__N_121softmax_warp_backwardIfffLi6ELb0ELb0ELi64EEEvPT0_PKT_S5_iiiPKb, .Lfunc_end558-_ZN12_GLOBAL__N_121softmax_warp_backwardIfffLi6ELb0ELb0ELi64EEEvPT0_PKT_S5_iiiPKb
                                        ; -- End function
	.section	.AMDGPU.csdata,"",@progbits
; Kernel info:
; codeLenInByte = 832
; NumSgprs: 18
; NumVgprs: 13
; ScratchSize: 0
; MemoryBound: 0
; FloatMode: 240
; IeeeMode: 1
; LDSByteSize: 0 bytes/workgroup (compile time only)
; SGPRBlocks: 2
; VGPRBlocks: 1
; NumSGPRsForWavesPerEU: 18
; NumVGPRsForWavesPerEU: 13
; Occupancy: 16
; WaveLimiterHint : 0
; COMPUTE_PGM_RSRC2:SCRATCH_EN: 0
; COMPUTE_PGM_RSRC2:USER_SGPR: 15
; COMPUTE_PGM_RSRC2:TRAP_HANDLER: 0
; COMPUTE_PGM_RSRC2:TGID_X_EN: 1
; COMPUTE_PGM_RSRC2:TGID_Y_EN: 0
; COMPUTE_PGM_RSRC2:TGID_Z_EN: 0
; COMPUTE_PGM_RSRC2:TIDIG_COMP_CNT: 1
	.section	.text._ZN12_GLOBAL__N_121softmax_warp_backwardIfffLi6ELb0ELb0ELi32EEEvPT0_PKT_S5_iiiPKb,"axG",@progbits,_ZN12_GLOBAL__N_121softmax_warp_backwardIfffLi6ELb0ELb0ELi32EEEvPT0_PKT_S5_iiiPKb,comdat
	.globl	_ZN12_GLOBAL__N_121softmax_warp_backwardIfffLi6ELb0ELb0ELi32EEEvPT0_PKT_S5_iiiPKb ; -- Begin function _ZN12_GLOBAL__N_121softmax_warp_backwardIfffLi6ELb0ELb0ELi32EEEvPT0_PKT_S5_iiiPKb
	.p2align	8
	.type	_ZN12_GLOBAL__N_121softmax_warp_backwardIfffLi6ELb0ELb0ELi32EEEvPT0_PKT_S5_iiiPKb,@function
_ZN12_GLOBAL__N_121softmax_warp_backwardIfffLi6ELb0ELb0ELi32EEEvPT0_PKT_S5_iiiPKb: ; @_ZN12_GLOBAL__N_121softmax_warp_backwardIfffLi6ELb0ELb0ELi32EEEvPT0_PKT_S5_iiiPKb
; %bb.0:
	s_clause 0x1
	s_load_b32 s2, s[0:1], 0x3c
	s_load_b128 s[4:7], s[0:1], 0x18
	v_bfe_u32 v1, v0, 10, 10
	v_dual_mov_b32 v9, 0 :: v_dual_and_b32 v6, 31, v0
	s_load_b128 s[8:11], s[0:1], 0x0
	v_mov_b32_e32 v8, 0
	v_mov_b32_e32 v10, 0
	s_waitcnt lgkmcnt(0)
	s_lshr_b32 s2, s2, 16
	v_cmp_gt_i32_e32 vcc_lo, s6, v6
	s_mul_i32 s15, s15, s2
	s_load_b64 s[2:3], s[0:1], 0x10
	v_add_lshl_u32 v2, s15, v1, 1
	s_delay_alu instid0(VALU_DEP_1) | instskip(SKIP_1) | instid1(VALU_DEP_1)
	v_mad_u64_u32 v[0:1], null, v2, s5, v[6:7]
	v_sub_nc_u32_e32 v7, s4, v2
	v_cmp_lt_i32_e64 s1, 0, v7
	s_delay_alu instid0(VALU_DEP_3) | instskip(NEXT) | instid1(VALU_DEP_1)
	v_ashrrev_i32_e32 v1, 31, v0
	v_lshlrev_b64 v[0:1], 2, v[0:1]
	s_delay_alu instid0(VALU_DEP_1) | instskip(NEXT) | instid1(VALU_DEP_1)
	v_add_co_u32 v4, s0, s10, v0
	v_add_co_ci_u32_e64 v5, s0, s11, v1, s0
	s_waitcnt lgkmcnt(0)
	v_add_co_u32 v2, s0, s2, v0
	s_delay_alu instid0(VALU_DEP_1) | instskip(SKIP_1) | instid1(SALU_CYCLE_1)
	v_add_co_ci_u32_e64 v3, s0, s3, v1, s0
	s_and_b32 s2, s1, vcc_lo
	s_and_saveexec_b32 s0, s2
	s_cbranch_execz .LBB559_2
; %bb.1:
	global_load_b32 v9, v[4:5], off
	global_load_b32 v10, v[2:3], off
.LBB559_2:
	s_or_b32 exec_lo, exec_lo, s0
	v_or_b32_e32 v6, 32, v6
	v_mov_b32_e32 v11, 0
	s_delay_alu instid0(VALU_DEP_2) | instskip(NEXT) | instid1(VALU_DEP_1)
	v_cmp_gt_i32_e64 s0, s6, v6
	s_and_b32 s3, s1, s0
	s_delay_alu instid0(SALU_CYCLE_1)
	s_and_saveexec_b32 s2, s3
	s_cbranch_execz .LBB559_4
; %bb.3:
	global_load_b32 v8, v[4:5], off offset:128
	global_load_b32 v11, v[2:3], off offset:128
.LBB559_4:
	s_or_b32 exec_lo, exec_lo, s2
	v_cmp_lt_i32_e64 s2, 1, v7
	v_dual_mov_b32 v6, 0 :: v_dual_mov_b32 v13, 0
	v_mov_b32_e32 v12, 0
	s_mov_b32 s7, 0
	s_delay_alu instid0(VALU_DEP_3) | instskip(NEXT) | instid1(SALU_CYCLE_1)
	s_and_b32 s3, s2, vcc_lo
	s_and_saveexec_b32 s4, s3
	s_cbranch_execz .LBB559_6
; %bb.5:
	s_lshl_b64 s[10:11], s[6:7], 2
	s_delay_alu instid0(SALU_CYCLE_1) | instskip(NEXT) | instid1(VALU_DEP_1)
	v_add_co_u32 v12, s3, v4, s10
	v_add_co_ci_u32_e64 v13, s3, s11, v5, s3
	v_add_co_u32 v14, s3, v2, s10
	s_delay_alu instid0(VALU_DEP_1)
	v_add_co_ci_u32_e64 v15, s3, s11, v3, s3
	global_load_b32 v12, v[12:13], off
	global_load_b32 v13, v[14:15], off
.LBB559_6:
	s_or_b32 exec_lo, exec_lo, s4
	v_mov_b32_e32 v14, 0
	s_and_b32 s2, s2, s0
	s_delay_alu instid0(SALU_CYCLE_1)
	s_and_saveexec_b32 s3, s2
	s_cbranch_execz .LBB559_8
; %bb.7:
	s_lshl_b64 s[4:5], s[6:7], 2
	s_delay_alu instid0(SALU_CYCLE_1) | instskip(NEXT) | instid1(VALU_DEP_1)
	v_add_co_u32 v4, s2, v4, s4
	v_add_co_ci_u32_e64 v5, s2, s5, v5, s2
	v_add_co_u32 v2, s2, v2, s4
	s_delay_alu instid0(VALU_DEP_1)
	v_add_co_ci_u32_e64 v3, s2, s5, v3, s2
	global_load_b32 v6, v[4:5], off offset:128
	global_load_b32 v14, v[2:3], off offset:128
.LBB559_8:
	s_or_b32 exec_lo, exec_lo, s3
	v_mbcnt_lo_u32_b32 v2, -1, 0
	s_waitcnt vmcnt(1)
	v_dual_add_f32 v4, 0, v9 :: v_dual_add_f32 v5, 0, v12
	s_delay_alu instid0(VALU_DEP_2) | instskip(SKIP_1) | instid1(VALU_DEP_2)
	v_xor_b32_e32 v3, 16, v2
	v_xor_b32_e32 v16, 8, v2
	v_cmp_gt_i32_e64 s2, 32, v3
	s_delay_alu instid0(VALU_DEP_1) | instskip(NEXT) | instid1(VALU_DEP_3)
	v_cndmask_b32_e64 v3, v2, v3, s2
	v_cmp_gt_i32_e64 s2, 32, v16
	s_delay_alu instid0(VALU_DEP_2) | instskip(NEXT) | instid1(VALU_DEP_2)
	v_dual_add_f32 v4, v4, v8 :: v_dual_lshlrev_b32 v3, 2, v3
	v_cndmask_b32_e64 v16, v2, v16, s2
	v_add_f32_e32 v5, v5, v6
	ds_bpermute_b32 v15, v3, v4
	v_lshlrev_b32_e32 v16, 2, v16
	ds_bpermute_b32 v3, v3, v5
	s_waitcnt lgkmcnt(1)
	v_add_f32_e32 v4, v4, v15
	s_waitcnt lgkmcnt(0)
	v_add_f32_e32 v3, v5, v3
	ds_bpermute_b32 v5, v16, v4
	ds_bpermute_b32 v15, v16, v3
	v_xor_b32_e32 v16, 4, v2
	s_delay_alu instid0(VALU_DEP_1) | instskip(NEXT) | instid1(VALU_DEP_1)
	v_cmp_gt_i32_e64 s2, 32, v16
	v_cndmask_b32_e64 v16, v2, v16, s2
	s_delay_alu instid0(VALU_DEP_1)
	v_lshlrev_b32_e32 v16, 2, v16
	s_waitcnt lgkmcnt(0)
	v_dual_add_f32 v4, v4, v5 :: v_dual_add_f32 v3, v3, v15
	ds_bpermute_b32 v5, v16, v4
	ds_bpermute_b32 v15, v16, v3
	v_xor_b32_e32 v16, 2, v2
	s_delay_alu instid0(VALU_DEP_1) | instskip(NEXT) | instid1(VALU_DEP_1)
	v_cmp_gt_i32_e64 s2, 32, v16
	v_cndmask_b32_e64 v16, v2, v16, s2
	s_delay_alu instid0(VALU_DEP_1)
	v_lshlrev_b32_e32 v16, 2, v16
	s_waitcnt lgkmcnt(0)
	v_dual_add_f32 v4, v4, v5 :: v_dual_add_f32 v3, v3, v15
	ds_bpermute_b32 v5, v16, v4
	ds_bpermute_b32 v15, v16, v3
	v_xor_b32_e32 v16, 1, v2
	s_delay_alu instid0(VALU_DEP_1) | instskip(NEXT) | instid1(VALU_DEP_1)
	v_cmp_gt_i32_e64 s2, 32, v16
	v_cndmask_b32_e64 v2, v2, v16, s2
	s_delay_alu instid0(VALU_DEP_1)
	v_lshlrev_b32_e32 v16, 2, v2
	s_waitcnt lgkmcnt(1)
	v_add_f32_e32 v4, v4, v5
	s_waitcnt lgkmcnt(0)
	v_add_f32_e32 v2, v3, v15
	ds_bpermute_b32 v5, v16, v4
	ds_bpermute_b32 v3, v16, v2
	s_and_saveexec_b32 s2, s1
	s_cbranch_execz .LBB559_12
; %bb.9:
	v_add_co_u32 v0, s1, s8, v0
	s_delay_alu instid0(VALU_DEP_1)
	v_add_co_ci_u32_e64 v1, s1, s9, v1, s1
	s_waitcnt lgkmcnt(1)
	v_add_f32_e32 v4, v4, v5
	s_and_saveexec_b32 s1, vcc_lo
	s_cbranch_execnz .LBB559_13
; %bb.10:
	s_or_b32 exec_lo, exec_lo, s1
	s_and_saveexec_b32 s1, s0
	s_cbranch_execnz .LBB559_14
.LBB559_11:
	s_or_b32 exec_lo, exec_lo, s1
	v_cmp_ne_u32_e64 s1, 1, v7
	s_delay_alu instid0(VALU_DEP_1)
	s_and_b32 exec_lo, exec_lo, s1
	s_cbranch_execnz .LBB559_15
.LBB559_12:
	s_nop 0
	s_sendmsg sendmsg(MSG_DEALLOC_VGPRS)
	s_endpgm
.LBB559_13:
	s_waitcnt vmcnt(0)
	s_delay_alu instid0(VALU_DEP_1)
	v_fma_f32 v5, -v4, v10, v9
	global_store_b32 v[0:1], v5, off
	s_or_b32 exec_lo, exec_lo, s1
	s_and_saveexec_b32 s1, s0
	s_cbranch_execz .LBB559_11
.LBB559_14:
	s_waitcnt vmcnt(0)
	v_fma_f32 v4, -v4, v11, v8
	global_store_b32 v[0:1], v4, off offset:128
	s_or_b32 exec_lo, exec_lo, s1
	v_cmp_ne_u32_e64 s1, 1, v7
	s_delay_alu instid0(VALU_DEP_1)
	s_and_b32 exec_lo, exec_lo, s1
	s_cbranch_execz .LBB559_12
.LBB559_15:
	s_waitcnt lgkmcnt(0)
	v_add_f32_e32 v2, v2, v3
	s_and_saveexec_b32 s1, vcc_lo
	s_cbranch_execz .LBB559_17
; %bb.16:
	s_lshl_b64 s[2:3], s[6:7], 2
	s_waitcnt vmcnt(0)
	v_fma_f32 v5, -v2, v13, v12
	v_add_co_u32 v3, vcc_lo, v0, s2
	v_add_co_ci_u32_e32 v4, vcc_lo, s3, v1, vcc_lo
	global_store_b32 v[3:4], v5, off
.LBB559_17:
	s_or_b32 exec_lo, exec_lo, s1
	s_delay_alu instid0(SALU_CYCLE_1)
	s_and_b32 exec_lo, exec_lo, s0
	s_cbranch_execz .LBB559_12
; %bb.18:
	s_ashr_i32 s7, s6, 31
	s_waitcnt vmcnt(0)
	v_fma_f32 v2, -v2, v14, v6
	s_lshl_b64 s[0:1], s[6:7], 2
	s_delay_alu instid0(SALU_CYCLE_1)
	v_add_co_u32 v0, vcc_lo, v0, s0
	v_add_co_ci_u32_e32 v1, vcc_lo, s1, v1, vcc_lo
	global_store_b32 v[0:1], v2, off offset:128
	s_nop 0
	s_sendmsg sendmsg(MSG_DEALLOC_VGPRS)
	s_endpgm
	.section	.rodata,"a",@progbits
	.p2align	6, 0x0
	.amdhsa_kernel _ZN12_GLOBAL__N_121softmax_warp_backwardIfffLi6ELb0ELb0ELi32EEEvPT0_PKT_S5_iiiPKb
		.amdhsa_group_segment_fixed_size 0
		.amdhsa_private_segment_fixed_size 0
		.amdhsa_kernarg_size 304
		.amdhsa_user_sgpr_count 15
		.amdhsa_user_sgpr_dispatch_ptr 0
		.amdhsa_user_sgpr_queue_ptr 0
		.amdhsa_user_sgpr_kernarg_segment_ptr 1
		.amdhsa_user_sgpr_dispatch_id 0
		.amdhsa_user_sgpr_private_segment_size 0
		.amdhsa_wavefront_size32 1
		.amdhsa_uses_dynamic_stack 0
		.amdhsa_enable_private_segment 0
		.amdhsa_system_sgpr_workgroup_id_x 1
		.amdhsa_system_sgpr_workgroup_id_y 0
		.amdhsa_system_sgpr_workgroup_id_z 0
		.amdhsa_system_sgpr_workgroup_info 0
		.amdhsa_system_vgpr_workitem_id 1
		.amdhsa_next_free_vgpr 17
		.amdhsa_next_free_sgpr 16
		.amdhsa_reserve_vcc 1
		.amdhsa_float_round_mode_32 0
		.amdhsa_float_round_mode_16_64 0
		.amdhsa_float_denorm_mode_32 3
		.amdhsa_float_denorm_mode_16_64 3
		.amdhsa_dx10_clamp 1
		.amdhsa_ieee_mode 1
		.amdhsa_fp16_overflow 0
		.amdhsa_workgroup_processor_mode 1
		.amdhsa_memory_ordered 1
		.amdhsa_forward_progress 0
		.amdhsa_shared_vgpr_count 0
		.amdhsa_exception_fp_ieee_invalid_op 0
		.amdhsa_exception_fp_denorm_src 0
		.amdhsa_exception_fp_ieee_div_zero 0
		.amdhsa_exception_fp_ieee_overflow 0
		.amdhsa_exception_fp_ieee_underflow 0
		.amdhsa_exception_fp_ieee_inexact 0
		.amdhsa_exception_int_div_zero 0
	.end_amdhsa_kernel
	.section	.text._ZN12_GLOBAL__N_121softmax_warp_backwardIfffLi6ELb0ELb0ELi32EEEvPT0_PKT_S5_iiiPKb,"axG",@progbits,_ZN12_GLOBAL__N_121softmax_warp_backwardIfffLi6ELb0ELb0ELi32EEEvPT0_PKT_S5_iiiPKb,comdat
.Lfunc_end559:
	.size	_ZN12_GLOBAL__N_121softmax_warp_backwardIfffLi6ELb0ELb0ELi32EEEvPT0_PKT_S5_iiiPKb, .Lfunc_end559-_ZN12_GLOBAL__N_121softmax_warp_backwardIfffLi6ELb0ELb0ELi32EEEvPT0_PKT_S5_iiiPKb
                                        ; -- End function
	.section	.AMDGPU.csdata,"",@progbits
; Kernel info:
; codeLenInByte = 1060
; NumSgprs: 18
; NumVgprs: 17
; ScratchSize: 0
; MemoryBound: 0
; FloatMode: 240
; IeeeMode: 1
; LDSByteSize: 0 bytes/workgroup (compile time only)
; SGPRBlocks: 2
; VGPRBlocks: 2
; NumSGPRsForWavesPerEU: 18
; NumVGPRsForWavesPerEU: 17
; Occupancy: 16
; WaveLimiterHint : 0
; COMPUTE_PGM_RSRC2:SCRATCH_EN: 0
; COMPUTE_PGM_RSRC2:USER_SGPR: 15
; COMPUTE_PGM_RSRC2:TRAP_HANDLER: 0
; COMPUTE_PGM_RSRC2:TGID_X_EN: 1
; COMPUTE_PGM_RSRC2:TGID_Y_EN: 0
; COMPUTE_PGM_RSRC2:TGID_Z_EN: 0
; COMPUTE_PGM_RSRC2:TIDIG_COMP_CNT: 1
	.section	.text._ZN12_GLOBAL__N_121softmax_warp_backwardIfffLi7ELb0ELb0ELi64EEEvPT0_PKT_S5_iiiPKb,"axG",@progbits,_ZN12_GLOBAL__N_121softmax_warp_backwardIfffLi7ELb0ELb0ELi64EEEvPT0_PKT_S5_iiiPKb,comdat
	.globl	_ZN12_GLOBAL__N_121softmax_warp_backwardIfffLi7ELb0ELb0ELi64EEEvPT0_PKT_S5_iiiPKb ; -- Begin function _ZN12_GLOBAL__N_121softmax_warp_backwardIfffLi7ELb0ELb0ELi64EEEvPT0_PKT_S5_iiiPKb
	.p2align	8
	.type	_ZN12_GLOBAL__N_121softmax_warp_backwardIfffLi7ELb0ELb0ELi64EEEvPT0_PKT_S5_iiiPKb,@function
_ZN12_GLOBAL__N_121softmax_warp_backwardIfffLi7ELb0ELb0ELi64EEEvPT0_PKT_S5_iiiPKb: ; @_ZN12_GLOBAL__N_121softmax_warp_backwardIfffLi7ELb0ELb0ELi64EEEvPT0_PKT_S5_iiiPKb
; %bb.0:
	s_clause 0x1
	s_load_b32 s2, s[0:1], 0x3c
	s_load_b128 s[4:7], s[0:1], 0x18
	v_bfe_u32 v1, v0, 10, 10
	v_dual_mov_b32 v9, 0 :: v_dual_and_b32 v6, 63, v0
	s_load_b128 s[8:11], s[0:1], 0x0
	v_mov_b32_e32 v8, 0
	v_mov_b32_e32 v10, 0
	s_waitcnt lgkmcnt(0)
	s_lshr_b32 s2, s2, 16
	v_cmp_gt_i32_e32 vcc_lo, s6, v6
	s_mul_i32 s15, s15, s2
	s_load_b64 s[2:3], s[0:1], 0x10
	v_add_lshl_u32 v2, s15, v1, 1
	s_delay_alu instid0(VALU_DEP_1) | instskip(SKIP_1) | instid1(VALU_DEP_1)
	v_mad_u64_u32 v[0:1], null, v2, s5, v[6:7]
	v_sub_nc_u32_e32 v7, s4, v2
	v_cmp_lt_i32_e64 s1, 0, v7
	s_delay_alu instid0(VALU_DEP_3) | instskip(NEXT) | instid1(VALU_DEP_1)
	v_ashrrev_i32_e32 v1, 31, v0
	v_lshlrev_b64 v[0:1], 2, v[0:1]
	s_delay_alu instid0(VALU_DEP_1) | instskip(NEXT) | instid1(VALU_DEP_1)
	v_add_co_u32 v4, s0, s10, v0
	v_add_co_ci_u32_e64 v5, s0, s11, v1, s0
	s_waitcnt lgkmcnt(0)
	v_add_co_u32 v2, s0, s2, v0
	s_delay_alu instid0(VALU_DEP_1) | instskip(SKIP_1) | instid1(SALU_CYCLE_1)
	v_add_co_ci_u32_e64 v3, s0, s3, v1, s0
	s_and_b32 s2, s1, vcc_lo
	s_and_saveexec_b32 s0, s2
	s_cbranch_execz .LBB560_2
; %bb.1:
	global_load_b32 v9, v[4:5], off
	global_load_b32 v10, v[2:3], off
.LBB560_2:
	s_or_b32 exec_lo, exec_lo, s0
	v_or_b32_e32 v6, 64, v6
	v_mov_b32_e32 v11, 0
	s_delay_alu instid0(VALU_DEP_2) | instskip(NEXT) | instid1(VALU_DEP_1)
	v_cmp_gt_i32_e64 s0, s6, v6
	s_and_b32 s3, s1, s0
	s_delay_alu instid0(SALU_CYCLE_1)
	s_and_saveexec_b32 s2, s3
	s_cbranch_execz .LBB560_4
; %bb.3:
	global_load_b32 v8, v[4:5], off offset:256
	global_load_b32 v11, v[2:3], off offset:256
.LBB560_4:
	s_or_b32 exec_lo, exec_lo, s2
	v_cmp_lt_i32_e64 s2, 1, v7
	v_dual_mov_b32 v6, 0 :: v_dual_mov_b32 v13, 0
	v_mov_b32_e32 v12, 0
	s_mov_b32 s7, 0
	s_delay_alu instid0(VALU_DEP_3) | instskip(NEXT) | instid1(SALU_CYCLE_1)
	s_and_b32 s3, s2, vcc_lo
	s_and_saveexec_b32 s4, s3
	s_cbranch_execz .LBB560_6
; %bb.5:
	s_lshl_b64 s[10:11], s[6:7], 2
	s_delay_alu instid0(SALU_CYCLE_1) | instskip(NEXT) | instid1(VALU_DEP_1)
	v_add_co_u32 v12, s3, v4, s10
	v_add_co_ci_u32_e64 v13, s3, s11, v5, s3
	v_add_co_u32 v14, s3, v2, s10
	s_delay_alu instid0(VALU_DEP_1)
	v_add_co_ci_u32_e64 v15, s3, s11, v3, s3
	global_load_b32 v12, v[12:13], off
	global_load_b32 v13, v[14:15], off
.LBB560_6:
	s_or_b32 exec_lo, exec_lo, s4
	v_mov_b32_e32 v14, 0
	s_and_b32 s2, s2, s0
	s_delay_alu instid0(SALU_CYCLE_1)
	s_and_saveexec_b32 s3, s2
	s_cbranch_execz .LBB560_8
; %bb.7:
	s_lshl_b64 s[4:5], s[6:7], 2
	s_delay_alu instid0(SALU_CYCLE_1) | instskip(NEXT) | instid1(VALU_DEP_1)
	v_add_co_u32 v4, s2, v4, s4
	v_add_co_ci_u32_e64 v5, s2, s5, v5, s2
	v_add_co_u32 v2, s2, v2, s4
	s_delay_alu instid0(VALU_DEP_1)
	v_add_co_ci_u32_e64 v3, s2, s5, v3, s2
	global_load_b32 v6, v[4:5], off offset:256
	global_load_b32 v14, v[2:3], off offset:256
.LBB560_8:
	s_or_b32 exec_lo, exec_lo, s3
	v_mbcnt_lo_u32_b32 v2, -1, 0
	s_waitcnt vmcnt(1)
	v_dual_add_f32 v4, 0, v9 :: v_dual_add_f32 v5, 0, v12
	s_delay_alu instid0(VALU_DEP_2) | instskip(SKIP_1) | instid1(VALU_DEP_2)
	v_or_b32_e32 v3, 32, v2
	v_xor_b32_e32 v16, 16, v2
	v_cmp_gt_i32_e64 s2, 64, v3
	s_delay_alu instid0(VALU_DEP_1) | instskip(NEXT) | instid1(VALU_DEP_3)
	v_cndmask_b32_e64 v3, v2, v3, s2
	v_cmp_gt_i32_e64 s2, 64, v16
	s_delay_alu instid0(VALU_DEP_2) | instskip(NEXT) | instid1(VALU_DEP_2)
	v_dual_add_f32 v4, v4, v8 :: v_dual_lshlrev_b32 v3, 2, v3
	v_cndmask_b32_e64 v16, v2, v16, s2
	v_add_f32_e32 v5, v5, v6
	ds_bpermute_b32 v15, v3, v4
	v_lshlrev_b32_e32 v16, 2, v16
	ds_bpermute_b32 v3, v3, v5
	s_waitcnt lgkmcnt(1)
	v_add_f32_e32 v4, v4, v15
	s_waitcnt lgkmcnt(0)
	v_add_f32_e32 v3, v5, v3
	ds_bpermute_b32 v5, v16, v4
	ds_bpermute_b32 v15, v16, v3
	v_xor_b32_e32 v16, 8, v2
	s_delay_alu instid0(VALU_DEP_1) | instskip(NEXT) | instid1(VALU_DEP_1)
	v_cmp_gt_i32_e64 s2, 64, v16
	v_cndmask_b32_e64 v16, v2, v16, s2
	s_delay_alu instid0(VALU_DEP_1)
	v_lshlrev_b32_e32 v16, 2, v16
	s_waitcnt lgkmcnt(0)
	v_dual_add_f32 v4, v4, v5 :: v_dual_add_f32 v3, v3, v15
	ds_bpermute_b32 v5, v16, v4
	ds_bpermute_b32 v15, v16, v3
	v_xor_b32_e32 v16, 4, v2
	s_delay_alu instid0(VALU_DEP_1) | instskip(NEXT) | instid1(VALU_DEP_1)
	v_cmp_gt_i32_e64 s2, 64, v16
	v_cndmask_b32_e64 v16, v2, v16, s2
	s_waitcnt lgkmcnt(0)
	s_delay_alu instid0(VALU_DEP_1)
	v_dual_add_f32 v3, v3, v15 :: v_dual_lshlrev_b32 v16, 2, v16
	ds_bpermute_b32 v15, v16, v3
	s_waitcnt lgkmcnt(0)
	v_dual_add_f32 v4, v4, v5 :: v_dual_add_f32 v3, v3, v15
	ds_bpermute_b32 v5, v16, v4
	v_xor_b32_e32 v16, 2, v2
	s_delay_alu instid0(VALU_DEP_1) | instskip(NEXT) | instid1(VALU_DEP_1)
	v_cmp_gt_i32_e64 s2, 64, v16
	v_cndmask_b32_e64 v16, v2, v16, s2
	s_delay_alu instid0(VALU_DEP_1)
	v_lshlrev_b32_e32 v16, 2, v16
	s_waitcnt lgkmcnt(0)
	v_add_f32_e32 v4, v4, v5
	ds_bpermute_b32 v15, v16, v3
	ds_bpermute_b32 v5, v16, v4
	v_xor_b32_e32 v16, 1, v2
	s_delay_alu instid0(VALU_DEP_1) | instskip(NEXT) | instid1(VALU_DEP_1)
	v_cmp_gt_i32_e64 s2, 64, v16
	v_cndmask_b32_e64 v2, v2, v16, s2
	s_delay_alu instid0(VALU_DEP_1)
	v_lshlrev_b32_e32 v16, 2, v2
	s_waitcnt lgkmcnt(1)
	v_add_f32_e32 v2, v3, v15
	s_waitcnt lgkmcnt(0)
	v_add_f32_e32 v4, v4, v5
	ds_bpermute_b32 v3, v16, v2
	ds_bpermute_b32 v5, v16, v4
	s_and_saveexec_b32 s2, s1
	s_cbranch_execz .LBB560_12
; %bb.9:
	v_add_co_u32 v0, s1, s8, v0
	s_delay_alu instid0(VALU_DEP_1)
	v_add_co_ci_u32_e64 v1, s1, s9, v1, s1
	s_waitcnt lgkmcnt(0)
	v_add_f32_e32 v4, v4, v5
	s_and_saveexec_b32 s1, vcc_lo
	s_cbranch_execnz .LBB560_13
; %bb.10:
	s_or_b32 exec_lo, exec_lo, s1
	s_and_saveexec_b32 s1, s0
	s_cbranch_execnz .LBB560_14
.LBB560_11:
	s_or_b32 exec_lo, exec_lo, s1
	v_cmp_ne_u32_e64 s1, 1, v7
	s_delay_alu instid0(VALU_DEP_1)
	s_and_b32 exec_lo, exec_lo, s1
	s_cbranch_execnz .LBB560_15
.LBB560_12:
	s_nop 0
	s_sendmsg sendmsg(MSG_DEALLOC_VGPRS)
	s_endpgm
.LBB560_13:
	s_waitcnt vmcnt(0)
	s_delay_alu instid0(VALU_DEP_1)
	v_fma_f32 v5, -v4, v10, v9
	global_store_b32 v[0:1], v5, off
	s_or_b32 exec_lo, exec_lo, s1
	s_and_saveexec_b32 s1, s0
	s_cbranch_execz .LBB560_11
.LBB560_14:
	s_waitcnt vmcnt(0)
	v_fma_f32 v4, -v4, v11, v8
	global_store_b32 v[0:1], v4, off offset:256
	s_or_b32 exec_lo, exec_lo, s1
	v_cmp_ne_u32_e64 s1, 1, v7
	s_delay_alu instid0(VALU_DEP_1)
	s_and_b32 exec_lo, exec_lo, s1
	s_cbranch_execz .LBB560_12
.LBB560_15:
	v_add_f32_e32 v2, v2, v3
	s_and_saveexec_b32 s1, vcc_lo
	s_cbranch_execz .LBB560_17
; %bb.16:
	s_lshl_b64 s[2:3], s[6:7], 2
	s_waitcnt vmcnt(0)
	v_fma_f32 v5, -v2, v13, v12
	v_add_co_u32 v3, vcc_lo, v0, s2
	v_add_co_ci_u32_e32 v4, vcc_lo, s3, v1, vcc_lo
	global_store_b32 v[3:4], v5, off
.LBB560_17:
	s_or_b32 exec_lo, exec_lo, s1
	s_delay_alu instid0(SALU_CYCLE_1)
	s_and_b32 exec_lo, exec_lo, s0
	s_cbranch_execz .LBB560_12
; %bb.18:
	s_ashr_i32 s7, s6, 31
	s_waitcnt vmcnt(0)
	v_fma_f32 v2, -v2, v14, v6
	s_lshl_b64 s[0:1], s[6:7], 2
	s_delay_alu instid0(SALU_CYCLE_1)
	v_add_co_u32 v0, vcc_lo, v0, s0
	v_add_co_ci_u32_e32 v1, vcc_lo, s1, v1, vcc_lo
	global_store_b32 v[0:1], v2, off offset:256
	s_nop 0
	s_sendmsg sendmsg(MSG_DEALLOC_VGPRS)
	s_endpgm
	.section	.rodata,"a",@progbits
	.p2align	6, 0x0
	.amdhsa_kernel _ZN12_GLOBAL__N_121softmax_warp_backwardIfffLi7ELb0ELb0ELi64EEEvPT0_PKT_S5_iiiPKb
		.amdhsa_group_segment_fixed_size 0
		.amdhsa_private_segment_fixed_size 0
		.amdhsa_kernarg_size 304
		.amdhsa_user_sgpr_count 15
		.amdhsa_user_sgpr_dispatch_ptr 0
		.amdhsa_user_sgpr_queue_ptr 0
		.amdhsa_user_sgpr_kernarg_segment_ptr 1
		.amdhsa_user_sgpr_dispatch_id 0
		.amdhsa_user_sgpr_private_segment_size 0
		.amdhsa_wavefront_size32 1
		.amdhsa_uses_dynamic_stack 0
		.amdhsa_enable_private_segment 0
		.amdhsa_system_sgpr_workgroup_id_x 1
		.amdhsa_system_sgpr_workgroup_id_y 0
		.amdhsa_system_sgpr_workgroup_id_z 0
		.amdhsa_system_sgpr_workgroup_info 0
		.amdhsa_system_vgpr_workitem_id 1
		.amdhsa_next_free_vgpr 17
		.amdhsa_next_free_sgpr 16
		.amdhsa_reserve_vcc 1
		.amdhsa_float_round_mode_32 0
		.amdhsa_float_round_mode_16_64 0
		.amdhsa_float_denorm_mode_32 3
		.amdhsa_float_denorm_mode_16_64 3
		.amdhsa_dx10_clamp 1
		.amdhsa_ieee_mode 1
		.amdhsa_fp16_overflow 0
		.amdhsa_workgroup_processor_mode 1
		.amdhsa_memory_ordered 1
		.amdhsa_forward_progress 0
		.amdhsa_shared_vgpr_count 0
		.amdhsa_exception_fp_ieee_invalid_op 0
		.amdhsa_exception_fp_denorm_src 0
		.amdhsa_exception_fp_ieee_div_zero 0
		.amdhsa_exception_fp_ieee_overflow 0
		.amdhsa_exception_fp_ieee_underflow 0
		.amdhsa_exception_fp_ieee_inexact 0
		.amdhsa_exception_int_div_zero 0
	.end_amdhsa_kernel
	.section	.text._ZN12_GLOBAL__N_121softmax_warp_backwardIfffLi7ELb0ELb0ELi64EEEvPT0_PKT_S5_iiiPKb,"axG",@progbits,_ZN12_GLOBAL__N_121softmax_warp_backwardIfffLi7ELb0ELb0ELi64EEEvPT0_PKT_S5_iiiPKb,comdat
.Lfunc_end560:
	.size	_ZN12_GLOBAL__N_121softmax_warp_backwardIfffLi7ELb0ELb0ELi64EEEvPT0_PKT_S5_iiiPKb, .Lfunc_end560-_ZN12_GLOBAL__N_121softmax_warp_backwardIfffLi7ELb0ELb0ELi64EEEvPT0_PKT_S5_iiiPKb
                                        ; -- End function
	.section	.AMDGPU.csdata,"",@progbits
; Kernel info:
; codeLenInByte = 1120
; NumSgprs: 18
; NumVgprs: 17
; ScratchSize: 0
; MemoryBound: 0
; FloatMode: 240
; IeeeMode: 1
; LDSByteSize: 0 bytes/workgroup (compile time only)
; SGPRBlocks: 2
; VGPRBlocks: 2
; NumSGPRsForWavesPerEU: 18
; NumVGPRsForWavesPerEU: 17
; Occupancy: 16
; WaveLimiterHint : 0
; COMPUTE_PGM_RSRC2:SCRATCH_EN: 0
; COMPUTE_PGM_RSRC2:USER_SGPR: 15
; COMPUTE_PGM_RSRC2:TRAP_HANDLER: 0
; COMPUTE_PGM_RSRC2:TGID_X_EN: 1
; COMPUTE_PGM_RSRC2:TGID_Y_EN: 0
; COMPUTE_PGM_RSRC2:TGID_Z_EN: 0
; COMPUTE_PGM_RSRC2:TIDIG_COMP_CNT: 1
	.section	.text._ZN12_GLOBAL__N_121softmax_warp_backwardIfffLi7ELb0ELb0ELi32EEEvPT0_PKT_S5_iiiPKb,"axG",@progbits,_ZN12_GLOBAL__N_121softmax_warp_backwardIfffLi7ELb0ELb0ELi32EEEvPT0_PKT_S5_iiiPKb,comdat
	.globl	_ZN12_GLOBAL__N_121softmax_warp_backwardIfffLi7ELb0ELb0ELi32EEEvPT0_PKT_S5_iiiPKb ; -- Begin function _ZN12_GLOBAL__N_121softmax_warp_backwardIfffLi7ELb0ELb0ELi32EEEvPT0_PKT_S5_iiiPKb
	.p2align	8
	.type	_ZN12_GLOBAL__N_121softmax_warp_backwardIfffLi7ELb0ELb0ELi32EEEvPT0_PKT_S5_iiiPKb,@function
_ZN12_GLOBAL__N_121softmax_warp_backwardIfffLi7ELb0ELb0ELi32EEEvPT0_PKT_S5_iiiPKb: ; @_ZN12_GLOBAL__N_121softmax_warp_backwardIfffLi7ELb0ELb0ELi32EEEvPT0_PKT_S5_iiiPKb
; %bb.0:
	s_clause 0x1
	s_load_b32 s2, s[0:1], 0x3c
	s_load_b128 s[4:7], s[0:1], 0x18
	v_bfe_u32 v1, v0, 10, 10
	v_dual_mov_b32 v9, 0 :: v_dual_and_b32 v6, 31, v0
	s_clause 0x1
	s_load_b128 s[8:11], s[0:1], 0x0
	s_load_b64 s[12:13], s[0:1], 0x10
	v_mov_b32_e32 v8, 0
	v_mov_b32_e32 v10, 0
	s_waitcnt lgkmcnt(0)
	s_lshr_b32 s2, s2, 16
	v_cmp_gt_i32_e32 vcc_lo, s6, v6
	s_mul_i32 s15, s15, s2
	s_delay_alu instid0(SALU_CYCLE_1) | instskip(NEXT) | instid1(VALU_DEP_1)
	v_add_lshl_u32 v2, s15, v1, 1
	v_mad_u64_u32 v[0:1], null, v2, s5, v[6:7]
	v_sub_nc_u32_e32 v7, s4, v2
	s_delay_alu instid0(VALU_DEP_1) | instskip(NEXT) | instid1(VALU_DEP_3)
	v_cmp_lt_i32_e64 s3, 0, v7
	v_ashrrev_i32_e32 v1, 31, v0
	s_delay_alu instid0(VALU_DEP_2) | instskip(NEXT) | instid1(VALU_DEP_1)
	s_and_b32 s1, s3, vcc_lo
	v_lshlrev_b64 v[0:1], 2, v[0:1]
	s_delay_alu instid0(VALU_DEP_1) | instskip(NEXT) | instid1(VALU_DEP_1)
	v_add_co_u32 v4, s0, s10, v0
	v_add_co_ci_u32_e64 v5, s0, s11, v1, s0
	v_add_co_u32 v2, s0, s12, v0
	s_delay_alu instid0(VALU_DEP_1)
	v_add_co_ci_u32_e64 v3, s0, s13, v1, s0
	s_and_saveexec_b32 s0, s1
	s_cbranch_execz .LBB561_2
; %bb.1:
	global_load_b32 v9, v[4:5], off
	global_load_b32 v10, v[2:3], off
.LBB561_2:
	s_or_b32 exec_lo, exec_lo, s0
	v_or_b32_e32 v11, 32, v6
	v_mov_b32_e32 v12, 0
	s_delay_alu instid0(VALU_DEP_2) | instskip(NEXT) | instid1(VALU_DEP_1)
	v_cmp_gt_i32_e64 s0, s6, v11
	s_and_b32 s2, s3, s0
	s_delay_alu instid0(SALU_CYCLE_1)
	s_and_saveexec_b32 s1, s2
	s_cbranch_execz .LBB561_4
; %bb.3:
	global_load_b32 v8, v[4:5], off offset:128
	global_load_b32 v12, v[2:3], off offset:128
.LBB561_4:
	s_or_b32 exec_lo, exec_lo, s1
	v_or_b32_e32 v11, 64, v6
	v_dual_mov_b32 v13, 0 :: v_dual_mov_b32 v14, 0
	s_delay_alu instid0(VALU_DEP_2) | instskip(SKIP_1) | instid1(VALU_DEP_2)
	v_cmp_gt_i32_e64 s1, s6, v11
	v_mov_b32_e32 v11, 0
	s_and_b32 s4, s3, s1
	s_delay_alu instid0(SALU_CYCLE_1)
	s_and_saveexec_b32 s2, s4
	s_cbranch_execz .LBB561_6
; %bb.5:
	global_load_b32 v13, v[4:5], off offset:256
	global_load_b32 v14, v[2:3], off offset:256
.LBB561_6:
	s_or_b32 exec_lo, exec_lo, s2
	v_or_b32_e32 v6, 0x60, v6
	v_mov_b32_e32 v15, 0
	s_delay_alu instid0(VALU_DEP_2) | instskip(NEXT) | instid1(VALU_DEP_1)
	v_cmp_gt_i32_e64 s2, s6, v6
	s_and_b32 s5, s3, s2
	s_delay_alu instid0(SALU_CYCLE_1)
	s_and_saveexec_b32 s4, s5
	s_cbranch_execz .LBB561_8
; %bb.7:
	global_load_b32 v11, v[4:5], off offset:384
	global_load_b32 v15, v[2:3], off offset:384
.LBB561_8:
	s_or_b32 exec_lo, exec_lo, s4
	v_cmp_lt_i32_e64 s4, 1, v7
	v_dual_mov_b32 v6, 0 :: v_dual_mov_b32 v17, 0
	v_mov_b32_e32 v16, 0
	s_mov_b32 s7, 0
	s_delay_alu instid0(VALU_DEP_3) | instskip(NEXT) | instid1(SALU_CYCLE_1)
	s_and_b32 s5, s4, vcc_lo
	s_and_saveexec_b32 s10, s5
	s_cbranch_execz .LBB561_10
; %bb.9:
	s_lshl_b64 s[12:13], s[6:7], 2
	s_delay_alu instid0(SALU_CYCLE_1) | instskip(NEXT) | instid1(VALU_DEP_1)
	v_add_co_u32 v16, s5, v4, s12
	v_add_co_ci_u32_e64 v17, s5, s13, v5, s5
	v_add_co_u32 v18, s5, v2, s12
	s_delay_alu instid0(VALU_DEP_1)
	v_add_co_ci_u32_e64 v19, s5, s13, v3, s5
	global_load_b32 v16, v[16:17], off
	global_load_b32 v17, v[18:19], off
.LBB561_10:
	s_or_b32 exec_lo, exec_lo, s10
	v_mov_b32_e32 v18, 0
	s_and_b32 s5, s4, s0
	s_delay_alu instid0(SALU_CYCLE_1)
	s_and_saveexec_b32 s10, s5
	s_cbranch_execz .LBB561_12
; %bb.11:
	s_lshl_b64 s[12:13], s[6:7], 2
	s_delay_alu instid0(SALU_CYCLE_1) | instskip(NEXT) | instid1(VALU_DEP_1)
	v_add_co_u32 v18, s5, v4, s12
	v_add_co_ci_u32_e64 v19, s5, s13, v5, s5
	v_add_co_u32 v20, s5, v2, s12
	s_delay_alu instid0(VALU_DEP_1)
	v_add_co_ci_u32_e64 v21, s5, s13, v3, s5
	global_load_b32 v6, v[18:19], off offset:128
	global_load_b32 v18, v[20:21], off offset:128
.LBB561_12:
	s_or_b32 exec_lo, exec_lo, s10
	v_dual_mov_b32 v19, 0 :: v_dual_mov_b32 v20, 0
	v_mov_b32_e32 v21, 0
	s_and_b32 s5, s4, s1
	s_delay_alu instid0(SALU_CYCLE_1)
	s_and_saveexec_b32 s10, s5
	s_cbranch_execz .LBB561_14
; %bb.13:
	s_lshl_b64 s[12:13], s[6:7], 2
	s_delay_alu instid0(SALU_CYCLE_1) | instskip(NEXT) | instid1(VALU_DEP_1)
	v_add_co_u32 v20, s5, v4, s12
	v_add_co_ci_u32_e64 v21, s5, s13, v5, s5
	v_add_co_u32 v22, s5, v2, s12
	s_delay_alu instid0(VALU_DEP_1)
	v_add_co_ci_u32_e64 v23, s5, s13, v3, s5
	global_load_b32 v20, v[20:21], off offset:256
	global_load_b32 v21, v[22:23], off offset:256
.LBB561_14:
	s_or_b32 exec_lo, exec_lo, s10
	v_mov_b32_e32 v22, 0
	s_and_b32 s4, s4, s2
	s_delay_alu instid0(SALU_CYCLE_1)
	s_and_saveexec_b32 s5, s4
	s_cbranch_execz .LBB561_16
; %bb.15:
	s_lshl_b64 s[10:11], s[6:7], 2
	s_delay_alu instid0(SALU_CYCLE_1) | instskip(NEXT) | instid1(VALU_DEP_1)
	v_add_co_u32 v4, s4, v4, s10
	v_add_co_ci_u32_e64 v5, s4, s11, v5, s4
	v_add_co_u32 v2, s4, v2, s10
	s_delay_alu instid0(VALU_DEP_1)
	v_add_co_ci_u32_e64 v3, s4, s11, v3, s4
	global_load_b32 v19, v[4:5], off offset:384
	global_load_b32 v22, v[2:3], off offset:384
.LBB561_16:
	s_or_b32 exec_lo, exec_lo, s5
	v_mbcnt_lo_u32_b32 v3, -1, 0
	s_waitcnt vmcnt(1)
	v_add_f32_e32 v2, 0, v9
	s_delay_alu instid0(VALU_DEP_2) | instskip(NEXT) | instid1(VALU_DEP_2)
	v_xor_b32_e32 v5, 16, v3
	v_add_f32_e32 v2, v2, v8
	v_xor_b32_e32 v24, 8, v3
	s_delay_alu instid0(VALU_DEP_3) | instskip(NEXT) | instid1(VALU_DEP_3)
	v_cmp_gt_i32_e64 s4, 32, v5
	v_add_f32_e32 v2, v2, v13
	s_delay_alu instid0(VALU_DEP_2) | instskip(SKIP_1) | instid1(VALU_DEP_3)
	v_cndmask_b32_e64 v5, v3, v5, s4
	v_add_f32_e32 v4, 0, v16
	v_add_f32_e32 v2, v2, v11
	v_cmp_gt_i32_e64 s4, 32, v24
	s_delay_alu instid0(VALU_DEP_3) | instskip(NEXT) | instid1(VALU_DEP_2)
	v_dual_add_f32 v4, v4, v6 :: v_dual_lshlrev_b32 v5, 2, v5
	v_cndmask_b32_e64 v24, v3, v24, s4
	ds_bpermute_b32 v23, v5, v2
	v_add_f32_e32 v4, v4, v20
	v_lshlrev_b32_e32 v24, 2, v24
	s_delay_alu instid0(VALU_DEP_2)
	v_add_f32_e32 v4, v4, v19
	ds_bpermute_b32 v5, v5, v4
	s_waitcnt lgkmcnt(1)
	v_add_f32_e32 v2, v2, v23
	s_waitcnt lgkmcnt(0)
	v_add_f32_e32 v4, v4, v5
	ds_bpermute_b32 v5, v24, v2
	ds_bpermute_b32 v23, v24, v4
	v_xor_b32_e32 v24, 4, v3
	s_delay_alu instid0(VALU_DEP_1) | instskip(NEXT) | instid1(VALU_DEP_1)
	v_cmp_gt_i32_e64 s4, 32, v24
	v_cndmask_b32_e64 v24, v3, v24, s4
	s_delay_alu instid0(VALU_DEP_1)
	v_lshlrev_b32_e32 v24, 2, v24
	s_waitcnt lgkmcnt(1)
	v_add_f32_e32 v2, v2, v5
	s_waitcnt lgkmcnt(0)
	v_add_f32_e32 v4, v4, v23
	ds_bpermute_b32 v5, v24, v2
	ds_bpermute_b32 v23, v24, v4
	v_xor_b32_e32 v24, 2, v3
	s_delay_alu instid0(VALU_DEP_1) | instskip(NEXT) | instid1(VALU_DEP_1)
	v_cmp_gt_i32_e64 s4, 32, v24
	v_cndmask_b32_e64 v24, v3, v24, s4
	s_delay_alu instid0(VALU_DEP_1)
	v_lshlrev_b32_e32 v24, 2, v24
	s_waitcnt lgkmcnt(0)
	v_dual_add_f32 v2, v2, v5 :: v_dual_add_f32 v5, v4, v23
	ds_bpermute_b32 v4, v24, v2
	ds_bpermute_b32 v23, v24, v5
	v_xor_b32_e32 v24, 1, v3
	s_delay_alu instid0(VALU_DEP_1) | instskip(NEXT) | instid1(VALU_DEP_1)
	v_cmp_gt_i32_e64 s4, 32, v24
	v_cndmask_b32_e64 v3, v3, v24, s4
	s_waitcnt lgkmcnt(1)
	s_delay_alu instid0(VALU_DEP_1)
	v_dual_add_f32 v4, v2, v4 :: v_dual_lshlrev_b32 v3, 2, v3
	s_waitcnt lgkmcnt(0)
	v_add_f32_e32 v2, v5, v23
	ds_bpermute_b32 v5, v3, v4
	ds_bpermute_b32 v3, v3, v2
	s_and_saveexec_b32 s4, s3
	s_cbranch_execz .LBB561_22
; %bb.17:
	v_add_co_u32 v0, s3, s8, v0
	s_delay_alu instid0(VALU_DEP_1)
	v_add_co_ci_u32_e64 v1, s3, s9, v1, s3
	s_waitcnt lgkmcnt(1)
	v_add_f32_e32 v4, v4, v5
	s_and_saveexec_b32 s3, vcc_lo
	s_cbranch_execnz .LBB561_23
; %bb.18:
	s_or_b32 exec_lo, exec_lo, s3
	s_and_saveexec_b32 s3, s0
	s_cbranch_execnz .LBB561_24
.LBB561_19:
	s_or_b32 exec_lo, exec_lo, s3
	s_and_saveexec_b32 s3, s1
	s_cbranch_execnz .LBB561_25
.LBB561_20:
	s_or_b32 exec_lo, exec_lo, s3
	s_and_saveexec_b32 s3, s2
	s_cbranch_execnz .LBB561_26
.LBB561_21:
	s_or_b32 exec_lo, exec_lo, s3
	v_cmp_ne_u32_e64 s3, 1, v7
	s_delay_alu instid0(VALU_DEP_1)
	s_and_b32 exec_lo, exec_lo, s3
	s_cbranch_execnz .LBB561_27
.LBB561_22:
	s_nop 0
	s_sendmsg sendmsg(MSG_DEALLOC_VGPRS)
	s_endpgm
.LBB561_23:
	s_waitcnt vmcnt(0)
	s_delay_alu instid0(VALU_DEP_1)
	v_fma_f32 v5, -v4, v10, v9
	global_store_b32 v[0:1], v5, off
	s_or_b32 exec_lo, exec_lo, s3
	s_and_saveexec_b32 s3, s0
	s_cbranch_execz .LBB561_19
.LBB561_24:
	s_waitcnt vmcnt(0)
	v_fma_f32 v5, -v4, v12, v8
	global_store_b32 v[0:1], v5, off offset:128
	s_or_b32 exec_lo, exec_lo, s3
	s_and_saveexec_b32 s3, s1
	s_cbranch_execz .LBB561_20
.LBB561_25:
	s_waitcnt vmcnt(0)
	v_fma_f32 v5, -v4, v14, v13
	global_store_b32 v[0:1], v5, off offset:256
	s_or_b32 exec_lo, exec_lo, s3
	s_and_saveexec_b32 s3, s2
	s_cbranch_execz .LBB561_21
.LBB561_26:
	s_waitcnt vmcnt(0)
	v_fma_f32 v4, -v4, v15, v11
	global_store_b32 v[0:1], v4, off offset:384
	s_or_b32 exec_lo, exec_lo, s3
	v_cmp_ne_u32_e64 s3, 1, v7
	s_delay_alu instid0(VALU_DEP_1)
	s_and_b32 exec_lo, exec_lo, s3
	s_cbranch_execz .LBB561_22
.LBB561_27:
	s_ashr_i32 s7, s6, 31
	s_waitcnt lgkmcnt(0)
	v_add_f32_e32 v2, v2, v3
	s_lshl_b64 s[4:5], s[6:7], 2
	s_delay_alu instid0(SALU_CYCLE_1) | instskip(NEXT) | instid1(VALU_DEP_1)
	v_add_co_u32 v0, s3, v0, s4
	v_add_co_ci_u32_e64 v1, s3, s5, v1, s3
	s_and_saveexec_b32 s3, vcc_lo
	s_cbranch_execnz .LBB561_31
; %bb.28:
	s_or_b32 exec_lo, exec_lo, s3
	s_and_saveexec_b32 s3, s0
	s_cbranch_execnz .LBB561_32
.LBB561_29:
	s_or_b32 exec_lo, exec_lo, s3
	s_and_saveexec_b32 s0, s1
	s_cbranch_execnz .LBB561_33
.LBB561_30:
	s_or_b32 exec_lo, exec_lo, s0
	s_delay_alu instid0(SALU_CYCLE_1)
	s_and_b32 exec_lo, exec_lo, s2
	s_cbranch_execz .LBB561_22
	s_branch .LBB561_34
.LBB561_31:
	s_waitcnt vmcnt(0)
	v_fma_f32 v3, -v2, v17, v16
	global_store_b32 v[0:1], v3, off
	s_or_b32 exec_lo, exec_lo, s3
	s_and_saveexec_b32 s3, s0
	s_cbranch_execz .LBB561_29
.LBB561_32:
	s_waitcnt vmcnt(0)
	v_fma_f32 v3, -v2, v18, v6
	global_store_b32 v[0:1], v3, off offset:128
	s_or_b32 exec_lo, exec_lo, s3
	s_and_saveexec_b32 s0, s1
	s_cbranch_execz .LBB561_30
.LBB561_33:
	s_waitcnt vmcnt(0)
	v_fma_f32 v3, -v2, v21, v20
	global_store_b32 v[0:1], v3, off offset:256
	s_or_b32 exec_lo, exec_lo, s0
	s_delay_alu instid0(SALU_CYCLE_1)
	s_and_b32 exec_lo, exec_lo, s2
	s_cbranch_execz .LBB561_22
.LBB561_34:
	s_waitcnt vmcnt(0)
	v_fma_f32 v2, -v2, v22, v19
	global_store_b32 v[0:1], v2, off offset:384
	s_nop 0
	s_sendmsg sendmsg(MSG_DEALLOC_VGPRS)
	s_endpgm
	.section	.rodata,"a",@progbits
	.p2align	6, 0x0
	.amdhsa_kernel _ZN12_GLOBAL__N_121softmax_warp_backwardIfffLi7ELb0ELb0ELi32EEEvPT0_PKT_S5_iiiPKb
		.amdhsa_group_segment_fixed_size 0
		.amdhsa_private_segment_fixed_size 0
		.amdhsa_kernarg_size 304
		.amdhsa_user_sgpr_count 15
		.amdhsa_user_sgpr_dispatch_ptr 0
		.amdhsa_user_sgpr_queue_ptr 0
		.amdhsa_user_sgpr_kernarg_segment_ptr 1
		.amdhsa_user_sgpr_dispatch_id 0
		.amdhsa_user_sgpr_private_segment_size 0
		.amdhsa_wavefront_size32 1
		.amdhsa_uses_dynamic_stack 0
		.amdhsa_enable_private_segment 0
		.amdhsa_system_sgpr_workgroup_id_x 1
		.amdhsa_system_sgpr_workgroup_id_y 0
		.amdhsa_system_sgpr_workgroup_id_z 0
		.amdhsa_system_sgpr_workgroup_info 0
		.amdhsa_system_vgpr_workitem_id 1
		.amdhsa_next_free_vgpr 25
		.amdhsa_next_free_sgpr 16
		.amdhsa_reserve_vcc 1
		.amdhsa_float_round_mode_32 0
		.amdhsa_float_round_mode_16_64 0
		.amdhsa_float_denorm_mode_32 3
		.amdhsa_float_denorm_mode_16_64 3
		.amdhsa_dx10_clamp 1
		.amdhsa_ieee_mode 1
		.amdhsa_fp16_overflow 0
		.amdhsa_workgroup_processor_mode 1
		.amdhsa_memory_ordered 1
		.amdhsa_forward_progress 0
		.amdhsa_shared_vgpr_count 0
		.amdhsa_exception_fp_ieee_invalid_op 0
		.amdhsa_exception_fp_denorm_src 0
		.amdhsa_exception_fp_ieee_div_zero 0
		.amdhsa_exception_fp_ieee_overflow 0
		.amdhsa_exception_fp_ieee_underflow 0
		.amdhsa_exception_fp_ieee_inexact 0
		.amdhsa_exception_int_div_zero 0
	.end_amdhsa_kernel
	.section	.text._ZN12_GLOBAL__N_121softmax_warp_backwardIfffLi7ELb0ELb0ELi32EEEvPT0_PKT_S5_iiiPKb,"axG",@progbits,_ZN12_GLOBAL__N_121softmax_warp_backwardIfffLi7ELb0ELb0ELi32EEEvPT0_PKT_S5_iiiPKb,comdat
.Lfunc_end561:
	.size	_ZN12_GLOBAL__N_121softmax_warp_backwardIfffLi7ELb0ELb0ELi32EEEvPT0_PKT_S5_iiiPKb, .Lfunc_end561-_ZN12_GLOBAL__N_121softmax_warp_backwardIfffLi7ELb0ELb0ELi32EEEvPT0_PKT_S5_iiiPKb
                                        ; -- End function
	.section	.AMDGPU.csdata,"",@progbits
; Kernel info:
; codeLenInByte = 1576
; NumSgprs: 18
; NumVgprs: 25
; ScratchSize: 0
; MemoryBound: 0
; FloatMode: 240
; IeeeMode: 1
; LDSByteSize: 0 bytes/workgroup (compile time only)
; SGPRBlocks: 2
; VGPRBlocks: 3
; NumSGPRsForWavesPerEU: 18
; NumVGPRsForWavesPerEU: 25
; Occupancy: 16
; WaveLimiterHint : 0
; COMPUTE_PGM_RSRC2:SCRATCH_EN: 0
; COMPUTE_PGM_RSRC2:USER_SGPR: 15
; COMPUTE_PGM_RSRC2:TRAP_HANDLER: 0
; COMPUTE_PGM_RSRC2:TGID_X_EN: 1
; COMPUTE_PGM_RSRC2:TGID_Y_EN: 0
; COMPUTE_PGM_RSRC2:TGID_Z_EN: 0
; COMPUTE_PGM_RSRC2:TIDIG_COMP_CNT: 1
	.section	.text._ZN12_GLOBAL__N_121softmax_warp_backwardIfffLi8ELb0ELb0ELi64EEEvPT0_PKT_S5_iiiPKb,"axG",@progbits,_ZN12_GLOBAL__N_121softmax_warp_backwardIfffLi8ELb0ELb0ELi64EEEvPT0_PKT_S5_iiiPKb,comdat
	.globl	_ZN12_GLOBAL__N_121softmax_warp_backwardIfffLi8ELb0ELb0ELi64EEEvPT0_PKT_S5_iiiPKb ; -- Begin function _ZN12_GLOBAL__N_121softmax_warp_backwardIfffLi8ELb0ELb0ELi64EEEvPT0_PKT_S5_iiiPKb
	.p2align	8
	.type	_ZN12_GLOBAL__N_121softmax_warp_backwardIfffLi8ELb0ELb0ELi64EEEvPT0_PKT_S5_iiiPKb,@function
_ZN12_GLOBAL__N_121softmax_warp_backwardIfffLi8ELb0ELb0ELi64EEEvPT0_PKT_S5_iiiPKb: ; @_ZN12_GLOBAL__N_121softmax_warp_backwardIfffLi8ELb0ELb0ELi64EEEvPT0_PKT_S5_iiiPKb
; %bb.0:
	s_clause 0x1
	s_load_b32 s2, s[0:1], 0x3c
	s_load_b128 s[8:11], s[0:1], 0x18
	v_bfe_u32 v1, v0, 10, 10
	s_clause 0x1
	s_load_b128 s[4:7], s[0:1], 0x0
	s_load_b64 s[12:13], s[0:1], 0x10
	v_mov_b32_e32 v8, 0
	v_dual_mov_b32 v10, 0 :: v_dual_mov_b32 v7, 0
	s_waitcnt lgkmcnt(0)
	s_lshr_b32 s2, s2, 16
	s_delay_alu instid0(SALU_CYCLE_1) | instskip(SKIP_1) | instid1(VALU_DEP_1)
	v_mad_u64_u32 v[3:4], null, s15, s2, v[1:2]
	v_and_b32_e32 v2, 63, v0
	v_cmp_gt_i32_e32 vcc_lo, s10, v2
	s_delay_alu instid0(VALU_DEP_3) | instskip(SKIP_1) | instid1(VALU_DEP_1)
	v_mad_u64_u32 v[0:1], null, v3, s9, v[2:3]
	v_sub_nc_u32_e32 v9, s8, v3
	v_cmp_lt_i32_e64 s3, 0, v9
	s_delay_alu instid0(VALU_DEP_3) | instskip(NEXT) | instid1(VALU_DEP_2)
	v_ashrrev_i32_e32 v1, 31, v0
	s_and_b32 s1, s3, vcc_lo
	s_delay_alu instid0(VALU_DEP_1) | instskip(NEXT) | instid1(VALU_DEP_1)
	v_lshlrev_b64 v[0:1], 2, v[0:1]
	v_add_co_u32 v3, s0, s6, v0
	s_delay_alu instid0(VALU_DEP_1) | instskip(SKIP_1) | instid1(VALU_DEP_1)
	v_add_co_ci_u32_e64 v4, s0, s7, v1, s0
	v_add_co_u32 v5, s0, s12, v0
	v_add_co_ci_u32_e64 v6, s0, s13, v1, s0
	s_and_saveexec_b32 s0, s1
	s_cbranch_execz .LBB562_2
; %bb.1:
	global_load_b32 v8, v[3:4], off
	global_load_b32 v10, v[5:6], off
.LBB562_2:
	s_or_b32 exec_lo, exec_lo, s0
	v_or_b32_e32 v11, 64, v2
	v_mov_b32_e32 v12, 0
	s_delay_alu instid0(VALU_DEP_2) | instskip(NEXT) | instid1(VALU_DEP_1)
	v_cmp_gt_i32_e64 s0, s10, v11
	s_and_b32 s2, s3, s0
	s_delay_alu instid0(SALU_CYCLE_1)
	s_and_saveexec_b32 s1, s2
	s_cbranch_execz .LBB562_4
; %bb.3:
	global_load_b32 v7, v[3:4], off offset:256
	global_load_b32 v12, v[5:6], off offset:256
.LBB562_4:
	s_or_b32 exec_lo, exec_lo, s1
	v_or_b32_e32 v11, 0x80, v2
	v_dual_mov_b32 v13, 0 :: v_dual_mov_b32 v14, 0
	s_delay_alu instid0(VALU_DEP_2) | instskip(SKIP_1) | instid1(VALU_DEP_2)
	v_cmp_gt_i32_e64 s1, s10, v11
	v_mov_b32_e32 v11, 0
	s_and_b32 s6, s3, s1
	s_delay_alu instid0(SALU_CYCLE_1)
	s_and_saveexec_b32 s2, s6
	s_cbranch_execz .LBB562_6
; %bb.5:
	global_load_b32 v13, v[3:4], off offset:512
	global_load_b32 v14, v[5:6], off offset:512
.LBB562_6:
	s_or_b32 exec_lo, exec_lo, s2
	v_or_b32_e32 v2, 0xc0, v2
	s_delay_alu instid0(VALU_DEP_1) | instskip(SKIP_1) | instid1(VALU_DEP_2)
	v_cmp_gt_i32_e64 s2, s10, v2
	v_mov_b32_e32 v2, 0
	s_and_b32 s6, s3, s2
	s_delay_alu instid0(SALU_CYCLE_1)
	s_and_saveexec_b32 s3, s6
	s_cbranch_execz .LBB562_8
; %bb.7:
	global_load_b32 v11, v[3:4], off offset:768
	global_load_b32 v2, v[5:6], off offset:768
.LBB562_8:
	s_or_b32 exec_lo, exec_lo, s3
	v_mbcnt_lo_u32_b32 v4, -1, 0
	s_mov_b32 s6, exec_lo
	s_delay_alu instid0(VALU_DEP_1) | instskip(SKIP_1) | instid1(VALU_DEP_2)
	v_or_b32_e32 v5, 32, v4
	v_xor_b32_e32 v6, 16, v4
	v_cmp_gt_i32_e64 s3, 64, v5
	s_delay_alu instid0(VALU_DEP_1) | instskip(NEXT) | instid1(VALU_DEP_3)
	v_cndmask_b32_e64 v5, v4, v5, s3
	v_cmp_gt_i32_e64 s3, 64, v6
	s_delay_alu instid0(VALU_DEP_2) | instskip(NEXT) | instid1(VALU_DEP_2)
	v_lshlrev_b32_e32 v5, 2, v5
	v_cndmask_b32_e64 v6, v4, v6, s3
	s_waitcnt vmcnt(1)
	s_delay_alu instid0(VALU_DEP_1) | instskip(NEXT) | instid1(VALU_DEP_1)
	v_dual_add_f32 v3, 0, v8 :: v_dual_lshlrev_b32 v6, 2, v6
	v_add_f32_e32 v3, v3, v7
	s_delay_alu instid0(VALU_DEP_1) | instskip(NEXT) | instid1(VALU_DEP_1)
	v_add_f32_e32 v3, v3, v13
	v_add_f32_e32 v3, v3, v11
	ds_bpermute_b32 v5, v5, v3
	s_waitcnt lgkmcnt(0)
	v_add_f32_e32 v3, v3, v5
	ds_bpermute_b32 v5, v6, v3
	v_xor_b32_e32 v6, 8, v4
	s_delay_alu instid0(VALU_DEP_1) | instskip(NEXT) | instid1(VALU_DEP_1)
	v_cmp_gt_i32_e64 s3, 64, v6
	v_cndmask_b32_e64 v6, v4, v6, s3
	s_waitcnt lgkmcnt(0)
	s_delay_alu instid0(VALU_DEP_1) | instskip(SKIP_2) | instid1(VALU_DEP_1)
	v_dual_add_f32 v3, v3, v5 :: v_dual_lshlrev_b32 v6, 2, v6
	ds_bpermute_b32 v5, v6, v3
	v_xor_b32_e32 v6, 4, v4
	v_cmp_gt_i32_e64 s3, 64, v6
	s_delay_alu instid0(VALU_DEP_1) | instskip(SKIP_1) | instid1(VALU_DEP_1)
	v_cndmask_b32_e64 v6, v4, v6, s3
	s_waitcnt lgkmcnt(0)
	v_dual_add_f32 v3, v3, v5 :: v_dual_lshlrev_b32 v6, 2, v6
	ds_bpermute_b32 v5, v6, v3
	v_xor_b32_e32 v6, 2, v4
	s_delay_alu instid0(VALU_DEP_1) | instskip(NEXT) | instid1(VALU_DEP_1)
	v_cmp_gt_i32_e64 s3, 64, v6
	v_cndmask_b32_e64 v6, v4, v6, s3
	s_waitcnt lgkmcnt(0)
	s_delay_alu instid0(VALU_DEP_1) | instskip(SKIP_2) | instid1(VALU_DEP_1)
	v_dual_add_f32 v3, v3, v5 :: v_dual_lshlrev_b32 v6, 2, v6
	ds_bpermute_b32 v5, v6, v3
	v_xor_b32_e32 v6, 1, v4
	v_cmp_gt_i32_e64 s3, 64, v6
	s_delay_alu instid0(VALU_DEP_1) | instskip(SKIP_1) | instid1(VALU_DEP_1)
	v_cndmask_b32_e64 v4, v4, v6, s3
	s_waitcnt lgkmcnt(0)
	v_dual_add_f32 v3, v3, v5 :: v_dual_lshlrev_b32 v4, 2, v4
	ds_bpermute_b32 v4, v4, v3
	v_cmpx_lt_i32_e32 0, v9
	s_cbranch_execz .LBB562_14
; %bb.9:
	v_add_co_u32 v0, s3, s4, v0
	s_delay_alu instid0(VALU_DEP_1)
	v_add_co_ci_u32_e64 v1, s3, s5, v1, s3
	s_waitcnt lgkmcnt(0)
	v_add_f32_e32 v3, v3, v4
	s_and_saveexec_b32 s3, vcc_lo
	s_cbranch_execnz .LBB562_15
; %bb.10:
	s_or_b32 exec_lo, exec_lo, s3
	s_and_saveexec_b32 s3, s0
	s_cbranch_execnz .LBB562_16
.LBB562_11:
	s_or_b32 exec_lo, exec_lo, s3
	s_and_saveexec_b32 s0, s1
	s_cbranch_execnz .LBB562_17
.LBB562_12:
	s_or_b32 exec_lo, exec_lo, s0
	s_delay_alu instid0(SALU_CYCLE_1)
	s_and_b32 exec_lo, exec_lo, s2
	s_cbranch_execz .LBB562_14
.LBB562_13:
	s_waitcnt vmcnt(0)
	v_fma_f32 v2, -v3, v2, v11
	global_store_b32 v[0:1], v2, off offset:768
.LBB562_14:
	s_nop 0
	s_sendmsg sendmsg(MSG_DEALLOC_VGPRS)
	s_endpgm
.LBB562_15:
	s_waitcnt vmcnt(0)
	s_delay_alu instid0(VALU_DEP_1)
	v_fma_f32 v4, -v3, v10, v8
	global_store_b32 v[0:1], v4, off
	s_or_b32 exec_lo, exec_lo, s3
	s_and_saveexec_b32 s3, s0
	s_cbranch_execz .LBB562_11
.LBB562_16:
	s_waitcnt vmcnt(0)
	v_fma_f32 v4, -v3, v12, v7
	global_store_b32 v[0:1], v4, off offset:256
	s_or_b32 exec_lo, exec_lo, s3
	s_and_saveexec_b32 s0, s1
	s_cbranch_execz .LBB562_12
.LBB562_17:
	s_waitcnt vmcnt(0)
	v_fma_f32 v4, -v3, v14, v13
	global_store_b32 v[0:1], v4, off offset:512
	s_or_b32 exec_lo, exec_lo, s0
	s_delay_alu instid0(SALU_CYCLE_1)
	s_and_b32 exec_lo, exec_lo, s2
	s_cbranch_execnz .LBB562_13
	s_branch .LBB562_14
	.section	.rodata,"a",@progbits
	.p2align	6, 0x0
	.amdhsa_kernel _ZN12_GLOBAL__N_121softmax_warp_backwardIfffLi8ELb0ELb0ELi64EEEvPT0_PKT_S5_iiiPKb
		.amdhsa_group_segment_fixed_size 0
		.amdhsa_private_segment_fixed_size 0
		.amdhsa_kernarg_size 304
		.amdhsa_user_sgpr_count 15
		.amdhsa_user_sgpr_dispatch_ptr 0
		.amdhsa_user_sgpr_queue_ptr 0
		.amdhsa_user_sgpr_kernarg_segment_ptr 1
		.amdhsa_user_sgpr_dispatch_id 0
		.amdhsa_user_sgpr_private_segment_size 0
		.amdhsa_wavefront_size32 1
		.amdhsa_uses_dynamic_stack 0
		.amdhsa_enable_private_segment 0
		.amdhsa_system_sgpr_workgroup_id_x 1
		.amdhsa_system_sgpr_workgroup_id_y 0
		.amdhsa_system_sgpr_workgroup_id_z 0
		.amdhsa_system_sgpr_workgroup_info 0
		.amdhsa_system_vgpr_workitem_id 1
		.amdhsa_next_free_vgpr 15
		.amdhsa_next_free_sgpr 16
		.amdhsa_reserve_vcc 1
		.amdhsa_float_round_mode_32 0
		.amdhsa_float_round_mode_16_64 0
		.amdhsa_float_denorm_mode_32 3
		.amdhsa_float_denorm_mode_16_64 3
		.amdhsa_dx10_clamp 1
		.amdhsa_ieee_mode 1
		.amdhsa_fp16_overflow 0
		.amdhsa_workgroup_processor_mode 1
		.amdhsa_memory_ordered 1
		.amdhsa_forward_progress 0
		.amdhsa_shared_vgpr_count 0
		.amdhsa_exception_fp_ieee_invalid_op 0
		.amdhsa_exception_fp_denorm_src 0
		.amdhsa_exception_fp_ieee_div_zero 0
		.amdhsa_exception_fp_ieee_overflow 0
		.amdhsa_exception_fp_ieee_underflow 0
		.amdhsa_exception_fp_ieee_inexact 0
		.amdhsa_exception_int_div_zero 0
	.end_amdhsa_kernel
	.section	.text._ZN12_GLOBAL__N_121softmax_warp_backwardIfffLi8ELb0ELb0ELi64EEEvPT0_PKT_S5_iiiPKb,"axG",@progbits,_ZN12_GLOBAL__N_121softmax_warp_backwardIfffLi8ELb0ELb0ELi64EEEvPT0_PKT_S5_iiiPKb,comdat
.Lfunc_end562:
	.size	_ZN12_GLOBAL__N_121softmax_warp_backwardIfffLi8ELb0ELb0ELi64EEEvPT0_PKT_S5_iiiPKb, .Lfunc_end562-_ZN12_GLOBAL__N_121softmax_warp_backwardIfffLi8ELb0ELb0ELi64EEEvPT0_PKT_S5_iiiPKb
                                        ; -- End function
	.section	.AMDGPU.csdata,"",@progbits
; Kernel info:
; codeLenInByte = 916
; NumSgprs: 18
; NumVgprs: 15
; ScratchSize: 0
; MemoryBound: 0
; FloatMode: 240
; IeeeMode: 1
; LDSByteSize: 0 bytes/workgroup (compile time only)
; SGPRBlocks: 2
; VGPRBlocks: 1
; NumSGPRsForWavesPerEU: 18
; NumVGPRsForWavesPerEU: 15
; Occupancy: 16
; WaveLimiterHint : 0
; COMPUTE_PGM_RSRC2:SCRATCH_EN: 0
; COMPUTE_PGM_RSRC2:USER_SGPR: 15
; COMPUTE_PGM_RSRC2:TRAP_HANDLER: 0
; COMPUTE_PGM_RSRC2:TGID_X_EN: 1
; COMPUTE_PGM_RSRC2:TGID_Y_EN: 0
; COMPUTE_PGM_RSRC2:TGID_Z_EN: 0
; COMPUTE_PGM_RSRC2:TIDIG_COMP_CNT: 1
	.section	.text._ZN12_GLOBAL__N_121softmax_warp_backwardIfffLi8ELb0ELb0ELi32EEEvPT0_PKT_S5_iiiPKb,"axG",@progbits,_ZN12_GLOBAL__N_121softmax_warp_backwardIfffLi8ELb0ELb0ELi32EEEvPT0_PKT_S5_iiiPKb,comdat
	.globl	_ZN12_GLOBAL__N_121softmax_warp_backwardIfffLi8ELb0ELb0ELi32EEEvPT0_PKT_S5_iiiPKb ; -- Begin function _ZN12_GLOBAL__N_121softmax_warp_backwardIfffLi8ELb0ELb0ELi32EEEvPT0_PKT_S5_iiiPKb
	.p2align	8
	.type	_ZN12_GLOBAL__N_121softmax_warp_backwardIfffLi8ELb0ELb0ELi32EEEvPT0_PKT_S5_iiiPKb,@function
_ZN12_GLOBAL__N_121softmax_warp_backwardIfffLi8ELb0ELb0ELi32EEEvPT0_PKT_S5_iiiPKb: ; @_ZN12_GLOBAL__N_121softmax_warp_backwardIfffLi8ELb0ELb0ELi32EEEvPT0_PKT_S5_iiiPKb
; %bb.0:
	s_clause 0x1
	s_load_b32 s2, s[0:1], 0x3c
	s_load_b128 s[16:19], s[0:1], 0x18
	v_bfe_u32 v1, v0, 10, 10
	s_load_b128 s[8:11], s[0:1], 0x0
	v_mov_b32_e32 v8, 0
	v_dual_mov_b32 v10, 0 :: v_dual_mov_b32 v7, 0
	s_waitcnt lgkmcnt(0)
	s_lshr_b32 s2, s2, 16
	s_delay_alu instid0(SALU_CYCLE_1) | instskip(SKIP_2) | instid1(VALU_DEP_1)
	v_mad_u64_u32 v[3:4], null, s15, s2, v[1:2]
	s_load_b64 s[2:3], s[0:1], 0x10
	v_and_b32_e32 v2, 31, v0
	v_cmp_gt_i32_e32 vcc_lo, s18, v2
	s_delay_alu instid0(VALU_DEP_3) | instskip(SKIP_1) | instid1(VALU_DEP_1)
	v_mad_u64_u32 v[0:1], null, v3, s17, v[2:3]
	v_sub_nc_u32_e32 v9, s16, v3
	v_cmp_lt_i32_e64 s6, 0, v9
	s_delay_alu instid0(VALU_DEP_3) | instskip(NEXT) | instid1(VALU_DEP_2)
	v_ashrrev_i32_e32 v1, 31, v0
	s_and_b32 s1, s6, vcc_lo
	s_delay_alu instid0(VALU_DEP_1) | instskip(NEXT) | instid1(VALU_DEP_1)
	v_lshlrev_b64 v[0:1], 2, v[0:1]
	v_add_co_u32 v3, s0, s10, v0
	s_delay_alu instid0(VALU_DEP_1) | instskip(SKIP_2) | instid1(VALU_DEP_1)
	v_add_co_ci_u32_e64 v4, s0, s11, v1, s0
	s_waitcnt lgkmcnt(0)
	v_add_co_u32 v5, s0, s2, v0
	v_add_co_ci_u32_e64 v6, s0, s3, v1, s0
	s_and_saveexec_b32 s0, s1
	s_cbranch_execz .LBB563_2
; %bb.1:
	global_load_b32 v8, v[3:4], off
	global_load_b32 v10, v[5:6], off
.LBB563_2:
	s_or_b32 exec_lo, exec_lo, s0
	v_or_b32_e32 v11, 32, v2
	v_mov_b32_e32 v12, 0
	s_delay_alu instid0(VALU_DEP_2) | instskip(NEXT) | instid1(VALU_DEP_1)
	v_cmp_gt_i32_e64 s0, s18, v11
	s_and_b32 s2, s6, s0
	s_delay_alu instid0(SALU_CYCLE_1)
	s_and_saveexec_b32 s1, s2
	s_cbranch_execz .LBB563_4
; %bb.3:
	global_load_b32 v7, v[3:4], off offset:128
	global_load_b32 v12, v[5:6], off offset:128
.LBB563_4:
	s_or_b32 exec_lo, exec_lo, s1
	v_or_b32_e32 v11, 64, v2
	v_dual_mov_b32 v13, 0 :: v_dual_mov_b32 v14, 0
	s_delay_alu instid0(VALU_DEP_2) | instskip(SKIP_1) | instid1(VALU_DEP_2)
	v_cmp_gt_i32_e64 s1, s18, v11
	v_mov_b32_e32 v11, 0
	s_and_b32 s3, s6, s1
	s_delay_alu instid0(SALU_CYCLE_1)
	s_and_saveexec_b32 s2, s3
	s_cbranch_execz .LBB563_6
; %bb.5:
	global_load_b32 v13, v[3:4], off offset:256
	global_load_b32 v14, v[5:6], off offset:256
.LBB563_6:
	s_or_b32 exec_lo, exec_lo, s2
	v_or_b32_e32 v15, 0x60, v2
	v_mov_b32_e32 v16, 0
	s_delay_alu instid0(VALU_DEP_2) | instskip(NEXT) | instid1(VALU_DEP_1)
	v_cmp_gt_i32_e64 s2, s18, v15
	s_and_b32 s4, s6, s2
	s_delay_alu instid0(SALU_CYCLE_1)
	s_and_saveexec_b32 s3, s4
	s_cbranch_execz .LBB563_8
; %bb.7:
	global_load_b32 v11, v[3:4], off offset:384
	global_load_b32 v16, v[5:6], off offset:384
.LBB563_8:
	s_or_b32 exec_lo, exec_lo, s3
	v_or_b32_e32 v15, 0x80, v2
	v_dual_mov_b32 v17, 0 :: v_dual_mov_b32 v18, 0
	s_delay_alu instid0(VALU_DEP_2) | instskip(SKIP_1) | instid1(VALU_DEP_2)
	v_cmp_gt_i32_e64 s3, s18, v15
	v_mov_b32_e32 v15, 0
	s_and_b32 s5, s6, s3
	s_delay_alu instid0(SALU_CYCLE_1)
	s_and_saveexec_b32 s4, s5
	s_cbranch_execz .LBB563_10
; %bb.9:
	global_load_b32 v17, v[3:4], off offset:512
	global_load_b32 v18, v[5:6], off offset:512
.LBB563_10:
	;; [unrolled: 27-line block ×3, first 2 shown]
	s_or_b32 exec_lo, exec_lo, s7
	v_or_b32_e32 v2, 0xe0, v2
	s_delay_alu instid0(VALU_DEP_1) | instskip(SKIP_1) | instid1(VALU_DEP_2)
	v_cmp_gt_i32_e64 s7, s18, v2
	v_mov_b32_e32 v2, 0
	s_and_b32 s10, s6, s7
	s_delay_alu instid0(SALU_CYCLE_1)
	s_and_saveexec_b32 s6, s10
	s_cbranch_execz .LBB563_16
; %bb.15:
	global_load_b32 v19, v[3:4], off offset:896
	global_load_b32 v2, v[5:6], off offset:896
.LBB563_16:
	s_or_b32 exec_lo, exec_lo, s6
	v_mbcnt_lo_u32_b32 v4, -1, 0
	s_mov_b32 s10, exec_lo
	s_delay_alu instid0(VALU_DEP_1) | instskip(SKIP_1) | instid1(VALU_DEP_2)
	v_xor_b32_e32 v5, 16, v4
	v_xor_b32_e32 v6, 8, v4
	v_cmp_gt_i32_e64 s6, 32, v5
	s_delay_alu instid0(VALU_DEP_1) | instskip(NEXT) | instid1(VALU_DEP_3)
	v_cndmask_b32_e64 v5, v4, v5, s6
	v_cmp_gt_i32_e64 s6, 32, v6
	s_delay_alu instid0(VALU_DEP_2) | instskip(NEXT) | instid1(VALU_DEP_2)
	v_lshlrev_b32_e32 v5, 2, v5
	v_cndmask_b32_e64 v6, v4, v6, s6
	s_waitcnt vmcnt(1)
	s_delay_alu instid0(VALU_DEP_1) | instskip(NEXT) | instid1(VALU_DEP_1)
	v_dual_add_f32 v3, 0, v8 :: v_dual_lshlrev_b32 v6, 2, v6
	v_add_f32_e32 v3, v3, v7
	s_delay_alu instid0(VALU_DEP_1) | instskip(NEXT) | instid1(VALU_DEP_1)
	v_add_f32_e32 v3, v3, v13
	v_add_f32_e32 v3, v3, v11
	s_delay_alu instid0(VALU_DEP_1) | instskip(NEXT) | instid1(VALU_DEP_1)
	v_add_f32_e32 v3, v3, v17
	v_add_f32_e32 v3, v3, v15
	s_delay_alu instid0(VALU_DEP_1) | instskip(NEXT) | instid1(VALU_DEP_1)
	v_add_f32_e32 v3, v3, v21
	v_add_f32_e32 v3, v3, v19
	ds_bpermute_b32 v5, v5, v3
	s_waitcnt lgkmcnt(0)
	v_add_f32_e32 v3, v3, v5
	ds_bpermute_b32 v5, v6, v3
	v_xor_b32_e32 v6, 4, v4
	s_delay_alu instid0(VALU_DEP_1) | instskip(NEXT) | instid1(VALU_DEP_1)
	v_cmp_gt_i32_e64 s6, 32, v6
	v_cndmask_b32_e64 v6, v4, v6, s6
	s_waitcnt lgkmcnt(0)
	s_delay_alu instid0(VALU_DEP_1) | instskip(SKIP_2) | instid1(VALU_DEP_1)
	v_dual_add_f32 v3, v3, v5 :: v_dual_lshlrev_b32 v6, 2, v6
	ds_bpermute_b32 v5, v6, v3
	v_xor_b32_e32 v6, 2, v4
	v_cmp_gt_i32_e64 s6, 32, v6
	s_delay_alu instid0(VALU_DEP_1) | instskip(SKIP_1) | instid1(VALU_DEP_1)
	v_cndmask_b32_e64 v6, v4, v6, s6
	s_waitcnt lgkmcnt(0)
	v_dual_add_f32 v3, v3, v5 :: v_dual_lshlrev_b32 v6, 2, v6
	ds_bpermute_b32 v5, v6, v3
	v_xor_b32_e32 v6, 1, v4
	s_delay_alu instid0(VALU_DEP_1) | instskip(NEXT) | instid1(VALU_DEP_1)
	v_cmp_gt_i32_e64 s6, 32, v6
	v_cndmask_b32_e64 v4, v4, v6, s6
	s_waitcnt lgkmcnt(0)
	s_delay_alu instid0(VALU_DEP_1)
	v_dual_add_f32 v3, v3, v5 :: v_dual_lshlrev_b32 v4, 2, v4
	ds_bpermute_b32 v4, v4, v3
	v_cmpx_lt_i32_e32 0, v9
	s_cbranch_execz .LBB563_26
; %bb.17:
	v_add_co_u32 v0, s6, s8, v0
	s_delay_alu instid0(VALU_DEP_1)
	v_add_co_ci_u32_e64 v1, s6, s9, v1, s6
	s_waitcnt lgkmcnt(0)
	v_add_f32_e32 v3, v3, v4
	s_and_saveexec_b32 s6, vcc_lo
	s_cbranch_execnz .LBB563_27
; %bb.18:
	s_or_b32 exec_lo, exec_lo, s6
	s_and_saveexec_b32 s6, s0
	s_cbranch_execnz .LBB563_28
.LBB563_19:
	s_or_b32 exec_lo, exec_lo, s6
	s_and_saveexec_b32 s0, s1
	s_cbranch_execnz .LBB563_29
.LBB563_20:
	s_or_b32 exec_lo, exec_lo, s0
	s_and_saveexec_b32 s0, s2
	s_cbranch_execnz .LBB563_30
.LBB563_21:
	s_or_b32 exec_lo, exec_lo, s0
	s_and_saveexec_b32 s0, s3
	s_cbranch_execnz .LBB563_31
.LBB563_22:
	s_or_b32 exec_lo, exec_lo, s0
	s_and_saveexec_b32 s0, s4
	s_cbranch_execnz .LBB563_32
.LBB563_23:
	s_or_b32 exec_lo, exec_lo, s0
	s_and_saveexec_b32 s0, s5
	s_cbranch_execnz .LBB563_33
.LBB563_24:
	s_or_b32 exec_lo, exec_lo, s0
	s_delay_alu instid0(SALU_CYCLE_1)
	s_and_b32 exec_lo, exec_lo, s7
	s_cbranch_execz .LBB563_26
.LBB563_25:
	s_waitcnt vmcnt(0)
	v_fma_f32 v2, -v3, v2, v19
	global_store_b32 v[0:1], v2, off offset:896
.LBB563_26:
	s_nop 0
	s_sendmsg sendmsg(MSG_DEALLOC_VGPRS)
	s_endpgm
.LBB563_27:
	s_waitcnt vmcnt(0)
	s_delay_alu instid0(VALU_DEP_1)
	v_fma_f32 v4, -v3, v10, v8
	global_store_b32 v[0:1], v4, off
	s_or_b32 exec_lo, exec_lo, s6
	s_and_saveexec_b32 s6, s0
	s_cbranch_execz .LBB563_19
.LBB563_28:
	s_waitcnt vmcnt(0)
	v_fma_f32 v4, -v3, v12, v7
	global_store_b32 v[0:1], v4, off offset:128
	s_or_b32 exec_lo, exec_lo, s6
	s_and_saveexec_b32 s0, s1
	s_cbranch_execz .LBB563_20
.LBB563_29:
	s_waitcnt vmcnt(0)
	v_fma_f32 v4, -v3, v14, v13
	global_store_b32 v[0:1], v4, off offset:256
	s_or_b32 exec_lo, exec_lo, s0
	s_and_saveexec_b32 s0, s2
	s_cbranch_execz .LBB563_21
.LBB563_30:
	s_waitcnt vmcnt(0)
	v_fma_f32 v4, -v3, v16, v11
	global_store_b32 v[0:1], v4, off offset:384
	s_or_b32 exec_lo, exec_lo, s0
	s_and_saveexec_b32 s0, s3
	s_cbranch_execz .LBB563_22
.LBB563_31:
	s_waitcnt vmcnt(0)
	v_fma_f32 v4, -v3, v18, v17
	global_store_b32 v[0:1], v4, off offset:512
	s_or_b32 exec_lo, exec_lo, s0
	s_and_saveexec_b32 s0, s4
	s_cbranch_execz .LBB563_23
.LBB563_32:
	s_waitcnt vmcnt(0)
	v_fma_f32 v4, -v3, v20, v15
	global_store_b32 v[0:1], v4, off offset:640
	s_or_b32 exec_lo, exec_lo, s0
	s_and_saveexec_b32 s0, s5
	s_cbranch_execz .LBB563_24
.LBB563_33:
	s_waitcnt vmcnt(0)
	v_fma_f32 v4, -v3, v22, v21
	global_store_b32 v[0:1], v4, off offset:768
	s_or_b32 exec_lo, exec_lo, s0
	s_delay_alu instid0(SALU_CYCLE_1)
	s_and_b32 exec_lo, exec_lo, s7
	s_cbranch_execnz .LBB563_25
	s_branch .LBB563_26
	.section	.rodata,"a",@progbits
	.p2align	6, 0x0
	.amdhsa_kernel _ZN12_GLOBAL__N_121softmax_warp_backwardIfffLi8ELb0ELb0ELi32EEEvPT0_PKT_S5_iiiPKb
		.amdhsa_group_segment_fixed_size 0
		.amdhsa_private_segment_fixed_size 0
		.amdhsa_kernarg_size 304
		.amdhsa_user_sgpr_count 15
		.amdhsa_user_sgpr_dispatch_ptr 0
		.amdhsa_user_sgpr_queue_ptr 0
		.amdhsa_user_sgpr_kernarg_segment_ptr 1
		.amdhsa_user_sgpr_dispatch_id 0
		.amdhsa_user_sgpr_private_segment_size 0
		.amdhsa_wavefront_size32 1
		.amdhsa_uses_dynamic_stack 0
		.amdhsa_enable_private_segment 0
		.amdhsa_system_sgpr_workgroup_id_x 1
		.amdhsa_system_sgpr_workgroup_id_y 0
		.amdhsa_system_sgpr_workgroup_id_z 0
		.amdhsa_system_sgpr_workgroup_info 0
		.amdhsa_system_vgpr_workitem_id 1
		.amdhsa_next_free_vgpr 23
		.amdhsa_next_free_sgpr 20
		.amdhsa_reserve_vcc 1
		.amdhsa_float_round_mode_32 0
		.amdhsa_float_round_mode_16_64 0
		.amdhsa_float_denorm_mode_32 3
		.amdhsa_float_denorm_mode_16_64 3
		.amdhsa_dx10_clamp 1
		.amdhsa_ieee_mode 1
		.amdhsa_fp16_overflow 0
		.amdhsa_workgroup_processor_mode 1
		.amdhsa_memory_ordered 1
		.amdhsa_forward_progress 0
		.amdhsa_shared_vgpr_count 0
		.amdhsa_exception_fp_ieee_invalid_op 0
		.amdhsa_exception_fp_denorm_src 0
		.amdhsa_exception_fp_ieee_div_zero 0
		.amdhsa_exception_fp_ieee_overflow 0
		.amdhsa_exception_fp_ieee_underflow 0
		.amdhsa_exception_fp_ieee_inexact 0
		.amdhsa_exception_int_div_zero 0
	.end_amdhsa_kernel
	.section	.text._ZN12_GLOBAL__N_121softmax_warp_backwardIfffLi8ELb0ELb0ELi32EEEvPT0_PKT_S5_iiiPKb,"axG",@progbits,_ZN12_GLOBAL__N_121softmax_warp_backwardIfffLi8ELb0ELb0ELi32EEEvPT0_PKT_S5_iiiPKb,comdat
.Lfunc_end563:
	.size	_ZN12_GLOBAL__N_121softmax_warp_backwardIfffLi8ELb0ELb0ELi32EEEvPT0_PKT_S5_iiiPKb, .Lfunc_end563-_ZN12_GLOBAL__N_121softmax_warp_backwardIfffLi8ELb0ELb0ELi32EEEvPT0_PKT_S5_iiiPKb
                                        ; -- End function
	.section	.AMDGPU.csdata,"",@progbits
; Kernel info:
; codeLenInByte = 1324
; NumSgprs: 22
; NumVgprs: 23
; ScratchSize: 0
; MemoryBound: 0
; FloatMode: 240
; IeeeMode: 1
; LDSByteSize: 0 bytes/workgroup (compile time only)
; SGPRBlocks: 2
; VGPRBlocks: 2
; NumSGPRsForWavesPerEU: 22
; NumVGPRsForWavesPerEU: 23
; Occupancy: 16
; WaveLimiterHint : 0
; COMPUTE_PGM_RSRC2:SCRATCH_EN: 0
; COMPUTE_PGM_RSRC2:USER_SGPR: 15
; COMPUTE_PGM_RSRC2:TRAP_HANDLER: 0
; COMPUTE_PGM_RSRC2:TGID_X_EN: 1
; COMPUTE_PGM_RSRC2:TGID_Y_EN: 0
; COMPUTE_PGM_RSRC2:TGID_Z_EN: 0
; COMPUTE_PGM_RSRC2:TIDIG_COMP_CNT: 1
	.section	.text._ZN12_GLOBAL__N_121softmax_warp_backwardIfffLi9ELb0ELb0ELi64EEEvPT0_PKT_S5_iiiPKb,"axG",@progbits,_ZN12_GLOBAL__N_121softmax_warp_backwardIfffLi9ELb0ELb0ELi64EEEvPT0_PKT_S5_iiiPKb,comdat
	.globl	_ZN12_GLOBAL__N_121softmax_warp_backwardIfffLi9ELb0ELb0ELi64EEEvPT0_PKT_S5_iiiPKb ; -- Begin function _ZN12_GLOBAL__N_121softmax_warp_backwardIfffLi9ELb0ELb0ELi64EEEvPT0_PKT_S5_iiiPKb
	.p2align	8
	.type	_ZN12_GLOBAL__N_121softmax_warp_backwardIfffLi9ELb0ELb0ELi64EEEvPT0_PKT_S5_iiiPKb,@function
_ZN12_GLOBAL__N_121softmax_warp_backwardIfffLi9ELb0ELb0ELi64EEEvPT0_PKT_S5_iiiPKb: ; @_ZN12_GLOBAL__N_121softmax_warp_backwardIfffLi9ELb0ELb0ELi64EEEvPT0_PKT_S5_iiiPKb
; %bb.0:
	s_clause 0x1
	s_load_b32 s2, s[0:1], 0x3c
	s_load_b128 s[4:7], s[0:1], 0x18
	v_bfe_u32 v1, v0, 10, 10
	s_load_b128 s[8:11], s[0:1], 0x0
	v_mov_b32_e32 v8, 0
	v_dual_mov_b32 v10, 0 :: v_dual_mov_b32 v7, 0
	s_waitcnt lgkmcnt(0)
	s_lshr_b32 s2, s2, 16
	s_delay_alu instid0(SALU_CYCLE_1) | instskip(SKIP_2) | instid1(VALU_DEP_1)
	v_mad_u64_u32 v[3:4], null, s15, s2, v[1:2]
	s_load_b64 s[2:3], s[0:1], 0x10
	v_and_b32_e32 v2, 63, v0
	v_cmp_gt_i32_e32 vcc_lo, s6, v2
	s_delay_alu instid0(VALU_DEP_3) | instskip(SKIP_1) | instid1(VALU_DEP_1)
	v_mad_u64_u32 v[0:1], null, v3, s5, v[2:3]
	v_sub_nc_u32_e32 v9, s4, v3
	v_cmp_lt_i32_e64 s7, 0, v9
	s_delay_alu instid0(VALU_DEP_3) | instskip(NEXT) | instid1(VALU_DEP_2)
	v_ashrrev_i32_e32 v1, 31, v0
	s_and_b32 s1, s7, vcc_lo
	s_delay_alu instid0(VALU_DEP_1) | instskip(NEXT) | instid1(VALU_DEP_1)
	v_lshlrev_b64 v[0:1], 2, v[0:1]
	v_add_co_u32 v3, s0, s10, v0
	s_delay_alu instid0(VALU_DEP_1) | instskip(SKIP_2) | instid1(VALU_DEP_1)
	v_add_co_ci_u32_e64 v4, s0, s11, v1, s0
	s_waitcnt lgkmcnt(0)
	v_add_co_u32 v5, s0, s2, v0
	v_add_co_ci_u32_e64 v6, s0, s3, v1, s0
	s_and_saveexec_b32 s0, s1
	s_cbranch_execz .LBB564_2
; %bb.1:
	global_load_b32 v8, v[3:4], off
	global_load_b32 v10, v[5:6], off
.LBB564_2:
	s_or_b32 exec_lo, exec_lo, s0
	v_or_b32_e32 v11, 64, v2
	v_mov_b32_e32 v12, 0
	s_delay_alu instid0(VALU_DEP_2) | instskip(NEXT) | instid1(VALU_DEP_1)
	v_cmp_gt_i32_e64 s0, s6, v11
	s_and_b32 s2, s7, s0
	s_delay_alu instid0(SALU_CYCLE_1)
	s_and_saveexec_b32 s1, s2
	s_cbranch_execz .LBB564_4
; %bb.3:
	global_load_b32 v7, v[3:4], off offset:256
	global_load_b32 v12, v[5:6], off offset:256
.LBB564_4:
	s_or_b32 exec_lo, exec_lo, s1
	v_or_b32_e32 v11, 0x80, v2
	v_dual_mov_b32 v13, 0 :: v_dual_mov_b32 v14, 0
	s_delay_alu instid0(VALU_DEP_2) | instskip(SKIP_1) | instid1(VALU_DEP_2)
	v_cmp_gt_i32_e64 s1, s6, v11
	v_mov_b32_e32 v11, 0
	s_and_b32 s3, s7, s1
	s_delay_alu instid0(SALU_CYCLE_1)
	s_and_saveexec_b32 s2, s3
	s_cbranch_execz .LBB564_6
; %bb.5:
	global_load_b32 v13, v[3:4], off offset:512
	global_load_b32 v14, v[5:6], off offset:512
.LBB564_6:
	s_or_b32 exec_lo, exec_lo, s2
	v_or_b32_e32 v15, 0xc0, v2
	v_mov_b32_e32 v16, 0
	s_delay_alu instid0(VALU_DEP_2) | instskip(NEXT) | instid1(VALU_DEP_1)
	v_cmp_gt_i32_e64 s2, s6, v15
	s_and_b32 s4, s7, s2
	s_delay_alu instid0(SALU_CYCLE_1)
	s_and_saveexec_b32 s3, s4
	s_cbranch_execz .LBB564_8
; %bb.7:
	global_load_b32 v11, v[3:4], off offset:768
	global_load_b32 v16, v[5:6], off offset:768
.LBB564_8:
	s_or_b32 exec_lo, exec_lo, s3
	v_or_b32_e32 v15, 0x100, v2
	v_dual_mov_b32 v17, 0 :: v_dual_mov_b32 v18, 0
	s_delay_alu instid0(VALU_DEP_2) | instskip(SKIP_1) | instid1(VALU_DEP_2)
	v_cmp_gt_i32_e64 s3, s6, v15
	v_mov_b32_e32 v15, 0
	s_and_b32 s5, s7, s3
	s_delay_alu instid0(SALU_CYCLE_1)
	s_and_saveexec_b32 s4, s5
	s_cbranch_execz .LBB564_10
; %bb.9:
	global_load_b32 v17, v[3:4], off offset:1024
	global_load_b32 v18, v[5:6], off offset:1024
.LBB564_10:
	;; [unrolled: 27-line block ×3, first 2 shown]
	s_or_b32 exec_lo, exec_lo, s10
	v_or_b32_e32 v2, 0x1c0, v2
	s_delay_alu instid0(VALU_DEP_1) | instskip(SKIP_1) | instid1(VALU_DEP_2)
	v_cmp_gt_i32_e64 s6, s6, v2
	v_mov_b32_e32 v2, 0
	s_and_b32 s10, s7, s6
	s_delay_alu instid0(SALU_CYCLE_1)
	s_and_saveexec_b32 s7, s10
	s_cbranch_execz .LBB564_16
; %bb.15:
	global_load_b32 v19, v[3:4], off offset:1792
	global_load_b32 v2, v[5:6], off offset:1792
.LBB564_16:
	s_or_b32 exec_lo, exec_lo, s7
	v_mbcnt_lo_u32_b32 v4, -1, 0
	s_mov_b32 s10, exec_lo
	s_delay_alu instid0(VALU_DEP_1) | instskip(SKIP_1) | instid1(VALU_DEP_2)
	v_or_b32_e32 v5, 32, v4
	v_xor_b32_e32 v6, 16, v4
	v_cmp_gt_i32_e64 s7, 64, v5
	s_delay_alu instid0(VALU_DEP_1) | instskip(NEXT) | instid1(VALU_DEP_3)
	v_cndmask_b32_e64 v5, v4, v5, s7
	v_cmp_gt_i32_e64 s7, 64, v6
	s_delay_alu instid0(VALU_DEP_2) | instskip(NEXT) | instid1(VALU_DEP_2)
	v_lshlrev_b32_e32 v5, 2, v5
	v_cndmask_b32_e64 v6, v4, v6, s7
	s_waitcnt vmcnt(1)
	s_delay_alu instid0(VALU_DEP_1) | instskip(NEXT) | instid1(VALU_DEP_1)
	v_dual_add_f32 v3, 0, v8 :: v_dual_lshlrev_b32 v6, 2, v6
	v_add_f32_e32 v3, v3, v7
	s_delay_alu instid0(VALU_DEP_1) | instskip(NEXT) | instid1(VALU_DEP_1)
	v_add_f32_e32 v3, v3, v13
	v_add_f32_e32 v3, v3, v11
	s_delay_alu instid0(VALU_DEP_1) | instskip(NEXT) | instid1(VALU_DEP_1)
	v_add_f32_e32 v3, v3, v17
	;; [unrolled: 3-line block ×3, first 2 shown]
	v_add_f32_e32 v3, v3, v19
	ds_bpermute_b32 v5, v5, v3
	s_waitcnt lgkmcnt(0)
	v_add_f32_e32 v3, v3, v5
	ds_bpermute_b32 v5, v6, v3
	v_xor_b32_e32 v6, 8, v4
	s_delay_alu instid0(VALU_DEP_1) | instskip(NEXT) | instid1(VALU_DEP_1)
	v_cmp_gt_i32_e64 s7, 64, v6
	v_cndmask_b32_e64 v6, v4, v6, s7
	s_waitcnt lgkmcnt(0)
	s_delay_alu instid0(VALU_DEP_1) | instskip(SKIP_2) | instid1(VALU_DEP_1)
	v_dual_add_f32 v3, v3, v5 :: v_dual_lshlrev_b32 v6, 2, v6
	ds_bpermute_b32 v5, v6, v3
	v_xor_b32_e32 v6, 4, v4
	v_cmp_gt_i32_e64 s7, 64, v6
	s_delay_alu instid0(VALU_DEP_1) | instskip(SKIP_1) | instid1(VALU_DEP_1)
	v_cndmask_b32_e64 v6, v4, v6, s7
	s_waitcnt lgkmcnt(0)
	v_dual_add_f32 v3, v3, v5 :: v_dual_lshlrev_b32 v6, 2, v6
	ds_bpermute_b32 v5, v6, v3
	v_xor_b32_e32 v6, 2, v4
	s_delay_alu instid0(VALU_DEP_1) | instskip(NEXT) | instid1(VALU_DEP_1)
	v_cmp_gt_i32_e64 s7, 64, v6
	v_cndmask_b32_e64 v6, v4, v6, s7
	s_waitcnt lgkmcnt(0)
	s_delay_alu instid0(VALU_DEP_1) | instskip(SKIP_2) | instid1(VALU_DEP_1)
	v_dual_add_f32 v3, v3, v5 :: v_dual_lshlrev_b32 v6, 2, v6
	ds_bpermute_b32 v5, v6, v3
	v_xor_b32_e32 v6, 1, v4
	v_cmp_gt_i32_e64 s7, 64, v6
	s_delay_alu instid0(VALU_DEP_1) | instskip(SKIP_1) | instid1(VALU_DEP_1)
	v_cndmask_b32_e64 v4, v4, v6, s7
	s_waitcnt lgkmcnt(0)
	v_dual_add_f32 v3, v3, v5 :: v_dual_lshlrev_b32 v4, 2, v4
	ds_bpermute_b32 v4, v4, v3
	v_cmpx_lt_i32_e32 0, v9
	s_cbranch_execz .LBB564_26
; %bb.17:
	v_add_co_u32 v0, s7, s8, v0
	s_delay_alu instid0(VALU_DEP_1)
	v_add_co_ci_u32_e64 v1, s7, s9, v1, s7
	s_waitcnt lgkmcnt(0)
	v_add_f32_e32 v3, v3, v4
	s_and_saveexec_b32 s7, vcc_lo
	s_cbranch_execnz .LBB564_27
; %bb.18:
	s_or_b32 exec_lo, exec_lo, s7
	s_and_saveexec_b32 s7, s0
	s_cbranch_execnz .LBB564_28
.LBB564_19:
	s_or_b32 exec_lo, exec_lo, s7
	s_and_saveexec_b32 s0, s1
	s_cbranch_execnz .LBB564_29
.LBB564_20:
	s_or_b32 exec_lo, exec_lo, s0
	s_and_saveexec_b32 s0, s2
	s_cbranch_execnz .LBB564_30
.LBB564_21:
	s_or_b32 exec_lo, exec_lo, s0
	s_and_saveexec_b32 s0, s3
	s_cbranch_execnz .LBB564_31
.LBB564_22:
	s_or_b32 exec_lo, exec_lo, s0
	s_and_saveexec_b32 s0, s4
	s_cbranch_execnz .LBB564_32
.LBB564_23:
	s_or_b32 exec_lo, exec_lo, s0
	s_and_saveexec_b32 s0, s5
	s_cbranch_execnz .LBB564_33
.LBB564_24:
	s_or_b32 exec_lo, exec_lo, s0
	s_delay_alu instid0(SALU_CYCLE_1)
	s_and_b32 exec_lo, exec_lo, s6
	s_cbranch_execz .LBB564_26
.LBB564_25:
	s_waitcnt vmcnt(0)
	v_fma_f32 v2, -v3, v2, v19
	global_store_b32 v[0:1], v2, off offset:1792
.LBB564_26:
	s_nop 0
	s_sendmsg sendmsg(MSG_DEALLOC_VGPRS)
	s_endpgm
.LBB564_27:
	s_waitcnt vmcnt(0)
	s_delay_alu instid0(VALU_DEP_1)
	v_fma_f32 v4, -v3, v10, v8
	global_store_b32 v[0:1], v4, off
	s_or_b32 exec_lo, exec_lo, s7
	s_and_saveexec_b32 s7, s0
	s_cbranch_execz .LBB564_19
.LBB564_28:
	s_waitcnt vmcnt(0)
	v_fma_f32 v4, -v3, v12, v7
	global_store_b32 v[0:1], v4, off offset:256
	s_or_b32 exec_lo, exec_lo, s7
	s_and_saveexec_b32 s0, s1
	s_cbranch_execz .LBB564_20
.LBB564_29:
	s_waitcnt vmcnt(0)
	v_fma_f32 v4, -v3, v14, v13
	global_store_b32 v[0:1], v4, off offset:512
	s_or_b32 exec_lo, exec_lo, s0
	s_and_saveexec_b32 s0, s2
	s_cbranch_execz .LBB564_21
.LBB564_30:
	s_waitcnt vmcnt(0)
	v_fma_f32 v4, -v3, v16, v11
	global_store_b32 v[0:1], v4, off offset:768
	s_or_b32 exec_lo, exec_lo, s0
	s_and_saveexec_b32 s0, s3
	s_cbranch_execz .LBB564_22
.LBB564_31:
	s_waitcnt vmcnt(0)
	v_fma_f32 v4, -v3, v18, v17
	global_store_b32 v[0:1], v4, off offset:1024
	s_or_b32 exec_lo, exec_lo, s0
	s_and_saveexec_b32 s0, s4
	s_cbranch_execz .LBB564_23
.LBB564_32:
	s_waitcnt vmcnt(0)
	v_fma_f32 v4, -v3, v20, v15
	global_store_b32 v[0:1], v4, off offset:1280
	s_or_b32 exec_lo, exec_lo, s0
	s_and_saveexec_b32 s0, s5
	s_cbranch_execz .LBB564_24
.LBB564_33:
	s_waitcnt vmcnt(0)
	v_fma_f32 v4, -v3, v22, v21
	global_store_b32 v[0:1], v4, off offset:1536
	s_or_b32 exec_lo, exec_lo, s0
	s_delay_alu instid0(SALU_CYCLE_1)
	s_and_b32 exec_lo, exec_lo, s6
	s_cbranch_execnz .LBB564_25
	s_branch .LBB564_26
	.section	.rodata,"a",@progbits
	.p2align	6, 0x0
	.amdhsa_kernel _ZN12_GLOBAL__N_121softmax_warp_backwardIfffLi9ELb0ELb0ELi64EEEvPT0_PKT_S5_iiiPKb
		.amdhsa_group_segment_fixed_size 0
		.amdhsa_private_segment_fixed_size 0
		.amdhsa_kernarg_size 304
		.amdhsa_user_sgpr_count 15
		.amdhsa_user_sgpr_dispatch_ptr 0
		.amdhsa_user_sgpr_queue_ptr 0
		.amdhsa_user_sgpr_kernarg_segment_ptr 1
		.amdhsa_user_sgpr_dispatch_id 0
		.amdhsa_user_sgpr_private_segment_size 0
		.amdhsa_wavefront_size32 1
		.amdhsa_uses_dynamic_stack 0
		.amdhsa_enable_private_segment 0
		.amdhsa_system_sgpr_workgroup_id_x 1
		.amdhsa_system_sgpr_workgroup_id_y 0
		.amdhsa_system_sgpr_workgroup_id_z 0
		.amdhsa_system_sgpr_workgroup_info 0
		.amdhsa_system_vgpr_workitem_id 1
		.amdhsa_next_free_vgpr 23
		.amdhsa_next_free_sgpr 16
		.amdhsa_reserve_vcc 1
		.amdhsa_float_round_mode_32 0
		.amdhsa_float_round_mode_16_64 0
		.amdhsa_float_denorm_mode_32 3
		.amdhsa_float_denorm_mode_16_64 3
		.amdhsa_dx10_clamp 1
		.amdhsa_ieee_mode 1
		.amdhsa_fp16_overflow 0
		.amdhsa_workgroup_processor_mode 1
		.amdhsa_memory_ordered 1
		.amdhsa_forward_progress 0
		.amdhsa_shared_vgpr_count 0
		.amdhsa_exception_fp_ieee_invalid_op 0
		.amdhsa_exception_fp_denorm_src 0
		.amdhsa_exception_fp_ieee_div_zero 0
		.amdhsa_exception_fp_ieee_overflow 0
		.amdhsa_exception_fp_ieee_underflow 0
		.amdhsa_exception_fp_ieee_inexact 0
		.amdhsa_exception_int_div_zero 0
	.end_amdhsa_kernel
	.section	.text._ZN12_GLOBAL__N_121softmax_warp_backwardIfffLi9ELb0ELb0ELi64EEEvPT0_PKT_S5_iiiPKb,"axG",@progbits,_ZN12_GLOBAL__N_121softmax_warp_backwardIfffLi9ELb0ELb0ELi64EEEvPT0_PKT_S5_iiiPKb,comdat
.Lfunc_end564:
	.size	_ZN12_GLOBAL__N_121softmax_warp_backwardIfffLi9ELb0ELb0ELi64EEEvPT0_PKT_S5_iiiPKb, .Lfunc_end564-_ZN12_GLOBAL__N_121softmax_warp_backwardIfffLi9ELb0ELb0ELi64EEEvPT0_PKT_S5_iiiPKb
                                        ; -- End function
	.section	.AMDGPU.csdata,"",@progbits
; Kernel info:
; codeLenInByte = 1372
; NumSgprs: 18
; NumVgprs: 23
; ScratchSize: 0
; MemoryBound: 0
; FloatMode: 240
; IeeeMode: 1
; LDSByteSize: 0 bytes/workgroup (compile time only)
; SGPRBlocks: 2
; VGPRBlocks: 2
; NumSGPRsForWavesPerEU: 18
; NumVGPRsForWavesPerEU: 23
; Occupancy: 16
; WaveLimiterHint : 0
; COMPUTE_PGM_RSRC2:SCRATCH_EN: 0
; COMPUTE_PGM_RSRC2:USER_SGPR: 15
; COMPUTE_PGM_RSRC2:TRAP_HANDLER: 0
; COMPUTE_PGM_RSRC2:TGID_X_EN: 1
; COMPUTE_PGM_RSRC2:TGID_Y_EN: 0
; COMPUTE_PGM_RSRC2:TGID_Z_EN: 0
; COMPUTE_PGM_RSRC2:TIDIG_COMP_CNT: 1
	.section	.text._ZN12_GLOBAL__N_121softmax_warp_backwardIfffLi9ELb0ELb0ELi32EEEvPT0_PKT_S5_iiiPKb,"axG",@progbits,_ZN12_GLOBAL__N_121softmax_warp_backwardIfffLi9ELb0ELb0ELi32EEEvPT0_PKT_S5_iiiPKb,comdat
	.globl	_ZN12_GLOBAL__N_121softmax_warp_backwardIfffLi9ELb0ELb0ELi32EEEvPT0_PKT_S5_iiiPKb ; -- Begin function _ZN12_GLOBAL__N_121softmax_warp_backwardIfffLi9ELb0ELb0ELi32EEEvPT0_PKT_S5_iiiPKb
	.p2align	8
	.type	_ZN12_GLOBAL__N_121softmax_warp_backwardIfffLi9ELb0ELb0ELi32EEEvPT0_PKT_S5_iiiPKb,@function
_ZN12_GLOBAL__N_121softmax_warp_backwardIfffLi9ELb0ELb0ELi32EEEvPT0_PKT_S5_iiiPKb: ; @_ZN12_GLOBAL__N_121softmax_warp_backwardIfffLi9ELb0ELb0ELi32EEEvPT0_PKT_S5_iiiPKb
; %bb.0:
	s_clause 0x1
	s_load_b32 s2, s[0:1], 0x3c
	s_load_b128 s[20:23], s[0:1], 0x18
	v_bfe_u32 v1, v0, 10, 10
	s_load_b128 s[16:19], s[0:1], 0x0
	v_mov_b32_e32 v8, 0
	v_dual_mov_b32 v10, 0 :: v_dual_mov_b32 v7, 0
	s_waitcnt lgkmcnt(0)
	s_lshr_b32 s2, s2, 16
	s_delay_alu instid0(SALU_CYCLE_1) | instskip(SKIP_2) | instid1(VALU_DEP_1)
	v_mad_u64_u32 v[3:4], null, s15, s2, v[1:2]
	s_load_b64 s[2:3], s[0:1], 0x10
	v_and_b32_e32 v2, 31, v0
	v_cmp_gt_i32_e32 vcc_lo, s22, v2
	s_delay_alu instid0(VALU_DEP_3) | instskip(SKIP_1) | instid1(VALU_DEP_1)
	v_mad_u64_u32 v[0:1], null, v3, s21, v[2:3]
	v_sub_nc_u32_e32 v9, s20, v3
	v_cmp_lt_i32_e64 s7, 0, v9
	s_delay_alu instid0(VALU_DEP_3) | instskip(NEXT) | instid1(VALU_DEP_2)
	v_ashrrev_i32_e32 v1, 31, v0
	s_and_b32 s1, s7, vcc_lo
	s_delay_alu instid0(VALU_DEP_1) | instskip(NEXT) | instid1(VALU_DEP_1)
	v_lshlrev_b64 v[0:1], 2, v[0:1]
	v_add_co_u32 v3, s0, s18, v0
	s_delay_alu instid0(VALU_DEP_1) | instskip(SKIP_2) | instid1(VALU_DEP_1)
	v_add_co_ci_u32_e64 v4, s0, s19, v1, s0
	s_waitcnt lgkmcnt(0)
	v_add_co_u32 v5, s0, s2, v0
	v_add_co_ci_u32_e64 v6, s0, s3, v1, s0
	s_and_saveexec_b32 s0, s1
	s_cbranch_execz .LBB565_2
; %bb.1:
	global_load_b32 v8, v[3:4], off
	global_load_b32 v10, v[5:6], off
.LBB565_2:
	s_or_b32 exec_lo, exec_lo, s0
	v_or_b32_e32 v11, 32, v2
	v_mov_b32_e32 v12, 0
	s_delay_alu instid0(VALU_DEP_2) | instskip(NEXT) | instid1(VALU_DEP_1)
	v_cmp_gt_i32_e64 s0, s22, v11
	s_and_b32 s2, s7, s0
	s_delay_alu instid0(SALU_CYCLE_1)
	s_and_saveexec_b32 s1, s2
	s_cbranch_execz .LBB565_4
; %bb.3:
	global_load_b32 v7, v[3:4], off offset:128
	global_load_b32 v12, v[5:6], off offset:128
.LBB565_4:
	s_or_b32 exec_lo, exec_lo, s1
	v_or_b32_e32 v11, 64, v2
	v_dual_mov_b32 v13, 0 :: v_dual_mov_b32 v14, 0
	s_delay_alu instid0(VALU_DEP_2) | instskip(SKIP_1) | instid1(VALU_DEP_2)
	v_cmp_gt_i32_e64 s1, s22, v11
	v_mov_b32_e32 v11, 0
	s_and_b32 s3, s7, s1
	s_delay_alu instid0(SALU_CYCLE_1)
	s_and_saveexec_b32 s2, s3
	s_cbranch_execz .LBB565_6
; %bb.5:
	global_load_b32 v13, v[3:4], off offset:256
	global_load_b32 v14, v[5:6], off offset:256
.LBB565_6:
	s_or_b32 exec_lo, exec_lo, s2
	v_or_b32_e32 v15, 0x60, v2
	v_mov_b32_e32 v16, 0
	s_delay_alu instid0(VALU_DEP_2) | instskip(NEXT) | instid1(VALU_DEP_1)
	v_cmp_gt_i32_e64 s2, s22, v15
	s_and_b32 s4, s7, s2
	s_delay_alu instid0(SALU_CYCLE_1)
	s_and_saveexec_b32 s3, s4
	s_cbranch_execz .LBB565_8
; %bb.7:
	global_load_b32 v11, v[3:4], off offset:384
	global_load_b32 v16, v[5:6], off offset:384
.LBB565_8:
	s_or_b32 exec_lo, exec_lo, s3
	v_or_b32_e32 v15, 0x80, v2
	v_dual_mov_b32 v17, 0 :: v_dual_mov_b32 v18, 0
	s_delay_alu instid0(VALU_DEP_2) | instskip(SKIP_1) | instid1(VALU_DEP_2)
	v_cmp_gt_i32_e64 s3, s22, v15
	v_mov_b32_e32 v15, 0
	s_and_b32 s5, s7, s3
	s_delay_alu instid0(SALU_CYCLE_1)
	s_and_saveexec_b32 s4, s5
	s_cbranch_execz .LBB565_10
; %bb.9:
	global_load_b32 v17, v[3:4], off offset:512
	global_load_b32 v18, v[5:6], off offset:512
.LBB565_10:
	;; [unrolled: 27-line block ×7, first 2 shown]
	s_or_b32 exec_lo, exec_lo, s15
	v_or_b32_e32 v2, 0x1e0, v2
	s_delay_alu instid0(VALU_DEP_1) | instskip(SKIP_1) | instid1(VALU_DEP_2)
	v_cmp_gt_i32_e64 s15, s22, v2
	v_mov_b32_e32 v2, 0
	s_and_b32 s18, s7, s15
	s_delay_alu instid0(SALU_CYCLE_1)
	s_and_saveexec_b32 s7, s18
	s_cbranch_execz .LBB565_32
; %bb.31:
	global_load_b32 v35, v[3:4], off offset:1920
	global_load_b32 v2, v[5:6], off offset:1920
.LBB565_32:
	s_or_b32 exec_lo, exec_lo, s7
	v_mbcnt_lo_u32_b32 v4, -1, 0
	s_mov_b32 s18, exec_lo
	s_delay_alu instid0(VALU_DEP_1) | instskip(SKIP_1) | instid1(VALU_DEP_2)
	v_xor_b32_e32 v5, 16, v4
	v_xor_b32_e32 v6, 8, v4
	v_cmp_gt_i32_e64 s7, 32, v5
	s_delay_alu instid0(VALU_DEP_1) | instskip(NEXT) | instid1(VALU_DEP_3)
	v_cndmask_b32_e64 v5, v4, v5, s7
	v_cmp_gt_i32_e64 s7, 32, v6
	s_delay_alu instid0(VALU_DEP_2) | instskip(NEXT) | instid1(VALU_DEP_2)
	v_lshlrev_b32_e32 v5, 2, v5
	v_cndmask_b32_e64 v6, v4, v6, s7
	s_waitcnt vmcnt(1)
	s_delay_alu instid0(VALU_DEP_1) | instskip(NEXT) | instid1(VALU_DEP_1)
	v_dual_add_f32 v3, 0, v8 :: v_dual_lshlrev_b32 v6, 2, v6
	v_add_f32_e32 v3, v3, v7
	s_delay_alu instid0(VALU_DEP_1) | instskip(NEXT) | instid1(VALU_DEP_1)
	v_add_f32_e32 v3, v3, v13
	v_add_f32_e32 v3, v3, v11
	s_delay_alu instid0(VALU_DEP_1) | instskip(NEXT) | instid1(VALU_DEP_1)
	v_add_f32_e32 v3, v3, v17
	;; [unrolled: 3-line block ×7, first 2 shown]
	v_add_f32_e32 v3, v3, v35
	ds_bpermute_b32 v5, v5, v3
	s_waitcnt lgkmcnt(0)
	v_add_f32_e32 v3, v3, v5
	ds_bpermute_b32 v5, v6, v3
	v_xor_b32_e32 v6, 4, v4
	s_delay_alu instid0(VALU_DEP_1) | instskip(NEXT) | instid1(VALU_DEP_1)
	v_cmp_gt_i32_e64 s7, 32, v6
	v_cndmask_b32_e64 v6, v4, v6, s7
	s_waitcnt lgkmcnt(0)
	s_delay_alu instid0(VALU_DEP_1) | instskip(SKIP_2) | instid1(VALU_DEP_1)
	v_dual_add_f32 v3, v3, v5 :: v_dual_lshlrev_b32 v6, 2, v6
	ds_bpermute_b32 v5, v6, v3
	v_xor_b32_e32 v6, 2, v4
	v_cmp_gt_i32_e64 s7, 32, v6
	s_delay_alu instid0(VALU_DEP_1) | instskip(SKIP_1) | instid1(VALU_DEP_1)
	v_cndmask_b32_e64 v6, v4, v6, s7
	s_waitcnt lgkmcnt(0)
	v_dual_add_f32 v3, v3, v5 :: v_dual_lshlrev_b32 v6, 2, v6
	ds_bpermute_b32 v5, v6, v3
	v_xor_b32_e32 v6, 1, v4
	s_delay_alu instid0(VALU_DEP_1) | instskip(NEXT) | instid1(VALU_DEP_1)
	v_cmp_gt_i32_e64 s7, 32, v6
	v_cndmask_b32_e64 v4, v4, v6, s7
	s_waitcnt lgkmcnt(0)
	s_delay_alu instid0(VALU_DEP_1)
	v_dual_add_f32 v3, v3, v5 :: v_dual_lshlrev_b32 v4, 2, v4
	ds_bpermute_b32 v4, v4, v3
	v_cmpx_lt_i32_e32 0, v9
	s_cbranch_execz .LBB565_50
; %bb.33:
	v_add_co_u32 v0, s7, s16, v0
	s_delay_alu instid0(VALU_DEP_1)
	v_add_co_ci_u32_e64 v1, s7, s17, v1, s7
	s_waitcnt lgkmcnt(0)
	v_add_f32_e32 v3, v3, v4
	s_and_saveexec_b32 s7, vcc_lo
	s_cbranch_execnz .LBB565_51
; %bb.34:
	s_or_b32 exec_lo, exec_lo, s7
	s_and_saveexec_b32 s7, s0
	s_cbranch_execnz .LBB565_52
.LBB565_35:
	s_or_b32 exec_lo, exec_lo, s7
	s_and_saveexec_b32 s0, s1
	s_cbranch_execnz .LBB565_53
.LBB565_36:
	s_or_b32 exec_lo, exec_lo, s0
	s_and_saveexec_b32 s0, s2
	s_cbranch_execnz .LBB565_54
.LBB565_37:
	s_or_b32 exec_lo, exec_lo, s0
	s_and_saveexec_b32 s0, s3
	s_cbranch_execnz .LBB565_55
.LBB565_38:
	s_or_b32 exec_lo, exec_lo, s0
	s_and_saveexec_b32 s0, s4
	s_cbranch_execnz .LBB565_56
.LBB565_39:
	s_or_b32 exec_lo, exec_lo, s0
	s_and_saveexec_b32 s0, s5
	s_cbranch_execnz .LBB565_57
.LBB565_40:
	s_or_b32 exec_lo, exec_lo, s0
	s_and_saveexec_b32 s0, s6
	s_cbranch_execnz .LBB565_58
.LBB565_41:
	s_or_b32 exec_lo, exec_lo, s0
	s_and_saveexec_b32 s0, s8
	s_cbranch_execnz .LBB565_59
.LBB565_42:
	s_or_b32 exec_lo, exec_lo, s0
	s_and_saveexec_b32 s0, s9
	s_cbranch_execnz .LBB565_60
.LBB565_43:
	s_or_b32 exec_lo, exec_lo, s0
	s_and_saveexec_b32 s0, s10
	s_cbranch_execnz .LBB565_61
.LBB565_44:
	s_or_b32 exec_lo, exec_lo, s0
	s_and_saveexec_b32 s0, s11
	s_cbranch_execnz .LBB565_62
.LBB565_45:
	s_or_b32 exec_lo, exec_lo, s0
	s_and_saveexec_b32 s0, s12
	s_cbranch_execnz .LBB565_63
.LBB565_46:
	s_or_b32 exec_lo, exec_lo, s0
	s_and_saveexec_b32 s0, s13
	s_cbranch_execnz .LBB565_64
.LBB565_47:
	s_or_b32 exec_lo, exec_lo, s0
	s_and_saveexec_b32 s0, s14
	s_cbranch_execnz .LBB565_65
.LBB565_48:
	s_or_b32 exec_lo, exec_lo, s0
	s_delay_alu instid0(SALU_CYCLE_1)
	s_and_b32 exec_lo, exec_lo, s15
	s_cbranch_execz .LBB565_50
.LBB565_49:
	s_waitcnt vmcnt(0)
	v_fma_f32 v2, -v3, v2, v35
	global_store_b32 v[0:1], v2, off offset:1920
.LBB565_50:
	s_nop 0
	s_sendmsg sendmsg(MSG_DEALLOC_VGPRS)
	s_endpgm
.LBB565_51:
	s_waitcnt vmcnt(0)
	s_delay_alu instid0(VALU_DEP_1)
	v_fma_f32 v4, -v3, v10, v8
	global_store_b32 v[0:1], v4, off
	s_or_b32 exec_lo, exec_lo, s7
	s_and_saveexec_b32 s7, s0
	s_cbranch_execz .LBB565_35
.LBB565_52:
	s_waitcnt vmcnt(0)
	v_fma_f32 v4, -v3, v12, v7
	global_store_b32 v[0:1], v4, off offset:128
	s_or_b32 exec_lo, exec_lo, s7
	s_and_saveexec_b32 s0, s1
	s_cbranch_execz .LBB565_36
.LBB565_53:
	s_waitcnt vmcnt(0)
	v_fma_f32 v4, -v3, v14, v13
	global_store_b32 v[0:1], v4, off offset:256
	s_or_b32 exec_lo, exec_lo, s0
	s_and_saveexec_b32 s0, s2
	s_cbranch_execz .LBB565_37
.LBB565_54:
	s_waitcnt vmcnt(0)
	v_fma_f32 v4, -v3, v16, v11
	global_store_b32 v[0:1], v4, off offset:384
	s_or_b32 exec_lo, exec_lo, s0
	s_and_saveexec_b32 s0, s3
	s_cbranch_execz .LBB565_38
.LBB565_55:
	s_waitcnt vmcnt(0)
	v_fma_f32 v4, -v3, v18, v17
	global_store_b32 v[0:1], v4, off offset:512
	s_or_b32 exec_lo, exec_lo, s0
	s_and_saveexec_b32 s0, s4
	s_cbranch_execz .LBB565_39
.LBB565_56:
	s_waitcnt vmcnt(0)
	v_fma_f32 v4, -v3, v20, v15
	global_store_b32 v[0:1], v4, off offset:640
	s_or_b32 exec_lo, exec_lo, s0
	s_and_saveexec_b32 s0, s5
	s_cbranch_execz .LBB565_40
.LBB565_57:
	s_waitcnt vmcnt(0)
	v_fma_f32 v4, -v3, v22, v21
	global_store_b32 v[0:1], v4, off offset:768
	s_or_b32 exec_lo, exec_lo, s0
	s_and_saveexec_b32 s0, s6
	s_cbranch_execz .LBB565_41
.LBB565_58:
	s_waitcnt vmcnt(0)
	v_fma_f32 v4, -v3, v24, v19
	global_store_b32 v[0:1], v4, off offset:896
	s_or_b32 exec_lo, exec_lo, s0
	s_and_saveexec_b32 s0, s8
	s_cbranch_execz .LBB565_42
.LBB565_59:
	s_waitcnt vmcnt(0)
	v_fma_f32 v4, -v3, v26, v25
	global_store_b32 v[0:1], v4, off offset:1024
	s_or_b32 exec_lo, exec_lo, s0
	s_and_saveexec_b32 s0, s9
	s_cbranch_execz .LBB565_43
.LBB565_60:
	s_waitcnt vmcnt(0)
	v_fma_f32 v4, -v3, v28, v23
	global_store_b32 v[0:1], v4, off offset:1152
	s_or_b32 exec_lo, exec_lo, s0
	s_and_saveexec_b32 s0, s10
	s_cbranch_execz .LBB565_44
.LBB565_61:
	s_waitcnt vmcnt(0)
	v_fma_f32 v4, -v3, v30, v29
	global_store_b32 v[0:1], v4, off offset:1280
	s_or_b32 exec_lo, exec_lo, s0
	s_and_saveexec_b32 s0, s11
	s_cbranch_execz .LBB565_45
.LBB565_62:
	s_waitcnt vmcnt(0)
	v_fma_f32 v4, -v3, v32, v27
	global_store_b32 v[0:1], v4, off offset:1408
	s_or_b32 exec_lo, exec_lo, s0
	s_and_saveexec_b32 s0, s12
	s_cbranch_execz .LBB565_46
.LBB565_63:
	s_waitcnt vmcnt(0)
	v_fma_f32 v4, -v3, v34, v33
	global_store_b32 v[0:1], v4, off offset:1536
	s_or_b32 exec_lo, exec_lo, s0
	s_and_saveexec_b32 s0, s13
	s_cbranch_execz .LBB565_47
.LBB565_64:
	s_waitcnt vmcnt(0)
	v_fma_f32 v4, -v3, v36, v31
	global_store_b32 v[0:1], v4, off offset:1664
	s_or_b32 exec_lo, exec_lo, s0
	s_and_saveexec_b32 s0, s14
	s_cbranch_execz .LBB565_48
.LBB565_65:
	s_waitcnt vmcnt(0)
	v_fma_f32 v4, -v3, v38, v37
	global_store_b32 v[0:1], v4, off offset:1792
	s_or_b32 exec_lo, exec_lo, s0
	s_delay_alu instid0(SALU_CYCLE_1)
	s_and_b32 exec_lo, exec_lo, s15
	s_cbranch_execnz .LBB565_49
	s_branch .LBB565_50
	.section	.rodata,"a",@progbits
	.p2align	6, 0x0
	.amdhsa_kernel _ZN12_GLOBAL__N_121softmax_warp_backwardIfffLi9ELb0ELb0ELi32EEEvPT0_PKT_S5_iiiPKb
		.amdhsa_group_segment_fixed_size 0
		.amdhsa_private_segment_fixed_size 0
		.amdhsa_kernarg_size 304
		.amdhsa_user_sgpr_count 15
		.amdhsa_user_sgpr_dispatch_ptr 0
		.amdhsa_user_sgpr_queue_ptr 0
		.amdhsa_user_sgpr_kernarg_segment_ptr 1
		.amdhsa_user_sgpr_dispatch_id 0
		.amdhsa_user_sgpr_private_segment_size 0
		.amdhsa_wavefront_size32 1
		.amdhsa_uses_dynamic_stack 0
		.amdhsa_enable_private_segment 0
		.amdhsa_system_sgpr_workgroup_id_x 1
		.amdhsa_system_sgpr_workgroup_id_y 0
		.amdhsa_system_sgpr_workgroup_id_z 0
		.amdhsa_system_sgpr_workgroup_info 0
		.amdhsa_system_vgpr_workitem_id 1
		.amdhsa_next_free_vgpr 39
		.amdhsa_next_free_sgpr 24
		.amdhsa_reserve_vcc 1
		.amdhsa_float_round_mode_32 0
		.amdhsa_float_round_mode_16_64 0
		.amdhsa_float_denorm_mode_32 3
		.amdhsa_float_denorm_mode_16_64 3
		.amdhsa_dx10_clamp 1
		.amdhsa_ieee_mode 1
		.amdhsa_fp16_overflow 0
		.amdhsa_workgroup_processor_mode 1
		.amdhsa_memory_ordered 1
		.amdhsa_forward_progress 0
		.amdhsa_shared_vgpr_count 0
		.amdhsa_exception_fp_ieee_invalid_op 0
		.amdhsa_exception_fp_denorm_src 0
		.amdhsa_exception_fp_ieee_div_zero 0
		.amdhsa_exception_fp_ieee_overflow 0
		.amdhsa_exception_fp_ieee_underflow 0
		.amdhsa_exception_fp_ieee_inexact 0
		.amdhsa_exception_int_div_zero 0
	.end_amdhsa_kernel
	.section	.text._ZN12_GLOBAL__N_121softmax_warp_backwardIfffLi9ELb0ELb0ELi32EEEvPT0_PKT_S5_iiiPKb,"axG",@progbits,_ZN12_GLOBAL__N_121softmax_warp_backwardIfffLi9ELb0ELb0ELi32EEEvPT0_PKT_S5_iiiPKb,comdat
.Lfunc_end565:
	.size	_ZN12_GLOBAL__N_121softmax_warp_backwardIfffLi9ELb0ELb0ELi32EEEvPT0_PKT_S5_iiiPKb, .Lfunc_end565-_ZN12_GLOBAL__N_121softmax_warp_backwardIfffLi9ELb0ELb0ELi32EEEvPT0_PKT_S5_iiiPKb
                                        ; -- End function
	.section	.AMDGPU.csdata,"",@progbits
; Kernel info:
; codeLenInByte = 2236
; NumSgprs: 26
; NumVgprs: 39
; ScratchSize: 0
; MemoryBound: 0
; FloatMode: 240
; IeeeMode: 1
; LDSByteSize: 0 bytes/workgroup (compile time only)
; SGPRBlocks: 3
; VGPRBlocks: 4
; NumSGPRsForWavesPerEU: 26
; NumVGPRsForWavesPerEU: 39
; Occupancy: 16
; WaveLimiterHint : 0
; COMPUTE_PGM_RSRC2:SCRATCH_EN: 0
; COMPUTE_PGM_RSRC2:USER_SGPR: 15
; COMPUTE_PGM_RSRC2:TRAP_HANDLER: 0
; COMPUTE_PGM_RSRC2:TGID_X_EN: 1
; COMPUTE_PGM_RSRC2:TGID_Y_EN: 0
; COMPUTE_PGM_RSRC2:TGID_Z_EN: 0
; COMPUTE_PGM_RSRC2:TIDIG_COMP_CNT: 1
	.section	.text._ZN12_GLOBAL__N_121softmax_warp_backwardIfffLi10ELb0ELb0ELi64EEEvPT0_PKT_S5_iiiPKb,"axG",@progbits,_ZN12_GLOBAL__N_121softmax_warp_backwardIfffLi10ELb0ELb0ELi64EEEvPT0_PKT_S5_iiiPKb,comdat
	.globl	_ZN12_GLOBAL__N_121softmax_warp_backwardIfffLi10ELb0ELb0ELi64EEEvPT0_PKT_S5_iiiPKb ; -- Begin function _ZN12_GLOBAL__N_121softmax_warp_backwardIfffLi10ELb0ELb0ELi64EEEvPT0_PKT_S5_iiiPKb
	.p2align	8
	.type	_ZN12_GLOBAL__N_121softmax_warp_backwardIfffLi10ELb0ELb0ELi64EEEvPT0_PKT_S5_iiiPKb,@function
_ZN12_GLOBAL__N_121softmax_warp_backwardIfffLi10ELb0ELb0ELi64EEEvPT0_PKT_S5_iiiPKb: ; @_ZN12_GLOBAL__N_121softmax_warp_backwardIfffLi10ELb0ELb0ELi64EEEvPT0_PKT_S5_iiiPKb
; %bb.0:
	s_clause 0x1
	s_load_b32 s2, s[0:1], 0x3c
	s_load_b128 s[20:23], s[0:1], 0x18
	v_bfe_u32 v1, v0, 10, 10
	v_dual_mov_b32 v8, 0 :: v_dual_and_b32 v23, 0x3ff, v0
	s_load_b128 s[16:19], s[0:1], 0x0
	v_mov_b32_e32 v10, 0
	s_delay_alu instid0(VALU_DEP_2) | instskip(SKIP_2) | instid1(SALU_CYCLE_1)
	v_and_b32_e32 v6, 63, v23
	s_waitcnt lgkmcnt(0)
	s_lshr_b32 s2, s2, 16
	v_mad_u64_u32 v[2:3], null, s15, s2, v[1:2]
	s_load_b64 s[2:3], s[0:1], 0x10
	s_delay_alu instid0(VALU_DEP_1) | instskip(SKIP_3) | instid1(VALU_DEP_2)
	v_mad_u64_u32 v[0:1], null, v2, s21, v[6:7]
	v_mov_b32_e32 v7, 0
	v_sub_nc_u32_e32 v9, s20, v2
	v_cmp_gt_i32_e32 vcc_lo, s22, v6
	v_cmp_lt_i32_e64 s8, 0, v9
	v_ashrrev_i32_e32 v1, 31, v0
	s_delay_alu instid0(VALU_DEP_2) | instskip(NEXT) | instid1(VALU_DEP_1)
	s_and_b32 s1, s8, vcc_lo
	v_lshlrev_b64 v[0:1], 2, v[0:1]
	s_delay_alu instid0(VALU_DEP_1) | instskip(NEXT) | instid1(VALU_DEP_1)
	v_add_co_u32 v2, s0, s18, v0
	v_add_co_ci_u32_e64 v3, s0, s19, v1, s0
	s_waitcnt lgkmcnt(0)
	v_add_co_u32 v4, s0, s2, v0
	s_delay_alu instid0(VALU_DEP_1)
	v_add_co_ci_u32_e64 v5, s0, s3, v1, s0
	s_and_saveexec_b32 s0, s1
	s_cbranch_execz .LBB566_2
; %bb.1:
	global_load_b32 v8, v[2:3], off
	global_load_b32 v10, v[4:5], off
.LBB566_2:
	s_or_b32 exec_lo, exec_lo, s0
	v_or_b32_e32 v11, 64, v6
	v_mov_b32_e32 v12, 0
	s_delay_alu instid0(VALU_DEP_2) | instskip(NEXT) | instid1(VALU_DEP_1)
	v_cmp_gt_i32_e64 s0, s22, v11
	s_and_b32 s2, s8, s0
	s_delay_alu instid0(SALU_CYCLE_1)
	s_and_saveexec_b32 s1, s2
	s_cbranch_execz .LBB566_4
; %bb.3:
	global_load_b32 v7, v[2:3], off offset:256
	global_load_b32 v12, v[4:5], off offset:256
.LBB566_4:
	s_or_b32 exec_lo, exec_lo, s1
	v_or_b32_e32 v11, 0x80, v6
	v_dual_mov_b32 v13, 0 :: v_dual_mov_b32 v14, 0
	s_delay_alu instid0(VALU_DEP_2) | instskip(SKIP_1) | instid1(VALU_DEP_2)
	v_cmp_gt_i32_e64 s1, s22, v11
	v_mov_b32_e32 v11, 0
	s_and_b32 s3, s8, s1
	s_delay_alu instid0(SALU_CYCLE_1)
	s_and_saveexec_b32 s2, s3
	s_cbranch_execz .LBB566_6
; %bb.5:
	global_load_b32 v13, v[2:3], off offset:512
	global_load_b32 v14, v[4:5], off offset:512
.LBB566_6:
	s_or_b32 exec_lo, exec_lo, s2
	v_or_b32_e32 v15, 0xc0, v6
	v_mov_b32_e32 v16, 0
	s_delay_alu instid0(VALU_DEP_2) | instskip(NEXT) | instid1(VALU_DEP_1)
	v_cmp_gt_i32_e64 s2, s22, v15
	s_and_b32 s4, s8, s2
	s_delay_alu instid0(SALU_CYCLE_1)
	s_and_saveexec_b32 s3, s4
	s_cbranch_execz .LBB566_8
; %bb.7:
	global_load_b32 v11, v[2:3], off offset:768
	global_load_b32 v16, v[4:5], off offset:768
.LBB566_8:
	s_or_b32 exec_lo, exec_lo, s3
	v_or_b32_e32 v15, 0x100, v6
	v_dual_mov_b32 v17, 0 :: v_dual_mov_b32 v18, 0
	s_delay_alu instid0(VALU_DEP_2) | instskip(SKIP_1) | instid1(VALU_DEP_2)
	v_cmp_gt_i32_e64 s3, s22, v15
	v_mov_b32_e32 v15, 0
	s_and_b32 s5, s8, s3
	s_delay_alu instid0(SALU_CYCLE_1)
	s_and_saveexec_b32 s4, s5
	s_cbranch_execz .LBB566_10
; %bb.9:
	global_load_b32 v17, v[2:3], off offset:1024
	global_load_b32 v18, v[4:5], off offset:1024
.LBB566_10:
	;; [unrolled: 27-line block ×6, first 2 shown]
	s_or_b32 exec_lo, exec_lo, s13
	v_or_b32_e32 v36, 0x340, v6
	s_delay_alu instid0(VALU_DEP_1) | instskip(SKIP_1) | instid1(VALU_DEP_2)
	v_cmp_gt_i32_e64 s13, s22, v36
	v_mov_b32_e32 v36, 0
	s_and_b32 s15, s8, s13
	s_delay_alu instid0(SALU_CYCLE_1)
	s_and_saveexec_b32 s14, s15
	s_cbranch_execz .LBB566_28
; %bb.27:
	global_load_b32 v32, v[2:3], off offset:3328
	global_load_b32 v36, v[4:5], off offset:3328
.LBB566_28:
	s_or_b32 exec_lo, exec_lo, s14
	v_or_b32_e32 v6, 0x380, v6
	v_dual_mov_b32 v38, 0 :: v_dual_mov_b32 v37, 0
	s_delay_alu instid0(VALU_DEP_2) | instskip(SKIP_1) | instid1(VALU_DEP_2)
	v_cmp_gt_i32_e64 s14, s22, v6
	v_mov_b32_e32 v6, 0
	s_and_b32 s18, s8, s14
	s_delay_alu instid0(SALU_CYCLE_1)
	s_and_saveexec_b32 s15, s18
	s_cbranch_execz .LBB566_30
; %bb.29:
	global_load_b32 v37, v[2:3], off offset:3584
	global_load_b32 v38, v[4:5], off offset:3584
.LBB566_30:
	s_or_b32 exec_lo, exec_lo, s15
	v_or_b32_e32 v23, 0x3c0, v23
	s_delay_alu instid0(VALU_DEP_1) | instskip(SKIP_1) | instid1(VALU_DEP_2)
	v_cmp_gt_i32_e64 s15, s22, v23
	v_mov_b32_e32 v23, 0
	s_and_b32 s18, s8, s15
	s_delay_alu instid0(SALU_CYCLE_1)
	s_and_saveexec_b32 s8, s18
	s_cbranch_execz .LBB566_32
; %bb.31:
	global_load_b32 v6, v[2:3], off offset:3840
	global_load_b32 v23, v[4:5], off offset:3840
.LBB566_32:
	s_or_b32 exec_lo, exec_lo, s8
	v_mbcnt_lo_u32_b32 v3, -1, 0
	s_mov_b32 s18, exec_lo
	s_delay_alu instid0(VALU_DEP_1) | instskip(SKIP_1) | instid1(VALU_DEP_2)
	v_or_b32_e32 v4, 32, v3
	v_xor_b32_e32 v5, 16, v3
	v_cmp_gt_i32_e64 s8, 64, v4
	s_delay_alu instid0(VALU_DEP_1) | instskip(NEXT) | instid1(VALU_DEP_3)
	v_cndmask_b32_e64 v4, v3, v4, s8
	v_cmp_gt_i32_e64 s8, 64, v5
	s_delay_alu instid0(VALU_DEP_2) | instskip(NEXT) | instid1(VALU_DEP_2)
	v_lshlrev_b32_e32 v4, 2, v4
	v_cndmask_b32_e64 v5, v3, v5, s8
	s_waitcnt vmcnt(1)
	s_delay_alu instid0(VALU_DEP_1) | instskip(NEXT) | instid1(VALU_DEP_1)
	v_dual_add_f32 v2, 0, v8 :: v_dual_lshlrev_b32 v5, 2, v5
	v_add_f32_e32 v2, v2, v7
	s_delay_alu instid0(VALU_DEP_1) | instskip(NEXT) | instid1(VALU_DEP_1)
	v_add_f32_e32 v2, v2, v13
	v_add_f32_e32 v2, v2, v11
	s_delay_alu instid0(VALU_DEP_1) | instskip(NEXT) | instid1(VALU_DEP_1)
	v_add_f32_e32 v2, v2, v17
	;; [unrolled: 3-line block ×7, first 2 shown]
	v_add_f32_e32 v2, v2, v6
	ds_bpermute_b32 v4, v4, v2
	s_waitcnt lgkmcnt(0)
	v_add_f32_e32 v2, v2, v4
	ds_bpermute_b32 v4, v5, v2
	v_xor_b32_e32 v5, 8, v3
	s_delay_alu instid0(VALU_DEP_1) | instskip(NEXT) | instid1(VALU_DEP_1)
	v_cmp_gt_i32_e64 s8, 64, v5
	v_cndmask_b32_e64 v5, v3, v5, s8
	s_waitcnt lgkmcnt(0)
	s_delay_alu instid0(VALU_DEP_1) | instskip(SKIP_2) | instid1(VALU_DEP_1)
	v_dual_add_f32 v2, v2, v4 :: v_dual_lshlrev_b32 v5, 2, v5
	ds_bpermute_b32 v4, v5, v2
	v_xor_b32_e32 v5, 4, v3
	v_cmp_gt_i32_e64 s8, 64, v5
	s_delay_alu instid0(VALU_DEP_1) | instskip(SKIP_1) | instid1(VALU_DEP_1)
	v_cndmask_b32_e64 v5, v3, v5, s8
	s_waitcnt lgkmcnt(0)
	v_dual_add_f32 v2, v2, v4 :: v_dual_lshlrev_b32 v5, 2, v5
	ds_bpermute_b32 v4, v5, v2
	v_xor_b32_e32 v5, 2, v3
	s_delay_alu instid0(VALU_DEP_1) | instskip(NEXT) | instid1(VALU_DEP_1)
	v_cmp_gt_i32_e64 s8, 64, v5
	v_cndmask_b32_e64 v5, v3, v5, s8
	s_waitcnt lgkmcnt(0)
	s_delay_alu instid0(VALU_DEP_1) | instskip(SKIP_2) | instid1(VALU_DEP_1)
	v_dual_add_f32 v2, v2, v4 :: v_dual_lshlrev_b32 v5, 2, v5
	ds_bpermute_b32 v4, v5, v2
	v_xor_b32_e32 v5, 1, v3
	v_cmp_gt_i32_e64 s8, 64, v5
	s_delay_alu instid0(VALU_DEP_1) | instskip(SKIP_1) | instid1(VALU_DEP_1)
	v_cndmask_b32_e64 v3, v3, v5, s8
	s_waitcnt lgkmcnt(0)
	v_dual_add_f32 v2, v2, v4 :: v_dual_lshlrev_b32 v3, 2, v3
	ds_bpermute_b32 v3, v3, v2
	v_cmpx_lt_i32_e32 0, v9
	s_cbranch_execz .LBB566_50
; %bb.33:
	v_add_co_u32 v0, s8, s16, v0
	s_delay_alu instid0(VALU_DEP_1)
	v_add_co_ci_u32_e64 v1, s8, s17, v1, s8
	s_waitcnt lgkmcnt(0)
	v_add_f32_e32 v2, v2, v3
	s_and_saveexec_b32 s8, vcc_lo
	s_cbranch_execnz .LBB566_51
; %bb.34:
	s_or_b32 exec_lo, exec_lo, s8
	s_and_saveexec_b32 s8, s0
	s_cbranch_execnz .LBB566_52
.LBB566_35:
	s_or_b32 exec_lo, exec_lo, s8
	s_and_saveexec_b32 s0, s1
	s_cbranch_execnz .LBB566_53
.LBB566_36:
	s_or_b32 exec_lo, exec_lo, s0
	s_and_saveexec_b32 s0, s2
	s_cbranch_execnz .LBB566_54
.LBB566_37:
	s_or_b32 exec_lo, exec_lo, s0
	s_and_saveexec_b32 s0, s3
	s_cbranch_execnz .LBB566_55
.LBB566_38:
	s_or_b32 exec_lo, exec_lo, s0
	s_and_saveexec_b32 s0, s4
	s_cbranch_execnz .LBB566_56
.LBB566_39:
	s_or_b32 exec_lo, exec_lo, s0
	s_and_saveexec_b32 s0, s5
	s_cbranch_execnz .LBB566_57
.LBB566_40:
	s_or_b32 exec_lo, exec_lo, s0
	s_and_saveexec_b32 s0, s6
	s_cbranch_execnz .LBB566_58
.LBB566_41:
	s_or_b32 exec_lo, exec_lo, s0
	s_and_saveexec_b32 s0, s7
	s_cbranch_execnz .LBB566_59
.LBB566_42:
	s_or_b32 exec_lo, exec_lo, s0
	s_and_saveexec_b32 s0, s9
	s_cbranch_execnz .LBB566_60
.LBB566_43:
	s_or_b32 exec_lo, exec_lo, s0
	s_and_saveexec_b32 s0, s10
	s_cbranch_execnz .LBB566_61
.LBB566_44:
	s_or_b32 exec_lo, exec_lo, s0
	s_and_saveexec_b32 s0, s11
	s_cbranch_execnz .LBB566_62
.LBB566_45:
	s_or_b32 exec_lo, exec_lo, s0
	s_and_saveexec_b32 s0, s12
	s_cbranch_execnz .LBB566_63
.LBB566_46:
	s_or_b32 exec_lo, exec_lo, s0
	s_and_saveexec_b32 s0, s13
	s_cbranch_execnz .LBB566_64
.LBB566_47:
	s_or_b32 exec_lo, exec_lo, s0
	s_and_saveexec_b32 s0, s14
	s_cbranch_execnz .LBB566_65
.LBB566_48:
	s_or_b32 exec_lo, exec_lo, s0
	s_delay_alu instid0(SALU_CYCLE_1)
	s_and_b32 exec_lo, exec_lo, s15
	s_cbranch_execz .LBB566_50
.LBB566_49:
	s_waitcnt vmcnt(0)
	v_fma_f32 v2, -v2, v23, v6
	global_store_b32 v[0:1], v2, off offset:3840
.LBB566_50:
	s_nop 0
	s_sendmsg sendmsg(MSG_DEALLOC_VGPRS)
	s_endpgm
.LBB566_51:
	s_waitcnt vmcnt(0)
	s_delay_alu instid0(VALU_DEP_1)
	v_fma_f32 v3, -v2, v10, v8
	global_store_b32 v[0:1], v3, off
	s_or_b32 exec_lo, exec_lo, s8
	s_and_saveexec_b32 s8, s0
	s_cbranch_execz .LBB566_35
.LBB566_52:
	s_waitcnt vmcnt(0)
	v_fma_f32 v3, -v2, v12, v7
	global_store_b32 v[0:1], v3, off offset:256
	s_or_b32 exec_lo, exec_lo, s8
	s_and_saveexec_b32 s0, s1
	s_cbranch_execz .LBB566_36
.LBB566_53:
	s_waitcnt vmcnt(0)
	v_fma_f32 v3, -v2, v14, v13
	global_store_b32 v[0:1], v3, off offset:512
	s_or_b32 exec_lo, exec_lo, s0
	s_and_saveexec_b32 s0, s2
	s_cbranch_execz .LBB566_37
.LBB566_54:
	s_waitcnt vmcnt(0)
	v_fma_f32 v3, -v2, v16, v11
	global_store_b32 v[0:1], v3, off offset:768
	s_or_b32 exec_lo, exec_lo, s0
	s_and_saveexec_b32 s0, s3
	s_cbranch_execz .LBB566_38
.LBB566_55:
	s_waitcnt vmcnt(0)
	v_fma_f32 v3, -v2, v18, v17
	global_store_b32 v[0:1], v3, off offset:1024
	s_or_b32 exec_lo, exec_lo, s0
	s_and_saveexec_b32 s0, s4
	s_cbranch_execz .LBB566_39
.LBB566_56:
	s_waitcnt vmcnt(0)
	v_fma_f32 v3, -v2, v20, v15
	global_store_b32 v[0:1], v3, off offset:1280
	s_or_b32 exec_lo, exec_lo, s0
	s_and_saveexec_b32 s0, s5
	s_cbranch_execz .LBB566_40
.LBB566_57:
	s_waitcnt vmcnt(0)
	v_fma_f32 v3, -v2, v22, v21
	global_store_b32 v[0:1], v3, off offset:1536
	s_or_b32 exec_lo, exec_lo, s0
	s_and_saveexec_b32 s0, s6
	s_cbranch_execz .LBB566_41
.LBB566_58:
	s_waitcnt vmcnt(0)
	v_fma_f32 v3, -v2, v25, v19
	global_store_b32 v[0:1], v3, off offset:1792
	s_or_b32 exec_lo, exec_lo, s0
	s_and_saveexec_b32 s0, s7
	s_cbranch_execz .LBB566_42
.LBB566_59:
	s_waitcnt vmcnt(0)
	v_fma_f32 v3, -v2, v27, v26
	global_store_b32 v[0:1], v3, off offset:2048
	s_or_b32 exec_lo, exec_lo, s0
	s_and_saveexec_b32 s0, s9
	s_cbranch_execz .LBB566_43
.LBB566_60:
	s_waitcnt vmcnt(0)
	v_fma_f32 v3, -v2, v29, v24
	global_store_b32 v[0:1], v3, off offset:2304
	s_or_b32 exec_lo, exec_lo, s0
	s_and_saveexec_b32 s0, s10
	s_cbranch_execz .LBB566_44
.LBB566_61:
	s_waitcnt vmcnt(0)
	v_fma_f32 v3, -v2, v31, v30
	global_store_b32 v[0:1], v3, off offset:2560
	s_or_b32 exec_lo, exec_lo, s0
	s_and_saveexec_b32 s0, s11
	s_cbranch_execz .LBB566_45
.LBB566_62:
	s_waitcnt vmcnt(0)
	v_fma_f32 v3, -v2, v33, v28
	global_store_b32 v[0:1], v3, off offset:2816
	s_or_b32 exec_lo, exec_lo, s0
	s_and_saveexec_b32 s0, s12
	s_cbranch_execz .LBB566_46
.LBB566_63:
	s_waitcnt vmcnt(0)
	v_fma_f32 v3, -v2, v35, v34
	global_store_b32 v[0:1], v3, off offset:3072
	s_or_b32 exec_lo, exec_lo, s0
	s_and_saveexec_b32 s0, s13
	s_cbranch_execz .LBB566_47
.LBB566_64:
	s_waitcnt vmcnt(0)
	v_fma_f32 v3, -v2, v36, v32
	global_store_b32 v[0:1], v3, off offset:3328
	s_or_b32 exec_lo, exec_lo, s0
	s_and_saveexec_b32 s0, s14
	s_cbranch_execz .LBB566_48
.LBB566_65:
	s_waitcnt vmcnt(0)
	v_fma_f32 v3, -v2, v38, v37
	global_store_b32 v[0:1], v3, off offset:3584
	s_or_b32 exec_lo, exec_lo, s0
	s_delay_alu instid0(SALU_CYCLE_1)
	s_and_b32 exec_lo, exec_lo, s15
	s_cbranch_execnz .LBB566_49
	s_branch .LBB566_50
	.section	.rodata,"a",@progbits
	.p2align	6, 0x0
	.amdhsa_kernel _ZN12_GLOBAL__N_121softmax_warp_backwardIfffLi10ELb0ELb0ELi64EEEvPT0_PKT_S5_iiiPKb
		.amdhsa_group_segment_fixed_size 0
		.amdhsa_private_segment_fixed_size 0
		.amdhsa_kernarg_size 304
		.amdhsa_user_sgpr_count 15
		.amdhsa_user_sgpr_dispatch_ptr 0
		.amdhsa_user_sgpr_queue_ptr 0
		.amdhsa_user_sgpr_kernarg_segment_ptr 1
		.amdhsa_user_sgpr_dispatch_id 0
		.amdhsa_user_sgpr_private_segment_size 0
		.amdhsa_wavefront_size32 1
		.amdhsa_uses_dynamic_stack 0
		.amdhsa_enable_private_segment 0
		.amdhsa_system_sgpr_workgroup_id_x 1
		.amdhsa_system_sgpr_workgroup_id_y 0
		.amdhsa_system_sgpr_workgroup_id_z 0
		.amdhsa_system_sgpr_workgroup_info 0
		.amdhsa_system_vgpr_workitem_id 1
		.amdhsa_next_free_vgpr 39
		.amdhsa_next_free_sgpr 24
		.amdhsa_reserve_vcc 1
		.amdhsa_float_round_mode_32 0
		.amdhsa_float_round_mode_16_64 0
		.amdhsa_float_denorm_mode_32 3
		.amdhsa_float_denorm_mode_16_64 3
		.amdhsa_dx10_clamp 1
		.amdhsa_ieee_mode 1
		.amdhsa_fp16_overflow 0
		.amdhsa_workgroup_processor_mode 1
		.amdhsa_memory_ordered 1
		.amdhsa_forward_progress 0
		.amdhsa_shared_vgpr_count 0
		.amdhsa_exception_fp_ieee_invalid_op 0
		.amdhsa_exception_fp_denorm_src 0
		.amdhsa_exception_fp_ieee_div_zero 0
		.amdhsa_exception_fp_ieee_overflow 0
		.amdhsa_exception_fp_ieee_underflow 0
		.amdhsa_exception_fp_ieee_inexact 0
		.amdhsa_exception_int_div_zero 0
	.end_amdhsa_kernel
	.section	.text._ZN12_GLOBAL__N_121softmax_warp_backwardIfffLi10ELb0ELb0ELi64EEEvPT0_PKT_S5_iiiPKb,"axG",@progbits,_ZN12_GLOBAL__N_121softmax_warp_backwardIfffLi10ELb0ELb0ELi64EEEvPT0_PKT_S5_iiiPKb,comdat
.Lfunc_end566:
	.size	_ZN12_GLOBAL__N_121softmax_warp_backwardIfffLi10ELb0ELb0ELi64EEEvPT0_PKT_S5_iiiPKb, .Lfunc_end566-_ZN12_GLOBAL__N_121softmax_warp_backwardIfffLi10ELb0ELb0ELi64EEEvPT0_PKT_S5_iiiPKb
                                        ; -- End function
	.section	.AMDGPU.csdata,"",@progbits
; Kernel info:
; codeLenInByte = 2292
; NumSgprs: 26
; NumVgprs: 39
; ScratchSize: 0
; MemoryBound: 0
; FloatMode: 240
; IeeeMode: 1
; LDSByteSize: 0 bytes/workgroup (compile time only)
; SGPRBlocks: 3
; VGPRBlocks: 4
; NumSGPRsForWavesPerEU: 26
; NumVGPRsForWavesPerEU: 39
; Occupancy: 16
; WaveLimiterHint : 0
; COMPUTE_PGM_RSRC2:SCRATCH_EN: 0
; COMPUTE_PGM_RSRC2:USER_SGPR: 15
; COMPUTE_PGM_RSRC2:TRAP_HANDLER: 0
; COMPUTE_PGM_RSRC2:TGID_X_EN: 1
; COMPUTE_PGM_RSRC2:TGID_Y_EN: 0
; COMPUTE_PGM_RSRC2:TGID_Z_EN: 0
; COMPUTE_PGM_RSRC2:TIDIG_COMP_CNT: 1
	.section	.text._ZN12_GLOBAL__N_121softmax_warp_backwardIfffLi10ELb0ELb0ELi32EEEvPT0_PKT_S5_iiiPKb,"axG",@progbits,_ZN12_GLOBAL__N_121softmax_warp_backwardIfffLi10ELb0ELb0ELi32EEEvPT0_PKT_S5_iiiPKb,comdat
	.globl	_ZN12_GLOBAL__N_121softmax_warp_backwardIfffLi10ELb0ELb0ELi32EEEvPT0_PKT_S5_iiiPKb ; -- Begin function _ZN12_GLOBAL__N_121softmax_warp_backwardIfffLi10ELb0ELb0ELi32EEEvPT0_PKT_S5_iiiPKb
	.p2align	8
	.type	_ZN12_GLOBAL__N_121softmax_warp_backwardIfffLi10ELb0ELb0ELi32EEEvPT0_PKT_S5_iiiPKb,@function
_ZN12_GLOBAL__N_121softmax_warp_backwardIfffLi10ELb0ELb0ELi32EEEvPT0_PKT_S5_iiiPKb: ; @_ZN12_GLOBAL__N_121softmax_warp_backwardIfffLi10ELb0ELb0ELi32EEEvPT0_PKT_S5_iiiPKb
; %bb.0:
	s_clause 0x1
	s_load_b32 s2, s[0:1], 0x3c
	s_load_b128 s[40:43], s[0:1], 0x18
	v_bfe_u32 v1, v0, 10, 10
	v_dual_mov_b32 v8, 0 :: v_dual_and_b32 v25, 0x3ff, v0
	s_load_b128 s[36:39], s[0:1], 0x0
	v_mov_b32_e32 v10, 0
	s_delay_alu instid0(VALU_DEP_2) | instskip(SKIP_2) | instid1(SALU_CYCLE_1)
	v_and_b32_e32 v6, 31, v25
	s_waitcnt lgkmcnt(0)
	s_lshr_b32 s2, s2, 16
	v_mad_u64_u32 v[2:3], null, s15, s2, v[1:2]
	s_load_b64 s[2:3], s[0:1], 0x10
	s_delay_alu instid0(VALU_DEP_1) | instskip(SKIP_3) | instid1(VALU_DEP_2)
	v_mad_u64_u32 v[0:1], null, v2, s41, v[6:7]
	v_mov_b32_e32 v7, 0
	v_sub_nc_u32_e32 v9, s40, v2
	v_cmp_gt_i32_e32 vcc_lo, s42, v6
	v_cmp_lt_i32_e64 s9, 0, v9
	v_ashrrev_i32_e32 v1, 31, v0
	s_delay_alu instid0(VALU_DEP_2) | instskip(NEXT) | instid1(VALU_DEP_1)
	s_and_b32 s1, s9, vcc_lo
	v_lshlrev_b64 v[0:1], 2, v[0:1]
	s_delay_alu instid0(VALU_DEP_1) | instskip(NEXT) | instid1(VALU_DEP_1)
	v_add_co_u32 v2, s0, s38, v0
	v_add_co_ci_u32_e64 v3, s0, s39, v1, s0
	s_waitcnt lgkmcnt(0)
	v_add_co_u32 v4, s0, s2, v0
	s_delay_alu instid0(VALU_DEP_1)
	v_add_co_ci_u32_e64 v5, s0, s3, v1, s0
	s_and_saveexec_b32 s0, s1
	s_cbranch_execz .LBB567_2
; %bb.1:
	global_load_b32 v8, v[2:3], off
	global_load_b32 v10, v[4:5], off
.LBB567_2:
	s_or_b32 exec_lo, exec_lo, s0
	v_or_b32_e32 v11, 32, v6
	v_mov_b32_e32 v12, 0
	s_delay_alu instid0(VALU_DEP_2) | instskip(NEXT) | instid1(VALU_DEP_1)
	v_cmp_gt_i32_e64 s0, s42, v11
	s_and_b32 s2, s9, s0
	s_delay_alu instid0(SALU_CYCLE_1)
	s_and_saveexec_b32 s1, s2
	s_cbranch_execz .LBB567_4
; %bb.3:
	global_load_b32 v7, v[2:3], off offset:128
	global_load_b32 v12, v[4:5], off offset:128
.LBB567_4:
	s_or_b32 exec_lo, exec_lo, s1
	v_or_b32_e32 v11, 64, v6
	v_dual_mov_b32 v13, 0 :: v_dual_mov_b32 v14, 0
	s_delay_alu instid0(VALU_DEP_2) | instskip(SKIP_1) | instid1(VALU_DEP_2)
	v_cmp_gt_i32_e64 s1, s42, v11
	v_mov_b32_e32 v11, 0
	s_and_b32 s3, s9, s1
	s_delay_alu instid0(SALU_CYCLE_1)
	s_and_saveexec_b32 s2, s3
	s_cbranch_execz .LBB567_6
; %bb.5:
	global_load_b32 v13, v[2:3], off offset:256
	global_load_b32 v14, v[4:5], off offset:256
.LBB567_6:
	s_or_b32 exec_lo, exec_lo, s2
	v_or_b32_e32 v15, 0x60, v6
	v_mov_b32_e32 v16, 0
	s_delay_alu instid0(VALU_DEP_2) | instskip(NEXT) | instid1(VALU_DEP_1)
	v_cmp_gt_i32_e64 s2, s42, v15
	s_and_b32 s4, s9, s2
	s_delay_alu instid0(SALU_CYCLE_1)
	s_and_saveexec_b32 s3, s4
	s_cbranch_execz .LBB567_8
; %bb.7:
	global_load_b32 v11, v[2:3], off offset:384
	global_load_b32 v16, v[4:5], off offset:384
.LBB567_8:
	s_or_b32 exec_lo, exec_lo, s3
	v_or_b32_e32 v15, 0x80, v6
	v_dual_mov_b32 v17, 0 :: v_dual_mov_b32 v18, 0
	s_delay_alu instid0(VALU_DEP_2) | instskip(SKIP_1) | instid1(VALU_DEP_2)
	v_cmp_gt_i32_e64 s3, s42, v15
	v_mov_b32_e32 v15, 0
	s_and_b32 s5, s9, s3
	s_delay_alu instid0(SALU_CYCLE_1)
	s_and_saveexec_b32 s4, s5
	s_cbranch_execz .LBB567_10
; %bb.9:
	global_load_b32 v17, v[2:3], off offset:512
	global_load_b32 v18, v[4:5], off offset:512
.LBB567_10:
	;; [unrolled: 27-line block ×14, first 2 shown]
	s_or_b32 exec_lo, exec_lo, s29
	v_or_b32_e32 v68, 0x3a0, v6
	s_delay_alu instid0(VALU_DEP_1) | instskip(SKIP_1) | instid1(VALU_DEP_2)
	v_cmp_gt_i32_e64 s29, s42, v68
	v_mov_b32_e32 v68, 0
	s_and_b32 s31, s9, s29
	s_delay_alu instid0(SALU_CYCLE_1)
	s_and_saveexec_b32 s30, s31
	s_cbranch_execz .LBB567_60
; %bb.59:
	global_load_b32 v64, v[2:3], off offset:3712
	global_load_b32 v68, v[4:5], off offset:3712
.LBB567_60:
	s_or_b32 exec_lo, exec_lo, s30
	v_or_b32_e32 v6, 0x3c0, v6
	v_dual_mov_b32 v70, 0 :: v_dual_mov_b32 v69, 0
	s_delay_alu instid0(VALU_DEP_2) | instskip(SKIP_1) | instid1(VALU_DEP_2)
	v_cmp_gt_i32_e64 s30, s42, v6
	v_mov_b32_e32 v6, 0
	s_and_b32 s33, s9, s30
	s_delay_alu instid0(SALU_CYCLE_1)
	s_and_saveexec_b32 s31, s33
	s_cbranch_execz .LBB567_62
; %bb.61:
	global_load_b32 v69, v[2:3], off offset:3840
	global_load_b32 v70, v[4:5], off offset:3840
.LBB567_62:
	s_or_b32 exec_lo, exec_lo, s31
	v_or_b32_e32 v25, 0x3e0, v25
	s_delay_alu instid0(VALU_DEP_1) | instskip(SKIP_1) | instid1(VALU_DEP_2)
	v_cmp_gt_i32_e64 s31, s42, v25
	v_mov_b32_e32 v25, 0
	s_and_b32 s33, s9, s31
	s_delay_alu instid0(SALU_CYCLE_1)
	s_and_saveexec_b32 s9, s33
	s_cbranch_execz .LBB567_64
; %bb.63:
	global_load_b32 v6, v[2:3], off offset:3968
	global_load_b32 v25, v[4:5], off offset:3968
.LBB567_64:
	s_or_b32 exec_lo, exec_lo, s9
	v_mbcnt_lo_u32_b32 v3, -1, 0
	s_mov_b32 s33, exec_lo
	s_delay_alu instid0(VALU_DEP_1) | instskip(SKIP_1) | instid1(VALU_DEP_2)
	v_xor_b32_e32 v4, 16, v3
	v_xor_b32_e32 v5, 8, v3
	v_cmp_gt_i32_e64 s9, 32, v4
	s_delay_alu instid0(VALU_DEP_1) | instskip(NEXT) | instid1(VALU_DEP_3)
	v_cndmask_b32_e64 v4, v3, v4, s9
	v_cmp_gt_i32_e64 s9, 32, v5
	s_delay_alu instid0(VALU_DEP_2) | instskip(NEXT) | instid1(VALU_DEP_2)
	v_lshlrev_b32_e32 v4, 2, v4
	v_cndmask_b32_e64 v5, v3, v5, s9
	s_waitcnt vmcnt(1)
	s_delay_alu instid0(VALU_DEP_1) | instskip(NEXT) | instid1(VALU_DEP_1)
	v_dual_add_f32 v2, 0, v8 :: v_dual_lshlrev_b32 v5, 2, v5
	v_add_f32_e32 v2, v2, v7
	s_delay_alu instid0(VALU_DEP_1) | instskip(NEXT) | instid1(VALU_DEP_1)
	v_add_f32_e32 v2, v2, v13
	v_add_f32_e32 v2, v2, v11
	s_delay_alu instid0(VALU_DEP_1) | instskip(NEXT) | instid1(VALU_DEP_1)
	v_add_f32_e32 v2, v2, v17
	;; [unrolled: 3-line block ×15, first 2 shown]
	v_add_f32_e32 v2, v2, v6
	ds_bpermute_b32 v4, v4, v2
	s_waitcnt lgkmcnt(0)
	v_add_f32_e32 v2, v2, v4
	ds_bpermute_b32 v4, v5, v2
	v_xor_b32_e32 v5, 4, v3
	s_delay_alu instid0(VALU_DEP_1) | instskip(NEXT) | instid1(VALU_DEP_1)
	v_cmp_gt_i32_e64 s9, 32, v5
	v_cndmask_b32_e64 v5, v3, v5, s9
	s_waitcnt lgkmcnt(0)
	s_delay_alu instid0(VALU_DEP_1) | instskip(SKIP_2) | instid1(VALU_DEP_1)
	v_dual_add_f32 v2, v2, v4 :: v_dual_lshlrev_b32 v5, 2, v5
	ds_bpermute_b32 v4, v5, v2
	v_xor_b32_e32 v5, 2, v3
	v_cmp_gt_i32_e64 s9, 32, v5
	s_delay_alu instid0(VALU_DEP_1) | instskip(SKIP_1) | instid1(VALU_DEP_1)
	v_cndmask_b32_e64 v5, v3, v5, s9
	s_waitcnt lgkmcnt(0)
	v_dual_add_f32 v2, v2, v4 :: v_dual_lshlrev_b32 v5, 2, v5
	ds_bpermute_b32 v4, v5, v2
	v_xor_b32_e32 v5, 1, v3
	s_delay_alu instid0(VALU_DEP_1) | instskip(NEXT) | instid1(VALU_DEP_1)
	v_cmp_gt_i32_e64 s9, 32, v5
	v_cndmask_b32_e64 v3, v3, v5, s9
	s_waitcnt lgkmcnt(0)
	s_delay_alu instid0(VALU_DEP_1)
	v_dual_add_f32 v2, v2, v4 :: v_dual_lshlrev_b32 v3, 2, v3
	ds_bpermute_b32 v3, v3, v2
	v_cmpx_lt_i32_e32 0, v9
	s_cbranch_execz .LBB567_98
; %bb.65:
	v_add_co_u32 v0, s9, s36, v0
	s_delay_alu instid0(VALU_DEP_1)
	v_add_co_ci_u32_e64 v1, s9, s37, v1, s9
	s_waitcnt lgkmcnt(0)
	v_add_f32_e32 v2, v2, v3
	s_and_saveexec_b32 s9, vcc_lo
	s_cbranch_execnz .LBB567_99
; %bb.66:
	s_or_b32 exec_lo, exec_lo, s9
	s_and_saveexec_b32 s9, s0
	s_cbranch_execnz .LBB567_100
.LBB567_67:
	s_or_b32 exec_lo, exec_lo, s9
	s_and_saveexec_b32 s0, s1
	s_cbranch_execnz .LBB567_101
.LBB567_68:
	s_or_b32 exec_lo, exec_lo, s0
	s_and_saveexec_b32 s0, s2
	s_cbranch_execnz .LBB567_102
.LBB567_69:
	s_or_b32 exec_lo, exec_lo, s0
	s_and_saveexec_b32 s0, s3
	s_cbranch_execnz .LBB567_103
.LBB567_70:
	s_or_b32 exec_lo, exec_lo, s0
	s_and_saveexec_b32 s0, s4
	s_cbranch_execnz .LBB567_104
.LBB567_71:
	s_or_b32 exec_lo, exec_lo, s0
	s_and_saveexec_b32 s0, s5
	s_cbranch_execnz .LBB567_105
.LBB567_72:
	s_or_b32 exec_lo, exec_lo, s0
	s_and_saveexec_b32 s0, s6
	s_cbranch_execnz .LBB567_106
.LBB567_73:
	s_or_b32 exec_lo, exec_lo, s0
	s_and_saveexec_b32 s0, s7
	s_cbranch_execnz .LBB567_107
.LBB567_74:
	s_or_b32 exec_lo, exec_lo, s0
	s_and_saveexec_b32 s0, s8
	s_cbranch_execnz .LBB567_108
.LBB567_75:
	s_or_b32 exec_lo, exec_lo, s0
	s_and_saveexec_b32 s0, s10
	s_cbranch_execnz .LBB567_109
.LBB567_76:
	s_or_b32 exec_lo, exec_lo, s0
	s_and_saveexec_b32 s0, s11
	s_cbranch_execnz .LBB567_110
.LBB567_77:
	s_or_b32 exec_lo, exec_lo, s0
	s_and_saveexec_b32 s0, s12
	s_cbranch_execnz .LBB567_111
.LBB567_78:
	s_or_b32 exec_lo, exec_lo, s0
	s_and_saveexec_b32 s0, s13
	s_cbranch_execnz .LBB567_112
.LBB567_79:
	s_or_b32 exec_lo, exec_lo, s0
	s_and_saveexec_b32 s0, s14
	s_cbranch_execnz .LBB567_113
.LBB567_80:
	s_or_b32 exec_lo, exec_lo, s0
	s_and_saveexec_b32 s0, s15
	s_cbranch_execnz .LBB567_114
.LBB567_81:
	s_or_b32 exec_lo, exec_lo, s0
	s_and_saveexec_b32 s0, s16
	s_cbranch_execnz .LBB567_115
.LBB567_82:
	s_or_b32 exec_lo, exec_lo, s0
	s_and_saveexec_b32 s0, s17
	s_cbranch_execnz .LBB567_116
.LBB567_83:
	s_or_b32 exec_lo, exec_lo, s0
	s_and_saveexec_b32 s0, s18
	s_cbranch_execnz .LBB567_117
.LBB567_84:
	s_or_b32 exec_lo, exec_lo, s0
	s_and_saveexec_b32 s0, s19
	s_cbranch_execnz .LBB567_118
.LBB567_85:
	s_or_b32 exec_lo, exec_lo, s0
	s_and_saveexec_b32 s0, s20
	s_cbranch_execnz .LBB567_119
.LBB567_86:
	s_or_b32 exec_lo, exec_lo, s0
	s_and_saveexec_b32 s0, s21
	s_cbranch_execnz .LBB567_120
.LBB567_87:
	s_or_b32 exec_lo, exec_lo, s0
	s_and_saveexec_b32 s0, s22
	s_cbranch_execnz .LBB567_121
.LBB567_88:
	s_or_b32 exec_lo, exec_lo, s0
	s_and_saveexec_b32 s0, s23
	s_cbranch_execnz .LBB567_122
.LBB567_89:
	s_or_b32 exec_lo, exec_lo, s0
	s_and_saveexec_b32 s0, s24
	s_cbranch_execnz .LBB567_123
.LBB567_90:
	s_or_b32 exec_lo, exec_lo, s0
	s_and_saveexec_b32 s0, s25
	s_cbranch_execnz .LBB567_124
.LBB567_91:
	s_or_b32 exec_lo, exec_lo, s0
	s_and_saveexec_b32 s0, s26
	s_cbranch_execnz .LBB567_125
.LBB567_92:
	s_or_b32 exec_lo, exec_lo, s0
	s_and_saveexec_b32 s0, s27
	s_cbranch_execnz .LBB567_126
.LBB567_93:
	s_or_b32 exec_lo, exec_lo, s0
	s_and_saveexec_b32 s0, s28
	s_cbranch_execnz .LBB567_127
.LBB567_94:
	s_or_b32 exec_lo, exec_lo, s0
	s_and_saveexec_b32 s0, s29
	s_cbranch_execnz .LBB567_128
.LBB567_95:
	s_or_b32 exec_lo, exec_lo, s0
	s_and_saveexec_b32 s0, s30
	s_cbranch_execnz .LBB567_129
.LBB567_96:
	s_or_b32 exec_lo, exec_lo, s0
	s_delay_alu instid0(SALU_CYCLE_1)
	s_and_b32 exec_lo, exec_lo, s31
	s_cbranch_execz .LBB567_98
.LBB567_97:
	s_waitcnt vmcnt(0)
	v_fma_f32 v2, -v2, v25, v6
	global_store_b32 v[0:1], v2, off offset:3968
.LBB567_98:
	s_nop 0
	s_sendmsg sendmsg(MSG_DEALLOC_VGPRS)
	s_endpgm
.LBB567_99:
	s_waitcnt vmcnt(0)
	s_delay_alu instid0(VALU_DEP_1)
	v_fma_f32 v3, -v2, v10, v8
	global_store_b32 v[0:1], v3, off
	s_or_b32 exec_lo, exec_lo, s9
	s_and_saveexec_b32 s9, s0
	s_cbranch_execz .LBB567_67
.LBB567_100:
	s_waitcnt vmcnt(0)
	v_fma_f32 v3, -v2, v12, v7
	global_store_b32 v[0:1], v3, off offset:128
	s_or_b32 exec_lo, exec_lo, s9
	s_and_saveexec_b32 s0, s1
	s_cbranch_execz .LBB567_68
.LBB567_101:
	s_waitcnt vmcnt(0)
	v_fma_f32 v3, -v2, v14, v13
	global_store_b32 v[0:1], v3, off offset:256
	s_or_b32 exec_lo, exec_lo, s0
	s_and_saveexec_b32 s0, s2
	s_cbranch_execz .LBB567_69
.LBB567_102:
	s_waitcnt vmcnt(0)
	v_fma_f32 v3, -v2, v16, v11
	global_store_b32 v[0:1], v3, off offset:384
	s_or_b32 exec_lo, exec_lo, s0
	s_and_saveexec_b32 s0, s3
	s_cbranch_execz .LBB567_70
.LBB567_103:
	s_waitcnt vmcnt(0)
	v_fma_f32 v3, -v2, v18, v17
	global_store_b32 v[0:1], v3, off offset:512
	s_or_b32 exec_lo, exec_lo, s0
	s_and_saveexec_b32 s0, s4
	s_cbranch_execz .LBB567_71
.LBB567_104:
	s_waitcnt vmcnt(0)
	v_fma_f32 v3, -v2, v20, v15
	global_store_b32 v[0:1], v3, off offset:640
	s_or_b32 exec_lo, exec_lo, s0
	s_and_saveexec_b32 s0, s5
	s_cbranch_execz .LBB567_72
.LBB567_105:
	s_waitcnt vmcnt(0)
	v_fma_f32 v3, -v2, v22, v21
	global_store_b32 v[0:1], v3, off offset:768
	s_or_b32 exec_lo, exec_lo, s0
	s_and_saveexec_b32 s0, s6
	s_cbranch_execz .LBB567_73
.LBB567_106:
	s_waitcnt vmcnt(0)
	v_fma_f32 v3, -v2, v24, v19
	global_store_b32 v[0:1], v3, off offset:896
	s_or_b32 exec_lo, exec_lo, s0
	s_and_saveexec_b32 s0, s7
	s_cbranch_execz .LBB567_74
.LBB567_107:
	s_waitcnt vmcnt(0)
	v_fma_f32 v3, -v2, v27, v26
	global_store_b32 v[0:1], v3, off offset:1024
	s_or_b32 exec_lo, exec_lo, s0
	s_and_saveexec_b32 s0, s8
	s_cbranch_execz .LBB567_75
.LBB567_108:
	s_waitcnt vmcnt(0)
	v_fma_f32 v3, -v2, v29, v23
	global_store_b32 v[0:1], v3, off offset:1152
	s_or_b32 exec_lo, exec_lo, s0
	s_and_saveexec_b32 s0, s10
	s_cbranch_execz .LBB567_76
.LBB567_109:
	s_waitcnt vmcnt(0)
	v_fma_f32 v3, -v2, v31, v30
	global_store_b32 v[0:1], v3, off offset:1280
	s_or_b32 exec_lo, exec_lo, s0
	s_and_saveexec_b32 s0, s11
	s_cbranch_execz .LBB567_77
.LBB567_110:
	s_waitcnt vmcnt(0)
	v_fma_f32 v3, -v2, v33, v28
	global_store_b32 v[0:1], v3, off offset:1408
	s_or_b32 exec_lo, exec_lo, s0
	s_and_saveexec_b32 s0, s12
	s_cbranch_execz .LBB567_78
.LBB567_111:
	s_waitcnt vmcnt(0)
	v_fma_f32 v3, -v2, v35, v34
	global_store_b32 v[0:1], v3, off offset:1536
	s_or_b32 exec_lo, exec_lo, s0
	s_and_saveexec_b32 s0, s13
	s_cbranch_execz .LBB567_79
.LBB567_112:
	s_waitcnt vmcnt(0)
	v_fma_f32 v3, -v2, v37, v32
	global_store_b32 v[0:1], v3, off offset:1664
	s_or_b32 exec_lo, exec_lo, s0
	s_and_saveexec_b32 s0, s14
	s_cbranch_execz .LBB567_80
.LBB567_113:
	s_waitcnt vmcnt(0)
	v_fma_f32 v3, -v2, v39, v38
	global_store_b32 v[0:1], v3, off offset:1792
	s_or_b32 exec_lo, exec_lo, s0
	s_and_saveexec_b32 s0, s15
	s_cbranch_execz .LBB567_81
.LBB567_114:
	s_waitcnt vmcnt(0)
	v_fma_f32 v3, -v2, v41, v36
	global_store_b32 v[0:1], v3, off offset:1920
	s_or_b32 exec_lo, exec_lo, s0
	s_and_saveexec_b32 s0, s16
	s_cbranch_execz .LBB567_82
.LBB567_115:
	s_waitcnt vmcnt(0)
	v_fma_f32 v3, -v2, v43, v42
	global_store_b32 v[0:1], v3, off offset:2048
	s_or_b32 exec_lo, exec_lo, s0
	s_and_saveexec_b32 s0, s17
	s_cbranch_execz .LBB567_83
.LBB567_116:
	s_waitcnt vmcnt(0)
	v_fma_f32 v3, -v2, v45, v40
	global_store_b32 v[0:1], v3, off offset:2176
	s_or_b32 exec_lo, exec_lo, s0
	s_and_saveexec_b32 s0, s18
	s_cbranch_execz .LBB567_84
.LBB567_117:
	s_waitcnt vmcnt(0)
	v_fma_f32 v3, -v2, v47, v46
	global_store_b32 v[0:1], v3, off offset:2304
	s_or_b32 exec_lo, exec_lo, s0
	s_and_saveexec_b32 s0, s19
	s_cbranch_execz .LBB567_85
.LBB567_118:
	s_waitcnt vmcnt(0)
	v_fma_f32 v3, -v2, v49, v44
	global_store_b32 v[0:1], v3, off offset:2432
	s_or_b32 exec_lo, exec_lo, s0
	s_and_saveexec_b32 s0, s20
	s_cbranch_execz .LBB567_86
.LBB567_119:
	s_waitcnt vmcnt(0)
	v_fma_f32 v3, -v2, v51, v50
	global_store_b32 v[0:1], v3, off offset:2560
	s_or_b32 exec_lo, exec_lo, s0
	s_and_saveexec_b32 s0, s21
	s_cbranch_execz .LBB567_87
.LBB567_120:
	s_waitcnt vmcnt(0)
	v_fma_f32 v3, -v2, v53, v48
	global_store_b32 v[0:1], v3, off offset:2688
	s_or_b32 exec_lo, exec_lo, s0
	s_and_saveexec_b32 s0, s22
	s_cbranch_execz .LBB567_88
.LBB567_121:
	s_waitcnt vmcnt(0)
	v_fma_f32 v3, -v2, v55, v54
	global_store_b32 v[0:1], v3, off offset:2816
	s_or_b32 exec_lo, exec_lo, s0
	s_and_saveexec_b32 s0, s23
	s_cbranch_execz .LBB567_89
.LBB567_122:
	s_waitcnt vmcnt(0)
	v_fma_f32 v3, -v2, v57, v52
	global_store_b32 v[0:1], v3, off offset:2944
	s_or_b32 exec_lo, exec_lo, s0
	s_and_saveexec_b32 s0, s24
	s_cbranch_execz .LBB567_90
.LBB567_123:
	s_waitcnt vmcnt(0)
	v_fma_f32 v3, -v2, v59, v58
	global_store_b32 v[0:1], v3, off offset:3072
	s_or_b32 exec_lo, exec_lo, s0
	s_and_saveexec_b32 s0, s25
	s_cbranch_execz .LBB567_91
.LBB567_124:
	s_waitcnt vmcnt(0)
	v_fma_f32 v3, -v2, v61, v56
	global_store_b32 v[0:1], v3, off offset:3200
	s_or_b32 exec_lo, exec_lo, s0
	s_and_saveexec_b32 s0, s26
	s_cbranch_execz .LBB567_92
.LBB567_125:
	s_waitcnt vmcnt(0)
	v_fma_f32 v3, -v2, v63, v62
	global_store_b32 v[0:1], v3, off offset:3328
	s_or_b32 exec_lo, exec_lo, s0
	s_and_saveexec_b32 s0, s27
	s_cbranch_execz .LBB567_93
.LBB567_126:
	s_waitcnt vmcnt(0)
	v_fma_f32 v3, -v2, v65, v60
	global_store_b32 v[0:1], v3, off offset:3456
	s_or_b32 exec_lo, exec_lo, s0
	s_and_saveexec_b32 s0, s28
	s_cbranch_execz .LBB567_94
.LBB567_127:
	s_waitcnt vmcnt(0)
	v_fma_f32 v3, -v2, v67, v66
	global_store_b32 v[0:1], v3, off offset:3584
	s_or_b32 exec_lo, exec_lo, s0
	s_and_saveexec_b32 s0, s29
	s_cbranch_execz .LBB567_95
.LBB567_128:
	s_waitcnt vmcnt(0)
	v_fma_f32 v3, -v2, v68, v64
	global_store_b32 v[0:1], v3, off offset:3712
	s_or_b32 exec_lo, exec_lo, s0
	s_and_saveexec_b32 s0, s30
	s_cbranch_execz .LBB567_96
.LBB567_129:
	s_waitcnt vmcnt(0)
	v_fma_f32 v3, -v2, v70, v69
	global_store_b32 v[0:1], v3, off offset:3840
	s_or_b32 exec_lo, exec_lo, s0
	s_delay_alu instid0(SALU_CYCLE_1)
	s_and_b32 exec_lo, exec_lo, s31
	s_cbranch_execnz .LBB567_97
	s_branch .LBB567_98
	.section	.rodata,"a",@progbits
	.p2align	6, 0x0
	.amdhsa_kernel _ZN12_GLOBAL__N_121softmax_warp_backwardIfffLi10ELb0ELb0ELi32EEEvPT0_PKT_S5_iiiPKb
		.amdhsa_group_segment_fixed_size 0
		.amdhsa_private_segment_fixed_size 0
		.amdhsa_kernarg_size 304
		.amdhsa_user_sgpr_count 15
		.amdhsa_user_sgpr_dispatch_ptr 0
		.amdhsa_user_sgpr_queue_ptr 0
		.amdhsa_user_sgpr_kernarg_segment_ptr 1
		.amdhsa_user_sgpr_dispatch_id 0
		.amdhsa_user_sgpr_private_segment_size 0
		.amdhsa_wavefront_size32 1
		.amdhsa_uses_dynamic_stack 0
		.amdhsa_enable_private_segment 0
		.amdhsa_system_sgpr_workgroup_id_x 1
		.amdhsa_system_sgpr_workgroup_id_y 0
		.amdhsa_system_sgpr_workgroup_id_z 0
		.amdhsa_system_sgpr_workgroup_info 0
		.amdhsa_system_vgpr_workitem_id 1
		.amdhsa_next_free_vgpr 71
		.amdhsa_next_free_sgpr 44
		.amdhsa_reserve_vcc 1
		.amdhsa_float_round_mode_32 0
		.amdhsa_float_round_mode_16_64 0
		.amdhsa_float_denorm_mode_32 3
		.amdhsa_float_denorm_mode_16_64 3
		.amdhsa_dx10_clamp 1
		.amdhsa_ieee_mode 1
		.amdhsa_fp16_overflow 0
		.amdhsa_workgroup_processor_mode 1
		.amdhsa_memory_ordered 1
		.amdhsa_forward_progress 0
		.amdhsa_shared_vgpr_count 0
		.amdhsa_exception_fp_ieee_invalid_op 0
		.amdhsa_exception_fp_denorm_src 0
		.amdhsa_exception_fp_ieee_div_zero 0
		.amdhsa_exception_fp_ieee_overflow 0
		.amdhsa_exception_fp_ieee_underflow 0
		.amdhsa_exception_fp_ieee_inexact 0
		.amdhsa_exception_int_div_zero 0
	.end_amdhsa_kernel
	.section	.text._ZN12_GLOBAL__N_121softmax_warp_backwardIfffLi10ELb0ELb0ELi32EEEvPT0_PKT_S5_iiiPKb,"axG",@progbits,_ZN12_GLOBAL__N_121softmax_warp_backwardIfffLi10ELb0ELb0ELi32EEEvPT0_PKT_S5_iiiPKb,comdat
.Lfunc_end567:
	.size	_ZN12_GLOBAL__N_121softmax_warp_backwardIfffLi10ELb0ELb0ELi32EEEvPT0_PKT_S5_iiiPKb, .Lfunc_end567-_ZN12_GLOBAL__N_121softmax_warp_backwardIfffLi10ELb0ELb0ELi32EEEvPT0_PKT_S5_iiiPKb
                                        ; -- End function
	.section	.AMDGPU.csdata,"",@progbits
; Kernel info:
; codeLenInByte = 4068
; NumSgprs: 46
; NumVgprs: 71
; ScratchSize: 0
; MemoryBound: 0
; FloatMode: 240
; IeeeMode: 1
; LDSByteSize: 0 bytes/workgroup (compile time only)
; SGPRBlocks: 5
; VGPRBlocks: 8
; NumSGPRsForWavesPerEU: 46
; NumVGPRsForWavesPerEU: 71
; Occupancy: 16
; WaveLimiterHint : 0
; COMPUTE_PGM_RSRC2:SCRATCH_EN: 0
; COMPUTE_PGM_RSRC2:USER_SGPR: 15
; COMPUTE_PGM_RSRC2:TRAP_HANDLER: 0
; COMPUTE_PGM_RSRC2:TGID_X_EN: 1
; COMPUTE_PGM_RSRC2:TGID_Y_EN: 0
; COMPUTE_PGM_RSRC2:TGID_Z_EN: 0
; COMPUTE_PGM_RSRC2:TIDIG_COMP_CNT: 1
	.section	.text._ZN2at6native12_GLOBAL__N_124cunn_SoftMaxBackwardSmemILi4EfffNS1_23SoftMaxBackwardEpilogueEEEvPT0_PKT2_S8_l,"axG",@progbits,_ZN2at6native12_GLOBAL__N_124cunn_SoftMaxBackwardSmemILi4EfffNS1_23SoftMaxBackwardEpilogueEEEvPT0_PKT2_S8_l,comdat
	.globl	_ZN2at6native12_GLOBAL__N_124cunn_SoftMaxBackwardSmemILi4EfffNS1_23SoftMaxBackwardEpilogueEEEvPT0_PKT2_S8_l ; -- Begin function _ZN2at6native12_GLOBAL__N_124cunn_SoftMaxBackwardSmemILi4EfffNS1_23SoftMaxBackwardEpilogueEEEvPT0_PKT2_S8_l
	.p2align	8
	.type	_ZN2at6native12_GLOBAL__N_124cunn_SoftMaxBackwardSmemILi4EfffNS1_23SoftMaxBackwardEpilogueEEEvPT0_PKT2_S8_l,@function
_ZN2at6native12_GLOBAL__N_124cunn_SoftMaxBackwardSmemILi4EfffNS1_23SoftMaxBackwardEpilogueEEEvPT0_PKT2_S8_l: ; @_ZN2at6native12_GLOBAL__N_124cunn_SoftMaxBackwardSmemILi4EfffNS1_23SoftMaxBackwardEpilogueEEEvPT0_PKT2_S8_l
; %bb.0:
	s_load_b256 s[4:11], s[0:1], 0x0
	v_dual_mov_b32 v2, 0 :: v_dual_lshlrev_b32 v1, 2, v0
	v_lshl_add_u32 v5, v0, 4, 0
	s_waitcnt lgkmcnt(0)
	s_delay_alu instid0(VALU_DEP_2)
	v_cmp_gt_i64_e32 vcc_lo, s[10:11], v[1:2]
	s_mul_i32 s2, s15, s11
	s_mul_hi_u32 s3, s15, s10
	s_mul_i32 s12, s15, s10
	s_add_i32 s13, s3, s2
	s_and_saveexec_b32 s3, vcc_lo
	s_cbranch_execz .LBB568_4
; %bb.1:
	s_load_b32 s2, s[0:1], 0x2c
	s_lshl_b64 s[14:15], s[12:13], 2
	v_lshl_add_u32 v6, v0, 4, 0
	s_add_u32 s8, s8, s14
	s_addc_u32 s9, s9, s15
	v_dual_mov_b32 v2, 0 :: v_dual_mov_b32 v3, v0
	s_mov_b32 s15, 0
	s_waitcnt lgkmcnt(0)
	s_and_b32 s14, s2, 0xffff
	s_delay_alu instid0(SALU_CYCLE_1)
	v_add_lshl_u32 v1, v0, s14, 2
	s_lshl_b32 s16, s14, 2
	s_lshl_b32 s17, s14, 4
	.p2align	6
.LBB568_2:                              ; =>This Inner Loop Header: Depth=1
	v_ashrrev_i32_e32 v4, 31, v3
	s_delay_alu instid0(VALU_DEP_1) | instskip(SKIP_1) | instid1(VALU_DEP_2)
	v_lshlrev_b64 v[7:8], 4, v[3:4]
	v_add_nc_u32_e32 v3, s14, v3
	v_add_co_u32 v7, s2, s8, v7
	s_delay_alu instid0(VALU_DEP_1)
	v_add_co_ci_u32_e64 v8, s2, s9, v8, s2
	global_load_b128 v[7:10], v[7:8], off
	s_waitcnt vmcnt(0)
	v_add_f32_e32 v2, v2, v7
	ds_store_b128 v6, v[7:10]
	v_add_nc_u32_e32 v6, s17, v6
	v_add_f32_e32 v4, v2, v8
	v_ashrrev_i32_e32 v2, 31, v1
	s_delay_alu instid0(VALU_DEP_2) | instskip(NEXT) | instid1(VALU_DEP_2)
	v_add_f32_e32 v4, v4, v9
	v_cmp_le_i64_e64 s2, s[10:11], v[1:2]
	s_delay_alu instid0(VALU_DEP_2) | instskip(NEXT) | instid1(VALU_DEP_2)
	v_dual_add_f32 v2, v4, v10 :: v_dual_add_nc_u32 v1, s16, v1
	s_or_b32 s15, s2, s15
	s_delay_alu instid0(SALU_CYCLE_1)
	s_and_not1_b32 exec_lo, exec_lo, s15
	s_cbranch_execnz .LBB568_2
; %bb.3:
	s_or_b32 exec_lo, exec_lo, s15
.LBB568_4:
	s_delay_alu instid0(SALU_CYCLE_1)
	s_or_b32 exec_lo, exec_lo, s3
	v_mbcnt_lo_u32_b32 v6, -1, 0
	s_lshl_b32 s3, s10, 2
	s_mov_b32 s8, exec_lo
	s_add_i32 s3, s3, 0
	s_waitcnt lgkmcnt(0)
	v_cmp_gt_u32_e64 s2, 16, v6
	s_barrier
	buffer_gl0_inv
	v_cndmask_b32_e64 v1, 0, 1, s2
	v_cmp_gt_u32_e64 s2, 24, v6
	s_delay_alu instid0(VALU_DEP_2) | instskip(NEXT) | instid1(VALU_DEP_2)
	v_lshlrev_b32_e32 v1, 4, v1
	v_cndmask_b32_e64 v3, 0, 1, s2
	v_cmp_gt_u32_e64 s2, 28, v6
	s_delay_alu instid0(VALU_DEP_3) | instskip(NEXT) | instid1(VALU_DEP_3)
	v_add_lshl_u32 v1, v1, v6, 2
	v_lshlrev_b32_e32 v3, 3, v3
	ds_bpermute_b32 v4, v1, v2
	v_add_lshl_u32 v3, v3, v6, 2
	s_waitcnt lgkmcnt(0)
	v_add_f32_e32 v4, v2, v4
	v_cndmask_b32_e64 v2, 0, 1, s2
	v_cmp_gt_u32_e64 s2, 30, v6
	ds_bpermute_b32 v7, v3, v4
	s_waitcnt lgkmcnt(0)
	v_dual_add_f32 v7, v4, v7 :: v_dual_lshlrev_b32 v2, 2, v2
	s_delay_alu instid0(VALU_DEP_1) | instskip(SKIP_4) | instid1(VALU_DEP_1)
	v_add_lshl_u32 v2, v2, v6, 2
	v_cndmask_b32_e64 v4, 0, 1, s2
	v_cmp_ne_u32_e64 s2, 31, v6
	ds_bpermute_b32 v8, v2, v7
	v_lshlrev_b32_e32 v4, 1, v4
	v_add_lshl_u32 v4, v4, v6, 2
	v_add_co_ci_u32_e64 v6, s2, 0, v6, s2
	s_waitcnt lgkmcnt(0)
	s_delay_alu instid0(VALU_DEP_1)
	v_dual_add_f32 v7, v7, v8 :: v_dual_lshlrev_b32 v6, 2, v6
	ds_bpermute_b32 v8, v4, v7
	s_waitcnt lgkmcnt(0)
	v_add_f32_e32 v8, v7, v8
	v_and_b32_e32 v7, 31, v0
	ds_bpermute_b32 v9, v6, v8
	v_cmpx_eq_u32_e32 0, v7
	s_cbranch_execz .LBB568_6
; %bb.5:
	v_lshrrev_b32_e32 v10, 3, v0
	s_waitcnt lgkmcnt(0)
	v_add_f32_e32 v8, v8, v9
	s_delay_alu instid0(VALU_DEP_2)
	v_add_nc_u32_e32 v10, s3, v10
	ds_store_b32 v10, v8
.LBB568_6:
	s_or_b32 exec_lo, exec_lo, s8
	s_waitcnt lgkmcnt(0)
	s_barrier
	buffer_gl0_inv
	s_load_b32 s1, s[0:1], 0x2c
	v_mov_b32_e32 v8, 0
	s_mov_b32 s2, exec_lo
	s_waitcnt lgkmcnt(0)
	s_bfe_u32 s0, s1, 0xb0005
	s_delay_alu instid0(SALU_CYCLE_1)
	v_cmpx_gt_u32_e64 s0, v0
	s_cbranch_execz .LBB568_8
; %bb.7:
	v_lshl_add_u32 v7, v7, 2, s3
	ds_load_b32 v8, v7
.LBB568_8:
	s_or_b32 exec_lo, exec_lo, s2
	s_delay_alu instid0(SALU_CYCLE_1)
	s_mov_b32 s2, exec_lo
	v_cmpx_gt_u32_e32 32, v0
	s_cbranch_execz .LBB568_10
; %bb.9:
	s_waitcnt lgkmcnt(0)
	ds_bpermute_b32 v1, v1, v8
	s_waitcnt lgkmcnt(0)
	v_add_f32_e32 v1, v8, v1
	ds_bpermute_b32 v3, v3, v1
	s_waitcnt lgkmcnt(0)
	v_add_f32_e32 v1, v1, v3
	;; [unrolled: 3-line block ×5, first 2 shown]
.LBB568_10:
	s_or_b32 exec_lo, exec_lo, s2
	s_delay_alu instid0(SALU_CYCLE_1)
	s_mov_b32 s2, exec_lo
	v_cmpx_eq_u32_e32 0, v0
	s_cbranch_execz .LBB568_12
; %bb.11:
	v_mov_b32_e32 v1, s3
	s_waitcnt lgkmcnt(0)
	ds_store_b32 v1, v8
.LBB568_12:
	s_or_b32 exec_lo, exec_lo, s2
	s_waitcnt lgkmcnt(0)
	s_barrier
	buffer_gl0_inv
	s_and_saveexec_b32 s0, vcc_lo
	s_cbranch_execz .LBB568_15
; %bb.13:
	v_mov_b32_e32 v1, s3
	s_lshl_b64 s[8:9], s[12:13], 2
	s_and_b32 s1, s1, 0xffff
	s_add_u32 s2, s4, s8
	v_add_lshl_u32 v2, v0, s1, 2
	ds_load_b32 v4, v1
	s_addc_u32 s3, s5, s9
	s_add_u32 s4, s6, s8
	s_addc_u32 s5, s7, s9
	s_lshl_b32 s6, s1, 2
	s_mov_b32 s7, 0
	s_lshl_b32 s8, s1, 4
	.p2align	6
.LBB568_14:                             ; =>This Inner Loop Header: Depth=1
	v_ashrrev_i32_e32 v1, 31, v0
	ds_load_b128 v[10:13], v5
	v_ashrrev_i32_e32 v3, 31, v2
	v_add_nc_u32_e32 v5, s8, v5
	v_lshlrev_b64 v[14:15], 4, v[0:1]
	v_add_nc_u32_e32 v0, s1, v0
	s_delay_alu instid0(VALU_DEP_2) | instskip(NEXT) | instid1(VALU_DEP_3)
	v_add_co_u32 v6, vcc_lo, s4, v14
	v_add_co_ci_u32_e32 v7, vcc_lo, s5, v15, vcc_lo
	v_cmp_le_i64_e32 vcc_lo, s[10:11], v[2:3]
	v_add_co_u32 v14, s0, s2, v14
	global_load_b128 v[6:9], v[6:7], off
	v_add_co_ci_u32_e64 v15, s0, s3, v15, s0
	v_add_nc_u32_e32 v2, s6, v2
	s_or_b32 s7, vcc_lo, s7
	s_waitcnt vmcnt(0) lgkmcnt(0)
	v_fma_f32 v6, -v4, v6, v10
	v_fma_f32 v7, -v4, v7, v11
	;; [unrolled: 1-line block ×4, first 2 shown]
	global_store_b128 v[14:15], v[6:9], off
	s_and_not1_b32 exec_lo, exec_lo, s7
	s_cbranch_execnz .LBB568_14
.LBB568_15:
	s_nop 0
	s_sendmsg sendmsg(MSG_DEALLOC_VGPRS)
	s_endpgm
	.section	.rodata,"a",@progbits
	.p2align	6, 0x0
	.amdhsa_kernel _ZN2at6native12_GLOBAL__N_124cunn_SoftMaxBackwardSmemILi4EfffNS1_23SoftMaxBackwardEpilogueEEEvPT0_PKT2_S8_l
		.amdhsa_group_segment_fixed_size 0
		.amdhsa_private_segment_fixed_size 0
		.amdhsa_kernarg_size 288
		.amdhsa_user_sgpr_count 15
		.amdhsa_user_sgpr_dispatch_ptr 0
		.amdhsa_user_sgpr_queue_ptr 0
		.amdhsa_user_sgpr_kernarg_segment_ptr 1
		.amdhsa_user_sgpr_dispatch_id 0
		.amdhsa_user_sgpr_private_segment_size 0
		.amdhsa_wavefront_size32 1
		.amdhsa_uses_dynamic_stack 0
		.amdhsa_enable_private_segment 0
		.amdhsa_system_sgpr_workgroup_id_x 1
		.amdhsa_system_sgpr_workgroup_id_y 0
		.amdhsa_system_sgpr_workgroup_id_z 0
		.amdhsa_system_sgpr_workgroup_info 0
		.amdhsa_system_vgpr_workitem_id 0
		.amdhsa_next_free_vgpr 16
		.amdhsa_next_free_sgpr 18
		.amdhsa_reserve_vcc 1
		.amdhsa_float_round_mode_32 0
		.amdhsa_float_round_mode_16_64 0
		.amdhsa_float_denorm_mode_32 3
		.amdhsa_float_denorm_mode_16_64 3
		.amdhsa_dx10_clamp 1
		.amdhsa_ieee_mode 1
		.amdhsa_fp16_overflow 0
		.amdhsa_workgroup_processor_mode 1
		.amdhsa_memory_ordered 1
		.amdhsa_forward_progress 0
		.amdhsa_shared_vgpr_count 0
		.amdhsa_exception_fp_ieee_invalid_op 0
		.amdhsa_exception_fp_denorm_src 0
		.amdhsa_exception_fp_ieee_div_zero 0
		.amdhsa_exception_fp_ieee_overflow 0
		.amdhsa_exception_fp_ieee_underflow 0
		.amdhsa_exception_fp_ieee_inexact 0
		.amdhsa_exception_int_div_zero 0
	.end_amdhsa_kernel
	.section	.text._ZN2at6native12_GLOBAL__N_124cunn_SoftMaxBackwardSmemILi4EfffNS1_23SoftMaxBackwardEpilogueEEEvPT0_PKT2_S8_l,"axG",@progbits,_ZN2at6native12_GLOBAL__N_124cunn_SoftMaxBackwardSmemILi4EfffNS1_23SoftMaxBackwardEpilogueEEEvPT0_PKT2_S8_l,comdat
.Lfunc_end568:
	.size	_ZN2at6native12_GLOBAL__N_124cunn_SoftMaxBackwardSmemILi4EfffNS1_23SoftMaxBackwardEpilogueEEEvPT0_PKT2_S8_l, .Lfunc_end568-_ZN2at6native12_GLOBAL__N_124cunn_SoftMaxBackwardSmemILi4EfffNS1_23SoftMaxBackwardEpilogueEEEvPT0_PKT2_S8_l
                                        ; -- End function
	.section	.AMDGPU.csdata,"",@progbits
; Kernel info:
; codeLenInByte = 1016
; NumSgprs: 20
; NumVgprs: 16
; ScratchSize: 0
; MemoryBound: 0
; FloatMode: 240
; IeeeMode: 1
; LDSByteSize: 0 bytes/workgroup (compile time only)
; SGPRBlocks: 2
; VGPRBlocks: 1
; NumSGPRsForWavesPerEU: 20
; NumVGPRsForWavesPerEU: 16
; Occupancy: 16
; WaveLimiterHint : 0
; COMPUTE_PGM_RSRC2:SCRATCH_EN: 0
; COMPUTE_PGM_RSRC2:USER_SGPR: 15
; COMPUTE_PGM_RSRC2:TRAP_HANDLER: 0
; COMPUTE_PGM_RSRC2:TGID_X_EN: 1
; COMPUTE_PGM_RSRC2:TGID_Y_EN: 0
; COMPUTE_PGM_RSRC2:TGID_Z_EN: 0
; COMPUTE_PGM_RSRC2:TIDIG_COMP_CNT: 0
	.section	.text._ZN2at6native12_GLOBAL__N_120cunn_SoftMaxBackwardILi4EfffNS1_23SoftMaxBackwardEpilogueEEEvPT0_PKT2_S8_l,"axG",@progbits,_ZN2at6native12_GLOBAL__N_120cunn_SoftMaxBackwardILi4EfffNS1_23SoftMaxBackwardEpilogueEEEvPT0_PKT2_S8_l,comdat
	.globl	_ZN2at6native12_GLOBAL__N_120cunn_SoftMaxBackwardILi4EfffNS1_23SoftMaxBackwardEpilogueEEEvPT0_PKT2_S8_l ; -- Begin function _ZN2at6native12_GLOBAL__N_120cunn_SoftMaxBackwardILi4EfffNS1_23SoftMaxBackwardEpilogueEEEvPT0_PKT2_S8_l
	.p2align	8
	.type	_ZN2at6native12_GLOBAL__N_120cunn_SoftMaxBackwardILi4EfffNS1_23SoftMaxBackwardEpilogueEEEvPT0_PKT2_S8_l,@function
_ZN2at6native12_GLOBAL__N_120cunn_SoftMaxBackwardILi4EfffNS1_23SoftMaxBackwardEpilogueEEEvPT0_PKT2_S8_l: ; @_ZN2at6native12_GLOBAL__N_120cunn_SoftMaxBackwardILi4EfffNS1_23SoftMaxBackwardEpilogueEEEvPT0_PKT2_S8_l
; %bb.0:
	s_load_b256 s[4:11], s[0:1], 0x0
	s_mov_b32 s27, 0
	s_waitcnt lgkmcnt(0)
	s_mul_i32 s3, s15, s11
	s_mul_hi_u32 s12, s15, s10
	s_mul_i32 s2, s15, s10
	s_add_i32 s3, s12, s3
	v_cmp_lt_i64_e64 s14, 0x7ffffffe, s[10:11]
	s_lshl_b64 s[22:23], s[2:3], 2
	s_delay_alu instid0(SALU_CYCLE_1) | instskip(SKIP_2) | instid1(SALU_CYCLE_1)
	s_add_u32 s12, s8, s22
	s_addc_u32 s13, s9, s23
	s_bfe_u32 s26, s12, 0x20002
	s_cmp_lg_u32 s26, 0
	s_cselect_b32 s24, -1, 0
	s_and_b32 vcc_lo, exec_lo, s14
	s_cbranch_vccz .LBB569_16
; %bb.1:
	v_mov_b32_e32 v1, 0
	s_and_b32 vcc_lo, exec_lo, s24
	s_cbranch_vccz .LBB569_39
; %bb.2:
	s_lshl_b32 s2, s26, 2
	s_delay_alu instid0(VALU_DEP_1)
	v_mov_b32_e32 v8, v1
	s_sub_u32 s18, s12, s2
	s_mov_b32 s20, 0
	s_subb_u32 s19, s13, 0
	s_mov_b32 s2, exec_lo
	v_cmpx_le_u64_e64 s[26:27], v[0:1]
	s_cbranch_execz .LBB569_4
; %bb.3:
	v_lshlrev_b32_e32 v2, 2, v0
	global_load_b32 v2, v2, s[18:19]
	s_waitcnt vmcnt(0)
	v_add_f32_e32 v8, 0, v2
.LBB569_4:
	s_or_b32 exec_lo, exec_lo, s2
	s_load_b32 s16, s[0:1], 0x2c
	s_add_u32 s17, s26, s10
	s_addc_u32 s21, 0, s11
	s_add_u32 s2, s0, 32
	s_addc_u32 s3, s1, 0
	s_waitcnt lgkmcnt(0)
	s_and_b32 s25, s16, 0xffff
	s_delay_alu instid0(SALU_CYCLE_1) | instskip(SKIP_2) | instid1(SALU_CYCLE_1)
	s_sub_u32 s16, s17, s25
	s_subb_u32 s17, s21, 0
	s_lshl_b32 s21, s25, 2
	s_add_u32 s18, s18, s21
	s_addc_u32 s19, s19, 0
	s_and_b32 vcc_lo, exec_lo, s20
	s_cbranch_vccz .LBB569_6
.LBB569_5:
	v_mov_b32_e32 v8, 0
	s_add_u32 s2, s0, 32
	s_addc_u32 s3, s1, 0
	s_mov_b64 s[16:17], s[10:11]
	s_mov_b64 s[18:19], s[12:13]
.LBB569_6:
	s_load_b32 s20, s[2:3], 0x0
	v_mov_b32_e32 v2, 0
	s_mov_b32 s21, s17
	s_waitcnt lgkmcnt(0)
	s_cmp_lt_u32 s15, s20
	s_cselect_b32 s20, 12, 18
	s_delay_alu instid0(SALU_CYCLE_1)
	s_add_u32 s2, s2, s20
	s_addc_u32 s3, s3, 0
	s_mov_b32 s20, 0
	global_load_u16 v2, v2, s[2:3]
	s_waitcnt vmcnt(0)
	v_readfirstlane_b32 s2, v2
	v_and_b32_e32 v9, 0xffff, v2
	s_delay_alu instid0(VALU_DEP_2) | instskip(NEXT) | instid1(SALU_CYCLE_1)
	s_and_b32 s2, 0xffff, s2
	s_lshl_b32 s3, s2, 2
	s_cmp_lg_u64 s[20:21], 0
	s_cbranch_scc0 .LBB569_40
; %bb.7:
	v_cvt_f32_u32_e32 v2, s3
	s_sub_u32 s25, 0, s3
	s_subb_u32 s28, 0, 0
	s_delay_alu instid0(VALU_DEP_1) | instskip(NEXT) | instid1(VALU_DEP_1)
	v_fmamk_f32 v2, 0, 0x4f800000, v2
	v_rcp_f32_e32 v2, v2
	s_waitcnt_depctr 0xfff
	v_mul_f32_e32 v2, 0x5f7ffffc, v2
	s_delay_alu instid0(VALU_DEP_1) | instskip(NEXT) | instid1(VALU_DEP_1)
	v_mul_f32_e32 v3, 0x2f800000, v2
	v_trunc_f32_e32 v3, v3
	s_delay_alu instid0(VALU_DEP_1) | instskip(SKIP_1) | instid1(VALU_DEP_2)
	v_fmamk_f32 v2, v3, 0xcf800000, v2
	v_cvt_u32_f32_e32 v3, v3
	v_cvt_u32_f32_e32 v2, v2
	s_delay_alu instid0(VALU_DEP_2) | instskip(NEXT) | instid1(VALU_DEP_2)
	v_readfirstlane_b32 s2, v3
	v_readfirstlane_b32 s21, v2
	s_delay_alu instid0(VALU_DEP_2) | instskip(NEXT) | instid1(VALU_DEP_1)
	s_mul_i32 s29, s25, s2
	s_mul_hi_u32 s31, s25, s21
	s_mul_i32 s30, s28, s21
	s_add_i32 s29, s31, s29
	s_mul_i32 s33, s25, s21
	s_add_i32 s29, s29, s30
	s_mul_hi_u32 s31, s21, s33
	s_mul_hi_u32 s34, s2, s33
	s_mul_i32 s30, s2, s33
	s_mul_hi_u32 s33, s21, s29
	s_mul_i32 s21, s21, s29
	s_mul_hi_u32 s35, s2, s29
	s_add_u32 s21, s31, s21
	s_addc_u32 s31, 0, s33
	s_add_u32 s21, s21, s30
	s_mul_i32 s29, s2, s29
	s_addc_u32 s21, s31, s34
	s_addc_u32 s30, s35, 0
	s_add_u32 s21, s21, s29
	s_addc_u32 s29, 0, s30
	v_add_co_u32 v2, s21, v2, s21
	s_delay_alu instid0(VALU_DEP_1) | instskip(SKIP_1) | instid1(VALU_DEP_1)
	s_cmp_lg_u32 s21, 0
	s_addc_u32 s2, s2, s29
	v_readfirstlane_b32 s21, v2
	s_mul_i32 s29, s25, s2
	s_delay_alu instid0(VALU_DEP_1)
	s_mul_hi_u32 s30, s25, s21
	s_mul_i32 s28, s28, s21
	s_add_i32 s29, s30, s29
	s_mul_i32 s25, s25, s21
	s_add_i32 s29, s29, s28
	s_mul_hi_u32 s30, s2, s25
	s_mul_i32 s31, s2, s25
	s_mul_hi_u32 s25, s21, s25
	s_mul_hi_u32 s33, s21, s29
	s_mul_i32 s21, s21, s29
	s_mul_hi_u32 s28, s2, s29
	s_add_u32 s21, s25, s21
	s_addc_u32 s25, 0, s33
	s_add_u32 s21, s21, s31
	s_mul_i32 s29, s2, s29
	s_addc_u32 s21, s25, s30
	s_addc_u32 s25, s28, 0
	s_add_u32 s21, s21, s29
	s_addc_u32 s25, 0, s25
	v_add_co_u32 v2, s21, v2, s21
	s_delay_alu instid0(VALU_DEP_1) | instskip(SKIP_1) | instid1(VALU_DEP_1)
	s_cmp_lg_u32 s21, 0
	s_addc_u32 s2, s2, s25
	v_readfirstlane_b32 s21, v2
	s_mul_i32 s28, s16, s2
	s_mul_hi_u32 s25, s16, s2
	s_mul_hi_u32 s29, s17, s2
	s_mul_i32 s2, s17, s2
	s_mul_hi_u32 s30, s16, s21
	s_mul_hi_u32 s31, s17, s21
	s_mul_i32 s21, s17, s21
	s_add_u32 s28, s30, s28
	s_addc_u32 s25, 0, s25
	s_add_u32 s21, s28, s21
	s_addc_u32 s21, s25, s31
	s_addc_u32 s25, s29, 0
	s_add_u32 s2, s21, s2
	s_addc_u32 s21, 0, s25
	s_mul_hi_u32 s25, s3, s2
	s_mul_i32 s2, s3, s2
	s_mul_i32 s21, s3, s21
	v_sub_co_u32 v2, s2, s16, s2
	s_add_i32 s25, s25, s21
	s_cmp_lg_u32 s2, 0
	s_delay_alu instid0(VALU_DEP_1) | instskip(SKIP_2) | instid1(VALU_DEP_1)
	v_sub_co_u32 v3, s2, v2, s3
	s_subb_u32 s21, s17, s25
	s_cmp_lg_u32 s2, 0
	v_cmp_le_u32_e32 vcc_lo, s3, v3
	v_sub_co_u32 v4, s2, v3, s3
	s_subb_u32 s25, s21, 0
	s_cmp_lg_u32 s2, 0
	v_cndmask_b32_e64 v5, 0, -1, vcc_lo
	s_subb_u32 s2, s25, 0
	s_cmp_eq_u32 s25, 0
	v_mov_b32_e32 v7, s2
	s_cselect_b32 vcc_lo, -1, 0
	s_cmp_eq_u32 s21, 0
	v_cndmask_b32_e32 v5, -1, v5, vcc_lo
	v_cmp_le_u32_e32 vcc_lo, s3, v2
	s_cselect_b32 s2, -1, 0
	v_cndmask_b32_e64 v6, 0, -1, vcc_lo
	s_delay_alu instid0(VALU_DEP_3) | instskip(NEXT) | instid1(VALU_DEP_2)
	v_cmp_ne_u32_e32 vcc_lo, 0, v5
	v_cndmask_b32_e64 v5, -1, v6, s2
	v_cndmask_b32_e32 v6, s25, v7, vcc_lo
	v_cndmask_b32_e32 v4, v3, v4, vcc_lo
	s_delay_alu instid0(VALU_DEP_3) | instskip(NEXT) | instid1(VALU_DEP_2)
	v_cmp_ne_u32_e32 vcc_lo, 0, v5
	v_cndmask_b32_e32 v2, v2, v4, vcc_lo
	s_delay_alu instid0(VALU_DEP_4)
	v_cndmask_b32_e32 v3, s21, v6, vcc_lo
	s_and_not1_b32 vcc_lo, exec_lo, s20
	s_cbranch_vccnz .LBB569_9
.LBB569_8:
	v_cvt_f32_u32_e32 v2, s3
	s_sub_i32 s2, 0, s3
	s_delay_alu instid0(VALU_DEP_1) | instskip(SKIP_2) | instid1(VALU_DEP_1)
	v_rcp_iflag_f32_e32 v2, v2
	s_waitcnt_depctr 0xfff
	v_mul_f32_e32 v2, 0x4f7ffffe, v2
	v_cvt_u32_f32_e32 v2, v2
	s_delay_alu instid0(VALU_DEP_1) | instskip(NEXT) | instid1(VALU_DEP_1)
	v_mul_lo_u32 v3, s2, v2
	v_mul_hi_u32 v3, v2, v3
	s_delay_alu instid0(VALU_DEP_1) | instskip(NEXT) | instid1(VALU_DEP_1)
	v_add_nc_u32_e32 v2, v2, v3
	v_mul_hi_u32 v2, s16, v2
	s_delay_alu instid0(VALU_DEP_1) | instskip(NEXT) | instid1(VALU_DEP_1)
	v_mul_lo_u32 v2, v2, s3
	v_sub_nc_u32_e32 v2, s16, v2
	s_delay_alu instid0(VALU_DEP_1) | instskip(SKIP_1) | instid1(VALU_DEP_2)
	v_subrev_nc_u32_e32 v3, s3, v2
	v_cmp_le_u32_e32 vcc_lo, s3, v2
	v_cndmask_b32_e32 v2, v2, v3, vcc_lo
	s_delay_alu instid0(VALU_DEP_1) | instskip(SKIP_1) | instid1(VALU_DEP_2)
	v_subrev_nc_u32_e32 v3, s3, v2
	v_cmp_le_u32_e32 vcc_lo, s3, v2
	v_dual_cndmask_b32 v2, v2, v3 :: v_dual_mov_b32 v3, 0
.LBB569_9:
	v_dual_mov_b32 v7, v1 :: v_dual_lshlrev_b32 v4, 4, v0
	s_delay_alu instid0(VALU_DEP_2) | instskip(NEXT) | instid1(VALU_DEP_3)
	v_sub_co_u32 v2, vcc_lo, s16, v2
	v_sub_co_ci_u32_e32 v3, vcc_lo, s17, v3, vcc_lo
	s_delay_alu instid0(VALU_DEP_3) | instskip(NEXT) | instid1(VALU_DEP_1)
	v_add_co_u32 v4, s2, v4, s18
	v_add_co_ci_u32_e64 v5, null, 0, s19, s2
	v_lshlrev_b32_e32 v10, 4, v9
	s_delay_alu instid0(VALU_DEP_3) | instskip(NEXT) | instid1(VALU_DEP_3)
	v_add_co_u32 v4, vcc_lo, v4, 8
	v_add_co_ci_u32_e32 v5, vcc_lo, 0, v5, vcc_lo
	v_mov_b32_e32 v6, v0
	s_mov_b32 s3, 0
	.p2align	6
.LBB569_10:                             ; =>This Inner Loop Header: Depth=1
	global_load_b128 v[11:14], v[4:5], off offset:-8
	v_add_co_u32 v6, vcc_lo, v6, v9
	v_add_co_ci_u32_e32 v7, vcc_lo, 0, v7, vcc_lo
	v_add_co_u32 v4, s2, v4, v10
	s_delay_alu instid0(VALU_DEP_1) | instskip(NEXT) | instid1(VALU_DEP_3)
	v_add_co_ci_u32_e64 v5, s2, 0, v5, s2
	v_lshlrev_b64 v[15:16], 2, v[6:7]
	s_delay_alu instid0(VALU_DEP_1) | instskip(SKIP_3) | instid1(VALU_DEP_1)
	v_cmp_ge_i64_e32 vcc_lo, v[15:16], v[2:3]
	s_or_b32 s3, vcc_lo, s3
	s_waitcnt vmcnt(0)
	v_add_f32_e32 v1, v8, v11
	v_add_f32_e32 v1, v1, v12
	s_delay_alu instid0(VALU_DEP_1) | instskip(NEXT) | instid1(VALU_DEP_1)
	v_add_f32_e32 v1, v1, v13
	v_add_f32_e32 v8, v1, v14
	s_and_not1_b32 exec_lo, exec_lo, s3
	s_cbranch_execnz .LBB569_10
; %bb.11:
	s_or_b32 exec_lo, exec_lo, s3
	v_add_co_u32 v1, vcc_lo, v2, v0
	v_add_co_ci_u32_e32 v2, vcc_lo, 0, v3, vcc_lo
	s_mov_b32 s2, exec_lo
	s_delay_alu instid0(VALU_DEP_1)
	v_cmpx_gt_i64_e64 s[16:17], v[1:2]
	s_cbranch_execz .LBB569_15
; %bb.12:
	s_mov_b32 s3, 0
.LBB569_13:                             ; =>This Inner Loop Header: Depth=1
	v_lshlrev_b64 v[3:4], 2, v[1:2]
	s_delay_alu instid0(VALU_DEP_1) | instskip(NEXT) | instid1(VALU_DEP_2)
	v_add_co_u32 v3, vcc_lo, s18, v3
	v_add_co_ci_u32_e32 v4, vcc_lo, s19, v4, vcc_lo
	v_add_co_u32 v1, vcc_lo, v1, v9
	v_add_co_ci_u32_e32 v2, vcc_lo, 0, v2, vcc_lo
	global_load_b32 v3, v[3:4], off
	v_cmp_le_i64_e32 vcc_lo, s[16:17], v[1:2]
	s_or_b32 s3, vcc_lo, s3
	s_waitcnt vmcnt(0)
	v_add_f32_e32 v8, v8, v3
	s_and_not1_b32 exec_lo, exec_lo, s3
	s_cbranch_execnz .LBB569_13
; %bb.14:
	s_or_b32 exec_lo, exec_lo, s3
.LBB569_15:
	s_delay_alu instid0(SALU_CYCLE_1)
	s_or_b32 exec_lo, exec_lo, s2
	s_branch .LBB569_31
.LBB569_16:
                                        ; implicit-def: $vgpr8
	s_cbranch_execz .LBB569_31
; %bb.17:
	s_and_b32 vcc_lo, exec_lo, s24
	s_cbranch_vccz .LBB569_41
; %bb.18:
	s_lshl_b64 s[2:3], s[26:27], 2
	v_cmp_le_u32_e32 vcc_lo, s26, v0
	s_sub_u32 s18, s12, s2
	s_subb_u32 s19, s13, s3
	s_add_i32 s3, s26, s10
	v_mov_b32_e32 v8, 0
	v_cmp_gt_i32_e64 s2, s3, v0
	s_delay_alu instid0(VALU_DEP_1) | instskip(NEXT) | instid1(SALU_CYCLE_1)
	s_and_b32 s16, vcc_lo, s2
	s_and_saveexec_b32 s2, s16
	s_cbranch_execz .LBB569_20
; %bb.19:
	v_lshlrev_b32_e32 v1, 2, v0
	global_load_b32 v1, v1, s[18:19]
	s_waitcnt vmcnt(0)
	v_add_f32_e32 v8, 0, v1
.LBB569_20:
	s_or_b32 exec_lo, exec_lo, s2
	s_load_b32 s2, s[0:1], 0x2c
	s_add_u32 s16, s0, 32
	s_addc_u32 s17, s1, 0
	s_waitcnt lgkmcnt(0)
	s_and_b32 s2, s2, 0xffff
	s_delay_alu instid0(SALU_CYCLE_1) | instskip(SKIP_1) | instid1(SALU_CYCLE_1)
	v_sub_nc_u32_e64 v1, s3, s2 clamp
	s_lshl_b32 s2, s2, 2
	s_add_u32 s2, s18, s2
	s_addc_u32 s3, s19, 0
	s_delay_alu instid0(VALU_DEP_1)
	v_readfirstlane_b32 s20, v1
	s_branch .LBB569_22
.LBB569_21:
	v_mov_b32_e32 v8, 0
	s_add_u32 s16, s0, 32
	s_addc_u32 s17, s1, 0
	s_mov_b32 s20, s10
	s_mov_b64 s[2:3], s[12:13]
.LBB569_22:
	s_load_b32 s18, s[16:17], 0x0
	v_mov_b32_e32 v1, 0
	s_waitcnt lgkmcnt(0)
	s_cmp_lt_u32 s15, s18
	s_cselect_b32 s18, 12, 18
	s_delay_alu instid0(SALU_CYCLE_1) | instskip(SKIP_4) | instid1(VALU_DEP_1)
	s_add_u32 s16, s16, s18
	s_addc_u32 s17, s17, 0
	global_load_u16 v3, v1, s[16:17]
	s_waitcnt vmcnt(0)
	v_readfirstlane_b32 s16, v3
	s_lshl_b32 s16, s16, 2
	s_delay_alu instid0(SALU_CYCLE_1) | instskip(SKIP_1) | instid1(VALU_DEP_1)
	v_cvt_f32_u32_e32 v1, s16
	s_sub_i32 s18, 0, s16
	v_rcp_iflag_f32_e32 v1, v1
	s_waitcnt_depctr 0xfff
	v_mul_f32_e32 v1, 0x4f7ffffe, v1
	s_delay_alu instid0(VALU_DEP_1) | instskip(NEXT) | instid1(VALU_DEP_1)
	v_cvt_u32_f32_e32 v1, v1
	v_readfirstlane_b32 s17, v1
	v_lshlrev_b32_e32 v1, 2, v0
	s_delay_alu instid0(VALU_DEP_2) | instskip(NEXT) | instid1(SALU_CYCLE_1)
	s_mul_i32 s18, s18, s17
	s_mul_hi_u32 s18, s17, s18
	s_delay_alu instid0(SALU_CYCLE_1) | instskip(NEXT) | instid1(SALU_CYCLE_1)
	s_add_i32 s17, s17, s18
	s_mul_hi_u32 s17, s20, s17
	s_delay_alu instid0(SALU_CYCLE_1) | instskip(NEXT) | instid1(SALU_CYCLE_1)
	s_mul_i32 s17, s17, s16
	s_sub_i32 s17, s20, s17
	s_delay_alu instid0(SALU_CYCLE_1) | instskip(SKIP_2) | instid1(SALU_CYCLE_1)
	s_sub_i32 s18, s17, s16
	s_cmp_ge_u32 s17, s16
	s_cselect_b32 s17, s18, s17
	s_sub_i32 s18, s17, s16
	s_cmp_ge_u32 s17, s16
	s_cselect_b32 s16, s18, s17
	s_mov_b32 s18, 0
	s_sub_i32 s16, s20, s16
	s_mov_b32 s17, exec_lo
	v_cmpx_gt_i32_e64 s16, v1
	s_cbranch_execz .LBB569_26
; %bb.23:
	v_mov_b32_e32 v1, v0
	.p2align	6
.LBB569_24:                             ; =>This Inner Loop Header: Depth=1
	s_delay_alu instid0(VALU_DEP_1) | instskip(NEXT) | instid1(VALU_DEP_1)
	v_ashrrev_i32_e32 v2, 31, v1
	v_lshlrev_b64 v[4:5], 4, v[1:2]
	v_add_nc_u32_e32 v1, v1, v3
	s_delay_alu instid0(VALU_DEP_2) | instskip(NEXT) | instid1(VALU_DEP_3)
	v_add_co_u32 v4, vcc_lo, s2, v4
	v_add_co_ci_u32_e32 v5, vcc_lo, s3, v5, vcc_lo
	global_load_b128 v[4:7], v[4:5], off
	s_waitcnt vmcnt(0)
	v_add_f32_e32 v2, v8, v4
	v_lshlrev_b32_e32 v4, 2, v1
	s_delay_alu instid0(VALU_DEP_2) | instskip(NEXT) | instid1(VALU_DEP_2)
	v_add_f32_e32 v2, v2, v5
	v_cmp_le_i32_e32 vcc_lo, s16, v4
	s_delay_alu instid0(VALU_DEP_2) | instskip(SKIP_1) | instid1(VALU_DEP_1)
	v_add_f32_e32 v2, v2, v6
	s_or_b32 s18, vcc_lo, s18
	v_add_f32_e32 v8, v2, v7
	s_and_not1_b32 exec_lo, exec_lo, s18
	s_cbranch_execnz .LBB569_24
; %bb.25:
	s_or_b32 exec_lo, exec_lo, s18
.LBB569_26:
	s_delay_alu instid0(SALU_CYCLE_1) | instskip(SKIP_2) | instid1(VALU_DEP_1)
	s_or_b32 exec_lo, exec_lo, s17
	v_add_nc_u32_e32 v1, s16, v0
	s_mov_b32 s16, exec_lo
	v_cmpx_gt_i32_e64 s20, v1
	s_cbranch_execz .LBB569_30
; %bb.27:
	s_mov_b32 s17, 0
.LBB569_28:                             ; =>This Inner Loop Header: Depth=1
	v_ashrrev_i32_e32 v2, 31, v1
	s_delay_alu instid0(VALU_DEP_1) | instskip(NEXT) | instid1(VALU_DEP_1)
	v_lshlrev_b64 v[4:5], 2, v[1:2]
	v_add_co_u32 v4, vcc_lo, s2, v4
	s_delay_alu instid0(VALU_DEP_2) | instskip(SKIP_3) | instid1(VALU_DEP_1)
	v_add_co_ci_u32_e32 v5, vcc_lo, s3, v5, vcc_lo
	global_load_b32 v2, v[4:5], off
	s_waitcnt vmcnt(0)
	v_dual_add_f32 v8, v8, v2 :: v_dual_add_nc_u32 v1, v1, v3
	v_cmp_le_i32_e32 vcc_lo, s20, v1
	s_or_b32 s17, vcc_lo, s17
	s_delay_alu instid0(SALU_CYCLE_1)
	s_and_not1_b32 exec_lo, exec_lo, s17
	s_cbranch_execnz .LBB569_28
; %bb.29:
	s_or_b32 exec_lo, exec_lo, s17
.LBB569_30:
	s_delay_alu instid0(SALU_CYCLE_1)
	s_or_b32 exec_lo, exec_lo, s16
.LBB569_31:
	v_lshl_add_u32 v1, v0, 2, 0
	s_barrier
	buffer_gl0_inv
	s_add_u32 s2, s0, 32
	ds_store_b32 v1, v8
	s_waitcnt lgkmcnt(0)
	s_barrier
	buffer_gl0_inv
	s_load_b32 s16, s[0:1], 0x2c
	s_addc_u32 s3, s1, 0
	s_waitcnt lgkmcnt(0)
	s_bfe_u32 s0, s16, 0xb0005
	s_delay_alu instid0(SALU_CYCLE_1) | instskip(NEXT) | instid1(SALU_CYCLE_1)
	s_min_u32 s1, s0, 32
	v_cmp_gt_u32_e32 vcc_lo, s1, v0
	s_and_saveexec_b32 s1, vcc_lo
	s_cbranch_execz .LBB569_33
; %bb.32:
	v_mad_u32_u24 v10, 0x7c, v0, v1
	ds_load_2addr_b32 v[2:3], v10 offset1:1
	ds_load_2addr_b32 v[4:5], v10 offset0:2 offset1:3
	ds_load_2addr_b32 v[6:7], v10 offset0:4 offset1:5
	;; [unrolled: 1-line block ×3, first 2 shown]
	s_waitcnt lgkmcnt(3)
	v_add_f32_e32 v2, 0, v2
	s_delay_alu instid0(VALU_DEP_1) | instskip(SKIP_1) | instid1(VALU_DEP_1)
	v_add_f32_e32 v2, v2, v3
	s_waitcnt lgkmcnt(2)
	v_add_f32_e32 v2, v2, v4
	s_delay_alu instid0(VALU_DEP_1) | instskip(SKIP_1) | instid1(VALU_DEP_1)
	v_add_f32_e32 v2, v2, v5
	s_waitcnt lgkmcnt(1)
	v_add_f32_e32 v4, v2, v6
	ds_load_2addr_b32 v[2:3], v10 offset0:8 offset1:9
	v_add_f32_e32 v4, v4, v7
	s_waitcnt lgkmcnt(1)
	s_delay_alu instid0(VALU_DEP_1)
	v_add_f32_e32 v6, v4, v8
	ds_load_2addr_b32 v[4:5], v10 offset0:10 offset1:11
	v_add_f32_e32 v11, v6, v9
	ds_load_2addr_b32 v[6:7], v10 offset0:12 offset1:13
	ds_load_2addr_b32 v[8:9], v10 offset0:14 offset1:15
	s_waitcnt lgkmcnt(3)
	v_add_f32_e32 v2, v11, v2
	s_delay_alu instid0(VALU_DEP_1) | instskip(SKIP_1) | instid1(VALU_DEP_1)
	v_add_f32_e32 v2, v2, v3
	s_waitcnt lgkmcnt(2)
	v_add_f32_e32 v2, v2, v4
	s_delay_alu instid0(VALU_DEP_1) | instskip(SKIP_1) | instid1(VALU_DEP_1)
	v_add_f32_e32 v2, v2, v5
	s_waitcnt lgkmcnt(1)
	v_add_f32_e32 v4, v2, v6
	ds_load_2addr_b32 v[2:3], v10 offset0:16 offset1:17
	v_add_f32_e32 v4, v4, v7
	s_waitcnt lgkmcnt(1)
	s_delay_alu instid0(VALU_DEP_1)
	v_add_f32_e32 v6, v4, v8
	ds_load_2addr_b32 v[4:5], v10 offset0:18 offset1:19
	v_add_f32_e32 v11, v6, v9
	ds_load_2addr_b32 v[6:7], v10 offset0:20 offset1:21
	ds_load_2addr_b32 v[8:9], v10 offset0:22 offset1:23
	;; [unrolled: 19-line block ×3, first 2 shown]
	s_waitcnt lgkmcnt(3)
	v_add_f32_e32 v2, v11, v2
	s_delay_alu instid0(VALU_DEP_1) | instskip(SKIP_1) | instid1(VALU_DEP_1)
	v_add_f32_e32 v2, v2, v3
	s_waitcnt lgkmcnt(2)
	v_add_f32_e32 v2, v2, v4
	s_delay_alu instid0(VALU_DEP_1) | instskip(SKIP_1) | instid1(VALU_DEP_1)
	v_add_f32_e32 v2, v2, v5
	;; [unrolled: 4-line block ×3, first 2 shown]
	s_waitcnt lgkmcnt(0)
	v_add_f32_e32 v2, v2, v8
	s_delay_alu instid0(VALU_DEP_1)
	v_add_f32_e32 v2, v2, v9
	ds_store_b32 v1, v2
.LBB569_33:
	s_or_b32 exec_lo, exec_lo, s1
	s_and_b32 s16, s16, 0xffff
	s_mov_b32 s1, exec_lo
	s_waitcnt lgkmcnt(0)
	s_barrier
	buffer_gl0_inv
	v_cmpx_eq_u32_e32 0, v0
	s_cbranch_execz .LBB569_46
; %bb.34:
	v_mov_b32_e32 v1, 0
	s_cmp_lt_u32 s16, 32
	s_cbranch_scc1 .LBB569_45
; %bb.35:
	v_mov_b32_e32 v1, 0
	s_add_i32 s17, s0, -1
	s_delay_alu instid0(SALU_CYCLE_1)
	s_cmp_lt_u32 s17, 7
	s_cbranch_scc1 .LBB569_42
; %bb.36:
	s_and_b32 s17, s0, 0x7f8
	s_mov_b32 s18, 0
	s_mov_b32 s19, 0
	.p2align	6
.LBB569_37:                             ; =>This Inner Loop Header: Depth=1
	s_delay_alu instid0(SALU_CYCLE_1)
	v_mov_b32_e32 v8, s19
	s_add_i32 s18, s18, 8
	s_add_i32 s19, s19, 32
	s_cmp_eq_u32 s17, s18
	ds_load_2addr_b32 v[2:3], v8 offset1:1
	ds_load_2addr_b32 v[4:5], v8 offset0:2 offset1:3
	ds_load_2addr_b32 v[6:7], v8 offset0:4 offset1:5
	;; [unrolled: 1-line block ×3, first 2 shown]
	s_waitcnt lgkmcnt(3)
	v_add_f32_e32 v1, v1, v2
	s_delay_alu instid0(VALU_DEP_1) | instskip(SKIP_1) | instid1(VALU_DEP_1)
	v_add_f32_e32 v1, v1, v3
	s_waitcnt lgkmcnt(2)
	v_add_f32_e32 v1, v1, v4
	s_delay_alu instid0(VALU_DEP_1) | instskip(SKIP_1) | instid1(VALU_DEP_1)
	v_add_f32_e32 v1, v1, v5
	;; [unrolled: 4-line block ×3, first 2 shown]
	s_waitcnt lgkmcnt(0)
	v_add_f32_e32 v1, v1, v8
	s_delay_alu instid0(VALU_DEP_1)
	v_add_f32_e32 v1, v1, v9
	s_cbranch_scc0 .LBB569_37
; %bb.38:
	s_and_b32 s0, s0, 7
	s_delay_alu instid0(SALU_CYCLE_1)
	s_cmp_eq_u32 s0, 0
	s_cbranch_scc0 .LBB569_43
	s_branch .LBB569_45
.LBB569_39:
                                        ; implicit-def: $sgpr18_sgpr19
                                        ; implicit-def: $sgpr16_sgpr17
                                        ; implicit-def: $vgpr8
                                        ; implicit-def: $sgpr2_sgpr3
	s_cbranch_execnz .LBB569_5
	s_branch .LBB569_6
.LBB569_40:
                                        ; implicit-def: $vgpr2_vgpr3
	s_branch .LBB569_8
.LBB569_41:
                                        ; implicit-def: $sgpr2_sgpr3
                                        ; implicit-def: $sgpr20
                                        ; implicit-def: $vgpr8
                                        ; implicit-def: $sgpr16_sgpr17
	s_cbranch_execnz .LBB569_21
	s_branch .LBB569_22
.LBB569_42:
	s_mov_b32 s17, 0
	s_and_b32 s0, s0, 7
	s_delay_alu instid0(SALU_CYCLE_1)
	s_cmp_eq_u32 s0, 0
	s_cbranch_scc1 .LBB569_45
.LBB569_43:
	s_lshl_b32 s17, s17, 2
	s_delay_alu instid0(SALU_CYCLE_1)
	s_add_i32 s17, s17, 0
.LBB569_44:                             ; =>This Inner Loop Header: Depth=1
	s_delay_alu instid0(SALU_CYCLE_1)
	v_mov_b32_e32 v2, s17
	s_add_i32 s0, s0, -1
	s_add_i32 s17, s17, 4
	s_cmp_lg_u32 s0, 0
	ds_load_b32 v2, v2
	s_waitcnt lgkmcnt(0)
	v_add_f32_e32 v1, v1, v2
	s_cbranch_scc1 .LBB569_44
.LBB569_45:
	v_mov_b32_e32 v2, 0
	ds_store_b32 v2, v1
.LBB569_46:
	s_or_b32 exec_lo, exec_lo, s1
	v_mov_b32_e32 v1, 0
	s_waitcnt lgkmcnt(0)
	s_barrier
	buffer_gl0_inv
	s_add_u32 s18, s4, s22
	ds_load_b32 v8, v1
	s_addc_u32 s19, s5, s23
	s_add_u32 s20, s6, s22
	s_mov_b32 s25, 0
	s_addc_u32 s21, s7, s23
	s_bfe_u32 s24, s18, 0x20002
	s_bfe_u32 s0, s20, 0x20002
	s_mov_b32 s1, s25
	s_delay_alu instid0(SALU_CYCLE_1) | instskip(SKIP_3) | instid1(SALU_CYCLE_1)
	s_cmp_eq_u64 s[24:25], s[0:1]
	s_cselect_b32 s0, -1, 0
	s_cmp_eq_u64 s[24:25], s[26:27]
	s_cselect_b32 s1, -1, 0
	s_and_b32 s0, s0, s1
	s_delay_alu instid0(SALU_CYCLE_1)
	s_and_not1_b32 vcc_lo, exec_lo, s0
	s_mov_b32 s0, -1
	s_cbranch_vccz .LBB569_65
; %bb.47:
	s_and_b32 vcc_lo, exec_lo, s14
	s_cbranch_vccz .LBB569_56
; %bb.48:
	s_lshl_b32 s17, s16, 2
	s_mov_b32 s36, 0
	v_cvt_f32_u32_e32 v1, s17
	s_sub_i32 s1, 0, s17
	s_mov_b32 s33, exec_lo
	s_delay_alu instid0(VALU_DEP_1) | instskip(SKIP_2) | instid1(VALU_DEP_1)
	v_rcp_iflag_f32_e32 v1, v1
	s_waitcnt_depctr 0xfff
	v_mul_f32_e32 v1, 0x4f7ffffe, v1
	v_cvt_u32_f32_e32 v1, v1
	s_delay_alu instid0(VALU_DEP_1) | instskip(SKIP_1) | instid1(VALU_DEP_2)
	v_readfirstlane_b32 s0, v1
	v_mov_b32_e32 v1, 0
	s_mul_i32 s1, s1, s0
	s_delay_alu instid0(VALU_DEP_1) | instskip(SKIP_1) | instid1(SALU_CYCLE_1)
	v_dual_mov_b32 v3, v1 :: v_dual_mov_b32 v2, v0
	s_mul_hi_u32 s1, s0, s1
	s_add_i32 s0, s0, s1
	s_delay_alu instid0(SALU_CYCLE_1) | instskip(NEXT) | instid1(SALU_CYCLE_1)
	s_mul_hi_u32 s0, s10, s0
	s_mul_i32 s0, s0, s17
	s_delay_alu instid0(SALU_CYCLE_1) | instskip(NEXT) | instid1(SALU_CYCLE_1)
	s_sub_i32 s0, s10, s0
	s_sub_i32 s1, s0, s17
	s_cmp_ge_u32 s0, s17
	s_cselect_b32 s0, s1, s0
	s_delay_alu instid0(SALU_CYCLE_1) | instskip(SKIP_3) | instid1(SALU_CYCLE_1)
	s_sub_i32 s1, s0, s17
	s_cmp_ge_u32 s0, s17
	s_cselect_b32 s0, s1, s0
	s_bfe_i64 s[26:27], s[10:11], 0x200000
	s_sub_u32 s0, s26, s0
	s_subb_u32 s1, s27, 0
	s_delay_alu instid0(SALU_CYCLE_1)
	v_cmpx_gt_i64_e64 s[0:1], v[0:1]
	s_cbranch_execz .LBB569_52
; %bb.49:
	s_lshl_b32 s37, s16, 4
	s_add_u32 s28, s22, s17
	s_addc_u32 s29, s23, 0
	s_add_u32 s38, s6, s28
	s_addc_u32 s39, s7, s29
	s_lshl_b32 s30, s16, 3
	s_mul_i32 s34, s16, 12
	s_add_u32 s30, s22, s30
	s_addc_u32 s31, s23, 0
	s_add_u32 s40, s6, s30
	s_addc_u32 s41, s7, s31
	;; [unrolled: 2-line block ×7, first 2 shown]
	s_add_u32 s50, s4, s28
	v_lshlrev_b64 v[4:5], 2, v[0:1]
	s_addc_u32 s51, s5, s29
	s_add_u32 s52, s4, s30
	v_dual_mov_b32 v3, v1 :: v_dual_mov_b32 v2, v0
	s_addc_u32 s53, s5, s31
	s_add_u32 s54, s4, s34
	s_addc_u32 s55, s5, s35
	s_mov_b64 s[28:29], s[18:19]
	s_mov_b64 s[30:31], s[12:13]
	;; [unrolled: 1-line block ×3, first 2 shown]
.LBB569_50:                             ; =>This Inner Loop Header: Depth=1
	s_delay_alu instid0(SALU_CYCLE_1)
	v_add_co_u32 v6, vcc_lo, s34, v4
	v_add_co_ci_u32_e32 v7, vcc_lo, s35, v5, vcc_lo
	v_add_co_u32 v9, vcc_lo, s30, v4
	v_add_co_ci_u32_e32 v10, vcc_lo, s31, v5, vcc_lo
	;; [unrolled: 2-line block ×8, first 2 shown]
	global_load_b32 v1, v[6:7], off
	global_load_b32 v23, v[9:10], off
	;; [unrolled: 1-line block ×8, first 2 shown]
	v_add_co_u32 v6, vcc_lo, s28, v4
	s_add_u32 s34, s34, s37
	v_add_co_ci_u32_e32 v7, vcc_lo, s29, v5, vcc_lo
	s_addc_u32 s35, s35, 0
	v_add_co_u32 v9, vcc_lo, s50, v4
	s_add_u32 s38, s38, s37
	s_addc_u32 s39, s39, 0
	v_add_co_ci_u32_e32 v10, vcc_lo, s51, v5, vcc_lo
	s_add_u32 s40, s40, s37
	v_add_co_u32 v11, vcc_lo, s52, v4
	s_addc_u32 s41, s41, 0
	s_add_u32 s42, s42, s37
	v_add_co_ci_u32_e32 v12, vcc_lo, s53, v5, vcc_lo
	s_addc_u32 s43, s43, 0
	v_add_co_u32 v13, vcc_lo, s54, v4
	s_add_u32 s30, s30, s37
	s_addc_u32 s31, s31, 0
	v_add_co_ci_u32_e32 v14, vcc_lo, s55, v5, vcc_lo
	s_add_u32 s44, s44, s37
	v_add_co_u32 v2, vcc_lo, v2, s17
	s_addc_u32 s45, s45, 0
	s_add_u32 s46, s46, s37
	v_add_co_ci_u32_e32 v3, vcc_lo, 0, v3, vcc_lo
	s_addc_u32 s47, s47, 0
	s_add_u32 s48, s48, s37
	s_addc_u32 s49, s49, 0
	s_add_u32 s28, s28, s37
	s_addc_u32 s29, s29, 0
	v_cmp_le_i64_e32 vcc_lo, s[0:1], v[2:3]
	s_add_u32 s50, s50, s37
	s_addc_u32 s51, s51, 0
	s_add_u32 s52, s52, s37
	s_addc_u32 s53, s53, 0
	;; [unrolled: 2-line block ×3, first 2 shown]
	s_or_b32 s36, vcc_lo, s36
	s_waitcnt vmcnt(6) lgkmcnt(0)
	v_fma_f32 v1, -v8, v1, v23
	s_waitcnt vmcnt(4)
	v_fma_f32 v19, -v8, v24, v25
	s_waitcnt vmcnt(2)
	;; [unrolled: 2-line block ×3, first 2 shown]
	v_fma_f32 v16, -v8, v17, v18
	global_store_b32 v[6:7], v1, off
	global_store_b32 v[9:10], v19, off
	;; [unrolled: 1-line block ×4, first 2 shown]
	s_and_not1_b32 exec_lo, exec_lo, s36
	s_cbranch_execnz .LBB569_50
; %bb.51:
	s_or_b32 exec_lo, exec_lo, s36
.LBB569_52:
	s_delay_alu instid0(SALU_CYCLE_1) | instskip(NEXT) | instid1(SALU_CYCLE_1)
	s_or_b32 exec_lo, exec_lo, s33
	s_mov_b32 s1, exec_lo
	v_cmpx_gt_i64_e64 s[26:27], v[2:3]
	s_cbranch_execz .LBB569_55
; %bb.53:
	v_lshlrev_b64 v[4:5], 2, v[2:3]
	s_delay_alu instid0(VALU_DEP_1) | instskip(NEXT) | instid1(VALU_DEP_2)
	v_add_co_u32 v1, vcc_lo, s22, v4
	v_add_co_ci_u32_e32 v4, vcc_lo, s23, v5, vcc_lo
	s_mov_b32 s22, 0
	.p2align	6
.LBB569_54:                             ; =>This Inner Loop Header: Depth=1
	s_delay_alu instid0(VALU_DEP_2) | instskip(NEXT) | instid1(VALU_DEP_2)
	v_add_co_u32 v5, vcc_lo, s8, v1
	v_add_co_ci_u32_e32 v6, vcc_lo, s9, v4, vcc_lo
	v_add_co_u32 v9, vcc_lo, s6, v1
	v_add_co_ci_u32_e32 v10, vcc_lo, s7, v4, vcc_lo
	v_add_co_u32 v2, vcc_lo, v2, s16
	global_load_b32 v7, v[5:6], off
	global_load_b32 v9, v[9:10], off
	v_add_co_ci_u32_e32 v3, vcc_lo, 0, v3, vcc_lo
	v_add_co_u32 v5, vcc_lo, s4, v1
	v_add_co_ci_u32_e32 v6, vcc_lo, s5, v4, vcc_lo
	s_delay_alu instid0(VALU_DEP_3) | instskip(SKIP_1) | instid1(VALU_DEP_1)
	v_cmp_le_i64_e32 vcc_lo, s[26:27], v[2:3]
	v_add_co_u32 v1, s0, v1, s17
	v_add_co_ci_u32_e64 v4, s0, 0, v4, s0
	s_or_b32 s22, vcc_lo, s22
	s_waitcnt vmcnt(0) lgkmcnt(0)
	v_fma_f32 v7, -v8, v9, v7
	global_store_b32 v[5:6], v7, off
	s_and_not1_b32 exec_lo, exec_lo, s22
	s_cbranch_execnz .LBB569_54
.LBB569_55:
	s_or_b32 exec_lo, exec_lo, s1
	s_mov_b32 s0, 0
.LBB569_56:
	s_delay_alu instid0(SALU_CYCLE_1)
	s_and_b32 vcc_lo, exec_lo, s0
	s_cbranch_vccz .LBB569_92
; %bb.57:
	s_lshl_b32 s0, s16, 2
	s_mov_b32 s5, 0
	v_cvt_f32_u32_e32 v1, s0
	s_sub_i32 s4, 0, s0
	s_delay_alu instid0(VALU_DEP_1) | instskip(SKIP_2) | instid1(VALU_DEP_1)
	v_rcp_iflag_f32_e32 v1, v1
	s_waitcnt_depctr 0xfff
	v_mul_f32_e32 v1, 0x4f7ffffe, v1
	v_cvt_u32_f32_e32 v1, v1
	s_delay_alu instid0(VALU_DEP_1) | instskip(SKIP_1) | instid1(VALU_DEP_2)
	v_readfirstlane_b32 s1, v1
	v_mov_b32_e32 v1, v0
	s_mul_i32 s4, s4, s1
	s_delay_alu instid0(SALU_CYCLE_1) | instskip(NEXT) | instid1(SALU_CYCLE_1)
	s_mul_hi_u32 s4, s1, s4
	s_add_i32 s1, s1, s4
	s_delay_alu instid0(SALU_CYCLE_1) | instskip(NEXT) | instid1(SALU_CYCLE_1)
	s_mul_hi_u32 s1, s10, s1
	s_mul_i32 s1, s1, s0
	s_delay_alu instid0(SALU_CYCLE_1) | instskip(NEXT) | instid1(SALU_CYCLE_1)
	s_sub_i32 s1, s10, s1
	s_sub_i32 s4, s1, s0
	s_cmp_ge_u32 s1, s0
	s_cselect_b32 s1, s4, s1
	s_delay_alu instid0(SALU_CYCLE_1) | instskip(SKIP_4) | instid1(SALU_CYCLE_1)
	s_sub_i32 s4, s1, s0
	s_cmp_ge_u32 s1, s0
	s_cselect_b32 s0, s4, s1
	s_mov_b32 s1, exec_lo
	s_sub_i32 s4, s10, s0
	v_cmpx_gt_i32_e64 s4, v0
	s_cbranch_execz .LBB569_61
; %bb.58:
	v_dual_mov_b32 v2, 0 :: v_dual_mov_b32 v1, v0
	s_lshl_b32 s6, s16, 1
	s_mul_i32 s7, s16, 3
	s_add_i32 s8, s16, s16
.LBB569_59:                             ; =>This Inner Loop Header: Depth=1
	s_delay_alu instid0(VALU_DEP_1) | instskip(SKIP_3) | instid1(VALU_DEP_4)
	v_lshlrev_b64 v[3:4], 2, v[1:2]
	v_dual_mov_b32 v6, v2 :: v_dual_add_nc_u32 v5, s16, v1
	v_dual_mov_b32 v10, v2 :: v_dual_add_nc_u32 v9, s6, v1
	v_add_nc_u32_e32 v1, s7, v1
	v_add_co_u32 v13, vcc_lo, s20, v3
	v_add_co_ci_u32_e32 v14, vcc_lo, s21, v4, vcc_lo
	v_lshlrev_b64 v[6:7], 2, v[5:6]
	v_add_co_u32 v15, vcc_lo, s12, v3
	v_add_co_ci_u32_e32 v16, vcc_lo, s13, v4, vcc_lo
	v_lshlrev_b64 v[9:10], 2, v[9:10]
	global_load_b32 v25, v[13:14], off
	global_load_b32 v26, v[15:16], off
	v_add_co_u32 v13, vcc_lo, s20, v6
	v_add_co_ci_u32_e32 v14, vcc_lo, s21, v7, vcc_lo
	v_add_co_u32 v15, vcc_lo, s12, v6
	v_add_co_ci_u32_e32 v16, vcc_lo, s13, v7, vcc_lo
	v_lshlrev_b64 v[11:12], 2, v[1:2]
	v_add_co_u32 v17, vcc_lo, s20, v9
	v_add_co_ci_u32_e32 v18, vcc_lo, s21, v10, vcc_lo
	v_add_co_u32 v19, vcc_lo, s12, v9
	v_add_co_ci_u32_e32 v20, vcc_lo, s13, v10, vcc_lo
	;; [unrolled: 2-line block ×4, first 2 shown]
	global_load_b32 v13, v[13:14], off
	global_load_b32 v14, v[15:16], off
	;; [unrolled: 1-line block ×6, first 2 shown]
	v_add3_u32 v1, s8, s16, v5
	v_add_co_u32 v3, vcc_lo, s18, v3
	v_add_co_u32 v5, s0, s18, v6
	v_add_co_ci_u32_e32 v4, vcc_lo, s19, v4, vcc_lo
	v_add_co_ci_u32_e64 v6, s0, s19, v7, s0
	v_cmp_le_i32_e32 vcc_lo, s4, v1
	v_add_co_u32 v9, s0, s18, v9
	s_delay_alu instid0(VALU_DEP_1) | instskip(SKIP_1) | instid1(VALU_DEP_1)
	v_add_co_ci_u32_e64 v10, s0, s19, v10, s0
	v_add_co_u32 v11, s0, s18, v11
	v_add_co_ci_u32_e64 v12, s0, s19, v12, s0
	s_or_b32 s5, vcc_lo, s5
	s_waitcnt vmcnt(6) lgkmcnt(0)
	v_fma_f32 v7, -v8, v25, v26
	s_waitcnt vmcnt(4)
	v_fma_f32 v13, -v8, v13, v14
	s_waitcnt vmcnt(2)
	;; [unrolled: 2-line block ×3, first 2 shown]
	v_fma_f32 v15, -v8, v17, v18
	s_clause 0x3
	global_store_b32 v[3:4], v7, off
	global_store_b32 v[5:6], v13, off
	;; [unrolled: 1-line block ×4, first 2 shown]
	s_and_not1_b32 exec_lo, exec_lo, s5
	s_cbranch_execnz .LBB569_59
; %bb.60:
	s_or_b32 exec_lo, exec_lo, s5
.LBB569_61:
	s_delay_alu instid0(SALU_CYCLE_1) | instskip(NEXT) | instid1(SALU_CYCLE_1)
	s_or_b32 exec_lo, exec_lo, s1
	s_mov_b32 s1, exec_lo
	v_cmpx_gt_i32_e64 s10, v1
	s_cbranch_execz .LBB569_64
; %bb.62:
	s_mov_b32 s4, 0
	.p2align	6
.LBB569_63:                             ; =>This Inner Loop Header: Depth=1
	v_ashrrev_i32_e32 v2, 31, v1
	s_delay_alu instid0(VALU_DEP_1) | instskip(SKIP_1) | instid1(VALU_DEP_2)
	v_lshlrev_b64 v[2:3], 2, v[1:2]
	v_add_nc_u32_e32 v1, s16, v1
	v_add_co_u32 v4, vcc_lo, s12, v2
	s_delay_alu instid0(VALU_DEP_3)
	v_add_co_ci_u32_e32 v5, vcc_lo, s13, v3, vcc_lo
	v_add_co_u32 v6, vcc_lo, s20, v2
	v_add_co_ci_u32_e32 v7, vcc_lo, s21, v3, vcc_lo
	v_cmp_le_i32_e32 vcc_lo, s10, v1
	global_load_b32 v4, v[4:5], off
	global_load_b32 v5, v[6:7], off
	v_add_co_u32 v2, s0, s18, v2
	s_delay_alu instid0(VALU_DEP_1)
	v_add_co_ci_u32_e64 v3, s0, s19, v3, s0
	s_or_b32 s4, vcc_lo, s4
	s_waitcnt vmcnt(0) lgkmcnt(0)
	v_fma_f32 v4, -v8, v5, v4
	global_store_b32 v[2:3], v4, off
	s_and_not1_b32 exec_lo, exec_lo, s4
	s_cbranch_execnz .LBB569_63
.LBB569_64:
	s_or_b32 exec_lo, exec_lo, s1
	s_mov_b32 s0, 0
.LBB569_65:
	s_delay_alu instid0(SALU_CYCLE_1)
	s_and_not1_b32 vcc_lo, exec_lo, s0
	s_cbranch_vccnz .LBB569_93
.LBB569_66:
	s_cmp_lg_u64 s[24:25], 0
	s_mov_b32 s1, -1
	s_cselect_b32 s30, -1, 0
	s_and_b32 vcc_lo, exec_lo, s14
	v_cndmask_b32_e64 v1, 0, 1, s30
	s_delay_alu instid0(VALU_DEP_1)
	v_cmp_ne_u32_e64 s0, 1, v1
	s_cbranch_vccz .LBB569_81
; %bb.67:
	v_mov_b32_e32 v1, 0
	s_delay_alu instid0(VALU_DEP_2)
	s_and_b32 vcc_lo, exec_lo, s0
	s_mov_b64 s[4:5], s[10:11]
	s_mov_b64 s[6:7], s[18:19]
	;; [unrolled: 1-line block ×4, first 2 shown]
	s_cbranch_vccnz .LBB569_71
; %bb.68:
	s_lshl_b32 s4, s24, 2
	s_mov_b32 s17, 0
	s_sub_u32 s0, s18, s4
	s_subb_u32 s1, s19, 0
	s_sub_u32 s8, s20, s4
	s_subb_u32 s9, s21, 0
	;; [unrolled: 2-line block ×3, first 2 shown]
	s_mov_b32 s4, exec_lo
	v_cmpx_le_u64_e64 s[24:25], v[0:1]
	s_cbranch_execz .LBB569_70
; %bb.69:
	v_lshlrev_b64 v[2:3], 2, v[0:1]
	s_delay_alu instid0(VALU_DEP_1) | instskip(NEXT) | instid1(VALU_DEP_2)
	v_add_co_u32 v4, vcc_lo, s14, v2
	v_add_co_ci_u32_e32 v5, vcc_lo, s23, v3, vcc_lo
	v_add_co_u32 v6, vcc_lo, s8, v2
	v_add_co_ci_u32_e32 v7, vcc_lo, s9, v3, vcc_lo
	v_add_co_u32 v2, vcc_lo, s0, v2
	global_load_b32 v4, v[4:5], off
	global_load_b32 v5, v[6:7], off
	v_add_co_ci_u32_e32 v3, vcc_lo, s1, v3, vcc_lo
	s_waitcnt vmcnt(0) lgkmcnt(0)
	v_fma_f32 v4, -v8, v5, v4
	global_store_b32 v[2:3], v4, off
.LBB569_70:
	s_or_b32 exec_lo, exec_lo, s4
	s_add_u32 s4, s24, s10
	s_addc_u32 s5, 0, s11
	s_delay_alu instid0(SALU_CYCLE_1) | instskip(NEXT) | instid1(VALU_DEP_1)
	v_cmp_lt_i64_e64 s6, s[4:5], s[16:17]
	s_and_b32 s6, s6, exec_lo
	s_cselect_b32 s6, s4, s16
	s_cselect_b32 s7, s5, 0
	s_sub_u32 s4, s4, s6
	s_subb_u32 s5, s5, s7
	s_lshl_b32 s11, s16, 2
	s_delay_alu instid0(SALU_CYCLE_1)
	s_add_u32 s6, s0, s11
	s_addc_u32 s7, s1, 0
	s_add_u32 s8, s8, s11
	s_addc_u32 s9, s9, 0
	;; [unrolled: 2-line block ×3, first 2 shown]
.LBB569_71:
	s_load_b32 s0, s[2:3], 0x0
	v_mov_b32_e32 v2, 0
	s_mov_b32 s26, 0
	s_mov_b32 s27, s5
	s_waitcnt lgkmcnt(0)
	s_cmp_lt_u32 s15, s0
	s_cselect_b32 s0, 12, 18
	s_delay_alu instid0(SALU_CYCLE_1) | instskip(SKIP_4) | instid1(VALU_DEP_1)
	s_add_u32 s0, s2, s0
	s_addc_u32 s1, s3, 0
	global_load_u16 v2, v2, s[0:1]
	s_waitcnt vmcnt(0)
	v_readfirstlane_b32 s0, v2
	s_and_b32 s11, s0, 0xffff
	s_delay_alu instid0(SALU_CYCLE_1)
	s_lshl_b32 s14, s11, 2
	s_cmp_lg_u64 s[26:27], 0
	s_cbranch_scc0 .LBB569_94
; %bb.72:
	v_cvt_f32_ubyte0_e32 v2, 0
	v_cvt_f32_u32_e32 v3, s14
	s_sub_u32 s17, 0, s14
	s_subb_u32 s25, 0, 0
	s_delay_alu instid0(VALU_DEP_1) | instskip(NEXT) | instid1(VALU_DEP_1)
	v_fmamk_f32 v2, v2, 0x4f800000, v3
	v_rcp_f32_e32 v2, v2
	s_waitcnt_depctr 0xfff
	v_mul_f32_e32 v2, 0x5f7ffffc, v2
	s_delay_alu instid0(VALU_DEP_1) | instskip(NEXT) | instid1(VALU_DEP_1)
	v_mul_f32_e32 v3, 0x2f800000, v2
	v_trunc_f32_e32 v3, v3
	s_delay_alu instid0(VALU_DEP_1) | instskip(SKIP_1) | instid1(VALU_DEP_2)
	v_fmamk_f32 v2, v3, 0xcf800000, v2
	v_cvt_u32_f32_e32 v3, v3
	v_cvt_u32_f32_e32 v2, v2
	s_delay_alu instid0(VALU_DEP_2) | instskip(NEXT) | instid1(VALU_DEP_2)
	v_readfirstlane_b32 s0, v3
	v_readfirstlane_b32 s1, v2
	s_delay_alu instid0(VALU_DEP_2) | instskip(NEXT) | instid1(VALU_DEP_1)
	s_mul_i32 s27, s17, s0
	s_mul_hi_u32 s29, s17, s1
	s_mul_i32 s28, s25, s1
	s_add_i32 s27, s29, s27
	s_mul_i32 s31, s17, s1
	s_add_i32 s27, s27, s28
	s_mul_hi_u32 s29, s1, s31
	s_mul_hi_u32 s33, s0, s31
	s_mul_i32 s28, s0, s31
	s_mul_hi_u32 s31, s1, s27
	s_mul_i32 s1, s1, s27
	s_mul_hi_u32 s34, s0, s27
	s_add_u32 s1, s29, s1
	s_addc_u32 s29, 0, s31
	s_add_u32 s1, s1, s28
	s_mul_i32 s27, s0, s27
	s_addc_u32 s1, s29, s33
	s_addc_u32 s28, s34, 0
	s_add_u32 s1, s1, s27
	s_addc_u32 s27, 0, s28
	v_add_co_u32 v2, s1, v2, s1
	s_delay_alu instid0(VALU_DEP_1) | instskip(SKIP_1) | instid1(VALU_DEP_1)
	s_cmp_lg_u32 s1, 0
	s_addc_u32 s0, s0, s27
	v_readfirstlane_b32 s1, v2
	s_mul_i32 s27, s17, s0
	s_delay_alu instid0(VALU_DEP_1)
	s_mul_hi_u32 s28, s17, s1
	s_mul_i32 s25, s25, s1
	s_add_i32 s27, s28, s27
	s_mul_i32 s17, s17, s1
	s_add_i32 s27, s27, s25
	s_mul_hi_u32 s28, s0, s17
	s_mul_i32 s29, s0, s17
	s_mul_hi_u32 s17, s1, s17
	s_mul_hi_u32 s31, s1, s27
	s_mul_i32 s1, s1, s27
	s_mul_hi_u32 s25, s0, s27
	s_add_u32 s1, s17, s1
	s_addc_u32 s17, 0, s31
	s_add_u32 s1, s1, s29
	s_mul_i32 s27, s0, s27
	s_addc_u32 s1, s17, s28
	s_addc_u32 s17, s25, 0
	s_add_u32 s1, s1, s27
	s_addc_u32 s17, 0, s17
	v_add_co_u32 v2, s1, v2, s1
	s_delay_alu instid0(VALU_DEP_1) | instskip(SKIP_2) | instid1(VALU_DEP_1)
	s_cmp_lg_u32 s1, 0
	s_addc_u32 s17, s0, s17
	s_ashr_i32 s28, s5, 31
	v_readfirstlane_b32 s25, v2
	s_add_u32 s0, s4, s28
	s_mov_b32 s29, s28
	s_addc_u32 s1, s5, s28
	s_delay_alu instid0(SALU_CYCLE_1) | instskip(NEXT) | instid1(SALU_CYCLE_1)
	s_xor_b64 s[0:1], s[0:1], s[28:29]
	s_mul_i32 s29, s0, s17
	s_mul_hi_u32 s31, s0, s25
	s_mul_hi_u32 s27, s0, s17
	;; [unrolled: 1-line block ×3, first 2 shown]
	s_mul_i32 s25, s1, s25
	s_add_u32 s29, s31, s29
	s_addc_u32 s27, 0, s27
	s_mul_hi_u32 s33, s1, s17
	s_add_u32 s25, s29, s25
	s_mul_i32 s17, s1, s17
	s_addc_u32 s25, s27, s34
	s_addc_u32 s27, s33, 0
	s_add_u32 s17, s25, s17
	s_addc_u32 s25, 0, s27
	s_mul_hi_u32 s27, s14, s17
	s_mul_i32 s17, s14, s17
	s_mul_i32 s25, s14, s25
	v_sub_co_u32 v2, s0, s0, s17
	s_add_i32 s27, s27, s25
	s_cmp_lg_u32 s0, 0
	s_delay_alu instid0(VALU_DEP_1) | instskip(SKIP_2) | instid1(VALU_DEP_1)
	v_sub_co_u32 v3, s0, v2, s14
	s_subb_u32 s1, s1, s27
	s_cmp_lg_u32 s0, 0
	v_cmp_le_u32_e32 vcc_lo, s14, v3
	v_sub_co_u32 v4, s0, v3, s14
	s_subb_u32 s17, s1, 0
	s_cmp_lg_u32 s0, 0
	v_cndmask_b32_e64 v5, 0, -1, vcc_lo
	s_subb_u32 s0, s17, 0
	s_cmp_eq_u32 s17, 0
	v_mov_b32_e32 v7, s0
	s_cselect_b32 vcc_lo, -1, 0
	s_cmp_eq_u32 s1, 0
	v_cndmask_b32_e32 v5, -1, v5, vcc_lo
	v_cmp_le_u32_e32 vcc_lo, s14, v2
	s_cselect_b32 s0, -1, 0
	v_cndmask_b32_e64 v6, 0, -1, vcc_lo
	s_delay_alu instid0(VALU_DEP_3) | instskip(NEXT) | instid1(VALU_DEP_2)
	v_cmp_ne_u32_e32 vcc_lo, 0, v5
	v_cndmask_b32_e64 v5, -1, v6, s0
	v_cndmask_b32_e32 v6, s17, v7, vcc_lo
	v_cndmask_b32_e32 v3, v3, v4, vcc_lo
	s_delay_alu instid0(VALU_DEP_3) | instskip(NEXT) | instid1(VALU_DEP_2)
	v_cmp_ne_u32_e32 vcc_lo, 0, v5
	v_cndmask_b32_e32 v2, v2, v3, vcc_lo
	s_delay_alu instid0(VALU_DEP_4) | instskip(NEXT) | instid1(VALU_DEP_2)
	v_cndmask_b32_e32 v4, s1, v6, vcc_lo
	v_xor_b32_e32 v2, s28, v2
	s_delay_alu instid0(VALU_DEP_2) | instskip(NEXT) | instid1(VALU_DEP_2)
	v_xor_b32_e32 v3, s28, v4
	v_sub_co_u32 v2, vcc_lo, v2, s28
	s_delay_alu instid0(VALU_DEP_2)
	v_subrev_co_ci_u32_e32 v3, vcc_lo, s28, v3, vcc_lo
	s_and_not1_b32 vcc_lo, exec_lo, s26
	s_cbranch_vccnz .LBB569_74
.LBB569_73:
	v_cvt_f32_u32_e32 v2, s14
	s_sub_i32 s0, 0, s14
	s_delay_alu instid0(VALU_DEP_1) | instskip(SKIP_2) | instid1(VALU_DEP_1)
	v_rcp_iflag_f32_e32 v2, v2
	s_waitcnt_depctr 0xfff
	v_mul_f32_e32 v2, 0x4f7ffffe, v2
	v_cvt_u32_f32_e32 v2, v2
	s_delay_alu instid0(VALU_DEP_1) | instskip(NEXT) | instid1(VALU_DEP_1)
	v_mul_lo_u32 v3, s0, v2
	v_mul_hi_u32 v3, v2, v3
	s_delay_alu instid0(VALU_DEP_1) | instskip(NEXT) | instid1(VALU_DEP_1)
	v_add_nc_u32_e32 v2, v2, v3
	v_mul_hi_u32 v2, s4, v2
	s_delay_alu instid0(VALU_DEP_1) | instskip(NEXT) | instid1(VALU_DEP_1)
	v_mul_lo_u32 v2, v2, s14
	v_sub_nc_u32_e32 v2, s4, v2
	s_delay_alu instid0(VALU_DEP_1) | instskip(SKIP_1) | instid1(VALU_DEP_2)
	v_subrev_nc_u32_e32 v3, s14, v2
	v_cmp_le_u32_e32 vcc_lo, s14, v2
	v_cndmask_b32_e32 v2, v2, v3, vcc_lo
	s_delay_alu instid0(VALU_DEP_1) | instskip(SKIP_1) | instid1(VALU_DEP_2)
	v_subrev_nc_u32_e32 v3, s14, v2
	v_cmp_le_u32_e32 vcc_lo, s14, v2
	v_dual_cndmask_b32 v2, v2, v3 :: v_dual_mov_b32 v3, 0
.LBB569_74:
	s_delay_alu instid0(VALU_DEP_1) | instskip(SKIP_1) | instid1(VALU_DEP_3)
	v_sub_co_u32 v2, vcc_lo, s4, v2
	v_lshlrev_b64 v[4:5], 2, v[0:1]
	v_sub_co_ci_u32_e32 v3, vcc_lo, s5, v3, vcc_lo
	s_mov_b32 s17, exec_lo
	s_delay_alu instid0(VALU_DEP_1)
	v_cmpx_lt_i64_e64 v[4:5], v[2:3]
	s_cbranch_execz .LBB569_77
; %bb.75:
	v_lshlrev_b64 v[4:5], 4, v[0:1]
	v_dual_mov_b32 v7, v1 :: v_dual_mov_b32 v6, v0
	s_lshl_b32 s25, s11, 4
	s_mov_b32 s31, 0
	s_mov_b64 s[0:1], s[22:23]
	s_mov_b64 s[26:27], s[8:9]
	s_mov_b64 s[28:29], s[6:7]
	s_set_inst_prefetch_distance 0x1
	.p2align	6
.LBB569_76:                             ; =>This Inner Loop Header: Depth=1
	v_add_co_u32 v9, vcc_lo, s26, v4
	v_add_co_ci_u32_e32 v10, vcc_lo, s27, v5, vcc_lo
	v_add_co_u32 v13, vcc_lo, s0, v4
	v_add_co_ci_u32_e32 v14, vcc_lo, s1, v5, vcc_lo
	v_add_co_u32 v6, vcc_lo, v6, s11
	global_load_b128 v[9:12], v[9:10], off
	global_load_b128 v[13:16], v[13:14], off
	v_add_co_ci_u32_e32 v7, vcc_lo, 0, v7, vcc_lo
	v_add_co_u32 v17, vcc_lo, s28, v4
	v_add_co_ci_u32_e32 v18, vcc_lo, s29, v5, vcc_lo
	s_delay_alu instid0(VALU_DEP_3)
	v_lshlrev_b64 v[19:20], 2, v[6:7]
	s_add_u32 s28, s28, s25
	s_addc_u32 s29, s29, 0
	s_add_u32 s26, s26, s25
	s_addc_u32 s27, s27, 0
	s_add_u32 s0, s0, s25
	v_cmp_ge_i64_e32 vcc_lo, v[19:20], v[2:3]
	s_addc_u32 s1, s1, 0
	s_or_b32 s31, vcc_lo, s31
	s_waitcnt vmcnt(0)
	v_fma_f32 v9, -v8, v9, v13
	v_fma_f32 v10, -v8, v10, v14
	;; [unrolled: 1-line block ×4, first 2 shown]
	global_store_b128 v[17:18], v[9:12], off
	s_and_not1_b32 exec_lo, exec_lo, s31
	s_cbranch_execnz .LBB569_76
.LBB569_77:
	s_set_inst_prefetch_distance 0x2
	s_or_b32 exec_lo, exec_lo, s17
	v_add_co_u32 v1, vcc_lo, v2, v0
	v_add_co_ci_u32_e32 v2, vcc_lo, 0, v3, vcc_lo
	s_mov_b32 s1, exec_lo
	s_delay_alu instid0(VALU_DEP_1)
	v_cmpx_gt_i64_e64 s[4:5], v[1:2]
	s_cbranch_execz .LBB569_80
; %bb.78:
	v_lshlrev_b64 v[3:4], 2, v[1:2]
	s_mov_b32 s17, 0
	.p2align	6
.LBB569_79:                             ; =>This Inner Loop Header: Depth=1
	s_delay_alu instid0(VALU_DEP_1) | instskip(NEXT) | instid1(VALU_DEP_2)
	v_add_co_u32 v5, vcc_lo, s22, v3
	v_add_co_ci_u32_e32 v6, vcc_lo, s23, v4, vcc_lo
	v_add_co_u32 v9, vcc_lo, s8, v3
	v_add_co_ci_u32_e32 v10, vcc_lo, s9, v4, vcc_lo
	v_add_co_u32 v1, vcc_lo, v1, s11
	global_load_b32 v7, v[5:6], off
	global_load_b32 v9, v[9:10], off
	v_add_co_ci_u32_e32 v2, vcc_lo, 0, v2, vcc_lo
	v_add_co_u32 v5, vcc_lo, s6, v3
	v_add_co_ci_u32_e32 v6, vcc_lo, s7, v4, vcc_lo
	s_delay_alu instid0(VALU_DEP_3) | instskip(SKIP_1) | instid1(VALU_DEP_1)
	v_cmp_le_i64_e32 vcc_lo, s[4:5], v[1:2]
	v_add_co_u32 v3, s0, v3, s14
	v_add_co_ci_u32_e64 v4, s0, 0, v4, s0
	s_or_b32 s17, vcc_lo, s17
	s_waitcnt vmcnt(0)
	v_fma_f32 v7, -v8, v9, v7
	global_store_b32 v[5:6], v7, off
	s_and_not1_b32 exec_lo, exec_lo, s17
	s_cbranch_execnz .LBB569_79
.LBB569_80:
	s_or_b32 exec_lo, exec_lo, s1
	s_mov_b32 s1, 0
.LBB569_81:
	s_delay_alu instid0(SALU_CYCLE_1)
	s_and_b32 vcc_lo, exec_lo, s1
	s_cbranch_vccz .LBB569_93
; %bb.82:
	s_and_not1_b32 vcc_lo, exec_lo, s30
	s_cbranch_vccnz .LBB569_86
; %bb.83:
	s_lshl_b32 s1, s24, 2
	s_mov_b32 s8, exec_lo
	s_sub_u32 s5, s18, s1
	s_subb_u32 s6, s19, 0
	s_sub_u32 s0, s20, s1
	s_subb_u32 s7, s21, 0
	;; [unrolled: 2-line block ×3, first 2 shown]
	v_cmpx_le_u32_e64 s24, v0
	s_cbranch_execz .LBB569_85
; %bb.84:
	v_mov_b32_e32 v1, 0
	s_delay_alu instid0(VALU_DEP_1) | instskip(NEXT) | instid1(VALU_DEP_1)
	v_lshlrev_b64 v[1:2], 2, v[0:1]
	v_add_co_u32 v3, vcc_lo, s1, v1
	s_delay_alu instid0(VALU_DEP_2)
	v_add_co_ci_u32_e32 v4, vcc_lo, s4, v2, vcc_lo
	v_add_co_u32 v5, vcc_lo, s0, v1
	v_add_co_ci_u32_e32 v6, vcc_lo, s7, v2, vcc_lo
	v_add_co_u32 v1, vcc_lo, s5, v1
	global_load_b32 v3, v[3:4], off
	global_load_b32 v4, v[5:6], off
	v_add_co_ci_u32_e32 v2, vcc_lo, s6, v2, vcc_lo
	s_waitcnt vmcnt(0) lgkmcnt(0)
	v_fma_f32 v3, -v8, v4, v3
	global_store_b32 v[1:2], v3, off
.LBB569_85:
	s_or_b32 exec_lo, exec_lo, s8
	s_add_i32 s8, s24, s10
	s_delay_alu instid0(SALU_CYCLE_1) | instskip(SKIP_1) | instid1(SALU_CYCLE_1)
	v_sub_nc_u32_e64 v1, s8, s16 clamp
	s_lshl_b32 s8, s16, 2
	s_add_u32 s18, s5, s8
	s_addc_u32 s19, s6, 0
	s_delay_alu instid0(VALU_DEP_1)
	v_readfirstlane_b32 s10, v1
	s_add_u32 s20, s0, s8
	s_addc_u32 s21, s7, 0
	s_add_u32 s12, s1, s8
	s_addc_u32 s13, s4, 0
.LBB569_86:
	s_load_b32 s0, s[2:3], 0x0
	v_mov_b32_e32 v1, 0
	s_waitcnt lgkmcnt(0)
	s_cmp_lt_u32 s15, s0
	s_cselect_b32 s0, 12, 18
	s_delay_alu instid0(SALU_CYCLE_1)
	s_add_u32 s0, s2, s0
	s_addc_u32 s1, s3, 0
	s_mov_b32 s3, 0
	global_load_u16 v3, v1, s[0:1]
	s_waitcnt vmcnt(0)
	v_readfirstlane_b32 s0, v3
	s_delay_alu instid0(VALU_DEP_1) | instskip(NEXT) | instid1(SALU_CYCLE_1)
	s_lshl_b32 s0, s0, 2
	v_cvt_f32_u32_e32 v1, s0
	s_sub_i32 s2, 0, s0
	s_delay_alu instid0(VALU_DEP_1) | instskip(SKIP_2) | instid1(VALU_DEP_1)
	v_rcp_iflag_f32_e32 v1, v1
	s_waitcnt_depctr 0xfff
	v_mul_f32_e32 v1, 0x4f7ffffe, v1
	v_cvt_u32_f32_e32 v1, v1
	s_delay_alu instid0(VALU_DEP_1) | instskip(SKIP_1) | instid1(VALU_DEP_2)
	v_readfirstlane_b32 s1, v1
	v_lshlrev_b32_e32 v1, 2, v0
	s_mul_i32 s2, s2, s1
	s_delay_alu instid0(SALU_CYCLE_1) | instskip(NEXT) | instid1(SALU_CYCLE_1)
	s_mul_hi_u32 s2, s1, s2
	s_add_i32 s1, s1, s2
	s_delay_alu instid0(SALU_CYCLE_1) | instskip(NEXT) | instid1(SALU_CYCLE_1)
	s_mul_hi_u32 s1, s10, s1
	s_mul_i32 s1, s1, s0
	s_delay_alu instid0(SALU_CYCLE_1) | instskip(NEXT) | instid1(SALU_CYCLE_1)
	s_sub_i32 s1, s10, s1
	s_sub_i32 s2, s1, s0
	s_cmp_ge_u32 s1, s0
	s_cselect_b32 s1, s2, s1
	s_delay_alu instid0(SALU_CYCLE_1) | instskip(SKIP_4) | instid1(SALU_CYCLE_1)
	s_sub_i32 s2, s1, s0
	s_cmp_ge_u32 s1, s0
	s_cselect_b32 s0, s2, s1
	s_mov_b32 s2, exec_lo
	s_sub_i32 s1, s10, s0
	v_cmpx_gt_i32_e64 s1, v1
	s_cbranch_execz .LBB569_89
; %bb.87:
	v_mov_b32_e32 v1, v0
	s_set_inst_prefetch_distance 0x1
	.p2align	6
.LBB569_88:                             ; =>This Inner Loop Header: Depth=1
	s_delay_alu instid0(VALU_DEP_1) | instskip(NEXT) | instid1(VALU_DEP_1)
	v_ashrrev_i32_e32 v2, 31, v1
	v_lshlrev_b64 v[13:14], 4, v[1:2]
	v_add_nc_u32_e32 v1, v1, v3
	s_delay_alu instid0(VALU_DEP_1) | instskip(NEXT) | instid1(VALU_DEP_3)
	v_lshlrev_b32_e32 v2, 2, v1
	v_add_co_u32 v4, vcc_lo, s20, v13
	s_delay_alu instid0(VALU_DEP_4)
	v_add_co_ci_u32_e32 v5, vcc_lo, s21, v14, vcc_lo
	v_add_co_u32 v9, vcc_lo, s12, v13
	v_add_co_ci_u32_e32 v10, vcc_lo, s13, v14, vcc_lo
	global_load_b128 v[4:7], v[4:5], off
	global_load_b128 v[9:12], v[9:10], off
	v_cmp_le_i32_e32 vcc_lo, s1, v2
	s_or_b32 s3, vcc_lo, s3
	s_waitcnt vmcnt(0)
	v_fma_f32 v4, -v8, v4, v9
	v_add_co_u32 v9, s0, s18, v13
	v_fma_f32 v5, -v8, v5, v10
	v_fma_f32 v6, -v8, v6, v11
	;; [unrolled: 1-line block ×3, first 2 shown]
	v_add_co_ci_u32_e64 v10, s0, s19, v14, s0
	global_store_b128 v[9:10], v[4:7], off
	s_and_not1_b32 exec_lo, exec_lo, s3
	s_cbranch_execnz .LBB569_88
.LBB569_89:
	s_set_inst_prefetch_distance 0x2
	s_or_b32 exec_lo, exec_lo, s2
	v_add_nc_u32_e32 v0, s1, v0
	s_mov_b32 s0, exec_lo
	s_delay_alu instid0(VALU_DEP_1)
	v_cmpx_gt_i32_e64 s10, v0
	s_cbranch_execz .LBB569_93
; %bb.90:
	s_mov_b32 s1, 0
	.p2align	6
.LBB569_91:                             ; =>This Inner Loop Header: Depth=1
	v_ashrrev_i32_e32 v1, 31, v0
	s_delay_alu instid0(VALU_DEP_1) | instskip(SKIP_1) | instid1(VALU_DEP_2)
	v_lshlrev_b64 v[1:2], 2, v[0:1]
	v_add_nc_u32_e32 v0, v0, v3
	v_add_co_u32 v4, vcc_lo, s12, v1
	s_delay_alu instid0(VALU_DEP_3)
	v_add_co_ci_u32_e32 v5, vcc_lo, s13, v2, vcc_lo
	v_add_co_u32 v6, vcc_lo, s20, v1
	v_add_co_ci_u32_e32 v7, vcc_lo, s21, v2, vcc_lo
	v_cmp_le_i32_e32 vcc_lo, s10, v0
	global_load_b32 v4, v[4:5], off
	global_load_b32 v5, v[6:7], off
	v_add_co_u32 v1, s0, s18, v1
	s_delay_alu instid0(VALU_DEP_1)
	v_add_co_ci_u32_e64 v2, s0, s19, v2, s0
	s_or_b32 s1, vcc_lo, s1
	s_waitcnt vmcnt(0)
	v_fma_f32 v4, -v8, v5, v4
	global_store_b32 v[1:2], v4, off
	s_and_not1_b32 exec_lo, exec_lo, s1
	s_cbranch_execnz .LBB569_91
	s_branch .LBB569_93
.LBB569_92:
	s_cbranch_execz .LBB569_66
.LBB569_93:
	s_nop 0
	s_sendmsg sendmsg(MSG_DEALLOC_VGPRS)
	s_endpgm
.LBB569_94:
                                        ; implicit-def: $vgpr2_vgpr3
	s_branch .LBB569_73
	.section	.rodata,"a",@progbits
	.p2align	6, 0x0
	.amdhsa_kernel _ZN2at6native12_GLOBAL__N_120cunn_SoftMaxBackwardILi4EfffNS1_23SoftMaxBackwardEpilogueEEEvPT0_PKT2_S8_l
		.amdhsa_group_segment_fixed_size 0
		.amdhsa_private_segment_fixed_size 0
		.amdhsa_kernarg_size 288
		.amdhsa_user_sgpr_count 15
		.amdhsa_user_sgpr_dispatch_ptr 0
		.amdhsa_user_sgpr_queue_ptr 0
		.amdhsa_user_sgpr_kernarg_segment_ptr 1
		.amdhsa_user_sgpr_dispatch_id 0
		.amdhsa_user_sgpr_private_segment_size 0
		.amdhsa_wavefront_size32 1
		.amdhsa_uses_dynamic_stack 0
		.amdhsa_enable_private_segment 0
		.amdhsa_system_sgpr_workgroup_id_x 1
		.amdhsa_system_sgpr_workgroup_id_y 0
		.amdhsa_system_sgpr_workgroup_id_z 0
		.amdhsa_system_sgpr_workgroup_info 0
		.amdhsa_system_vgpr_workitem_id 0
		.amdhsa_next_free_vgpr 27
		.amdhsa_next_free_sgpr 56
		.amdhsa_reserve_vcc 1
		.amdhsa_float_round_mode_32 0
		.amdhsa_float_round_mode_16_64 0
		.amdhsa_float_denorm_mode_32 3
		.amdhsa_float_denorm_mode_16_64 3
		.amdhsa_dx10_clamp 1
		.amdhsa_ieee_mode 1
		.amdhsa_fp16_overflow 0
		.amdhsa_workgroup_processor_mode 1
		.amdhsa_memory_ordered 1
		.amdhsa_forward_progress 0
		.amdhsa_shared_vgpr_count 0
		.amdhsa_exception_fp_ieee_invalid_op 0
		.amdhsa_exception_fp_denorm_src 0
		.amdhsa_exception_fp_ieee_div_zero 0
		.amdhsa_exception_fp_ieee_overflow 0
		.amdhsa_exception_fp_ieee_underflow 0
		.amdhsa_exception_fp_ieee_inexact 0
		.amdhsa_exception_int_div_zero 0
	.end_amdhsa_kernel
	.section	.text._ZN2at6native12_GLOBAL__N_120cunn_SoftMaxBackwardILi4EfffNS1_23SoftMaxBackwardEpilogueEEEvPT0_PKT2_S8_l,"axG",@progbits,_ZN2at6native12_GLOBAL__N_120cunn_SoftMaxBackwardILi4EfffNS1_23SoftMaxBackwardEpilogueEEEvPT0_PKT2_S8_l,comdat
.Lfunc_end569:
	.size	_ZN2at6native12_GLOBAL__N_120cunn_SoftMaxBackwardILi4EfffNS1_23SoftMaxBackwardEpilogueEEEvPT0_PKT2_S8_l, .Lfunc_end569-_ZN2at6native12_GLOBAL__N_120cunn_SoftMaxBackwardILi4EfffNS1_23SoftMaxBackwardEpilogueEEEvPT0_PKT2_S8_l
                                        ; -- End function
	.section	.AMDGPU.csdata,"",@progbits
; Kernel info:
; codeLenInByte = 6648
; NumSgprs: 58
; NumVgprs: 27
; ScratchSize: 0
; MemoryBound: 0
; FloatMode: 240
; IeeeMode: 1
; LDSByteSize: 0 bytes/workgroup (compile time only)
; SGPRBlocks: 7
; VGPRBlocks: 3
; NumSGPRsForWavesPerEU: 58
; NumVGPRsForWavesPerEU: 27
; Occupancy: 16
; WaveLimiterHint : 0
; COMPUTE_PGM_RSRC2:SCRATCH_EN: 0
; COMPUTE_PGM_RSRC2:USER_SGPR: 15
; COMPUTE_PGM_RSRC2:TRAP_HANDLER: 0
; COMPUTE_PGM_RSRC2:TGID_X_EN: 1
; COMPUTE_PGM_RSRC2:TGID_Y_EN: 0
; COMPUTE_PGM_RSRC2:TGID_Z_EN: 0
; COMPUTE_PGM_RSRC2:TIDIG_COMP_CNT: 0
	.section	.text._ZN12_GLOBAL__N_121softmax_warp_backwardIN3c104HalfES2_fLi0ELb0ELb0ELi64EEEvPT0_PKT_S7_iiiPKb,"axG",@progbits,_ZN12_GLOBAL__N_121softmax_warp_backwardIN3c104HalfES2_fLi0ELb0ELb0ELi64EEEvPT0_PKT_S7_iiiPKb,comdat
	.globl	_ZN12_GLOBAL__N_121softmax_warp_backwardIN3c104HalfES2_fLi0ELb0ELb0ELi64EEEvPT0_PKT_S7_iiiPKb ; -- Begin function _ZN12_GLOBAL__N_121softmax_warp_backwardIN3c104HalfES2_fLi0ELb0ELb0ELi64EEEvPT0_PKT_S7_iiiPKb
	.p2align	8
	.type	_ZN12_GLOBAL__N_121softmax_warp_backwardIN3c104HalfES2_fLi0ELb0ELb0ELi64EEEvPT0_PKT_S7_iiiPKb,@function
_ZN12_GLOBAL__N_121softmax_warp_backwardIN3c104HalfES2_fLi0ELb0ELb0ELi64EEEvPT0_PKT_S7_iiiPKb: ; @_ZN12_GLOBAL__N_121softmax_warp_backwardIN3c104HalfES2_fLi0ELb0ELb0ELi64EEEvPT0_PKT_S7_iiiPKb
; %bb.0:
	s_clause 0x1
	s_load_b32 s2, s[0:1], 0x3c
	s_load_b128 s[4:7], s[0:1], 0x18
	v_bfe_u32 v0, v0, 10, 10
	s_load_b128 s[8:11], s[0:1], 0x0
	v_dual_mov_b32 v7, 0 :: v_dual_mov_b32 v8, 0
	v_mov_b32_e32 v9, 0
	s_waitcnt lgkmcnt(0)
	s_lshr_b32 s2, s2, 16
	s_cmp_gt_i32 s6, 0
	s_mul_i32 s15, s15, s2
	s_load_b64 s[2:3], s[0:1], 0x10
	v_add_lshl_u32 v2, s15, v0, 1
	s_cselect_b32 s1, -1, 0
	s_delay_alu instid0(VALU_DEP_1) | instskip(SKIP_1) | instid1(VALU_DEP_1)
	v_mul_lo_u32 v0, v2, s5
	v_sub_nc_u32_e32 v6, s4, v2
	v_cmp_lt_i32_e32 vcc_lo, 0, v6
	s_delay_alu instid0(VALU_DEP_3) | instskip(NEXT) | instid1(VALU_DEP_1)
	v_ashrrev_i32_e32 v1, 31, v0
	v_lshlrev_b64 v[0:1], 1, v[0:1]
	s_delay_alu instid0(VALU_DEP_1) | instskip(NEXT) | instid1(VALU_DEP_1)
	v_add_co_u32 v4, s0, s10, v0
	v_add_co_ci_u32_e64 v5, s0, s11, v1, s0
	s_waitcnt lgkmcnt(0)
	v_add_co_u32 v2, s0, s2, v0
	s_delay_alu instid0(VALU_DEP_1) | instskip(SKIP_1) | instid1(SALU_CYCLE_1)
	v_add_co_ci_u32_e64 v3, s0, s3, v1, s0
	s_and_b32 s2, s1, vcc_lo
	s_and_saveexec_b32 s0, s2
	s_cbranch_execz .LBB570_2
; %bb.1:
	global_load_u16 v8, v[4:5], off
	global_load_u16 v9, v[2:3], off
	s_waitcnt vmcnt(1)
	v_cvt_f32_f16_e32 v8, v8
	s_waitcnt vmcnt(0)
	v_cvt_f32_f16_e32 v9, v9
.LBB570_2:
	s_or_b32 exec_lo, exec_lo, s0
	v_cmp_lt_i32_e64 s0, 1, v6
	v_mov_b32_e32 v10, 0
	s_mov_b32 s7, 0
	s_delay_alu instid0(VALU_DEP_2) | instskip(NEXT) | instid1(SALU_CYCLE_1)
	s_and_b32 s0, s1, s0
	s_and_saveexec_b32 s2, s0
	s_cbranch_execz .LBB570_4
; %bb.3:
	s_lshl_b64 s[4:5], s[6:7], 1
	s_delay_alu instid0(SALU_CYCLE_1) | instskip(NEXT) | instid1(VALU_DEP_1)
	v_add_co_u32 v4, s0, v4, s4
	v_add_co_ci_u32_e64 v5, s0, s5, v5, s0
	v_add_co_u32 v2, s0, v2, s4
	s_delay_alu instid0(VALU_DEP_1)
	v_add_co_ci_u32_e64 v3, s0, s5, v3, s0
	global_load_u16 v4, v[4:5], off
	global_load_u16 v2, v[2:3], off
	s_waitcnt vmcnt(1)
	v_cvt_f32_f16_e32 v7, v4
	s_waitcnt vmcnt(0)
	v_cvt_f32_f16_e32 v10, v2
.LBB570_4:
	s_or_b32 exec_lo, exec_lo, s2
	s_and_saveexec_b32 s0, vcc_lo
	s_cbranch_execz .LBB570_10
; %bb.5:
	v_add_co_u32 v0, vcc_lo, s8, v0
	v_cndmask_b32_e64 v2, 0, 1, s1
	v_add_co_ci_u32_e32 v1, vcc_lo, s9, v1, vcc_lo
	s_and_not1_b32 vcc_lo, exec_lo, s1
	s_cbranch_vccnz .LBB570_7
; %bb.6:
	v_add_f32_e32 v3, 0, v8
	s_delay_alu instid0(VALU_DEP_1)
	v_fma_mixlo_f16 v3, -v3, v9, v8
	global_store_b16 v[0:1], v3, off
.LBB570_7:
	v_cmp_ne_u32_e32 vcc_lo, 1, v6
	s_and_b32 exec_lo, exec_lo, vcc_lo
	s_cbranch_execz .LBB570_10
; %bb.8:
	v_cmp_ne_u32_e32 vcc_lo, 1, v2
	s_cbranch_vccnz .LBB570_10
; %bb.9:
	v_add_f32_e32 v2, 0, v7
	s_lshl_b64 s[0:1], s[6:7], 1
	s_delay_alu instid0(SALU_CYCLE_1) | instskip(NEXT) | instid1(VALU_DEP_2)
	v_add_co_u32 v0, vcc_lo, v0, s0
	v_fma_mixlo_f16 v2, -v2, v10, v7
	v_add_co_ci_u32_e32 v1, vcc_lo, s1, v1, vcc_lo
	global_store_b16 v[0:1], v2, off
.LBB570_10:
	s_nop 0
	s_sendmsg sendmsg(MSG_DEALLOC_VGPRS)
	s_endpgm
	.section	.rodata,"a",@progbits
	.p2align	6, 0x0
	.amdhsa_kernel _ZN12_GLOBAL__N_121softmax_warp_backwardIN3c104HalfES2_fLi0ELb0ELb0ELi64EEEvPT0_PKT_S7_iiiPKb
		.amdhsa_group_segment_fixed_size 0
		.amdhsa_private_segment_fixed_size 0
		.amdhsa_kernarg_size 304
		.amdhsa_user_sgpr_count 15
		.amdhsa_user_sgpr_dispatch_ptr 0
		.amdhsa_user_sgpr_queue_ptr 0
		.amdhsa_user_sgpr_kernarg_segment_ptr 1
		.amdhsa_user_sgpr_dispatch_id 0
		.amdhsa_user_sgpr_private_segment_size 0
		.amdhsa_wavefront_size32 1
		.amdhsa_uses_dynamic_stack 0
		.amdhsa_enable_private_segment 0
		.amdhsa_system_sgpr_workgroup_id_x 1
		.amdhsa_system_sgpr_workgroup_id_y 0
		.amdhsa_system_sgpr_workgroup_id_z 0
		.amdhsa_system_sgpr_workgroup_info 0
		.amdhsa_system_vgpr_workitem_id 1
		.amdhsa_next_free_vgpr 11
		.amdhsa_next_free_sgpr 16
		.amdhsa_reserve_vcc 1
		.amdhsa_float_round_mode_32 0
		.amdhsa_float_round_mode_16_64 0
		.amdhsa_float_denorm_mode_32 3
		.amdhsa_float_denorm_mode_16_64 3
		.amdhsa_dx10_clamp 1
		.amdhsa_ieee_mode 1
		.amdhsa_fp16_overflow 0
		.amdhsa_workgroup_processor_mode 1
		.amdhsa_memory_ordered 1
		.amdhsa_forward_progress 0
		.amdhsa_shared_vgpr_count 0
		.amdhsa_exception_fp_ieee_invalid_op 0
		.amdhsa_exception_fp_denorm_src 0
		.amdhsa_exception_fp_ieee_div_zero 0
		.amdhsa_exception_fp_ieee_overflow 0
		.amdhsa_exception_fp_ieee_underflow 0
		.amdhsa_exception_fp_ieee_inexact 0
		.amdhsa_exception_int_div_zero 0
	.end_amdhsa_kernel
	.section	.text._ZN12_GLOBAL__N_121softmax_warp_backwardIN3c104HalfES2_fLi0ELb0ELb0ELi64EEEvPT0_PKT_S7_iiiPKb,"axG",@progbits,_ZN12_GLOBAL__N_121softmax_warp_backwardIN3c104HalfES2_fLi0ELb0ELb0ELi64EEEvPT0_PKT_S7_iiiPKb,comdat
.Lfunc_end570:
	.size	_ZN12_GLOBAL__N_121softmax_warp_backwardIN3c104HalfES2_fLi0ELb0ELb0ELi64EEEvPT0_PKT_S7_iiiPKb, .Lfunc_end570-_ZN12_GLOBAL__N_121softmax_warp_backwardIN3c104HalfES2_fLi0ELb0ELb0ELi64EEEvPT0_PKT_S7_iiiPKb
                                        ; -- End function
	.section	.AMDGPU.csdata,"",@progbits
; Kernel info:
; codeLenInByte = 456
; NumSgprs: 18
; NumVgprs: 11
; ScratchSize: 0
; MemoryBound: 0
; FloatMode: 240
; IeeeMode: 1
; LDSByteSize: 0 bytes/workgroup (compile time only)
; SGPRBlocks: 2
; VGPRBlocks: 1
; NumSGPRsForWavesPerEU: 18
; NumVGPRsForWavesPerEU: 11
; Occupancy: 16
; WaveLimiterHint : 0
; COMPUTE_PGM_RSRC2:SCRATCH_EN: 0
; COMPUTE_PGM_RSRC2:USER_SGPR: 15
; COMPUTE_PGM_RSRC2:TRAP_HANDLER: 0
; COMPUTE_PGM_RSRC2:TGID_X_EN: 1
; COMPUTE_PGM_RSRC2:TGID_Y_EN: 0
; COMPUTE_PGM_RSRC2:TGID_Z_EN: 0
; COMPUTE_PGM_RSRC2:TIDIG_COMP_CNT: 1
	.section	.text._ZN12_GLOBAL__N_121softmax_warp_backwardIN3c104HalfES2_fLi0ELb0ELb0ELi32EEEvPT0_PKT_S7_iiiPKb,"axG",@progbits,_ZN12_GLOBAL__N_121softmax_warp_backwardIN3c104HalfES2_fLi0ELb0ELb0ELi32EEEvPT0_PKT_S7_iiiPKb,comdat
	.globl	_ZN12_GLOBAL__N_121softmax_warp_backwardIN3c104HalfES2_fLi0ELb0ELb0ELi32EEEvPT0_PKT_S7_iiiPKb ; -- Begin function _ZN12_GLOBAL__N_121softmax_warp_backwardIN3c104HalfES2_fLi0ELb0ELb0ELi32EEEvPT0_PKT_S7_iiiPKb
	.p2align	8
	.type	_ZN12_GLOBAL__N_121softmax_warp_backwardIN3c104HalfES2_fLi0ELb0ELb0ELi32EEEvPT0_PKT_S7_iiiPKb,@function
_ZN12_GLOBAL__N_121softmax_warp_backwardIN3c104HalfES2_fLi0ELb0ELb0ELi32EEEvPT0_PKT_S7_iiiPKb: ; @_ZN12_GLOBAL__N_121softmax_warp_backwardIN3c104HalfES2_fLi0ELb0ELb0ELi32EEEvPT0_PKT_S7_iiiPKb
; %bb.0:
	s_clause 0x1
	s_load_b32 s2, s[0:1], 0x3c
	s_load_b128 s[4:7], s[0:1], 0x18
	v_bfe_u32 v0, v0, 10, 10
	s_load_b128 s[8:11], s[0:1], 0x0
	v_dual_mov_b32 v7, 0 :: v_dual_mov_b32 v8, 0
	v_mov_b32_e32 v9, 0
	s_waitcnt lgkmcnt(0)
	s_lshr_b32 s2, s2, 16
	s_cmp_gt_i32 s6, 0
	s_mul_i32 s15, s15, s2
	s_load_b64 s[2:3], s[0:1], 0x10
	v_add_lshl_u32 v2, s15, v0, 1
	s_cselect_b32 s1, -1, 0
	s_delay_alu instid0(VALU_DEP_1) | instskip(SKIP_1) | instid1(VALU_DEP_1)
	v_mul_lo_u32 v0, v2, s5
	v_sub_nc_u32_e32 v6, s4, v2
	v_cmp_lt_i32_e32 vcc_lo, 0, v6
	s_delay_alu instid0(VALU_DEP_3) | instskip(NEXT) | instid1(VALU_DEP_1)
	v_ashrrev_i32_e32 v1, 31, v0
	v_lshlrev_b64 v[0:1], 1, v[0:1]
	s_delay_alu instid0(VALU_DEP_1) | instskip(NEXT) | instid1(VALU_DEP_1)
	v_add_co_u32 v4, s0, s10, v0
	v_add_co_ci_u32_e64 v5, s0, s11, v1, s0
	s_waitcnt lgkmcnt(0)
	v_add_co_u32 v2, s0, s2, v0
	s_delay_alu instid0(VALU_DEP_1) | instskip(SKIP_1) | instid1(SALU_CYCLE_1)
	v_add_co_ci_u32_e64 v3, s0, s3, v1, s0
	s_and_b32 s2, s1, vcc_lo
	s_and_saveexec_b32 s0, s2
	s_cbranch_execz .LBB571_2
; %bb.1:
	global_load_u16 v8, v[4:5], off
	global_load_u16 v9, v[2:3], off
	s_waitcnt vmcnt(1)
	v_cvt_f32_f16_e32 v8, v8
	s_waitcnt vmcnt(0)
	v_cvt_f32_f16_e32 v9, v9
.LBB571_2:
	s_or_b32 exec_lo, exec_lo, s0
	v_cmp_lt_i32_e64 s0, 1, v6
	v_mov_b32_e32 v10, 0
	s_mov_b32 s7, 0
	s_delay_alu instid0(VALU_DEP_2) | instskip(NEXT) | instid1(SALU_CYCLE_1)
	s_and_b32 s0, s1, s0
	s_and_saveexec_b32 s2, s0
	s_cbranch_execz .LBB571_4
; %bb.3:
	s_lshl_b64 s[4:5], s[6:7], 1
	s_delay_alu instid0(SALU_CYCLE_1) | instskip(NEXT) | instid1(VALU_DEP_1)
	v_add_co_u32 v4, s0, v4, s4
	v_add_co_ci_u32_e64 v5, s0, s5, v5, s0
	v_add_co_u32 v2, s0, v2, s4
	s_delay_alu instid0(VALU_DEP_1)
	v_add_co_ci_u32_e64 v3, s0, s5, v3, s0
	global_load_u16 v4, v[4:5], off
	global_load_u16 v2, v[2:3], off
	s_waitcnt vmcnt(1)
	v_cvt_f32_f16_e32 v7, v4
	s_waitcnt vmcnt(0)
	v_cvt_f32_f16_e32 v10, v2
.LBB571_4:
	s_or_b32 exec_lo, exec_lo, s2
	s_and_saveexec_b32 s0, vcc_lo
	s_cbranch_execz .LBB571_10
; %bb.5:
	v_add_co_u32 v0, vcc_lo, s8, v0
	v_cndmask_b32_e64 v2, 0, 1, s1
	v_add_co_ci_u32_e32 v1, vcc_lo, s9, v1, vcc_lo
	s_and_not1_b32 vcc_lo, exec_lo, s1
	s_cbranch_vccnz .LBB571_7
; %bb.6:
	v_add_f32_e32 v3, 0, v8
	s_delay_alu instid0(VALU_DEP_1)
	v_fma_mixlo_f16 v3, -v3, v9, v8
	global_store_b16 v[0:1], v3, off
.LBB571_7:
	v_cmp_ne_u32_e32 vcc_lo, 1, v6
	s_and_b32 exec_lo, exec_lo, vcc_lo
	s_cbranch_execz .LBB571_10
; %bb.8:
	v_cmp_ne_u32_e32 vcc_lo, 1, v2
	s_cbranch_vccnz .LBB571_10
; %bb.9:
	v_add_f32_e32 v2, 0, v7
	s_lshl_b64 s[0:1], s[6:7], 1
	s_delay_alu instid0(SALU_CYCLE_1) | instskip(NEXT) | instid1(VALU_DEP_2)
	v_add_co_u32 v0, vcc_lo, v0, s0
	v_fma_mixlo_f16 v2, -v2, v10, v7
	v_add_co_ci_u32_e32 v1, vcc_lo, s1, v1, vcc_lo
	global_store_b16 v[0:1], v2, off
.LBB571_10:
	s_nop 0
	s_sendmsg sendmsg(MSG_DEALLOC_VGPRS)
	s_endpgm
	.section	.rodata,"a",@progbits
	.p2align	6, 0x0
	.amdhsa_kernel _ZN12_GLOBAL__N_121softmax_warp_backwardIN3c104HalfES2_fLi0ELb0ELb0ELi32EEEvPT0_PKT_S7_iiiPKb
		.amdhsa_group_segment_fixed_size 0
		.amdhsa_private_segment_fixed_size 0
		.amdhsa_kernarg_size 304
		.amdhsa_user_sgpr_count 15
		.amdhsa_user_sgpr_dispatch_ptr 0
		.amdhsa_user_sgpr_queue_ptr 0
		.amdhsa_user_sgpr_kernarg_segment_ptr 1
		.amdhsa_user_sgpr_dispatch_id 0
		.amdhsa_user_sgpr_private_segment_size 0
		.amdhsa_wavefront_size32 1
		.amdhsa_uses_dynamic_stack 0
		.amdhsa_enable_private_segment 0
		.amdhsa_system_sgpr_workgroup_id_x 1
		.amdhsa_system_sgpr_workgroup_id_y 0
		.amdhsa_system_sgpr_workgroup_id_z 0
		.amdhsa_system_sgpr_workgroup_info 0
		.amdhsa_system_vgpr_workitem_id 1
		.amdhsa_next_free_vgpr 11
		.amdhsa_next_free_sgpr 16
		.amdhsa_reserve_vcc 1
		.amdhsa_float_round_mode_32 0
		.amdhsa_float_round_mode_16_64 0
		.amdhsa_float_denorm_mode_32 3
		.amdhsa_float_denorm_mode_16_64 3
		.amdhsa_dx10_clamp 1
		.amdhsa_ieee_mode 1
		.amdhsa_fp16_overflow 0
		.amdhsa_workgroup_processor_mode 1
		.amdhsa_memory_ordered 1
		.amdhsa_forward_progress 0
		.amdhsa_shared_vgpr_count 0
		.amdhsa_exception_fp_ieee_invalid_op 0
		.amdhsa_exception_fp_denorm_src 0
		.amdhsa_exception_fp_ieee_div_zero 0
		.amdhsa_exception_fp_ieee_overflow 0
		.amdhsa_exception_fp_ieee_underflow 0
		.amdhsa_exception_fp_ieee_inexact 0
		.amdhsa_exception_int_div_zero 0
	.end_amdhsa_kernel
	.section	.text._ZN12_GLOBAL__N_121softmax_warp_backwardIN3c104HalfES2_fLi0ELb0ELb0ELi32EEEvPT0_PKT_S7_iiiPKb,"axG",@progbits,_ZN12_GLOBAL__N_121softmax_warp_backwardIN3c104HalfES2_fLi0ELb0ELb0ELi32EEEvPT0_PKT_S7_iiiPKb,comdat
.Lfunc_end571:
	.size	_ZN12_GLOBAL__N_121softmax_warp_backwardIN3c104HalfES2_fLi0ELb0ELb0ELi32EEEvPT0_PKT_S7_iiiPKb, .Lfunc_end571-_ZN12_GLOBAL__N_121softmax_warp_backwardIN3c104HalfES2_fLi0ELb0ELb0ELi32EEEvPT0_PKT_S7_iiiPKb
                                        ; -- End function
	.section	.AMDGPU.csdata,"",@progbits
; Kernel info:
; codeLenInByte = 456
; NumSgprs: 18
; NumVgprs: 11
; ScratchSize: 0
; MemoryBound: 0
; FloatMode: 240
; IeeeMode: 1
; LDSByteSize: 0 bytes/workgroup (compile time only)
; SGPRBlocks: 2
; VGPRBlocks: 1
; NumSGPRsForWavesPerEU: 18
; NumVGPRsForWavesPerEU: 11
; Occupancy: 16
; WaveLimiterHint : 0
; COMPUTE_PGM_RSRC2:SCRATCH_EN: 0
; COMPUTE_PGM_RSRC2:USER_SGPR: 15
; COMPUTE_PGM_RSRC2:TRAP_HANDLER: 0
; COMPUTE_PGM_RSRC2:TGID_X_EN: 1
; COMPUTE_PGM_RSRC2:TGID_Y_EN: 0
; COMPUTE_PGM_RSRC2:TGID_Z_EN: 0
; COMPUTE_PGM_RSRC2:TIDIG_COMP_CNT: 1
	.section	.text._ZN12_GLOBAL__N_121softmax_warp_backwardIN3c104HalfES2_fLi1ELb0ELb0ELi64EEEvPT0_PKT_S7_iiiPKb,"axG",@progbits,_ZN12_GLOBAL__N_121softmax_warp_backwardIN3c104HalfES2_fLi1ELb0ELb0ELi64EEEvPT0_PKT_S7_iiiPKb,comdat
	.globl	_ZN12_GLOBAL__N_121softmax_warp_backwardIN3c104HalfES2_fLi1ELb0ELb0ELi64EEEvPT0_PKT_S7_iiiPKb ; -- Begin function _ZN12_GLOBAL__N_121softmax_warp_backwardIN3c104HalfES2_fLi1ELb0ELb0ELi64EEEvPT0_PKT_S7_iiiPKb
	.p2align	8
	.type	_ZN12_GLOBAL__N_121softmax_warp_backwardIN3c104HalfES2_fLi1ELb0ELb0ELi64EEEvPT0_PKT_S7_iiiPKb,@function
_ZN12_GLOBAL__N_121softmax_warp_backwardIN3c104HalfES2_fLi1ELb0ELb0ELi64EEEvPT0_PKT_S7_iiiPKb: ; @_ZN12_GLOBAL__N_121softmax_warp_backwardIN3c104HalfES2_fLi1ELb0ELb0ELi64EEEvPT0_PKT_S7_iiiPKb
; %bb.0:
	s_clause 0x1
	s_load_b32 s2, s[0:1], 0x3c
	s_load_b128 s[4:7], s[0:1], 0x18
	v_bfe_u32 v1, v0, 10, 10
	v_dual_mov_b32 v8, 0 :: v_dual_and_b32 v3, 1, v0
	v_mov_b32_e32 v7, 0
	v_mov_b32_e32 v9, 0
	s_waitcnt lgkmcnt(0)
	s_lshr_b32 s2, s2, 16
	v_cmp_gt_i32_e32 vcc_lo, s6, v3
	s_mul_i32 s15, s15, s2
	s_clause 0x1
	s_load_b128 s[8:11], s[0:1], 0x0
	s_load_b64 s[2:3], s[0:1], 0x10
	v_add_lshl_u32 v2, s15, v1, 1
	s_delay_alu instid0(VALU_DEP_1) | instskip(SKIP_1) | instid1(VALU_DEP_1)
	v_mul_lo_u32 v1, v2, s5
	v_sub_nc_u32_e32 v6, s4, v2
	v_cmp_lt_i32_e64 s0, 0, v6
	s_delay_alu instid0(VALU_DEP_3) | instskip(NEXT) | instid1(VALU_DEP_1)
	v_or_b32_e32 v0, v1, v3
	v_ashrrev_i32_e32 v1, 31, v0
	s_delay_alu instid0(VALU_DEP_1) | instskip(SKIP_1) | instid1(VALU_DEP_1)
	v_lshlrev_b64 v[0:1], 1, v[0:1]
	s_waitcnt lgkmcnt(0)
	v_add_co_u32 v4, s1, s10, v0
	s_delay_alu instid0(VALU_DEP_1) | instskip(SKIP_1) | instid1(VALU_DEP_1)
	v_add_co_ci_u32_e64 v5, s1, s11, v1, s1
	v_add_co_u32 v2, s1, s2, v0
	v_add_co_ci_u32_e64 v3, s1, s3, v1, s1
	s_and_b32 s2, vcc_lo, s0
	s_delay_alu instid0(SALU_CYCLE_1)
	s_and_saveexec_b32 s1, s2
	s_cbranch_execz .LBB572_2
; %bb.1:
	global_load_u16 v8, v[4:5], off
	global_load_u16 v9, v[2:3], off
	s_waitcnt vmcnt(1)
	v_cvt_f32_f16_e32 v8, v8
	s_waitcnt vmcnt(0)
	v_cvt_f32_f16_e32 v9, v9
.LBB572_2:
	s_or_b32 exec_lo, exec_lo, s1
	v_cmp_lt_i32_e64 s1, 1, v6
	v_mov_b32_e32 v10, 0
	s_mov_b32 s7, 0
	s_delay_alu instid0(VALU_DEP_2) | instskip(NEXT) | instid1(SALU_CYCLE_1)
	s_and_b32 s1, vcc_lo, s1
	s_and_saveexec_b32 s2, s1
	s_cbranch_execz .LBB572_4
; %bb.3:
	s_lshl_b64 s[4:5], s[6:7], 1
	s_delay_alu instid0(SALU_CYCLE_1) | instskip(NEXT) | instid1(VALU_DEP_1)
	v_add_co_u32 v4, s1, v4, s4
	v_add_co_ci_u32_e64 v5, s1, s5, v5, s1
	v_add_co_u32 v2, s1, v2, s4
	s_delay_alu instid0(VALU_DEP_1)
	v_add_co_ci_u32_e64 v3, s1, s5, v3, s1
	global_load_u16 v4, v[4:5], off
	global_load_u16 v2, v[2:3], off
	s_waitcnt vmcnt(1)
	v_cvt_f32_f16_e32 v7, v4
	s_waitcnt vmcnt(0)
	v_cvt_f32_f16_e32 v10, v2
.LBB572_4:
	s_or_b32 exec_lo, exec_lo, s2
	v_mbcnt_lo_u32_b32 v2, -1, 0
	s_delay_alu instid0(VALU_DEP_1) | instskip(SKIP_1) | instid1(VALU_DEP_2)
	v_and_b32_e32 v3, 30, v2
	v_xor_b32_e32 v4, 1, v2
	v_add_nc_u32_e32 v3, 2, v3
	s_delay_alu instid0(VALU_DEP_1) | instskip(NEXT) | instid1(VALU_DEP_1)
	v_cmp_lt_i32_e64 s1, v4, v3
	v_cndmask_b32_e64 v2, v2, v4, s1
	s_delay_alu instid0(VALU_DEP_1)
	v_dual_add_f32 v4, 0, v8 :: v_dual_lshlrev_b32 v3, 2, v2
	v_add_f32_e32 v2, 0, v7
	ds_bpermute_b32 v5, v3, v4
	ds_bpermute_b32 v3, v3, v2
	s_and_saveexec_b32 s1, s0
	s_cbranch_execz .LBB572_10
; %bb.5:
	v_add_co_u32 v0, s0, s8, v0
	s_delay_alu instid0(VALU_DEP_1)
	v_add_co_ci_u32_e64 v1, s0, s9, v1, s0
	s_and_saveexec_b32 s0, vcc_lo
	s_cbranch_execz .LBB572_7
; %bb.6:
	s_waitcnt lgkmcnt(1)
	v_add_f32_e32 v4, v4, v5
	s_delay_alu instid0(VALU_DEP_1)
	v_fma_mixlo_f16 v4, -v4, v9, v8
	global_store_b16 v[0:1], v4, off
.LBB572_7:
	s_or_b32 exec_lo, exec_lo, s0
	v_cmp_ne_u32_e64 s0, 1, v6
	s_delay_alu instid0(VALU_DEP_1)
	s_and_b32 exec_lo, exec_lo, s0
	s_cbranch_execz .LBB572_10
; %bb.8:
	s_and_b32 exec_lo, exec_lo, vcc_lo
	s_cbranch_execz .LBB572_10
; %bb.9:
	s_waitcnt lgkmcnt(0)
	v_add_f32_e32 v2, v2, v3
	s_lshl_b64 s[0:1], s[6:7], 1
	s_delay_alu instid0(SALU_CYCLE_1) | instskip(NEXT) | instid1(VALU_DEP_2)
	v_add_co_u32 v0, vcc_lo, v0, s0
	v_fma_mixlo_f16 v2, -v2, v10, v7
	v_add_co_ci_u32_e32 v1, vcc_lo, s1, v1, vcc_lo
	global_store_b16 v[0:1], v2, off
.LBB572_10:
	s_nop 0
	s_sendmsg sendmsg(MSG_DEALLOC_VGPRS)
	s_endpgm
	.section	.rodata,"a",@progbits
	.p2align	6, 0x0
	.amdhsa_kernel _ZN12_GLOBAL__N_121softmax_warp_backwardIN3c104HalfES2_fLi1ELb0ELb0ELi64EEEvPT0_PKT_S7_iiiPKb
		.amdhsa_group_segment_fixed_size 0
		.amdhsa_private_segment_fixed_size 0
		.amdhsa_kernarg_size 304
		.amdhsa_user_sgpr_count 15
		.amdhsa_user_sgpr_dispatch_ptr 0
		.amdhsa_user_sgpr_queue_ptr 0
		.amdhsa_user_sgpr_kernarg_segment_ptr 1
		.amdhsa_user_sgpr_dispatch_id 0
		.amdhsa_user_sgpr_private_segment_size 0
		.amdhsa_wavefront_size32 1
		.amdhsa_uses_dynamic_stack 0
		.amdhsa_enable_private_segment 0
		.amdhsa_system_sgpr_workgroup_id_x 1
		.amdhsa_system_sgpr_workgroup_id_y 0
		.amdhsa_system_sgpr_workgroup_id_z 0
		.amdhsa_system_sgpr_workgroup_info 0
		.amdhsa_system_vgpr_workitem_id 1
		.amdhsa_next_free_vgpr 11
		.amdhsa_next_free_sgpr 16
		.amdhsa_reserve_vcc 1
		.amdhsa_float_round_mode_32 0
		.amdhsa_float_round_mode_16_64 0
		.amdhsa_float_denorm_mode_32 3
		.amdhsa_float_denorm_mode_16_64 3
		.amdhsa_dx10_clamp 1
		.amdhsa_ieee_mode 1
		.amdhsa_fp16_overflow 0
		.amdhsa_workgroup_processor_mode 1
		.amdhsa_memory_ordered 1
		.amdhsa_forward_progress 0
		.amdhsa_shared_vgpr_count 0
		.amdhsa_exception_fp_ieee_invalid_op 0
		.amdhsa_exception_fp_denorm_src 0
		.amdhsa_exception_fp_ieee_div_zero 0
		.amdhsa_exception_fp_ieee_overflow 0
		.amdhsa_exception_fp_ieee_underflow 0
		.amdhsa_exception_fp_ieee_inexact 0
		.amdhsa_exception_int_div_zero 0
	.end_amdhsa_kernel
	.section	.text._ZN12_GLOBAL__N_121softmax_warp_backwardIN3c104HalfES2_fLi1ELb0ELb0ELi64EEEvPT0_PKT_S7_iiiPKb,"axG",@progbits,_ZN12_GLOBAL__N_121softmax_warp_backwardIN3c104HalfES2_fLi1ELb0ELb0ELi64EEEvPT0_PKT_S7_iiiPKb,comdat
.Lfunc_end572:
	.size	_ZN12_GLOBAL__N_121softmax_warp_backwardIN3c104HalfES2_fLi1ELb0ELb0ELi64EEEvPT0_PKT_S7_iiiPKb, .Lfunc_end572-_ZN12_GLOBAL__N_121softmax_warp_backwardIN3c104HalfES2_fLi1ELb0ELb0ELi64EEEvPT0_PKT_S7_iiiPKb
                                        ; -- End function
	.section	.AMDGPU.csdata,"",@progbits
; Kernel info:
; codeLenInByte = 568
; NumSgprs: 18
; NumVgprs: 11
; ScratchSize: 0
; MemoryBound: 0
; FloatMode: 240
; IeeeMode: 1
; LDSByteSize: 0 bytes/workgroup (compile time only)
; SGPRBlocks: 2
; VGPRBlocks: 1
; NumSGPRsForWavesPerEU: 18
; NumVGPRsForWavesPerEU: 11
; Occupancy: 16
; WaveLimiterHint : 0
; COMPUTE_PGM_RSRC2:SCRATCH_EN: 0
; COMPUTE_PGM_RSRC2:USER_SGPR: 15
; COMPUTE_PGM_RSRC2:TRAP_HANDLER: 0
; COMPUTE_PGM_RSRC2:TGID_X_EN: 1
; COMPUTE_PGM_RSRC2:TGID_Y_EN: 0
; COMPUTE_PGM_RSRC2:TGID_Z_EN: 0
; COMPUTE_PGM_RSRC2:TIDIG_COMP_CNT: 1
	.section	.text._ZN12_GLOBAL__N_121softmax_warp_backwardIN3c104HalfES2_fLi1ELb0ELb0ELi32EEEvPT0_PKT_S7_iiiPKb,"axG",@progbits,_ZN12_GLOBAL__N_121softmax_warp_backwardIN3c104HalfES2_fLi1ELb0ELb0ELi32EEEvPT0_PKT_S7_iiiPKb,comdat
	.globl	_ZN12_GLOBAL__N_121softmax_warp_backwardIN3c104HalfES2_fLi1ELb0ELb0ELi32EEEvPT0_PKT_S7_iiiPKb ; -- Begin function _ZN12_GLOBAL__N_121softmax_warp_backwardIN3c104HalfES2_fLi1ELb0ELb0ELi32EEEvPT0_PKT_S7_iiiPKb
	.p2align	8
	.type	_ZN12_GLOBAL__N_121softmax_warp_backwardIN3c104HalfES2_fLi1ELb0ELb0ELi32EEEvPT0_PKT_S7_iiiPKb,@function
_ZN12_GLOBAL__N_121softmax_warp_backwardIN3c104HalfES2_fLi1ELb0ELb0ELi32EEEvPT0_PKT_S7_iiiPKb: ; @_ZN12_GLOBAL__N_121softmax_warp_backwardIN3c104HalfES2_fLi1ELb0ELb0ELi32EEEvPT0_PKT_S7_iiiPKb
; %bb.0:
	s_clause 0x1
	s_load_b32 s2, s[0:1], 0x3c
	s_load_b128 s[4:7], s[0:1], 0x18
	v_bfe_u32 v1, v0, 10, 10
	v_dual_mov_b32 v8, 0 :: v_dual_and_b32 v3, 1, v0
	v_mov_b32_e32 v7, 0
	v_mov_b32_e32 v9, 0
	s_waitcnt lgkmcnt(0)
	s_lshr_b32 s2, s2, 16
	v_cmp_gt_i32_e32 vcc_lo, s6, v3
	s_mul_i32 s15, s15, s2
	s_clause 0x1
	s_load_b128 s[8:11], s[0:1], 0x0
	s_load_b64 s[2:3], s[0:1], 0x10
	v_add_lshl_u32 v2, s15, v1, 1
	s_delay_alu instid0(VALU_DEP_1) | instskip(SKIP_1) | instid1(VALU_DEP_1)
	v_mul_lo_u32 v1, v2, s5
	v_sub_nc_u32_e32 v6, s4, v2
	v_cmp_lt_i32_e64 s0, 0, v6
	s_delay_alu instid0(VALU_DEP_3) | instskip(NEXT) | instid1(VALU_DEP_1)
	v_or_b32_e32 v0, v1, v3
	v_ashrrev_i32_e32 v1, 31, v0
	s_delay_alu instid0(VALU_DEP_1) | instskip(SKIP_1) | instid1(VALU_DEP_1)
	v_lshlrev_b64 v[0:1], 1, v[0:1]
	s_waitcnt lgkmcnt(0)
	v_add_co_u32 v4, s1, s10, v0
	s_delay_alu instid0(VALU_DEP_1) | instskip(SKIP_1) | instid1(VALU_DEP_1)
	v_add_co_ci_u32_e64 v5, s1, s11, v1, s1
	v_add_co_u32 v2, s1, s2, v0
	v_add_co_ci_u32_e64 v3, s1, s3, v1, s1
	s_and_b32 s2, vcc_lo, s0
	s_delay_alu instid0(SALU_CYCLE_1)
	s_and_saveexec_b32 s1, s2
	s_cbranch_execz .LBB573_2
; %bb.1:
	global_load_u16 v8, v[4:5], off
	global_load_u16 v9, v[2:3], off
	s_waitcnt vmcnt(1)
	v_cvt_f32_f16_e32 v8, v8
	s_waitcnt vmcnt(0)
	v_cvt_f32_f16_e32 v9, v9
.LBB573_2:
	s_or_b32 exec_lo, exec_lo, s1
	v_cmp_lt_i32_e64 s1, 1, v6
	v_mov_b32_e32 v10, 0
	s_mov_b32 s7, 0
	s_delay_alu instid0(VALU_DEP_2) | instskip(NEXT) | instid1(SALU_CYCLE_1)
	s_and_b32 s1, vcc_lo, s1
	s_and_saveexec_b32 s2, s1
	s_cbranch_execz .LBB573_4
; %bb.3:
	s_lshl_b64 s[4:5], s[6:7], 1
	s_delay_alu instid0(SALU_CYCLE_1) | instskip(NEXT) | instid1(VALU_DEP_1)
	v_add_co_u32 v4, s1, v4, s4
	v_add_co_ci_u32_e64 v5, s1, s5, v5, s1
	v_add_co_u32 v2, s1, v2, s4
	s_delay_alu instid0(VALU_DEP_1)
	v_add_co_ci_u32_e64 v3, s1, s5, v3, s1
	global_load_u16 v4, v[4:5], off
	global_load_u16 v2, v[2:3], off
	s_waitcnt vmcnt(1)
	v_cvt_f32_f16_e32 v7, v4
	s_waitcnt vmcnt(0)
	v_cvt_f32_f16_e32 v10, v2
.LBB573_4:
	s_or_b32 exec_lo, exec_lo, s2
	v_mbcnt_lo_u32_b32 v2, -1, 0
	s_delay_alu instid0(VALU_DEP_1) | instskip(SKIP_1) | instid1(VALU_DEP_2)
	v_and_b32_e32 v3, 30, v2
	v_xor_b32_e32 v4, 1, v2
	v_add_nc_u32_e32 v3, 2, v3
	s_delay_alu instid0(VALU_DEP_1) | instskip(NEXT) | instid1(VALU_DEP_1)
	v_cmp_lt_i32_e64 s1, v4, v3
	v_cndmask_b32_e64 v2, v2, v4, s1
	s_delay_alu instid0(VALU_DEP_1)
	v_dual_add_f32 v4, 0, v8 :: v_dual_lshlrev_b32 v3, 2, v2
	v_add_f32_e32 v2, 0, v7
	ds_bpermute_b32 v5, v3, v4
	ds_bpermute_b32 v3, v3, v2
	s_and_saveexec_b32 s1, s0
	s_cbranch_execz .LBB573_10
; %bb.5:
	v_add_co_u32 v0, s0, s8, v0
	s_delay_alu instid0(VALU_DEP_1)
	v_add_co_ci_u32_e64 v1, s0, s9, v1, s0
	s_and_saveexec_b32 s0, vcc_lo
	s_cbranch_execz .LBB573_7
; %bb.6:
	s_waitcnt lgkmcnt(1)
	v_add_f32_e32 v4, v4, v5
	s_delay_alu instid0(VALU_DEP_1)
	v_fma_mixlo_f16 v4, -v4, v9, v8
	global_store_b16 v[0:1], v4, off
.LBB573_7:
	s_or_b32 exec_lo, exec_lo, s0
	v_cmp_ne_u32_e64 s0, 1, v6
	s_delay_alu instid0(VALU_DEP_1)
	s_and_b32 exec_lo, exec_lo, s0
	s_cbranch_execz .LBB573_10
; %bb.8:
	s_and_b32 exec_lo, exec_lo, vcc_lo
	s_cbranch_execz .LBB573_10
; %bb.9:
	s_waitcnt lgkmcnt(0)
	v_add_f32_e32 v2, v2, v3
	s_lshl_b64 s[0:1], s[6:7], 1
	s_delay_alu instid0(SALU_CYCLE_1) | instskip(NEXT) | instid1(VALU_DEP_2)
	v_add_co_u32 v0, vcc_lo, v0, s0
	v_fma_mixlo_f16 v2, -v2, v10, v7
	v_add_co_ci_u32_e32 v1, vcc_lo, s1, v1, vcc_lo
	global_store_b16 v[0:1], v2, off
.LBB573_10:
	s_nop 0
	s_sendmsg sendmsg(MSG_DEALLOC_VGPRS)
	s_endpgm
	.section	.rodata,"a",@progbits
	.p2align	6, 0x0
	.amdhsa_kernel _ZN12_GLOBAL__N_121softmax_warp_backwardIN3c104HalfES2_fLi1ELb0ELb0ELi32EEEvPT0_PKT_S7_iiiPKb
		.amdhsa_group_segment_fixed_size 0
		.amdhsa_private_segment_fixed_size 0
		.amdhsa_kernarg_size 304
		.amdhsa_user_sgpr_count 15
		.amdhsa_user_sgpr_dispatch_ptr 0
		.amdhsa_user_sgpr_queue_ptr 0
		.amdhsa_user_sgpr_kernarg_segment_ptr 1
		.amdhsa_user_sgpr_dispatch_id 0
		.amdhsa_user_sgpr_private_segment_size 0
		.amdhsa_wavefront_size32 1
		.amdhsa_uses_dynamic_stack 0
		.amdhsa_enable_private_segment 0
		.amdhsa_system_sgpr_workgroup_id_x 1
		.amdhsa_system_sgpr_workgroup_id_y 0
		.amdhsa_system_sgpr_workgroup_id_z 0
		.amdhsa_system_sgpr_workgroup_info 0
		.amdhsa_system_vgpr_workitem_id 1
		.amdhsa_next_free_vgpr 11
		.amdhsa_next_free_sgpr 16
		.amdhsa_reserve_vcc 1
		.amdhsa_float_round_mode_32 0
		.amdhsa_float_round_mode_16_64 0
		.amdhsa_float_denorm_mode_32 3
		.amdhsa_float_denorm_mode_16_64 3
		.amdhsa_dx10_clamp 1
		.amdhsa_ieee_mode 1
		.amdhsa_fp16_overflow 0
		.amdhsa_workgroup_processor_mode 1
		.amdhsa_memory_ordered 1
		.amdhsa_forward_progress 0
		.amdhsa_shared_vgpr_count 0
		.amdhsa_exception_fp_ieee_invalid_op 0
		.amdhsa_exception_fp_denorm_src 0
		.amdhsa_exception_fp_ieee_div_zero 0
		.amdhsa_exception_fp_ieee_overflow 0
		.amdhsa_exception_fp_ieee_underflow 0
		.amdhsa_exception_fp_ieee_inexact 0
		.amdhsa_exception_int_div_zero 0
	.end_amdhsa_kernel
	.section	.text._ZN12_GLOBAL__N_121softmax_warp_backwardIN3c104HalfES2_fLi1ELb0ELb0ELi32EEEvPT0_PKT_S7_iiiPKb,"axG",@progbits,_ZN12_GLOBAL__N_121softmax_warp_backwardIN3c104HalfES2_fLi1ELb0ELb0ELi32EEEvPT0_PKT_S7_iiiPKb,comdat
.Lfunc_end573:
	.size	_ZN12_GLOBAL__N_121softmax_warp_backwardIN3c104HalfES2_fLi1ELb0ELb0ELi32EEEvPT0_PKT_S7_iiiPKb, .Lfunc_end573-_ZN12_GLOBAL__N_121softmax_warp_backwardIN3c104HalfES2_fLi1ELb0ELb0ELi32EEEvPT0_PKT_S7_iiiPKb
                                        ; -- End function
	.section	.AMDGPU.csdata,"",@progbits
; Kernel info:
; codeLenInByte = 568
; NumSgprs: 18
; NumVgprs: 11
; ScratchSize: 0
; MemoryBound: 0
; FloatMode: 240
; IeeeMode: 1
; LDSByteSize: 0 bytes/workgroup (compile time only)
; SGPRBlocks: 2
; VGPRBlocks: 1
; NumSGPRsForWavesPerEU: 18
; NumVGPRsForWavesPerEU: 11
; Occupancy: 16
; WaveLimiterHint : 0
; COMPUTE_PGM_RSRC2:SCRATCH_EN: 0
; COMPUTE_PGM_RSRC2:USER_SGPR: 15
; COMPUTE_PGM_RSRC2:TRAP_HANDLER: 0
; COMPUTE_PGM_RSRC2:TGID_X_EN: 1
; COMPUTE_PGM_RSRC2:TGID_Y_EN: 0
; COMPUTE_PGM_RSRC2:TGID_Z_EN: 0
; COMPUTE_PGM_RSRC2:TIDIG_COMP_CNT: 1
	.section	.text._ZN12_GLOBAL__N_121softmax_warp_backwardIN3c104HalfES2_fLi2ELb0ELb0ELi64EEEvPT0_PKT_S7_iiiPKb,"axG",@progbits,_ZN12_GLOBAL__N_121softmax_warp_backwardIN3c104HalfES2_fLi2ELb0ELb0ELi64EEEvPT0_PKT_S7_iiiPKb,comdat
	.globl	_ZN12_GLOBAL__N_121softmax_warp_backwardIN3c104HalfES2_fLi2ELb0ELb0ELi64EEEvPT0_PKT_S7_iiiPKb ; -- Begin function _ZN12_GLOBAL__N_121softmax_warp_backwardIN3c104HalfES2_fLi2ELb0ELb0ELi64EEEvPT0_PKT_S7_iiiPKb
	.p2align	8
	.type	_ZN12_GLOBAL__N_121softmax_warp_backwardIN3c104HalfES2_fLi2ELb0ELb0ELi64EEEvPT0_PKT_S7_iiiPKb,@function
_ZN12_GLOBAL__N_121softmax_warp_backwardIN3c104HalfES2_fLi2ELb0ELb0ELi64EEEvPT0_PKT_S7_iiiPKb: ; @_ZN12_GLOBAL__N_121softmax_warp_backwardIN3c104HalfES2_fLi2ELb0ELb0ELi64EEEvPT0_PKT_S7_iiiPKb
; %bb.0:
	s_clause 0x1
	s_load_b32 s2, s[0:1], 0x3c
	s_load_b128 s[4:7], s[0:1], 0x18
	v_bfe_u32 v1, v0, 10, 10
	v_dual_mov_b32 v7, 0 :: v_dual_and_b32 v2, 3, v0
	s_load_b128 s[8:11], s[0:1], 0x0
	v_dual_mov_b32 v8, 0 :: v_dual_mov_b32 v9, 0
	s_waitcnt lgkmcnt(0)
	s_lshr_b32 s2, s2, 16
	v_cmp_gt_i32_e32 vcc_lo, s6, v2
	s_mul_i32 s15, s15, s2
	s_load_b64 s[2:3], s[0:1], 0x10
	v_add_lshl_u32 v3, s15, v1, 1
	s_delay_alu instid0(VALU_DEP_1) | instskip(SKIP_1) | instid1(VALU_DEP_1)
	v_mad_u64_u32 v[0:1], null, v3, s5, v[2:3]
	v_sub_nc_u32_e32 v6, s4, v3
	v_cmp_lt_i32_e64 s0, 0, v6
	s_delay_alu instid0(VALU_DEP_3) | instskip(NEXT) | instid1(VALU_DEP_1)
	v_ashrrev_i32_e32 v1, 31, v0
	v_lshlrev_b64 v[0:1], 1, v[0:1]
	s_delay_alu instid0(VALU_DEP_1) | instskip(NEXT) | instid1(VALU_DEP_1)
	v_add_co_u32 v4, s1, s10, v0
	v_add_co_ci_u32_e64 v5, s1, s11, v1, s1
	s_waitcnt lgkmcnt(0)
	v_add_co_u32 v2, s1, s2, v0
	s_delay_alu instid0(VALU_DEP_1) | instskip(SKIP_1) | instid1(SALU_CYCLE_1)
	v_add_co_ci_u32_e64 v3, s1, s3, v1, s1
	s_and_b32 s2, vcc_lo, s0
	s_and_saveexec_b32 s1, s2
	s_cbranch_execz .LBB574_2
; %bb.1:
	global_load_u16 v8, v[4:5], off
	global_load_u16 v9, v[2:3], off
	s_waitcnt vmcnt(1)
	v_cvt_f32_f16_e32 v8, v8
	s_waitcnt vmcnt(0)
	v_cvt_f32_f16_e32 v9, v9
.LBB574_2:
	s_or_b32 exec_lo, exec_lo, s1
	v_cmp_lt_i32_e64 s1, 1, v6
	v_mov_b32_e32 v10, 0
	s_mov_b32 s7, 0
	s_delay_alu instid0(VALU_DEP_2) | instskip(NEXT) | instid1(SALU_CYCLE_1)
	s_and_b32 s1, vcc_lo, s1
	s_and_saveexec_b32 s2, s1
	s_cbranch_execz .LBB574_4
; %bb.3:
	s_lshl_b64 s[4:5], s[6:7], 1
	s_delay_alu instid0(SALU_CYCLE_1) | instskip(NEXT) | instid1(VALU_DEP_1)
	v_add_co_u32 v4, s1, v4, s4
	v_add_co_ci_u32_e64 v5, s1, s5, v5, s1
	v_add_co_u32 v2, s1, v2, s4
	s_delay_alu instid0(VALU_DEP_1)
	v_add_co_ci_u32_e64 v3, s1, s5, v3, s1
	global_load_u16 v4, v[4:5], off
	global_load_u16 v2, v[2:3], off
	s_waitcnt vmcnt(1)
	v_cvt_f32_f16_e32 v7, v4
	s_waitcnt vmcnt(0)
	v_cvt_f32_f16_e32 v10, v2
.LBB574_4:
	s_or_b32 exec_lo, exec_lo, s2
	v_mbcnt_lo_u32_b32 v2, -1, 0
	v_add_f32_e32 v5, 0, v8
	v_add_f32_e32 v11, 0, v7
	s_delay_alu instid0(VALU_DEP_3) | instskip(SKIP_1) | instid1(VALU_DEP_2)
	v_and_b32_e32 v3, 28, v2
	v_xor_b32_e32 v4, 2, v2
	v_add_nc_u32_e32 v3, 4, v3
	s_delay_alu instid0(VALU_DEP_1) | instskip(NEXT) | instid1(VALU_DEP_1)
	v_cmp_lt_i32_e64 s1, v4, v3
	v_cndmask_b32_e64 v4, v2, v4, s1
	s_delay_alu instid0(VALU_DEP_1) | instskip(SKIP_3) | instid1(VALU_DEP_1)
	v_lshlrev_b32_e32 v4, 2, v4
	ds_bpermute_b32 v12, v4, v5
	ds_bpermute_b32 v13, v4, v11
	v_xor_b32_e32 v4, 1, v2
	v_cmp_lt_i32_e64 s1, v4, v3
	s_delay_alu instid0(VALU_DEP_1) | instskip(SKIP_1) | instid1(VALU_DEP_1)
	v_cndmask_b32_e64 v2, v2, v4, s1
	s_waitcnt lgkmcnt(1)
	v_dual_add_f32 v4, v5, v12 :: v_dual_lshlrev_b32 v3, 2, v2
	s_waitcnt lgkmcnt(0)
	v_add_f32_e32 v2, v11, v13
	ds_bpermute_b32 v5, v3, v4
	ds_bpermute_b32 v3, v3, v2
	s_and_saveexec_b32 s1, s0
	s_cbranch_execz .LBB574_10
; %bb.5:
	v_add_co_u32 v0, s0, s8, v0
	s_delay_alu instid0(VALU_DEP_1)
	v_add_co_ci_u32_e64 v1, s0, s9, v1, s0
	s_and_saveexec_b32 s0, vcc_lo
	s_cbranch_execz .LBB574_7
; %bb.6:
	s_waitcnt lgkmcnt(1)
	v_add_f32_e32 v4, v4, v5
	s_delay_alu instid0(VALU_DEP_1)
	v_fma_mixlo_f16 v4, -v4, v9, v8
	global_store_b16 v[0:1], v4, off
.LBB574_7:
	s_or_b32 exec_lo, exec_lo, s0
	v_cmp_ne_u32_e64 s0, 1, v6
	s_delay_alu instid0(VALU_DEP_1)
	s_and_b32 exec_lo, exec_lo, s0
	s_cbranch_execz .LBB574_10
; %bb.8:
	s_and_b32 exec_lo, exec_lo, vcc_lo
	s_cbranch_execz .LBB574_10
; %bb.9:
	s_waitcnt lgkmcnt(0)
	v_add_f32_e32 v2, v2, v3
	s_lshl_b64 s[0:1], s[6:7], 1
	s_delay_alu instid0(SALU_CYCLE_1) | instskip(NEXT) | instid1(VALU_DEP_2)
	v_add_co_u32 v0, vcc_lo, v0, s0
	v_fma_mixlo_f16 v2, -v2, v10, v7
	v_add_co_ci_u32_e32 v1, vcc_lo, s1, v1, vcc_lo
	global_store_b16 v[0:1], v2, off
.LBB574_10:
	s_nop 0
	s_sendmsg sendmsg(MSG_DEALLOC_VGPRS)
	s_endpgm
	.section	.rodata,"a",@progbits
	.p2align	6, 0x0
	.amdhsa_kernel _ZN12_GLOBAL__N_121softmax_warp_backwardIN3c104HalfES2_fLi2ELb0ELb0ELi64EEEvPT0_PKT_S7_iiiPKb
		.amdhsa_group_segment_fixed_size 0
		.amdhsa_private_segment_fixed_size 0
		.amdhsa_kernarg_size 304
		.amdhsa_user_sgpr_count 15
		.amdhsa_user_sgpr_dispatch_ptr 0
		.amdhsa_user_sgpr_queue_ptr 0
		.amdhsa_user_sgpr_kernarg_segment_ptr 1
		.amdhsa_user_sgpr_dispatch_id 0
		.amdhsa_user_sgpr_private_segment_size 0
		.amdhsa_wavefront_size32 1
		.amdhsa_uses_dynamic_stack 0
		.amdhsa_enable_private_segment 0
		.amdhsa_system_sgpr_workgroup_id_x 1
		.amdhsa_system_sgpr_workgroup_id_y 0
		.amdhsa_system_sgpr_workgroup_id_z 0
		.amdhsa_system_sgpr_workgroup_info 0
		.amdhsa_system_vgpr_workitem_id 1
		.amdhsa_next_free_vgpr 14
		.amdhsa_next_free_sgpr 16
		.amdhsa_reserve_vcc 1
		.amdhsa_float_round_mode_32 0
		.amdhsa_float_round_mode_16_64 0
		.amdhsa_float_denorm_mode_32 3
		.amdhsa_float_denorm_mode_16_64 3
		.amdhsa_dx10_clamp 1
		.amdhsa_ieee_mode 1
		.amdhsa_fp16_overflow 0
		.amdhsa_workgroup_processor_mode 1
		.amdhsa_memory_ordered 1
		.amdhsa_forward_progress 0
		.amdhsa_shared_vgpr_count 0
		.amdhsa_exception_fp_ieee_invalid_op 0
		.amdhsa_exception_fp_denorm_src 0
		.amdhsa_exception_fp_ieee_div_zero 0
		.amdhsa_exception_fp_ieee_overflow 0
		.amdhsa_exception_fp_ieee_underflow 0
		.amdhsa_exception_fp_ieee_inexact 0
		.amdhsa_exception_int_div_zero 0
	.end_amdhsa_kernel
	.section	.text._ZN12_GLOBAL__N_121softmax_warp_backwardIN3c104HalfES2_fLi2ELb0ELb0ELi64EEEvPT0_PKT_S7_iiiPKb,"axG",@progbits,_ZN12_GLOBAL__N_121softmax_warp_backwardIN3c104HalfES2_fLi2ELb0ELb0ELi64EEEvPT0_PKT_S7_iiiPKb,comdat
.Lfunc_end574:
	.size	_ZN12_GLOBAL__N_121softmax_warp_backwardIN3c104HalfES2_fLi2ELb0ELb0ELi64EEEvPT0_PKT_S7_iiiPKb, .Lfunc_end574-_ZN12_GLOBAL__N_121softmax_warp_backwardIN3c104HalfES2_fLi2ELb0ELb0ELi64EEEvPT0_PKT_S7_iiiPKb
                                        ; -- End function
	.section	.AMDGPU.csdata,"",@progbits
; Kernel info:
; codeLenInByte = 616
; NumSgprs: 18
; NumVgprs: 14
; ScratchSize: 0
; MemoryBound: 0
; FloatMode: 240
; IeeeMode: 1
; LDSByteSize: 0 bytes/workgroup (compile time only)
; SGPRBlocks: 2
; VGPRBlocks: 1
; NumSGPRsForWavesPerEU: 18
; NumVGPRsForWavesPerEU: 14
; Occupancy: 16
; WaveLimiterHint : 0
; COMPUTE_PGM_RSRC2:SCRATCH_EN: 0
; COMPUTE_PGM_RSRC2:USER_SGPR: 15
; COMPUTE_PGM_RSRC2:TRAP_HANDLER: 0
; COMPUTE_PGM_RSRC2:TGID_X_EN: 1
; COMPUTE_PGM_RSRC2:TGID_Y_EN: 0
; COMPUTE_PGM_RSRC2:TGID_Z_EN: 0
; COMPUTE_PGM_RSRC2:TIDIG_COMP_CNT: 1
	.section	.text._ZN12_GLOBAL__N_121softmax_warp_backwardIN3c104HalfES2_fLi2ELb0ELb0ELi32EEEvPT0_PKT_S7_iiiPKb,"axG",@progbits,_ZN12_GLOBAL__N_121softmax_warp_backwardIN3c104HalfES2_fLi2ELb0ELb0ELi32EEEvPT0_PKT_S7_iiiPKb,comdat
	.globl	_ZN12_GLOBAL__N_121softmax_warp_backwardIN3c104HalfES2_fLi2ELb0ELb0ELi32EEEvPT0_PKT_S7_iiiPKb ; -- Begin function _ZN12_GLOBAL__N_121softmax_warp_backwardIN3c104HalfES2_fLi2ELb0ELb0ELi32EEEvPT0_PKT_S7_iiiPKb
	.p2align	8
	.type	_ZN12_GLOBAL__N_121softmax_warp_backwardIN3c104HalfES2_fLi2ELb0ELb0ELi32EEEvPT0_PKT_S7_iiiPKb,@function
_ZN12_GLOBAL__N_121softmax_warp_backwardIN3c104HalfES2_fLi2ELb0ELb0ELi32EEEvPT0_PKT_S7_iiiPKb: ; @_ZN12_GLOBAL__N_121softmax_warp_backwardIN3c104HalfES2_fLi2ELb0ELb0ELi32EEEvPT0_PKT_S7_iiiPKb
; %bb.0:
	s_clause 0x1
	s_load_b32 s2, s[0:1], 0x3c
	s_load_b128 s[4:7], s[0:1], 0x18
	v_bfe_u32 v1, v0, 10, 10
	v_dual_mov_b32 v7, 0 :: v_dual_and_b32 v2, 3, v0
	s_load_b128 s[8:11], s[0:1], 0x0
	v_dual_mov_b32 v8, 0 :: v_dual_mov_b32 v9, 0
	s_waitcnt lgkmcnt(0)
	s_lshr_b32 s2, s2, 16
	v_cmp_gt_i32_e32 vcc_lo, s6, v2
	s_mul_i32 s15, s15, s2
	s_load_b64 s[2:3], s[0:1], 0x10
	v_add_lshl_u32 v3, s15, v1, 1
	s_delay_alu instid0(VALU_DEP_1) | instskip(SKIP_1) | instid1(VALU_DEP_1)
	v_mad_u64_u32 v[0:1], null, v3, s5, v[2:3]
	v_sub_nc_u32_e32 v6, s4, v3
	v_cmp_lt_i32_e64 s0, 0, v6
	s_delay_alu instid0(VALU_DEP_3) | instskip(NEXT) | instid1(VALU_DEP_1)
	v_ashrrev_i32_e32 v1, 31, v0
	v_lshlrev_b64 v[0:1], 1, v[0:1]
	s_delay_alu instid0(VALU_DEP_1) | instskip(NEXT) | instid1(VALU_DEP_1)
	v_add_co_u32 v4, s1, s10, v0
	v_add_co_ci_u32_e64 v5, s1, s11, v1, s1
	s_waitcnt lgkmcnt(0)
	v_add_co_u32 v2, s1, s2, v0
	s_delay_alu instid0(VALU_DEP_1) | instskip(SKIP_1) | instid1(SALU_CYCLE_1)
	v_add_co_ci_u32_e64 v3, s1, s3, v1, s1
	s_and_b32 s2, vcc_lo, s0
	s_and_saveexec_b32 s1, s2
	s_cbranch_execz .LBB575_2
; %bb.1:
	global_load_u16 v8, v[4:5], off
	global_load_u16 v9, v[2:3], off
	s_waitcnt vmcnt(1)
	v_cvt_f32_f16_e32 v8, v8
	s_waitcnt vmcnt(0)
	v_cvt_f32_f16_e32 v9, v9
.LBB575_2:
	s_or_b32 exec_lo, exec_lo, s1
	v_cmp_lt_i32_e64 s1, 1, v6
	v_mov_b32_e32 v10, 0
	s_mov_b32 s7, 0
	s_delay_alu instid0(VALU_DEP_2) | instskip(NEXT) | instid1(SALU_CYCLE_1)
	s_and_b32 s1, vcc_lo, s1
	s_and_saveexec_b32 s2, s1
	s_cbranch_execz .LBB575_4
; %bb.3:
	s_lshl_b64 s[4:5], s[6:7], 1
	s_delay_alu instid0(SALU_CYCLE_1) | instskip(NEXT) | instid1(VALU_DEP_1)
	v_add_co_u32 v4, s1, v4, s4
	v_add_co_ci_u32_e64 v5, s1, s5, v5, s1
	v_add_co_u32 v2, s1, v2, s4
	s_delay_alu instid0(VALU_DEP_1)
	v_add_co_ci_u32_e64 v3, s1, s5, v3, s1
	global_load_u16 v4, v[4:5], off
	global_load_u16 v2, v[2:3], off
	s_waitcnt vmcnt(1)
	v_cvt_f32_f16_e32 v7, v4
	s_waitcnt vmcnt(0)
	v_cvt_f32_f16_e32 v10, v2
.LBB575_4:
	s_or_b32 exec_lo, exec_lo, s2
	v_mbcnt_lo_u32_b32 v2, -1, 0
	v_add_f32_e32 v5, 0, v8
	v_add_f32_e32 v11, 0, v7
	s_delay_alu instid0(VALU_DEP_3) | instskip(SKIP_1) | instid1(VALU_DEP_2)
	v_and_b32_e32 v3, 28, v2
	v_xor_b32_e32 v4, 2, v2
	v_add_nc_u32_e32 v3, 4, v3
	s_delay_alu instid0(VALU_DEP_1) | instskip(NEXT) | instid1(VALU_DEP_1)
	v_cmp_lt_i32_e64 s1, v4, v3
	v_cndmask_b32_e64 v4, v2, v4, s1
	s_delay_alu instid0(VALU_DEP_1) | instskip(SKIP_3) | instid1(VALU_DEP_1)
	v_lshlrev_b32_e32 v4, 2, v4
	ds_bpermute_b32 v12, v4, v5
	ds_bpermute_b32 v13, v4, v11
	v_xor_b32_e32 v4, 1, v2
	v_cmp_lt_i32_e64 s1, v4, v3
	s_delay_alu instid0(VALU_DEP_1) | instskip(SKIP_1) | instid1(VALU_DEP_1)
	v_cndmask_b32_e64 v2, v2, v4, s1
	s_waitcnt lgkmcnt(1)
	v_dual_add_f32 v4, v5, v12 :: v_dual_lshlrev_b32 v3, 2, v2
	s_waitcnt lgkmcnt(0)
	v_add_f32_e32 v2, v11, v13
	ds_bpermute_b32 v5, v3, v4
	ds_bpermute_b32 v3, v3, v2
	s_and_saveexec_b32 s1, s0
	s_cbranch_execz .LBB575_10
; %bb.5:
	v_add_co_u32 v0, s0, s8, v0
	s_delay_alu instid0(VALU_DEP_1)
	v_add_co_ci_u32_e64 v1, s0, s9, v1, s0
	s_and_saveexec_b32 s0, vcc_lo
	s_cbranch_execz .LBB575_7
; %bb.6:
	s_waitcnt lgkmcnt(1)
	v_add_f32_e32 v4, v4, v5
	s_delay_alu instid0(VALU_DEP_1)
	v_fma_mixlo_f16 v4, -v4, v9, v8
	global_store_b16 v[0:1], v4, off
.LBB575_7:
	s_or_b32 exec_lo, exec_lo, s0
	v_cmp_ne_u32_e64 s0, 1, v6
	s_delay_alu instid0(VALU_DEP_1)
	s_and_b32 exec_lo, exec_lo, s0
	s_cbranch_execz .LBB575_10
; %bb.8:
	s_and_b32 exec_lo, exec_lo, vcc_lo
	s_cbranch_execz .LBB575_10
; %bb.9:
	s_waitcnt lgkmcnt(0)
	v_add_f32_e32 v2, v2, v3
	s_lshl_b64 s[0:1], s[6:7], 1
	s_delay_alu instid0(SALU_CYCLE_1) | instskip(NEXT) | instid1(VALU_DEP_2)
	v_add_co_u32 v0, vcc_lo, v0, s0
	v_fma_mixlo_f16 v2, -v2, v10, v7
	v_add_co_ci_u32_e32 v1, vcc_lo, s1, v1, vcc_lo
	global_store_b16 v[0:1], v2, off
.LBB575_10:
	s_nop 0
	s_sendmsg sendmsg(MSG_DEALLOC_VGPRS)
	s_endpgm
	.section	.rodata,"a",@progbits
	.p2align	6, 0x0
	.amdhsa_kernel _ZN12_GLOBAL__N_121softmax_warp_backwardIN3c104HalfES2_fLi2ELb0ELb0ELi32EEEvPT0_PKT_S7_iiiPKb
		.amdhsa_group_segment_fixed_size 0
		.amdhsa_private_segment_fixed_size 0
		.amdhsa_kernarg_size 304
		.amdhsa_user_sgpr_count 15
		.amdhsa_user_sgpr_dispatch_ptr 0
		.amdhsa_user_sgpr_queue_ptr 0
		.amdhsa_user_sgpr_kernarg_segment_ptr 1
		.amdhsa_user_sgpr_dispatch_id 0
		.amdhsa_user_sgpr_private_segment_size 0
		.amdhsa_wavefront_size32 1
		.amdhsa_uses_dynamic_stack 0
		.amdhsa_enable_private_segment 0
		.amdhsa_system_sgpr_workgroup_id_x 1
		.amdhsa_system_sgpr_workgroup_id_y 0
		.amdhsa_system_sgpr_workgroup_id_z 0
		.amdhsa_system_sgpr_workgroup_info 0
		.amdhsa_system_vgpr_workitem_id 1
		.amdhsa_next_free_vgpr 14
		.amdhsa_next_free_sgpr 16
		.amdhsa_reserve_vcc 1
		.amdhsa_float_round_mode_32 0
		.amdhsa_float_round_mode_16_64 0
		.amdhsa_float_denorm_mode_32 3
		.amdhsa_float_denorm_mode_16_64 3
		.amdhsa_dx10_clamp 1
		.amdhsa_ieee_mode 1
		.amdhsa_fp16_overflow 0
		.amdhsa_workgroup_processor_mode 1
		.amdhsa_memory_ordered 1
		.amdhsa_forward_progress 0
		.amdhsa_shared_vgpr_count 0
		.amdhsa_exception_fp_ieee_invalid_op 0
		.amdhsa_exception_fp_denorm_src 0
		.amdhsa_exception_fp_ieee_div_zero 0
		.amdhsa_exception_fp_ieee_overflow 0
		.amdhsa_exception_fp_ieee_underflow 0
		.amdhsa_exception_fp_ieee_inexact 0
		.amdhsa_exception_int_div_zero 0
	.end_amdhsa_kernel
	.section	.text._ZN12_GLOBAL__N_121softmax_warp_backwardIN3c104HalfES2_fLi2ELb0ELb0ELi32EEEvPT0_PKT_S7_iiiPKb,"axG",@progbits,_ZN12_GLOBAL__N_121softmax_warp_backwardIN3c104HalfES2_fLi2ELb0ELb0ELi32EEEvPT0_PKT_S7_iiiPKb,comdat
.Lfunc_end575:
	.size	_ZN12_GLOBAL__N_121softmax_warp_backwardIN3c104HalfES2_fLi2ELb0ELb0ELi32EEEvPT0_PKT_S7_iiiPKb, .Lfunc_end575-_ZN12_GLOBAL__N_121softmax_warp_backwardIN3c104HalfES2_fLi2ELb0ELb0ELi32EEEvPT0_PKT_S7_iiiPKb
                                        ; -- End function
	.section	.AMDGPU.csdata,"",@progbits
; Kernel info:
; codeLenInByte = 616
; NumSgprs: 18
; NumVgprs: 14
; ScratchSize: 0
; MemoryBound: 0
; FloatMode: 240
; IeeeMode: 1
; LDSByteSize: 0 bytes/workgroup (compile time only)
; SGPRBlocks: 2
; VGPRBlocks: 1
; NumSGPRsForWavesPerEU: 18
; NumVGPRsForWavesPerEU: 14
; Occupancy: 16
; WaveLimiterHint : 0
; COMPUTE_PGM_RSRC2:SCRATCH_EN: 0
; COMPUTE_PGM_RSRC2:USER_SGPR: 15
; COMPUTE_PGM_RSRC2:TRAP_HANDLER: 0
; COMPUTE_PGM_RSRC2:TGID_X_EN: 1
; COMPUTE_PGM_RSRC2:TGID_Y_EN: 0
; COMPUTE_PGM_RSRC2:TGID_Z_EN: 0
; COMPUTE_PGM_RSRC2:TIDIG_COMP_CNT: 1
	.section	.text._ZN12_GLOBAL__N_121softmax_warp_backwardIN3c104HalfES2_fLi3ELb0ELb0ELi64EEEvPT0_PKT_S7_iiiPKb,"axG",@progbits,_ZN12_GLOBAL__N_121softmax_warp_backwardIN3c104HalfES2_fLi3ELb0ELb0ELi64EEEvPT0_PKT_S7_iiiPKb,comdat
	.globl	_ZN12_GLOBAL__N_121softmax_warp_backwardIN3c104HalfES2_fLi3ELb0ELb0ELi64EEEvPT0_PKT_S7_iiiPKb ; -- Begin function _ZN12_GLOBAL__N_121softmax_warp_backwardIN3c104HalfES2_fLi3ELb0ELb0ELi64EEEvPT0_PKT_S7_iiiPKb
	.p2align	8
	.type	_ZN12_GLOBAL__N_121softmax_warp_backwardIN3c104HalfES2_fLi3ELb0ELb0ELi64EEEvPT0_PKT_S7_iiiPKb,@function
_ZN12_GLOBAL__N_121softmax_warp_backwardIN3c104HalfES2_fLi3ELb0ELb0ELi64EEEvPT0_PKT_S7_iiiPKb: ; @_ZN12_GLOBAL__N_121softmax_warp_backwardIN3c104HalfES2_fLi3ELb0ELb0ELi64EEEvPT0_PKT_S7_iiiPKb
; %bb.0:
	s_clause 0x1
	s_load_b32 s2, s[0:1], 0x3c
	s_load_b128 s[4:7], s[0:1], 0x18
	v_bfe_u32 v1, v0, 10, 10
	v_dual_mov_b32 v7, 0 :: v_dual_and_b32 v2, 7, v0
	s_load_b128 s[8:11], s[0:1], 0x0
	v_dual_mov_b32 v8, 0 :: v_dual_mov_b32 v9, 0
	s_waitcnt lgkmcnt(0)
	s_lshr_b32 s2, s2, 16
	v_cmp_gt_i32_e32 vcc_lo, s6, v2
	s_mul_i32 s15, s15, s2
	s_load_b64 s[2:3], s[0:1], 0x10
	v_add_lshl_u32 v3, s15, v1, 1
	s_delay_alu instid0(VALU_DEP_1) | instskip(SKIP_1) | instid1(VALU_DEP_1)
	v_mad_u64_u32 v[0:1], null, v3, s5, v[2:3]
	v_sub_nc_u32_e32 v6, s4, v3
	v_cmp_lt_i32_e64 s0, 0, v6
	s_delay_alu instid0(VALU_DEP_3) | instskip(NEXT) | instid1(VALU_DEP_1)
	v_ashrrev_i32_e32 v1, 31, v0
	v_lshlrev_b64 v[0:1], 1, v[0:1]
	s_delay_alu instid0(VALU_DEP_1) | instskip(NEXT) | instid1(VALU_DEP_1)
	v_add_co_u32 v4, s1, s10, v0
	v_add_co_ci_u32_e64 v5, s1, s11, v1, s1
	s_waitcnt lgkmcnt(0)
	v_add_co_u32 v2, s1, s2, v0
	s_delay_alu instid0(VALU_DEP_1) | instskip(SKIP_1) | instid1(SALU_CYCLE_1)
	v_add_co_ci_u32_e64 v3, s1, s3, v1, s1
	s_and_b32 s2, vcc_lo, s0
	s_and_saveexec_b32 s1, s2
	s_cbranch_execz .LBB576_2
; %bb.1:
	global_load_u16 v8, v[4:5], off
	global_load_u16 v9, v[2:3], off
	s_waitcnt vmcnt(1)
	v_cvt_f32_f16_e32 v8, v8
	s_waitcnt vmcnt(0)
	v_cvt_f32_f16_e32 v9, v9
.LBB576_2:
	s_or_b32 exec_lo, exec_lo, s1
	v_cmp_lt_i32_e64 s1, 1, v6
	v_mov_b32_e32 v10, 0
	s_mov_b32 s7, 0
	s_delay_alu instid0(VALU_DEP_2) | instskip(NEXT) | instid1(SALU_CYCLE_1)
	s_and_b32 s1, vcc_lo, s1
	s_and_saveexec_b32 s2, s1
	s_cbranch_execz .LBB576_4
; %bb.3:
	s_lshl_b64 s[4:5], s[6:7], 1
	s_delay_alu instid0(SALU_CYCLE_1) | instskip(NEXT) | instid1(VALU_DEP_1)
	v_add_co_u32 v4, s1, v4, s4
	v_add_co_ci_u32_e64 v5, s1, s5, v5, s1
	v_add_co_u32 v2, s1, v2, s4
	s_delay_alu instid0(VALU_DEP_1)
	v_add_co_ci_u32_e64 v3, s1, s5, v3, s1
	global_load_u16 v4, v[4:5], off
	global_load_u16 v2, v[2:3], off
	s_waitcnt vmcnt(1)
	v_cvt_f32_f16_e32 v7, v4
	s_waitcnt vmcnt(0)
	v_cvt_f32_f16_e32 v10, v2
.LBB576_4:
	s_or_b32 exec_lo, exec_lo, s2
	v_mbcnt_lo_u32_b32 v2, -1, 0
	v_add_f32_e32 v5, 0, v8
	v_add_f32_e32 v11, 0, v7
	s_delay_alu instid0(VALU_DEP_3) | instskip(SKIP_2) | instid1(VALU_DEP_3)
	v_and_b32_e32 v3, 24, v2
	v_xor_b32_e32 v4, 4, v2
	v_xor_b32_e32 v13, 2, v2
	v_add_nc_u32_e32 v3, 8, v3
	s_delay_alu instid0(VALU_DEP_1) | instskip(NEXT) | instid1(VALU_DEP_1)
	v_cmp_lt_i32_e64 s1, v4, v3
	v_cndmask_b32_e64 v4, v2, v4, s1
	s_delay_alu instid0(VALU_DEP_4) | instskip(NEXT) | instid1(VALU_DEP_2)
	v_cmp_lt_i32_e64 s1, v13, v3
	v_lshlrev_b32_e32 v4, 2, v4
	s_delay_alu instid0(VALU_DEP_2)
	v_cndmask_b32_e64 v13, v2, v13, s1
	ds_bpermute_b32 v12, v4, v5
	ds_bpermute_b32 v4, v4, v11
	v_lshlrev_b32_e32 v13, 2, v13
	s_waitcnt lgkmcnt(1)
	v_add_f32_e32 v5, v5, v12
	s_waitcnt lgkmcnt(0)
	v_add_f32_e32 v11, v11, v4
	ds_bpermute_b32 v4, v13, v5
	ds_bpermute_b32 v12, v13, v11
	v_xor_b32_e32 v13, 1, v2
	s_delay_alu instid0(VALU_DEP_1) | instskip(NEXT) | instid1(VALU_DEP_1)
	v_cmp_lt_i32_e64 s1, v13, v3
	v_cndmask_b32_e64 v2, v2, v13, s1
	s_waitcnt lgkmcnt(1)
	s_delay_alu instid0(VALU_DEP_1)
	v_dual_add_f32 v4, v5, v4 :: v_dual_lshlrev_b32 v3, 2, v2
	s_waitcnt lgkmcnt(0)
	v_add_f32_e32 v2, v11, v12
	ds_bpermute_b32 v5, v3, v4
	ds_bpermute_b32 v3, v3, v2
	s_and_saveexec_b32 s1, s0
	s_cbranch_execz .LBB576_10
; %bb.5:
	v_add_co_u32 v0, s0, s8, v0
	s_delay_alu instid0(VALU_DEP_1)
	v_add_co_ci_u32_e64 v1, s0, s9, v1, s0
	s_and_saveexec_b32 s0, vcc_lo
	s_cbranch_execz .LBB576_7
; %bb.6:
	s_waitcnt lgkmcnt(1)
	v_add_f32_e32 v4, v4, v5
	s_delay_alu instid0(VALU_DEP_1)
	v_fma_mixlo_f16 v4, -v4, v9, v8
	global_store_b16 v[0:1], v4, off
.LBB576_7:
	s_or_b32 exec_lo, exec_lo, s0
	v_cmp_ne_u32_e64 s0, 1, v6
	s_delay_alu instid0(VALU_DEP_1)
	s_and_b32 exec_lo, exec_lo, s0
	s_cbranch_execz .LBB576_10
; %bb.8:
	s_and_b32 exec_lo, exec_lo, vcc_lo
	s_cbranch_execz .LBB576_10
; %bb.9:
	s_waitcnt lgkmcnt(0)
	v_add_f32_e32 v2, v2, v3
	s_lshl_b64 s[0:1], s[6:7], 1
	s_delay_alu instid0(SALU_CYCLE_1) | instskip(NEXT) | instid1(VALU_DEP_2)
	v_add_co_u32 v0, vcc_lo, v0, s0
	v_fma_mixlo_f16 v2, -v2, v10, v7
	v_add_co_ci_u32_e32 v1, vcc_lo, s1, v1, vcc_lo
	global_store_b16 v[0:1], v2, off
.LBB576_10:
	s_nop 0
	s_sendmsg sendmsg(MSG_DEALLOC_VGPRS)
	s_endpgm
	.section	.rodata,"a",@progbits
	.p2align	6, 0x0
	.amdhsa_kernel _ZN12_GLOBAL__N_121softmax_warp_backwardIN3c104HalfES2_fLi3ELb0ELb0ELi64EEEvPT0_PKT_S7_iiiPKb
		.amdhsa_group_segment_fixed_size 0
		.amdhsa_private_segment_fixed_size 0
		.amdhsa_kernarg_size 304
		.amdhsa_user_sgpr_count 15
		.amdhsa_user_sgpr_dispatch_ptr 0
		.amdhsa_user_sgpr_queue_ptr 0
		.amdhsa_user_sgpr_kernarg_segment_ptr 1
		.amdhsa_user_sgpr_dispatch_id 0
		.amdhsa_user_sgpr_private_segment_size 0
		.amdhsa_wavefront_size32 1
		.amdhsa_uses_dynamic_stack 0
		.amdhsa_enable_private_segment 0
		.amdhsa_system_sgpr_workgroup_id_x 1
		.amdhsa_system_sgpr_workgroup_id_y 0
		.amdhsa_system_sgpr_workgroup_id_z 0
		.amdhsa_system_sgpr_workgroup_info 0
		.amdhsa_system_vgpr_workitem_id 1
		.amdhsa_next_free_vgpr 14
		.amdhsa_next_free_sgpr 16
		.amdhsa_reserve_vcc 1
		.amdhsa_float_round_mode_32 0
		.amdhsa_float_round_mode_16_64 0
		.amdhsa_float_denorm_mode_32 3
		.amdhsa_float_denorm_mode_16_64 3
		.amdhsa_dx10_clamp 1
		.amdhsa_ieee_mode 1
		.amdhsa_fp16_overflow 0
		.amdhsa_workgroup_processor_mode 1
		.amdhsa_memory_ordered 1
		.amdhsa_forward_progress 0
		.amdhsa_shared_vgpr_count 0
		.amdhsa_exception_fp_ieee_invalid_op 0
		.amdhsa_exception_fp_denorm_src 0
		.amdhsa_exception_fp_ieee_div_zero 0
		.amdhsa_exception_fp_ieee_overflow 0
		.amdhsa_exception_fp_ieee_underflow 0
		.amdhsa_exception_fp_ieee_inexact 0
		.amdhsa_exception_int_div_zero 0
	.end_amdhsa_kernel
	.section	.text._ZN12_GLOBAL__N_121softmax_warp_backwardIN3c104HalfES2_fLi3ELb0ELb0ELi64EEEvPT0_PKT_S7_iiiPKb,"axG",@progbits,_ZN12_GLOBAL__N_121softmax_warp_backwardIN3c104HalfES2_fLi3ELb0ELb0ELi64EEEvPT0_PKT_S7_iiiPKb,comdat
.Lfunc_end576:
	.size	_ZN12_GLOBAL__N_121softmax_warp_backwardIN3c104HalfES2_fLi3ELb0ELb0ELi64EEEvPT0_PKT_S7_iiiPKb, .Lfunc_end576-_ZN12_GLOBAL__N_121softmax_warp_backwardIN3c104HalfES2_fLi3ELb0ELb0ELi64EEEvPT0_PKT_S7_iiiPKb
                                        ; -- End function
	.section	.AMDGPU.csdata,"",@progbits
; Kernel info:
; codeLenInByte = 680
; NumSgprs: 18
; NumVgprs: 14
; ScratchSize: 0
; MemoryBound: 0
; FloatMode: 240
; IeeeMode: 1
; LDSByteSize: 0 bytes/workgroup (compile time only)
; SGPRBlocks: 2
; VGPRBlocks: 1
; NumSGPRsForWavesPerEU: 18
; NumVGPRsForWavesPerEU: 14
; Occupancy: 16
; WaveLimiterHint : 0
; COMPUTE_PGM_RSRC2:SCRATCH_EN: 0
; COMPUTE_PGM_RSRC2:USER_SGPR: 15
; COMPUTE_PGM_RSRC2:TRAP_HANDLER: 0
; COMPUTE_PGM_RSRC2:TGID_X_EN: 1
; COMPUTE_PGM_RSRC2:TGID_Y_EN: 0
; COMPUTE_PGM_RSRC2:TGID_Z_EN: 0
; COMPUTE_PGM_RSRC2:TIDIG_COMP_CNT: 1
	.section	.text._ZN12_GLOBAL__N_121softmax_warp_backwardIN3c104HalfES2_fLi3ELb0ELb0ELi32EEEvPT0_PKT_S7_iiiPKb,"axG",@progbits,_ZN12_GLOBAL__N_121softmax_warp_backwardIN3c104HalfES2_fLi3ELb0ELb0ELi32EEEvPT0_PKT_S7_iiiPKb,comdat
	.globl	_ZN12_GLOBAL__N_121softmax_warp_backwardIN3c104HalfES2_fLi3ELb0ELb0ELi32EEEvPT0_PKT_S7_iiiPKb ; -- Begin function _ZN12_GLOBAL__N_121softmax_warp_backwardIN3c104HalfES2_fLi3ELb0ELb0ELi32EEEvPT0_PKT_S7_iiiPKb
	.p2align	8
	.type	_ZN12_GLOBAL__N_121softmax_warp_backwardIN3c104HalfES2_fLi3ELb0ELb0ELi32EEEvPT0_PKT_S7_iiiPKb,@function
_ZN12_GLOBAL__N_121softmax_warp_backwardIN3c104HalfES2_fLi3ELb0ELb0ELi32EEEvPT0_PKT_S7_iiiPKb: ; @_ZN12_GLOBAL__N_121softmax_warp_backwardIN3c104HalfES2_fLi3ELb0ELb0ELi32EEEvPT0_PKT_S7_iiiPKb
; %bb.0:
	s_clause 0x1
	s_load_b32 s2, s[0:1], 0x3c
	s_load_b128 s[4:7], s[0:1], 0x18
	v_bfe_u32 v1, v0, 10, 10
	v_dual_mov_b32 v7, 0 :: v_dual_and_b32 v2, 7, v0
	s_load_b128 s[8:11], s[0:1], 0x0
	v_dual_mov_b32 v8, 0 :: v_dual_mov_b32 v9, 0
	s_waitcnt lgkmcnt(0)
	s_lshr_b32 s2, s2, 16
	v_cmp_gt_i32_e32 vcc_lo, s6, v2
	s_mul_i32 s15, s15, s2
	s_load_b64 s[2:3], s[0:1], 0x10
	v_add_lshl_u32 v3, s15, v1, 1
	s_delay_alu instid0(VALU_DEP_1) | instskip(SKIP_1) | instid1(VALU_DEP_1)
	v_mad_u64_u32 v[0:1], null, v3, s5, v[2:3]
	v_sub_nc_u32_e32 v6, s4, v3
	v_cmp_lt_i32_e64 s0, 0, v6
	s_delay_alu instid0(VALU_DEP_3) | instskip(NEXT) | instid1(VALU_DEP_1)
	v_ashrrev_i32_e32 v1, 31, v0
	v_lshlrev_b64 v[0:1], 1, v[0:1]
	s_delay_alu instid0(VALU_DEP_1) | instskip(NEXT) | instid1(VALU_DEP_1)
	v_add_co_u32 v4, s1, s10, v0
	v_add_co_ci_u32_e64 v5, s1, s11, v1, s1
	s_waitcnt lgkmcnt(0)
	v_add_co_u32 v2, s1, s2, v0
	s_delay_alu instid0(VALU_DEP_1) | instskip(SKIP_1) | instid1(SALU_CYCLE_1)
	v_add_co_ci_u32_e64 v3, s1, s3, v1, s1
	s_and_b32 s2, vcc_lo, s0
	s_and_saveexec_b32 s1, s2
	s_cbranch_execz .LBB577_2
; %bb.1:
	global_load_u16 v8, v[4:5], off
	global_load_u16 v9, v[2:3], off
	s_waitcnt vmcnt(1)
	v_cvt_f32_f16_e32 v8, v8
	s_waitcnt vmcnt(0)
	v_cvt_f32_f16_e32 v9, v9
.LBB577_2:
	s_or_b32 exec_lo, exec_lo, s1
	v_cmp_lt_i32_e64 s1, 1, v6
	v_mov_b32_e32 v10, 0
	s_mov_b32 s7, 0
	s_delay_alu instid0(VALU_DEP_2) | instskip(NEXT) | instid1(SALU_CYCLE_1)
	s_and_b32 s1, vcc_lo, s1
	s_and_saveexec_b32 s2, s1
	s_cbranch_execz .LBB577_4
; %bb.3:
	s_lshl_b64 s[4:5], s[6:7], 1
	s_delay_alu instid0(SALU_CYCLE_1) | instskip(NEXT) | instid1(VALU_DEP_1)
	v_add_co_u32 v4, s1, v4, s4
	v_add_co_ci_u32_e64 v5, s1, s5, v5, s1
	v_add_co_u32 v2, s1, v2, s4
	s_delay_alu instid0(VALU_DEP_1)
	v_add_co_ci_u32_e64 v3, s1, s5, v3, s1
	global_load_u16 v4, v[4:5], off
	global_load_u16 v2, v[2:3], off
	s_waitcnt vmcnt(1)
	v_cvt_f32_f16_e32 v7, v4
	s_waitcnt vmcnt(0)
	v_cvt_f32_f16_e32 v10, v2
.LBB577_4:
	s_or_b32 exec_lo, exec_lo, s2
	v_mbcnt_lo_u32_b32 v2, -1, 0
	v_add_f32_e32 v5, 0, v8
	v_add_f32_e32 v11, 0, v7
	s_delay_alu instid0(VALU_DEP_3) | instskip(SKIP_2) | instid1(VALU_DEP_3)
	v_and_b32_e32 v3, 24, v2
	v_xor_b32_e32 v4, 4, v2
	v_xor_b32_e32 v13, 2, v2
	v_add_nc_u32_e32 v3, 8, v3
	s_delay_alu instid0(VALU_DEP_1) | instskip(NEXT) | instid1(VALU_DEP_1)
	v_cmp_lt_i32_e64 s1, v4, v3
	v_cndmask_b32_e64 v4, v2, v4, s1
	s_delay_alu instid0(VALU_DEP_4) | instskip(NEXT) | instid1(VALU_DEP_2)
	v_cmp_lt_i32_e64 s1, v13, v3
	v_lshlrev_b32_e32 v4, 2, v4
	s_delay_alu instid0(VALU_DEP_2)
	v_cndmask_b32_e64 v13, v2, v13, s1
	ds_bpermute_b32 v12, v4, v5
	ds_bpermute_b32 v4, v4, v11
	v_lshlrev_b32_e32 v13, 2, v13
	s_waitcnt lgkmcnt(1)
	v_add_f32_e32 v5, v5, v12
	s_waitcnt lgkmcnt(0)
	v_add_f32_e32 v11, v11, v4
	ds_bpermute_b32 v4, v13, v5
	ds_bpermute_b32 v12, v13, v11
	v_xor_b32_e32 v13, 1, v2
	s_delay_alu instid0(VALU_DEP_1) | instskip(NEXT) | instid1(VALU_DEP_1)
	v_cmp_lt_i32_e64 s1, v13, v3
	v_cndmask_b32_e64 v2, v2, v13, s1
	s_waitcnt lgkmcnt(1)
	s_delay_alu instid0(VALU_DEP_1)
	v_dual_add_f32 v4, v5, v4 :: v_dual_lshlrev_b32 v3, 2, v2
	s_waitcnt lgkmcnt(0)
	v_add_f32_e32 v2, v11, v12
	ds_bpermute_b32 v5, v3, v4
	ds_bpermute_b32 v3, v3, v2
	s_and_saveexec_b32 s1, s0
	s_cbranch_execz .LBB577_10
; %bb.5:
	v_add_co_u32 v0, s0, s8, v0
	s_delay_alu instid0(VALU_DEP_1)
	v_add_co_ci_u32_e64 v1, s0, s9, v1, s0
	s_and_saveexec_b32 s0, vcc_lo
	s_cbranch_execz .LBB577_7
; %bb.6:
	s_waitcnt lgkmcnt(1)
	v_add_f32_e32 v4, v4, v5
	s_delay_alu instid0(VALU_DEP_1)
	v_fma_mixlo_f16 v4, -v4, v9, v8
	global_store_b16 v[0:1], v4, off
.LBB577_7:
	s_or_b32 exec_lo, exec_lo, s0
	v_cmp_ne_u32_e64 s0, 1, v6
	s_delay_alu instid0(VALU_DEP_1)
	s_and_b32 exec_lo, exec_lo, s0
	s_cbranch_execz .LBB577_10
; %bb.8:
	s_and_b32 exec_lo, exec_lo, vcc_lo
	s_cbranch_execz .LBB577_10
; %bb.9:
	s_waitcnt lgkmcnt(0)
	v_add_f32_e32 v2, v2, v3
	s_lshl_b64 s[0:1], s[6:7], 1
	s_delay_alu instid0(SALU_CYCLE_1) | instskip(NEXT) | instid1(VALU_DEP_2)
	v_add_co_u32 v0, vcc_lo, v0, s0
	v_fma_mixlo_f16 v2, -v2, v10, v7
	v_add_co_ci_u32_e32 v1, vcc_lo, s1, v1, vcc_lo
	global_store_b16 v[0:1], v2, off
.LBB577_10:
	s_nop 0
	s_sendmsg sendmsg(MSG_DEALLOC_VGPRS)
	s_endpgm
	.section	.rodata,"a",@progbits
	.p2align	6, 0x0
	.amdhsa_kernel _ZN12_GLOBAL__N_121softmax_warp_backwardIN3c104HalfES2_fLi3ELb0ELb0ELi32EEEvPT0_PKT_S7_iiiPKb
		.amdhsa_group_segment_fixed_size 0
		.amdhsa_private_segment_fixed_size 0
		.amdhsa_kernarg_size 304
		.amdhsa_user_sgpr_count 15
		.amdhsa_user_sgpr_dispatch_ptr 0
		.amdhsa_user_sgpr_queue_ptr 0
		.amdhsa_user_sgpr_kernarg_segment_ptr 1
		.amdhsa_user_sgpr_dispatch_id 0
		.amdhsa_user_sgpr_private_segment_size 0
		.amdhsa_wavefront_size32 1
		.amdhsa_uses_dynamic_stack 0
		.amdhsa_enable_private_segment 0
		.amdhsa_system_sgpr_workgroup_id_x 1
		.amdhsa_system_sgpr_workgroup_id_y 0
		.amdhsa_system_sgpr_workgroup_id_z 0
		.amdhsa_system_sgpr_workgroup_info 0
		.amdhsa_system_vgpr_workitem_id 1
		.amdhsa_next_free_vgpr 14
		.amdhsa_next_free_sgpr 16
		.amdhsa_reserve_vcc 1
		.amdhsa_float_round_mode_32 0
		.amdhsa_float_round_mode_16_64 0
		.amdhsa_float_denorm_mode_32 3
		.amdhsa_float_denorm_mode_16_64 3
		.amdhsa_dx10_clamp 1
		.amdhsa_ieee_mode 1
		.amdhsa_fp16_overflow 0
		.amdhsa_workgroup_processor_mode 1
		.amdhsa_memory_ordered 1
		.amdhsa_forward_progress 0
		.amdhsa_shared_vgpr_count 0
		.amdhsa_exception_fp_ieee_invalid_op 0
		.amdhsa_exception_fp_denorm_src 0
		.amdhsa_exception_fp_ieee_div_zero 0
		.amdhsa_exception_fp_ieee_overflow 0
		.amdhsa_exception_fp_ieee_underflow 0
		.amdhsa_exception_fp_ieee_inexact 0
		.amdhsa_exception_int_div_zero 0
	.end_amdhsa_kernel
	.section	.text._ZN12_GLOBAL__N_121softmax_warp_backwardIN3c104HalfES2_fLi3ELb0ELb0ELi32EEEvPT0_PKT_S7_iiiPKb,"axG",@progbits,_ZN12_GLOBAL__N_121softmax_warp_backwardIN3c104HalfES2_fLi3ELb0ELb0ELi32EEEvPT0_PKT_S7_iiiPKb,comdat
.Lfunc_end577:
	.size	_ZN12_GLOBAL__N_121softmax_warp_backwardIN3c104HalfES2_fLi3ELb0ELb0ELi32EEEvPT0_PKT_S7_iiiPKb, .Lfunc_end577-_ZN12_GLOBAL__N_121softmax_warp_backwardIN3c104HalfES2_fLi3ELb0ELb0ELi32EEEvPT0_PKT_S7_iiiPKb
                                        ; -- End function
	.section	.AMDGPU.csdata,"",@progbits
; Kernel info:
; codeLenInByte = 680
; NumSgprs: 18
; NumVgprs: 14
; ScratchSize: 0
; MemoryBound: 0
; FloatMode: 240
; IeeeMode: 1
; LDSByteSize: 0 bytes/workgroup (compile time only)
; SGPRBlocks: 2
; VGPRBlocks: 1
; NumSGPRsForWavesPerEU: 18
; NumVGPRsForWavesPerEU: 14
; Occupancy: 16
; WaveLimiterHint : 0
; COMPUTE_PGM_RSRC2:SCRATCH_EN: 0
; COMPUTE_PGM_RSRC2:USER_SGPR: 15
; COMPUTE_PGM_RSRC2:TRAP_HANDLER: 0
; COMPUTE_PGM_RSRC2:TGID_X_EN: 1
; COMPUTE_PGM_RSRC2:TGID_Y_EN: 0
; COMPUTE_PGM_RSRC2:TGID_Z_EN: 0
; COMPUTE_PGM_RSRC2:TIDIG_COMP_CNT: 1
	.section	.text._ZN12_GLOBAL__N_121softmax_warp_backwardIN3c104HalfES2_fLi4ELb0ELb0ELi64EEEvPT0_PKT_S7_iiiPKb,"axG",@progbits,_ZN12_GLOBAL__N_121softmax_warp_backwardIN3c104HalfES2_fLi4ELb0ELb0ELi64EEEvPT0_PKT_S7_iiiPKb,comdat
	.globl	_ZN12_GLOBAL__N_121softmax_warp_backwardIN3c104HalfES2_fLi4ELb0ELb0ELi64EEEvPT0_PKT_S7_iiiPKb ; -- Begin function _ZN12_GLOBAL__N_121softmax_warp_backwardIN3c104HalfES2_fLi4ELb0ELb0ELi64EEEvPT0_PKT_S7_iiiPKb
	.p2align	8
	.type	_ZN12_GLOBAL__N_121softmax_warp_backwardIN3c104HalfES2_fLi4ELb0ELb0ELi64EEEvPT0_PKT_S7_iiiPKb,@function
_ZN12_GLOBAL__N_121softmax_warp_backwardIN3c104HalfES2_fLi4ELb0ELb0ELi64EEEvPT0_PKT_S7_iiiPKb: ; @_ZN12_GLOBAL__N_121softmax_warp_backwardIN3c104HalfES2_fLi4ELb0ELb0ELi64EEEvPT0_PKT_S7_iiiPKb
; %bb.0:
	s_clause 0x1
	s_load_b32 s2, s[0:1], 0x3c
	s_load_b128 s[4:7], s[0:1], 0x18
	v_bfe_u32 v1, v0, 10, 10
	v_dual_mov_b32 v7, 0 :: v_dual_and_b32 v2, 15, v0
	s_load_b128 s[8:11], s[0:1], 0x0
	v_dual_mov_b32 v8, 0 :: v_dual_mov_b32 v9, 0
	s_waitcnt lgkmcnt(0)
	s_lshr_b32 s2, s2, 16
	v_cmp_gt_i32_e32 vcc_lo, s6, v2
	s_mul_i32 s15, s15, s2
	s_load_b64 s[2:3], s[0:1], 0x10
	v_add_lshl_u32 v3, s15, v1, 1
	s_delay_alu instid0(VALU_DEP_1) | instskip(SKIP_1) | instid1(VALU_DEP_1)
	v_mad_u64_u32 v[0:1], null, v3, s5, v[2:3]
	v_sub_nc_u32_e32 v6, s4, v3
	v_cmp_lt_i32_e64 s0, 0, v6
	s_delay_alu instid0(VALU_DEP_3) | instskip(NEXT) | instid1(VALU_DEP_1)
	v_ashrrev_i32_e32 v1, 31, v0
	v_lshlrev_b64 v[0:1], 1, v[0:1]
	s_delay_alu instid0(VALU_DEP_1) | instskip(NEXT) | instid1(VALU_DEP_1)
	v_add_co_u32 v4, s1, s10, v0
	v_add_co_ci_u32_e64 v5, s1, s11, v1, s1
	s_waitcnt lgkmcnt(0)
	v_add_co_u32 v2, s1, s2, v0
	s_delay_alu instid0(VALU_DEP_1) | instskip(SKIP_1) | instid1(SALU_CYCLE_1)
	v_add_co_ci_u32_e64 v3, s1, s3, v1, s1
	s_and_b32 s2, vcc_lo, s0
	s_and_saveexec_b32 s1, s2
	s_cbranch_execz .LBB578_2
; %bb.1:
	global_load_u16 v8, v[4:5], off
	global_load_u16 v9, v[2:3], off
	s_waitcnt vmcnt(1)
	v_cvt_f32_f16_e32 v8, v8
	s_waitcnt vmcnt(0)
	v_cvt_f32_f16_e32 v9, v9
.LBB578_2:
	s_or_b32 exec_lo, exec_lo, s1
	v_cmp_lt_i32_e64 s1, 1, v6
	v_mov_b32_e32 v10, 0
	s_mov_b32 s7, 0
	s_delay_alu instid0(VALU_DEP_2) | instskip(NEXT) | instid1(SALU_CYCLE_1)
	s_and_b32 s1, vcc_lo, s1
	s_and_saveexec_b32 s2, s1
	s_cbranch_execz .LBB578_4
; %bb.3:
	s_lshl_b64 s[4:5], s[6:7], 1
	s_delay_alu instid0(SALU_CYCLE_1) | instskip(NEXT) | instid1(VALU_DEP_1)
	v_add_co_u32 v4, s1, v4, s4
	v_add_co_ci_u32_e64 v5, s1, s5, v5, s1
	v_add_co_u32 v2, s1, v2, s4
	s_delay_alu instid0(VALU_DEP_1)
	v_add_co_ci_u32_e64 v3, s1, s5, v3, s1
	global_load_u16 v4, v[4:5], off
	global_load_u16 v2, v[2:3], off
	s_waitcnt vmcnt(1)
	v_cvt_f32_f16_e32 v7, v4
	s_waitcnt vmcnt(0)
	v_cvt_f32_f16_e32 v10, v2
.LBB578_4:
	s_or_b32 exec_lo, exec_lo, s2
	v_mbcnt_lo_u32_b32 v2, -1, 0
	v_add_f32_e32 v11, 0, v7
	v_add_f32_e32 v5, 0, v8
	s_delay_alu instid0(VALU_DEP_3) | instskip(SKIP_2) | instid1(VALU_DEP_3)
	v_and_b32_e32 v3, 16, v2
	v_xor_b32_e32 v4, 8, v2
	v_xor_b32_e32 v13, 4, v2
	v_add_nc_u32_e32 v3, 16, v3
	s_delay_alu instid0(VALU_DEP_1) | instskip(NEXT) | instid1(VALU_DEP_1)
	v_cmp_lt_i32_e64 s1, v4, v3
	v_cndmask_b32_e64 v4, v2, v4, s1
	s_delay_alu instid0(VALU_DEP_4) | instskip(NEXT) | instid1(VALU_DEP_2)
	v_cmp_lt_i32_e64 s1, v13, v3
	v_lshlrev_b32_e32 v4, 2, v4
	s_delay_alu instid0(VALU_DEP_2)
	v_cndmask_b32_e64 v13, v2, v13, s1
	ds_bpermute_b32 v12, v4, v5
	ds_bpermute_b32 v4, v4, v11
	v_lshlrev_b32_e32 v13, 2, v13
	s_waitcnt lgkmcnt(1)
	v_add_f32_e32 v5, v5, v12
	s_waitcnt lgkmcnt(0)
	v_add_f32_e32 v4, v11, v4
	ds_bpermute_b32 v11, v13, v5
	ds_bpermute_b32 v12, v13, v4
	v_xor_b32_e32 v13, 2, v2
	s_delay_alu instid0(VALU_DEP_1) | instskip(NEXT) | instid1(VALU_DEP_1)
	v_cmp_lt_i32_e64 s1, v13, v3
	v_cndmask_b32_e64 v13, v2, v13, s1
	s_delay_alu instid0(VALU_DEP_1)
	v_lshlrev_b32_e32 v13, 2, v13
	s_waitcnt lgkmcnt(1)
	v_add_f32_e32 v5, v5, v11
	s_waitcnt lgkmcnt(0)
	v_add_f32_e32 v11, v4, v12
	ds_bpermute_b32 v4, v13, v5
	ds_bpermute_b32 v12, v13, v11
	v_xor_b32_e32 v13, 1, v2
	s_waitcnt lgkmcnt(1)
	v_add_f32_e32 v4, v5, v4
	s_delay_alu instid0(VALU_DEP_2) | instskip(NEXT) | instid1(VALU_DEP_1)
	v_cmp_lt_i32_e64 s1, v13, v3
	v_cndmask_b32_e64 v2, v2, v13, s1
	s_waitcnt lgkmcnt(0)
	s_delay_alu instid0(VALU_DEP_1)
	v_dual_add_f32 v2, v11, v12 :: v_dual_lshlrev_b32 v3, 2, v2
	ds_bpermute_b32 v5, v3, v4
	ds_bpermute_b32 v3, v3, v2
	s_and_saveexec_b32 s1, s0
	s_cbranch_execz .LBB578_10
; %bb.5:
	v_add_co_u32 v0, s0, s8, v0
	s_delay_alu instid0(VALU_DEP_1)
	v_add_co_ci_u32_e64 v1, s0, s9, v1, s0
	s_and_saveexec_b32 s0, vcc_lo
	s_cbranch_execz .LBB578_7
; %bb.6:
	s_waitcnt lgkmcnt(1)
	v_add_f32_e32 v4, v4, v5
	s_delay_alu instid0(VALU_DEP_1)
	v_fma_mixlo_f16 v4, -v4, v9, v8
	global_store_b16 v[0:1], v4, off
.LBB578_7:
	s_or_b32 exec_lo, exec_lo, s0
	v_cmp_ne_u32_e64 s0, 1, v6
	s_delay_alu instid0(VALU_DEP_1)
	s_and_b32 exec_lo, exec_lo, s0
	s_cbranch_execz .LBB578_10
; %bb.8:
	s_and_b32 exec_lo, exec_lo, vcc_lo
	s_cbranch_execz .LBB578_10
; %bb.9:
	s_waitcnt lgkmcnt(0)
	v_add_f32_e32 v2, v2, v3
	s_lshl_b64 s[0:1], s[6:7], 1
	s_delay_alu instid0(SALU_CYCLE_1) | instskip(NEXT) | instid1(VALU_DEP_2)
	v_add_co_u32 v0, vcc_lo, v0, s0
	v_fma_mixlo_f16 v2, -v2, v10, v7
	v_add_co_ci_u32_e32 v1, vcc_lo, s1, v1, vcc_lo
	global_store_b16 v[0:1], v2, off
.LBB578_10:
	s_nop 0
	s_sendmsg sendmsg(MSG_DEALLOC_VGPRS)
	s_endpgm
	.section	.rodata,"a",@progbits
	.p2align	6, 0x0
	.amdhsa_kernel _ZN12_GLOBAL__N_121softmax_warp_backwardIN3c104HalfES2_fLi4ELb0ELb0ELi64EEEvPT0_PKT_S7_iiiPKb
		.amdhsa_group_segment_fixed_size 0
		.amdhsa_private_segment_fixed_size 0
		.amdhsa_kernarg_size 304
		.amdhsa_user_sgpr_count 15
		.amdhsa_user_sgpr_dispatch_ptr 0
		.amdhsa_user_sgpr_queue_ptr 0
		.amdhsa_user_sgpr_kernarg_segment_ptr 1
		.amdhsa_user_sgpr_dispatch_id 0
		.amdhsa_user_sgpr_private_segment_size 0
		.amdhsa_wavefront_size32 1
		.amdhsa_uses_dynamic_stack 0
		.amdhsa_enable_private_segment 0
		.amdhsa_system_sgpr_workgroup_id_x 1
		.amdhsa_system_sgpr_workgroup_id_y 0
		.amdhsa_system_sgpr_workgroup_id_z 0
		.amdhsa_system_sgpr_workgroup_info 0
		.amdhsa_system_vgpr_workitem_id 1
		.amdhsa_next_free_vgpr 14
		.amdhsa_next_free_sgpr 16
		.amdhsa_reserve_vcc 1
		.amdhsa_float_round_mode_32 0
		.amdhsa_float_round_mode_16_64 0
		.amdhsa_float_denorm_mode_32 3
		.amdhsa_float_denorm_mode_16_64 3
		.amdhsa_dx10_clamp 1
		.amdhsa_ieee_mode 1
		.amdhsa_fp16_overflow 0
		.amdhsa_workgroup_processor_mode 1
		.amdhsa_memory_ordered 1
		.amdhsa_forward_progress 0
		.amdhsa_shared_vgpr_count 0
		.amdhsa_exception_fp_ieee_invalid_op 0
		.amdhsa_exception_fp_denorm_src 0
		.amdhsa_exception_fp_ieee_div_zero 0
		.amdhsa_exception_fp_ieee_overflow 0
		.amdhsa_exception_fp_ieee_underflow 0
		.amdhsa_exception_fp_ieee_inexact 0
		.amdhsa_exception_int_div_zero 0
	.end_amdhsa_kernel
	.section	.text._ZN12_GLOBAL__N_121softmax_warp_backwardIN3c104HalfES2_fLi4ELb0ELb0ELi64EEEvPT0_PKT_S7_iiiPKb,"axG",@progbits,_ZN12_GLOBAL__N_121softmax_warp_backwardIN3c104HalfES2_fLi4ELb0ELb0ELi64EEEvPT0_PKT_S7_iiiPKb,comdat
.Lfunc_end578:
	.size	_ZN12_GLOBAL__N_121softmax_warp_backwardIN3c104HalfES2_fLi4ELb0ELb0ELi64EEEvPT0_PKT_S7_iiiPKb, .Lfunc_end578-_ZN12_GLOBAL__N_121softmax_warp_backwardIN3c104HalfES2_fLi4ELb0ELb0ELi64EEEvPT0_PKT_S7_iiiPKb
                                        ; -- End function
	.section	.AMDGPU.csdata,"",@progbits
; Kernel info:
; codeLenInByte = 744
; NumSgprs: 18
; NumVgprs: 14
; ScratchSize: 0
; MemoryBound: 0
; FloatMode: 240
; IeeeMode: 1
; LDSByteSize: 0 bytes/workgroup (compile time only)
; SGPRBlocks: 2
; VGPRBlocks: 1
; NumSGPRsForWavesPerEU: 18
; NumVGPRsForWavesPerEU: 14
; Occupancy: 16
; WaveLimiterHint : 0
; COMPUTE_PGM_RSRC2:SCRATCH_EN: 0
; COMPUTE_PGM_RSRC2:USER_SGPR: 15
; COMPUTE_PGM_RSRC2:TRAP_HANDLER: 0
; COMPUTE_PGM_RSRC2:TGID_X_EN: 1
; COMPUTE_PGM_RSRC2:TGID_Y_EN: 0
; COMPUTE_PGM_RSRC2:TGID_Z_EN: 0
; COMPUTE_PGM_RSRC2:TIDIG_COMP_CNT: 1
	.section	.text._ZN12_GLOBAL__N_121softmax_warp_backwardIN3c104HalfES2_fLi4ELb0ELb0ELi32EEEvPT0_PKT_S7_iiiPKb,"axG",@progbits,_ZN12_GLOBAL__N_121softmax_warp_backwardIN3c104HalfES2_fLi4ELb0ELb0ELi32EEEvPT0_PKT_S7_iiiPKb,comdat
	.globl	_ZN12_GLOBAL__N_121softmax_warp_backwardIN3c104HalfES2_fLi4ELb0ELb0ELi32EEEvPT0_PKT_S7_iiiPKb ; -- Begin function _ZN12_GLOBAL__N_121softmax_warp_backwardIN3c104HalfES2_fLi4ELb0ELb0ELi32EEEvPT0_PKT_S7_iiiPKb
	.p2align	8
	.type	_ZN12_GLOBAL__N_121softmax_warp_backwardIN3c104HalfES2_fLi4ELb0ELb0ELi32EEEvPT0_PKT_S7_iiiPKb,@function
_ZN12_GLOBAL__N_121softmax_warp_backwardIN3c104HalfES2_fLi4ELb0ELb0ELi32EEEvPT0_PKT_S7_iiiPKb: ; @_ZN12_GLOBAL__N_121softmax_warp_backwardIN3c104HalfES2_fLi4ELb0ELb0ELi32EEEvPT0_PKT_S7_iiiPKb
; %bb.0:
	s_clause 0x1
	s_load_b32 s2, s[0:1], 0x3c
	s_load_b128 s[4:7], s[0:1], 0x18
	v_bfe_u32 v1, v0, 10, 10
	v_dual_mov_b32 v7, 0 :: v_dual_and_b32 v2, 15, v0
	s_load_b128 s[8:11], s[0:1], 0x0
	v_dual_mov_b32 v8, 0 :: v_dual_mov_b32 v9, 0
	s_waitcnt lgkmcnt(0)
	s_lshr_b32 s2, s2, 16
	v_cmp_gt_i32_e32 vcc_lo, s6, v2
	s_mul_i32 s15, s15, s2
	s_load_b64 s[2:3], s[0:1], 0x10
	v_add_lshl_u32 v3, s15, v1, 1
	s_delay_alu instid0(VALU_DEP_1) | instskip(SKIP_1) | instid1(VALU_DEP_1)
	v_mad_u64_u32 v[0:1], null, v3, s5, v[2:3]
	v_sub_nc_u32_e32 v6, s4, v3
	v_cmp_lt_i32_e64 s0, 0, v6
	s_delay_alu instid0(VALU_DEP_3) | instskip(NEXT) | instid1(VALU_DEP_1)
	v_ashrrev_i32_e32 v1, 31, v0
	v_lshlrev_b64 v[0:1], 1, v[0:1]
	s_delay_alu instid0(VALU_DEP_1) | instskip(NEXT) | instid1(VALU_DEP_1)
	v_add_co_u32 v4, s1, s10, v0
	v_add_co_ci_u32_e64 v5, s1, s11, v1, s1
	s_waitcnt lgkmcnt(0)
	v_add_co_u32 v2, s1, s2, v0
	s_delay_alu instid0(VALU_DEP_1) | instskip(SKIP_1) | instid1(SALU_CYCLE_1)
	v_add_co_ci_u32_e64 v3, s1, s3, v1, s1
	s_and_b32 s2, vcc_lo, s0
	s_and_saveexec_b32 s1, s2
	s_cbranch_execz .LBB579_2
; %bb.1:
	global_load_u16 v8, v[4:5], off
	global_load_u16 v9, v[2:3], off
	s_waitcnt vmcnt(1)
	v_cvt_f32_f16_e32 v8, v8
	s_waitcnt vmcnt(0)
	v_cvt_f32_f16_e32 v9, v9
.LBB579_2:
	s_or_b32 exec_lo, exec_lo, s1
	v_cmp_lt_i32_e64 s1, 1, v6
	v_mov_b32_e32 v10, 0
	s_mov_b32 s7, 0
	s_delay_alu instid0(VALU_DEP_2) | instskip(NEXT) | instid1(SALU_CYCLE_1)
	s_and_b32 s1, vcc_lo, s1
	s_and_saveexec_b32 s2, s1
	s_cbranch_execz .LBB579_4
; %bb.3:
	s_lshl_b64 s[4:5], s[6:7], 1
	s_delay_alu instid0(SALU_CYCLE_1) | instskip(NEXT) | instid1(VALU_DEP_1)
	v_add_co_u32 v4, s1, v4, s4
	v_add_co_ci_u32_e64 v5, s1, s5, v5, s1
	v_add_co_u32 v2, s1, v2, s4
	s_delay_alu instid0(VALU_DEP_1)
	v_add_co_ci_u32_e64 v3, s1, s5, v3, s1
	global_load_u16 v4, v[4:5], off
	global_load_u16 v2, v[2:3], off
	s_waitcnt vmcnt(1)
	v_cvt_f32_f16_e32 v7, v4
	s_waitcnt vmcnt(0)
	v_cvt_f32_f16_e32 v10, v2
.LBB579_4:
	s_or_b32 exec_lo, exec_lo, s2
	v_mbcnt_lo_u32_b32 v2, -1, 0
	v_add_f32_e32 v11, 0, v7
	v_add_f32_e32 v5, 0, v8
	s_delay_alu instid0(VALU_DEP_3) | instskip(SKIP_2) | instid1(VALU_DEP_3)
	v_and_b32_e32 v3, 16, v2
	v_xor_b32_e32 v4, 8, v2
	v_xor_b32_e32 v13, 4, v2
	v_add_nc_u32_e32 v3, 16, v3
	s_delay_alu instid0(VALU_DEP_1) | instskip(NEXT) | instid1(VALU_DEP_1)
	v_cmp_lt_i32_e64 s1, v4, v3
	v_cndmask_b32_e64 v4, v2, v4, s1
	s_delay_alu instid0(VALU_DEP_4) | instskip(NEXT) | instid1(VALU_DEP_2)
	v_cmp_lt_i32_e64 s1, v13, v3
	v_lshlrev_b32_e32 v4, 2, v4
	s_delay_alu instid0(VALU_DEP_2)
	v_cndmask_b32_e64 v13, v2, v13, s1
	ds_bpermute_b32 v12, v4, v5
	ds_bpermute_b32 v4, v4, v11
	v_lshlrev_b32_e32 v13, 2, v13
	s_waitcnt lgkmcnt(1)
	v_add_f32_e32 v5, v5, v12
	s_waitcnt lgkmcnt(0)
	v_add_f32_e32 v4, v11, v4
	ds_bpermute_b32 v11, v13, v5
	ds_bpermute_b32 v12, v13, v4
	v_xor_b32_e32 v13, 2, v2
	s_delay_alu instid0(VALU_DEP_1) | instskip(NEXT) | instid1(VALU_DEP_1)
	v_cmp_lt_i32_e64 s1, v13, v3
	v_cndmask_b32_e64 v13, v2, v13, s1
	s_delay_alu instid0(VALU_DEP_1)
	v_lshlrev_b32_e32 v13, 2, v13
	s_waitcnt lgkmcnt(1)
	v_add_f32_e32 v5, v5, v11
	s_waitcnt lgkmcnt(0)
	v_add_f32_e32 v11, v4, v12
	ds_bpermute_b32 v4, v13, v5
	ds_bpermute_b32 v12, v13, v11
	v_xor_b32_e32 v13, 1, v2
	s_waitcnt lgkmcnt(1)
	v_add_f32_e32 v4, v5, v4
	s_delay_alu instid0(VALU_DEP_2) | instskip(NEXT) | instid1(VALU_DEP_1)
	v_cmp_lt_i32_e64 s1, v13, v3
	v_cndmask_b32_e64 v2, v2, v13, s1
	s_waitcnt lgkmcnt(0)
	s_delay_alu instid0(VALU_DEP_1)
	v_dual_add_f32 v2, v11, v12 :: v_dual_lshlrev_b32 v3, 2, v2
	ds_bpermute_b32 v5, v3, v4
	ds_bpermute_b32 v3, v3, v2
	s_and_saveexec_b32 s1, s0
	s_cbranch_execz .LBB579_10
; %bb.5:
	v_add_co_u32 v0, s0, s8, v0
	s_delay_alu instid0(VALU_DEP_1)
	v_add_co_ci_u32_e64 v1, s0, s9, v1, s0
	s_and_saveexec_b32 s0, vcc_lo
	s_cbranch_execz .LBB579_7
; %bb.6:
	s_waitcnt lgkmcnt(1)
	v_add_f32_e32 v4, v4, v5
	s_delay_alu instid0(VALU_DEP_1)
	v_fma_mixlo_f16 v4, -v4, v9, v8
	global_store_b16 v[0:1], v4, off
.LBB579_7:
	s_or_b32 exec_lo, exec_lo, s0
	v_cmp_ne_u32_e64 s0, 1, v6
	s_delay_alu instid0(VALU_DEP_1)
	s_and_b32 exec_lo, exec_lo, s0
	s_cbranch_execz .LBB579_10
; %bb.8:
	s_and_b32 exec_lo, exec_lo, vcc_lo
	s_cbranch_execz .LBB579_10
; %bb.9:
	s_waitcnt lgkmcnt(0)
	v_add_f32_e32 v2, v2, v3
	s_lshl_b64 s[0:1], s[6:7], 1
	s_delay_alu instid0(SALU_CYCLE_1) | instskip(NEXT) | instid1(VALU_DEP_2)
	v_add_co_u32 v0, vcc_lo, v0, s0
	v_fma_mixlo_f16 v2, -v2, v10, v7
	v_add_co_ci_u32_e32 v1, vcc_lo, s1, v1, vcc_lo
	global_store_b16 v[0:1], v2, off
.LBB579_10:
	s_nop 0
	s_sendmsg sendmsg(MSG_DEALLOC_VGPRS)
	s_endpgm
	.section	.rodata,"a",@progbits
	.p2align	6, 0x0
	.amdhsa_kernel _ZN12_GLOBAL__N_121softmax_warp_backwardIN3c104HalfES2_fLi4ELb0ELb0ELi32EEEvPT0_PKT_S7_iiiPKb
		.amdhsa_group_segment_fixed_size 0
		.amdhsa_private_segment_fixed_size 0
		.amdhsa_kernarg_size 304
		.amdhsa_user_sgpr_count 15
		.amdhsa_user_sgpr_dispatch_ptr 0
		.amdhsa_user_sgpr_queue_ptr 0
		.amdhsa_user_sgpr_kernarg_segment_ptr 1
		.amdhsa_user_sgpr_dispatch_id 0
		.amdhsa_user_sgpr_private_segment_size 0
		.amdhsa_wavefront_size32 1
		.amdhsa_uses_dynamic_stack 0
		.amdhsa_enable_private_segment 0
		.amdhsa_system_sgpr_workgroup_id_x 1
		.amdhsa_system_sgpr_workgroup_id_y 0
		.amdhsa_system_sgpr_workgroup_id_z 0
		.amdhsa_system_sgpr_workgroup_info 0
		.amdhsa_system_vgpr_workitem_id 1
		.amdhsa_next_free_vgpr 14
		.amdhsa_next_free_sgpr 16
		.amdhsa_reserve_vcc 1
		.amdhsa_float_round_mode_32 0
		.amdhsa_float_round_mode_16_64 0
		.amdhsa_float_denorm_mode_32 3
		.amdhsa_float_denorm_mode_16_64 3
		.amdhsa_dx10_clamp 1
		.amdhsa_ieee_mode 1
		.amdhsa_fp16_overflow 0
		.amdhsa_workgroup_processor_mode 1
		.amdhsa_memory_ordered 1
		.amdhsa_forward_progress 0
		.amdhsa_shared_vgpr_count 0
		.amdhsa_exception_fp_ieee_invalid_op 0
		.amdhsa_exception_fp_denorm_src 0
		.amdhsa_exception_fp_ieee_div_zero 0
		.amdhsa_exception_fp_ieee_overflow 0
		.amdhsa_exception_fp_ieee_underflow 0
		.amdhsa_exception_fp_ieee_inexact 0
		.amdhsa_exception_int_div_zero 0
	.end_amdhsa_kernel
	.section	.text._ZN12_GLOBAL__N_121softmax_warp_backwardIN3c104HalfES2_fLi4ELb0ELb0ELi32EEEvPT0_PKT_S7_iiiPKb,"axG",@progbits,_ZN12_GLOBAL__N_121softmax_warp_backwardIN3c104HalfES2_fLi4ELb0ELb0ELi32EEEvPT0_PKT_S7_iiiPKb,comdat
.Lfunc_end579:
	.size	_ZN12_GLOBAL__N_121softmax_warp_backwardIN3c104HalfES2_fLi4ELb0ELb0ELi32EEEvPT0_PKT_S7_iiiPKb, .Lfunc_end579-_ZN12_GLOBAL__N_121softmax_warp_backwardIN3c104HalfES2_fLi4ELb0ELb0ELi32EEEvPT0_PKT_S7_iiiPKb
                                        ; -- End function
	.section	.AMDGPU.csdata,"",@progbits
; Kernel info:
; codeLenInByte = 744
; NumSgprs: 18
; NumVgprs: 14
; ScratchSize: 0
; MemoryBound: 0
; FloatMode: 240
; IeeeMode: 1
; LDSByteSize: 0 bytes/workgroup (compile time only)
; SGPRBlocks: 2
; VGPRBlocks: 1
; NumSGPRsForWavesPerEU: 18
; NumVGPRsForWavesPerEU: 14
; Occupancy: 16
; WaveLimiterHint : 0
; COMPUTE_PGM_RSRC2:SCRATCH_EN: 0
; COMPUTE_PGM_RSRC2:USER_SGPR: 15
; COMPUTE_PGM_RSRC2:TRAP_HANDLER: 0
; COMPUTE_PGM_RSRC2:TGID_X_EN: 1
; COMPUTE_PGM_RSRC2:TGID_Y_EN: 0
; COMPUTE_PGM_RSRC2:TGID_Z_EN: 0
; COMPUTE_PGM_RSRC2:TIDIG_COMP_CNT: 1
	.section	.text._ZN12_GLOBAL__N_121softmax_warp_backwardIN3c104HalfES2_fLi5ELb0ELb0ELi64EEEvPT0_PKT_S7_iiiPKb,"axG",@progbits,_ZN12_GLOBAL__N_121softmax_warp_backwardIN3c104HalfES2_fLi5ELb0ELb0ELi64EEEvPT0_PKT_S7_iiiPKb,comdat
	.globl	_ZN12_GLOBAL__N_121softmax_warp_backwardIN3c104HalfES2_fLi5ELb0ELb0ELi64EEEvPT0_PKT_S7_iiiPKb ; -- Begin function _ZN12_GLOBAL__N_121softmax_warp_backwardIN3c104HalfES2_fLi5ELb0ELb0ELi64EEEvPT0_PKT_S7_iiiPKb
	.p2align	8
	.type	_ZN12_GLOBAL__N_121softmax_warp_backwardIN3c104HalfES2_fLi5ELb0ELb0ELi64EEEvPT0_PKT_S7_iiiPKb,@function
_ZN12_GLOBAL__N_121softmax_warp_backwardIN3c104HalfES2_fLi5ELb0ELb0ELi64EEEvPT0_PKT_S7_iiiPKb: ; @_ZN12_GLOBAL__N_121softmax_warp_backwardIN3c104HalfES2_fLi5ELb0ELb0ELi64EEEvPT0_PKT_S7_iiiPKb
; %bb.0:
	s_clause 0x1
	s_load_b32 s2, s[0:1], 0x3c
	s_load_b128 s[4:7], s[0:1], 0x18
	v_bfe_u32 v1, v0, 10, 10
	v_dual_mov_b32 v7, 0 :: v_dual_and_b32 v2, 31, v0
	s_load_b128 s[8:11], s[0:1], 0x0
	v_dual_mov_b32 v8, 0 :: v_dual_mov_b32 v9, 0
	s_waitcnt lgkmcnt(0)
	s_lshr_b32 s2, s2, 16
	v_cmp_gt_i32_e32 vcc_lo, s6, v2
	s_mul_i32 s15, s15, s2
	s_load_b64 s[2:3], s[0:1], 0x10
	v_add_lshl_u32 v3, s15, v1, 1
	s_delay_alu instid0(VALU_DEP_1) | instskip(SKIP_1) | instid1(VALU_DEP_1)
	v_mad_u64_u32 v[0:1], null, v3, s5, v[2:3]
	v_sub_nc_u32_e32 v6, s4, v3
	v_cmp_lt_i32_e64 s0, 0, v6
	s_delay_alu instid0(VALU_DEP_3) | instskip(NEXT) | instid1(VALU_DEP_1)
	v_ashrrev_i32_e32 v1, 31, v0
	v_lshlrev_b64 v[0:1], 1, v[0:1]
	s_delay_alu instid0(VALU_DEP_1) | instskip(NEXT) | instid1(VALU_DEP_1)
	v_add_co_u32 v4, s1, s10, v0
	v_add_co_ci_u32_e64 v5, s1, s11, v1, s1
	s_waitcnt lgkmcnt(0)
	v_add_co_u32 v2, s1, s2, v0
	s_delay_alu instid0(VALU_DEP_1) | instskip(SKIP_1) | instid1(SALU_CYCLE_1)
	v_add_co_ci_u32_e64 v3, s1, s3, v1, s1
	s_and_b32 s2, vcc_lo, s0
	s_and_saveexec_b32 s1, s2
	s_cbranch_execz .LBB580_2
; %bb.1:
	global_load_u16 v8, v[4:5], off
	global_load_u16 v9, v[2:3], off
	s_waitcnt vmcnt(1)
	v_cvt_f32_f16_e32 v8, v8
	s_waitcnt vmcnt(0)
	v_cvt_f32_f16_e32 v9, v9
.LBB580_2:
	s_or_b32 exec_lo, exec_lo, s1
	v_cmp_lt_i32_e64 s1, 1, v6
	v_mov_b32_e32 v10, 0
	s_mov_b32 s7, 0
	s_delay_alu instid0(VALU_DEP_2) | instskip(NEXT) | instid1(SALU_CYCLE_1)
	s_and_b32 s1, vcc_lo, s1
	s_and_saveexec_b32 s2, s1
	s_cbranch_execz .LBB580_4
; %bb.3:
	s_lshl_b64 s[4:5], s[6:7], 1
	s_delay_alu instid0(SALU_CYCLE_1) | instskip(NEXT) | instid1(VALU_DEP_1)
	v_add_co_u32 v4, s1, v4, s4
	v_add_co_ci_u32_e64 v5, s1, s5, v5, s1
	v_add_co_u32 v2, s1, v2, s4
	s_delay_alu instid0(VALU_DEP_1)
	v_add_co_ci_u32_e64 v3, s1, s5, v3, s1
	global_load_u16 v4, v[4:5], off
	global_load_u16 v2, v[2:3], off
	s_waitcnt vmcnt(1)
	v_cvt_f32_f16_e32 v7, v4
	s_waitcnt vmcnt(0)
	v_cvt_f32_f16_e32 v10, v2
.LBB580_4:
	s_or_b32 exec_lo, exec_lo, s2
	v_mbcnt_lo_u32_b32 v2, -1, 0
	s_delay_alu instid0(VALU_DEP_1) | instskip(SKIP_1) | instid1(VALU_DEP_2)
	v_xor_b32_e32 v3, 16, v2
	v_xor_b32_e32 v12, 8, v2
	v_cmp_gt_i32_e64 s1, 32, v3
	s_delay_alu instid0(VALU_DEP_1) | instskip(NEXT) | instid1(VALU_DEP_3)
	v_cndmask_b32_e64 v3, v2, v3, s1
	v_cmp_gt_i32_e64 s1, 32, v12
	s_delay_alu instid0(VALU_DEP_2) | instskip(NEXT) | instid1(VALU_DEP_2)
	v_dual_add_f32 v4, 0, v8 :: v_dual_lshlrev_b32 v3, 2, v3
	v_cndmask_b32_e64 v12, v2, v12, s1
	v_add_f32_e32 v5, 0, v7
	ds_bpermute_b32 v11, v3, v4
	v_lshlrev_b32_e32 v12, 2, v12
	ds_bpermute_b32 v3, v3, v5
	s_waitcnt lgkmcnt(1)
	v_add_f32_e32 v4, v4, v11
	s_waitcnt lgkmcnt(0)
	v_add_f32_e32 v3, v5, v3
	ds_bpermute_b32 v5, v12, v4
	ds_bpermute_b32 v11, v12, v3
	v_xor_b32_e32 v12, 4, v2
	s_delay_alu instid0(VALU_DEP_1) | instskip(NEXT) | instid1(VALU_DEP_1)
	v_cmp_gt_i32_e64 s1, 32, v12
	v_cndmask_b32_e64 v12, v2, v12, s1
	s_delay_alu instid0(VALU_DEP_1)
	v_lshlrev_b32_e32 v12, 2, v12
	s_waitcnt lgkmcnt(0)
	v_dual_add_f32 v4, v4, v5 :: v_dual_add_f32 v3, v3, v11
	ds_bpermute_b32 v5, v12, v4
	ds_bpermute_b32 v11, v12, v3
	v_xor_b32_e32 v12, 2, v2
	s_delay_alu instid0(VALU_DEP_1) | instskip(NEXT) | instid1(VALU_DEP_1)
	v_cmp_gt_i32_e64 s1, 32, v12
	v_cndmask_b32_e64 v12, v2, v12, s1
	s_delay_alu instid0(VALU_DEP_1)
	v_lshlrev_b32_e32 v12, 2, v12
	s_waitcnt lgkmcnt(0)
	v_dual_add_f32 v4, v4, v5 :: v_dual_add_f32 v3, v3, v11
	ds_bpermute_b32 v5, v12, v4
	ds_bpermute_b32 v11, v12, v3
	v_xor_b32_e32 v12, 1, v2
	s_delay_alu instid0(VALU_DEP_1) | instskip(NEXT) | instid1(VALU_DEP_1)
	v_cmp_gt_i32_e64 s1, 32, v12
	v_cndmask_b32_e64 v2, v2, v12, s1
	s_delay_alu instid0(VALU_DEP_1)
	v_lshlrev_b32_e32 v12, 2, v2
	s_waitcnt lgkmcnt(1)
	v_add_f32_e32 v4, v4, v5
	s_waitcnt lgkmcnt(0)
	v_add_f32_e32 v2, v3, v11
	ds_bpermute_b32 v5, v12, v4
	ds_bpermute_b32 v3, v12, v2
	s_and_saveexec_b32 s1, s0
	s_cbranch_execz .LBB580_10
; %bb.5:
	v_add_co_u32 v0, s0, s8, v0
	s_delay_alu instid0(VALU_DEP_1)
	v_add_co_ci_u32_e64 v1, s0, s9, v1, s0
	s_and_saveexec_b32 s0, vcc_lo
	s_cbranch_execz .LBB580_7
; %bb.6:
	s_waitcnt lgkmcnt(1)
	v_add_f32_e32 v4, v4, v5
	s_delay_alu instid0(VALU_DEP_1)
	v_fma_mixlo_f16 v4, -v4, v9, v8
	global_store_b16 v[0:1], v4, off
.LBB580_7:
	s_or_b32 exec_lo, exec_lo, s0
	v_cmp_ne_u32_e64 s0, 1, v6
	s_delay_alu instid0(VALU_DEP_1)
	s_and_b32 exec_lo, exec_lo, s0
	s_cbranch_execz .LBB580_10
; %bb.8:
	s_and_b32 exec_lo, exec_lo, vcc_lo
	s_cbranch_execz .LBB580_10
; %bb.9:
	s_waitcnt lgkmcnt(0)
	v_add_f32_e32 v2, v2, v3
	s_lshl_b64 s[0:1], s[6:7], 1
	s_delay_alu instid0(SALU_CYCLE_1) | instskip(NEXT) | instid1(VALU_DEP_2)
	v_add_co_u32 v0, vcc_lo, v0, s0
	v_fma_mixlo_f16 v2, -v2, v10, v7
	v_add_co_ci_u32_e32 v1, vcc_lo, s1, v1, vcc_lo
	global_store_b16 v[0:1], v2, off
.LBB580_10:
	s_nop 0
	s_sendmsg sendmsg(MSG_DEALLOC_VGPRS)
	s_endpgm
	.section	.rodata,"a",@progbits
	.p2align	6, 0x0
	.amdhsa_kernel _ZN12_GLOBAL__N_121softmax_warp_backwardIN3c104HalfES2_fLi5ELb0ELb0ELi64EEEvPT0_PKT_S7_iiiPKb
		.amdhsa_group_segment_fixed_size 0
		.amdhsa_private_segment_fixed_size 0
		.amdhsa_kernarg_size 304
		.amdhsa_user_sgpr_count 15
		.amdhsa_user_sgpr_dispatch_ptr 0
		.amdhsa_user_sgpr_queue_ptr 0
		.amdhsa_user_sgpr_kernarg_segment_ptr 1
		.amdhsa_user_sgpr_dispatch_id 0
		.amdhsa_user_sgpr_private_segment_size 0
		.amdhsa_wavefront_size32 1
		.amdhsa_uses_dynamic_stack 0
		.amdhsa_enable_private_segment 0
		.amdhsa_system_sgpr_workgroup_id_x 1
		.amdhsa_system_sgpr_workgroup_id_y 0
		.amdhsa_system_sgpr_workgroup_id_z 0
		.amdhsa_system_sgpr_workgroup_info 0
		.amdhsa_system_vgpr_workitem_id 1
		.amdhsa_next_free_vgpr 13
		.amdhsa_next_free_sgpr 16
		.amdhsa_reserve_vcc 1
		.amdhsa_float_round_mode_32 0
		.amdhsa_float_round_mode_16_64 0
		.amdhsa_float_denorm_mode_32 3
		.amdhsa_float_denorm_mode_16_64 3
		.amdhsa_dx10_clamp 1
		.amdhsa_ieee_mode 1
		.amdhsa_fp16_overflow 0
		.amdhsa_workgroup_processor_mode 1
		.amdhsa_memory_ordered 1
		.amdhsa_forward_progress 0
		.amdhsa_shared_vgpr_count 0
		.amdhsa_exception_fp_ieee_invalid_op 0
		.amdhsa_exception_fp_denorm_src 0
		.amdhsa_exception_fp_ieee_div_zero 0
		.amdhsa_exception_fp_ieee_overflow 0
		.amdhsa_exception_fp_ieee_underflow 0
		.amdhsa_exception_fp_ieee_inexact 0
		.amdhsa_exception_int_div_zero 0
	.end_amdhsa_kernel
	.section	.text._ZN12_GLOBAL__N_121softmax_warp_backwardIN3c104HalfES2_fLi5ELb0ELb0ELi64EEEvPT0_PKT_S7_iiiPKb,"axG",@progbits,_ZN12_GLOBAL__N_121softmax_warp_backwardIN3c104HalfES2_fLi5ELb0ELb0ELi64EEEvPT0_PKT_S7_iiiPKb,comdat
.Lfunc_end580:
	.size	_ZN12_GLOBAL__N_121softmax_warp_backwardIN3c104HalfES2_fLi5ELb0ELb0ELi64EEEvPT0_PKT_S7_iiiPKb, .Lfunc_end580-_ZN12_GLOBAL__N_121softmax_warp_backwardIN3c104HalfES2_fLi5ELb0ELb0ELi64EEEvPT0_PKT_S7_iiiPKb
                                        ; -- End function
	.section	.AMDGPU.csdata,"",@progbits
; Kernel info:
; codeLenInByte = 788
; NumSgprs: 18
; NumVgprs: 13
; ScratchSize: 0
; MemoryBound: 0
; FloatMode: 240
; IeeeMode: 1
; LDSByteSize: 0 bytes/workgroup (compile time only)
; SGPRBlocks: 2
; VGPRBlocks: 1
; NumSGPRsForWavesPerEU: 18
; NumVGPRsForWavesPerEU: 13
; Occupancy: 16
; WaveLimiterHint : 0
; COMPUTE_PGM_RSRC2:SCRATCH_EN: 0
; COMPUTE_PGM_RSRC2:USER_SGPR: 15
; COMPUTE_PGM_RSRC2:TRAP_HANDLER: 0
; COMPUTE_PGM_RSRC2:TGID_X_EN: 1
; COMPUTE_PGM_RSRC2:TGID_Y_EN: 0
; COMPUTE_PGM_RSRC2:TGID_Z_EN: 0
; COMPUTE_PGM_RSRC2:TIDIG_COMP_CNT: 1
	.section	.text._ZN12_GLOBAL__N_121softmax_warp_backwardIN3c104HalfES2_fLi5ELb0ELb0ELi32EEEvPT0_PKT_S7_iiiPKb,"axG",@progbits,_ZN12_GLOBAL__N_121softmax_warp_backwardIN3c104HalfES2_fLi5ELb0ELb0ELi32EEEvPT0_PKT_S7_iiiPKb,comdat
	.globl	_ZN12_GLOBAL__N_121softmax_warp_backwardIN3c104HalfES2_fLi5ELb0ELb0ELi32EEEvPT0_PKT_S7_iiiPKb ; -- Begin function _ZN12_GLOBAL__N_121softmax_warp_backwardIN3c104HalfES2_fLi5ELb0ELb0ELi32EEEvPT0_PKT_S7_iiiPKb
	.p2align	8
	.type	_ZN12_GLOBAL__N_121softmax_warp_backwardIN3c104HalfES2_fLi5ELb0ELb0ELi32EEEvPT0_PKT_S7_iiiPKb,@function
_ZN12_GLOBAL__N_121softmax_warp_backwardIN3c104HalfES2_fLi5ELb0ELb0ELi32EEEvPT0_PKT_S7_iiiPKb: ; @_ZN12_GLOBAL__N_121softmax_warp_backwardIN3c104HalfES2_fLi5ELb0ELb0ELi32EEEvPT0_PKT_S7_iiiPKb
; %bb.0:
	s_clause 0x1
	s_load_b32 s2, s[0:1], 0x3c
	s_load_b128 s[4:7], s[0:1], 0x18
	v_bfe_u32 v1, v0, 10, 10
	v_dual_mov_b32 v7, 0 :: v_dual_and_b32 v2, 31, v0
	s_load_b128 s[8:11], s[0:1], 0x0
	v_dual_mov_b32 v8, 0 :: v_dual_mov_b32 v9, 0
	s_waitcnt lgkmcnt(0)
	s_lshr_b32 s2, s2, 16
	v_cmp_gt_i32_e32 vcc_lo, s6, v2
	s_mul_i32 s15, s15, s2
	s_load_b64 s[2:3], s[0:1], 0x10
	v_add_lshl_u32 v3, s15, v1, 1
	s_delay_alu instid0(VALU_DEP_1) | instskip(SKIP_1) | instid1(VALU_DEP_1)
	v_mad_u64_u32 v[0:1], null, v3, s5, v[2:3]
	v_sub_nc_u32_e32 v6, s4, v3
	v_cmp_lt_i32_e64 s0, 0, v6
	s_delay_alu instid0(VALU_DEP_3) | instskip(NEXT) | instid1(VALU_DEP_1)
	v_ashrrev_i32_e32 v1, 31, v0
	v_lshlrev_b64 v[0:1], 1, v[0:1]
	s_delay_alu instid0(VALU_DEP_1) | instskip(NEXT) | instid1(VALU_DEP_1)
	v_add_co_u32 v4, s1, s10, v0
	v_add_co_ci_u32_e64 v5, s1, s11, v1, s1
	s_waitcnt lgkmcnt(0)
	v_add_co_u32 v2, s1, s2, v0
	s_delay_alu instid0(VALU_DEP_1) | instskip(SKIP_1) | instid1(SALU_CYCLE_1)
	v_add_co_ci_u32_e64 v3, s1, s3, v1, s1
	s_and_b32 s2, vcc_lo, s0
	s_and_saveexec_b32 s1, s2
	s_cbranch_execz .LBB581_2
; %bb.1:
	global_load_u16 v8, v[4:5], off
	global_load_u16 v9, v[2:3], off
	s_waitcnt vmcnt(1)
	v_cvt_f32_f16_e32 v8, v8
	s_waitcnt vmcnt(0)
	v_cvt_f32_f16_e32 v9, v9
.LBB581_2:
	s_or_b32 exec_lo, exec_lo, s1
	v_cmp_lt_i32_e64 s1, 1, v6
	v_mov_b32_e32 v10, 0
	s_mov_b32 s7, 0
	s_delay_alu instid0(VALU_DEP_2) | instskip(NEXT) | instid1(SALU_CYCLE_1)
	s_and_b32 s1, vcc_lo, s1
	s_and_saveexec_b32 s2, s1
	s_cbranch_execz .LBB581_4
; %bb.3:
	s_lshl_b64 s[4:5], s[6:7], 1
	s_delay_alu instid0(SALU_CYCLE_1) | instskip(NEXT) | instid1(VALU_DEP_1)
	v_add_co_u32 v4, s1, v4, s4
	v_add_co_ci_u32_e64 v5, s1, s5, v5, s1
	v_add_co_u32 v2, s1, v2, s4
	s_delay_alu instid0(VALU_DEP_1)
	v_add_co_ci_u32_e64 v3, s1, s5, v3, s1
	global_load_u16 v4, v[4:5], off
	global_load_u16 v2, v[2:3], off
	s_waitcnt vmcnt(1)
	v_cvt_f32_f16_e32 v7, v4
	s_waitcnt vmcnt(0)
	v_cvt_f32_f16_e32 v10, v2
.LBB581_4:
	s_or_b32 exec_lo, exec_lo, s2
	v_mbcnt_lo_u32_b32 v2, -1, 0
	s_delay_alu instid0(VALU_DEP_1) | instskip(SKIP_1) | instid1(VALU_DEP_2)
	v_xor_b32_e32 v3, 16, v2
	v_xor_b32_e32 v12, 8, v2
	v_cmp_gt_i32_e64 s1, 32, v3
	s_delay_alu instid0(VALU_DEP_1) | instskip(NEXT) | instid1(VALU_DEP_3)
	v_cndmask_b32_e64 v3, v2, v3, s1
	v_cmp_gt_i32_e64 s1, 32, v12
	s_delay_alu instid0(VALU_DEP_2) | instskip(NEXT) | instid1(VALU_DEP_2)
	v_dual_add_f32 v4, 0, v8 :: v_dual_lshlrev_b32 v3, 2, v3
	v_cndmask_b32_e64 v12, v2, v12, s1
	v_add_f32_e32 v5, 0, v7
	ds_bpermute_b32 v11, v3, v4
	v_lshlrev_b32_e32 v12, 2, v12
	ds_bpermute_b32 v3, v3, v5
	s_waitcnt lgkmcnt(1)
	v_add_f32_e32 v4, v4, v11
	s_waitcnt lgkmcnt(0)
	v_add_f32_e32 v3, v5, v3
	ds_bpermute_b32 v5, v12, v4
	ds_bpermute_b32 v11, v12, v3
	v_xor_b32_e32 v12, 4, v2
	s_delay_alu instid0(VALU_DEP_1) | instskip(NEXT) | instid1(VALU_DEP_1)
	v_cmp_gt_i32_e64 s1, 32, v12
	v_cndmask_b32_e64 v12, v2, v12, s1
	s_delay_alu instid0(VALU_DEP_1)
	v_lshlrev_b32_e32 v12, 2, v12
	s_waitcnt lgkmcnt(0)
	v_dual_add_f32 v4, v4, v5 :: v_dual_add_f32 v3, v3, v11
	ds_bpermute_b32 v5, v12, v4
	ds_bpermute_b32 v11, v12, v3
	v_xor_b32_e32 v12, 2, v2
	s_delay_alu instid0(VALU_DEP_1) | instskip(NEXT) | instid1(VALU_DEP_1)
	v_cmp_gt_i32_e64 s1, 32, v12
	v_cndmask_b32_e64 v12, v2, v12, s1
	s_delay_alu instid0(VALU_DEP_1)
	v_lshlrev_b32_e32 v12, 2, v12
	s_waitcnt lgkmcnt(0)
	v_dual_add_f32 v4, v4, v5 :: v_dual_add_f32 v3, v3, v11
	ds_bpermute_b32 v5, v12, v4
	ds_bpermute_b32 v11, v12, v3
	v_xor_b32_e32 v12, 1, v2
	s_delay_alu instid0(VALU_DEP_1) | instskip(NEXT) | instid1(VALU_DEP_1)
	v_cmp_gt_i32_e64 s1, 32, v12
	v_cndmask_b32_e64 v2, v2, v12, s1
	s_delay_alu instid0(VALU_DEP_1)
	v_lshlrev_b32_e32 v12, 2, v2
	s_waitcnt lgkmcnt(1)
	v_add_f32_e32 v4, v4, v5
	s_waitcnt lgkmcnt(0)
	v_add_f32_e32 v2, v3, v11
	ds_bpermute_b32 v5, v12, v4
	ds_bpermute_b32 v3, v12, v2
	s_and_saveexec_b32 s1, s0
	s_cbranch_execz .LBB581_10
; %bb.5:
	v_add_co_u32 v0, s0, s8, v0
	s_delay_alu instid0(VALU_DEP_1)
	v_add_co_ci_u32_e64 v1, s0, s9, v1, s0
	s_and_saveexec_b32 s0, vcc_lo
	s_cbranch_execz .LBB581_7
; %bb.6:
	s_waitcnt lgkmcnt(1)
	v_add_f32_e32 v4, v4, v5
	s_delay_alu instid0(VALU_DEP_1)
	v_fma_mixlo_f16 v4, -v4, v9, v8
	global_store_b16 v[0:1], v4, off
.LBB581_7:
	s_or_b32 exec_lo, exec_lo, s0
	v_cmp_ne_u32_e64 s0, 1, v6
	s_delay_alu instid0(VALU_DEP_1)
	s_and_b32 exec_lo, exec_lo, s0
	s_cbranch_execz .LBB581_10
; %bb.8:
	s_and_b32 exec_lo, exec_lo, vcc_lo
	s_cbranch_execz .LBB581_10
; %bb.9:
	s_waitcnt lgkmcnt(0)
	v_add_f32_e32 v2, v2, v3
	s_lshl_b64 s[0:1], s[6:7], 1
	s_delay_alu instid0(SALU_CYCLE_1) | instskip(NEXT) | instid1(VALU_DEP_2)
	v_add_co_u32 v0, vcc_lo, v0, s0
	v_fma_mixlo_f16 v2, -v2, v10, v7
	v_add_co_ci_u32_e32 v1, vcc_lo, s1, v1, vcc_lo
	global_store_b16 v[0:1], v2, off
.LBB581_10:
	s_nop 0
	s_sendmsg sendmsg(MSG_DEALLOC_VGPRS)
	s_endpgm
	.section	.rodata,"a",@progbits
	.p2align	6, 0x0
	.amdhsa_kernel _ZN12_GLOBAL__N_121softmax_warp_backwardIN3c104HalfES2_fLi5ELb0ELb0ELi32EEEvPT0_PKT_S7_iiiPKb
		.amdhsa_group_segment_fixed_size 0
		.amdhsa_private_segment_fixed_size 0
		.amdhsa_kernarg_size 304
		.amdhsa_user_sgpr_count 15
		.amdhsa_user_sgpr_dispatch_ptr 0
		.amdhsa_user_sgpr_queue_ptr 0
		.amdhsa_user_sgpr_kernarg_segment_ptr 1
		.amdhsa_user_sgpr_dispatch_id 0
		.amdhsa_user_sgpr_private_segment_size 0
		.amdhsa_wavefront_size32 1
		.amdhsa_uses_dynamic_stack 0
		.amdhsa_enable_private_segment 0
		.amdhsa_system_sgpr_workgroup_id_x 1
		.amdhsa_system_sgpr_workgroup_id_y 0
		.amdhsa_system_sgpr_workgroup_id_z 0
		.amdhsa_system_sgpr_workgroup_info 0
		.amdhsa_system_vgpr_workitem_id 1
		.amdhsa_next_free_vgpr 13
		.amdhsa_next_free_sgpr 16
		.amdhsa_reserve_vcc 1
		.amdhsa_float_round_mode_32 0
		.amdhsa_float_round_mode_16_64 0
		.amdhsa_float_denorm_mode_32 3
		.amdhsa_float_denorm_mode_16_64 3
		.amdhsa_dx10_clamp 1
		.amdhsa_ieee_mode 1
		.amdhsa_fp16_overflow 0
		.amdhsa_workgroup_processor_mode 1
		.amdhsa_memory_ordered 1
		.amdhsa_forward_progress 0
		.amdhsa_shared_vgpr_count 0
		.amdhsa_exception_fp_ieee_invalid_op 0
		.amdhsa_exception_fp_denorm_src 0
		.amdhsa_exception_fp_ieee_div_zero 0
		.amdhsa_exception_fp_ieee_overflow 0
		.amdhsa_exception_fp_ieee_underflow 0
		.amdhsa_exception_fp_ieee_inexact 0
		.amdhsa_exception_int_div_zero 0
	.end_amdhsa_kernel
	.section	.text._ZN12_GLOBAL__N_121softmax_warp_backwardIN3c104HalfES2_fLi5ELb0ELb0ELi32EEEvPT0_PKT_S7_iiiPKb,"axG",@progbits,_ZN12_GLOBAL__N_121softmax_warp_backwardIN3c104HalfES2_fLi5ELb0ELb0ELi32EEEvPT0_PKT_S7_iiiPKb,comdat
.Lfunc_end581:
	.size	_ZN12_GLOBAL__N_121softmax_warp_backwardIN3c104HalfES2_fLi5ELb0ELb0ELi32EEEvPT0_PKT_S7_iiiPKb, .Lfunc_end581-_ZN12_GLOBAL__N_121softmax_warp_backwardIN3c104HalfES2_fLi5ELb0ELb0ELi32EEEvPT0_PKT_S7_iiiPKb
                                        ; -- End function
	.section	.AMDGPU.csdata,"",@progbits
; Kernel info:
; codeLenInByte = 788
; NumSgprs: 18
; NumVgprs: 13
; ScratchSize: 0
; MemoryBound: 0
; FloatMode: 240
; IeeeMode: 1
; LDSByteSize: 0 bytes/workgroup (compile time only)
; SGPRBlocks: 2
; VGPRBlocks: 1
; NumSGPRsForWavesPerEU: 18
; NumVGPRsForWavesPerEU: 13
; Occupancy: 16
; WaveLimiterHint : 0
; COMPUTE_PGM_RSRC2:SCRATCH_EN: 0
; COMPUTE_PGM_RSRC2:USER_SGPR: 15
; COMPUTE_PGM_RSRC2:TRAP_HANDLER: 0
; COMPUTE_PGM_RSRC2:TGID_X_EN: 1
; COMPUTE_PGM_RSRC2:TGID_Y_EN: 0
; COMPUTE_PGM_RSRC2:TGID_Z_EN: 0
; COMPUTE_PGM_RSRC2:TIDIG_COMP_CNT: 1
	.section	.text._ZN12_GLOBAL__N_121softmax_warp_backwardIN3c104HalfES2_fLi6ELb0ELb0ELi64EEEvPT0_PKT_S7_iiiPKb,"axG",@progbits,_ZN12_GLOBAL__N_121softmax_warp_backwardIN3c104HalfES2_fLi6ELb0ELb0ELi64EEEvPT0_PKT_S7_iiiPKb,comdat
	.globl	_ZN12_GLOBAL__N_121softmax_warp_backwardIN3c104HalfES2_fLi6ELb0ELb0ELi64EEEvPT0_PKT_S7_iiiPKb ; -- Begin function _ZN12_GLOBAL__N_121softmax_warp_backwardIN3c104HalfES2_fLi6ELb0ELb0ELi64EEEvPT0_PKT_S7_iiiPKb
	.p2align	8
	.type	_ZN12_GLOBAL__N_121softmax_warp_backwardIN3c104HalfES2_fLi6ELb0ELb0ELi64EEEvPT0_PKT_S7_iiiPKb,@function
_ZN12_GLOBAL__N_121softmax_warp_backwardIN3c104HalfES2_fLi6ELb0ELb0ELi64EEEvPT0_PKT_S7_iiiPKb: ; @_ZN12_GLOBAL__N_121softmax_warp_backwardIN3c104HalfES2_fLi6ELb0ELb0ELi64EEEvPT0_PKT_S7_iiiPKb
; %bb.0:
	s_clause 0x1
	s_load_b32 s2, s[0:1], 0x3c
	s_load_b128 s[4:7], s[0:1], 0x18
	v_bfe_u32 v1, v0, 10, 10
	v_dual_mov_b32 v7, 0 :: v_dual_and_b32 v2, 63, v0
	s_load_b128 s[8:11], s[0:1], 0x0
	v_dual_mov_b32 v8, 0 :: v_dual_mov_b32 v9, 0
	s_waitcnt lgkmcnt(0)
	s_lshr_b32 s2, s2, 16
	v_cmp_gt_i32_e32 vcc_lo, s6, v2
	s_mul_i32 s15, s15, s2
	s_load_b64 s[2:3], s[0:1], 0x10
	v_add_lshl_u32 v3, s15, v1, 1
	s_delay_alu instid0(VALU_DEP_1) | instskip(SKIP_1) | instid1(VALU_DEP_1)
	v_mad_u64_u32 v[0:1], null, v3, s5, v[2:3]
	v_sub_nc_u32_e32 v6, s4, v3
	v_cmp_lt_i32_e64 s0, 0, v6
	s_delay_alu instid0(VALU_DEP_3) | instskip(NEXT) | instid1(VALU_DEP_1)
	v_ashrrev_i32_e32 v1, 31, v0
	v_lshlrev_b64 v[0:1], 1, v[0:1]
	s_delay_alu instid0(VALU_DEP_1) | instskip(NEXT) | instid1(VALU_DEP_1)
	v_add_co_u32 v4, s1, s10, v0
	v_add_co_ci_u32_e64 v5, s1, s11, v1, s1
	s_waitcnt lgkmcnt(0)
	v_add_co_u32 v2, s1, s2, v0
	s_delay_alu instid0(VALU_DEP_1) | instskip(SKIP_1) | instid1(SALU_CYCLE_1)
	v_add_co_ci_u32_e64 v3, s1, s3, v1, s1
	s_and_b32 s2, vcc_lo, s0
	s_and_saveexec_b32 s1, s2
	s_cbranch_execz .LBB582_2
; %bb.1:
	global_load_u16 v8, v[4:5], off
	global_load_u16 v9, v[2:3], off
	s_waitcnt vmcnt(1)
	v_cvt_f32_f16_e32 v8, v8
	s_waitcnt vmcnt(0)
	v_cvt_f32_f16_e32 v9, v9
.LBB582_2:
	s_or_b32 exec_lo, exec_lo, s1
	v_cmp_lt_i32_e64 s1, 1, v6
	v_mov_b32_e32 v10, 0
	s_mov_b32 s7, 0
	s_delay_alu instid0(VALU_DEP_2) | instskip(NEXT) | instid1(SALU_CYCLE_1)
	s_and_b32 s1, vcc_lo, s1
	s_and_saveexec_b32 s2, s1
	s_cbranch_execz .LBB582_4
; %bb.3:
	s_lshl_b64 s[4:5], s[6:7], 1
	s_delay_alu instid0(SALU_CYCLE_1) | instskip(NEXT) | instid1(VALU_DEP_1)
	v_add_co_u32 v4, s1, v4, s4
	v_add_co_ci_u32_e64 v5, s1, s5, v5, s1
	v_add_co_u32 v2, s1, v2, s4
	s_delay_alu instid0(VALU_DEP_1)
	v_add_co_ci_u32_e64 v3, s1, s5, v3, s1
	global_load_u16 v4, v[4:5], off
	global_load_u16 v2, v[2:3], off
	s_waitcnt vmcnt(1)
	v_cvt_f32_f16_e32 v7, v4
	s_waitcnt vmcnt(0)
	v_cvt_f32_f16_e32 v10, v2
.LBB582_4:
	s_or_b32 exec_lo, exec_lo, s2
	v_mbcnt_lo_u32_b32 v2, -1, 0
	s_delay_alu instid0(VALU_DEP_1) | instskip(SKIP_1) | instid1(VALU_DEP_2)
	v_or_b32_e32 v3, 32, v2
	v_xor_b32_e32 v12, 16, v2
	v_cmp_gt_i32_e64 s1, 64, v3
	s_delay_alu instid0(VALU_DEP_1) | instskip(NEXT) | instid1(VALU_DEP_3)
	v_cndmask_b32_e64 v3, v2, v3, s1
	v_cmp_gt_i32_e64 s1, 64, v12
	s_delay_alu instid0(VALU_DEP_2) | instskip(NEXT) | instid1(VALU_DEP_2)
	v_dual_add_f32 v4, 0, v8 :: v_dual_lshlrev_b32 v3, 2, v3
	v_cndmask_b32_e64 v12, v2, v12, s1
	v_add_f32_e32 v5, 0, v7
	ds_bpermute_b32 v11, v3, v4
	v_lshlrev_b32_e32 v12, 2, v12
	ds_bpermute_b32 v3, v3, v5
	s_waitcnt lgkmcnt(1)
	v_add_f32_e32 v4, v4, v11
	s_waitcnt lgkmcnt(0)
	v_add_f32_e32 v3, v5, v3
	ds_bpermute_b32 v5, v12, v4
	ds_bpermute_b32 v11, v12, v3
	v_xor_b32_e32 v12, 8, v2
	s_delay_alu instid0(VALU_DEP_1) | instskip(NEXT) | instid1(VALU_DEP_1)
	v_cmp_gt_i32_e64 s1, 64, v12
	v_cndmask_b32_e64 v12, v2, v12, s1
	s_delay_alu instid0(VALU_DEP_1)
	v_lshlrev_b32_e32 v12, 2, v12
	s_waitcnt lgkmcnt(0)
	v_dual_add_f32 v4, v4, v5 :: v_dual_add_f32 v3, v3, v11
	ds_bpermute_b32 v5, v12, v4
	ds_bpermute_b32 v11, v12, v3
	v_xor_b32_e32 v12, 4, v2
	s_delay_alu instid0(VALU_DEP_1) | instskip(NEXT) | instid1(VALU_DEP_1)
	v_cmp_gt_i32_e64 s1, 64, v12
	v_cndmask_b32_e64 v12, v2, v12, s1
	s_waitcnt lgkmcnt(0)
	s_delay_alu instid0(VALU_DEP_1)
	v_dual_add_f32 v3, v3, v11 :: v_dual_lshlrev_b32 v12, 2, v12
	ds_bpermute_b32 v11, v12, v3
	s_waitcnt lgkmcnt(0)
	v_dual_add_f32 v4, v4, v5 :: v_dual_add_f32 v3, v3, v11
	ds_bpermute_b32 v5, v12, v4
	v_xor_b32_e32 v12, 2, v2
	s_delay_alu instid0(VALU_DEP_1) | instskip(NEXT) | instid1(VALU_DEP_1)
	v_cmp_gt_i32_e64 s1, 64, v12
	v_cndmask_b32_e64 v12, v2, v12, s1
	s_delay_alu instid0(VALU_DEP_1)
	v_lshlrev_b32_e32 v12, 2, v12
	s_waitcnt lgkmcnt(0)
	v_add_f32_e32 v4, v4, v5
	ds_bpermute_b32 v11, v12, v3
	ds_bpermute_b32 v5, v12, v4
	v_xor_b32_e32 v12, 1, v2
	s_delay_alu instid0(VALU_DEP_1) | instskip(NEXT) | instid1(VALU_DEP_1)
	v_cmp_gt_i32_e64 s1, 64, v12
	v_cndmask_b32_e64 v2, v2, v12, s1
	s_delay_alu instid0(VALU_DEP_1)
	v_lshlrev_b32_e32 v12, 2, v2
	s_waitcnt lgkmcnt(1)
	v_add_f32_e32 v2, v3, v11
	s_waitcnt lgkmcnt(0)
	v_add_f32_e32 v4, v4, v5
	ds_bpermute_b32 v3, v12, v2
	ds_bpermute_b32 v5, v12, v4
	s_and_saveexec_b32 s1, s0
	s_cbranch_execz .LBB582_10
; %bb.5:
	v_add_co_u32 v0, s0, s8, v0
	s_delay_alu instid0(VALU_DEP_1)
	v_add_co_ci_u32_e64 v1, s0, s9, v1, s0
	s_and_saveexec_b32 s0, vcc_lo
	s_cbranch_execz .LBB582_7
; %bb.6:
	s_waitcnt lgkmcnt(0)
	v_add_f32_e32 v4, v4, v5
	s_delay_alu instid0(VALU_DEP_1)
	v_fma_mixlo_f16 v4, -v4, v9, v8
	global_store_b16 v[0:1], v4, off
.LBB582_7:
	s_or_b32 exec_lo, exec_lo, s0
	v_cmp_ne_u32_e64 s0, 1, v6
	s_delay_alu instid0(VALU_DEP_1)
	s_and_b32 exec_lo, exec_lo, s0
	s_cbranch_execz .LBB582_10
; %bb.8:
	s_and_b32 exec_lo, exec_lo, vcc_lo
	s_cbranch_execz .LBB582_10
; %bb.9:
	s_waitcnt lgkmcnt(1)
	v_add_f32_e32 v2, v2, v3
	s_lshl_b64 s[0:1], s[6:7], 1
	s_delay_alu instid0(SALU_CYCLE_1) | instskip(NEXT) | instid1(VALU_DEP_2)
	v_add_co_u32 v0, vcc_lo, v0, s0
	v_fma_mixlo_f16 v2, -v2, v10, v7
	v_add_co_ci_u32_e32 v1, vcc_lo, s1, v1, vcc_lo
	global_store_b16 v[0:1], v2, off
.LBB582_10:
	s_nop 0
	s_sendmsg sendmsg(MSG_DEALLOC_VGPRS)
	s_endpgm
	.section	.rodata,"a",@progbits
	.p2align	6, 0x0
	.amdhsa_kernel _ZN12_GLOBAL__N_121softmax_warp_backwardIN3c104HalfES2_fLi6ELb0ELb0ELi64EEEvPT0_PKT_S7_iiiPKb
		.amdhsa_group_segment_fixed_size 0
		.amdhsa_private_segment_fixed_size 0
		.amdhsa_kernarg_size 304
		.amdhsa_user_sgpr_count 15
		.amdhsa_user_sgpr_dispatch_ptr 0
		.amdhsa_user_sgpr_queue_ptr 0
		.amdhsa_user_sgpr_kernarg_segment_ptr 1
		.amdhsa_user_sgpr_dispatch_id 0
		.amdhsa_user_sgpr_private_segment_size 0
		.amdhsa_wavefront_size32 1
		.amdhsa_uses_dynamic_stack 0
		.amdhsa_enable_private_segment 0
		.amdhsa_system_sgpr_workgroup_id_x 1
		.amdhsa_system_sgpr_workgroup_id_y 0
		.amdhsa_system_sgpr_workgroup_id_z 0
		.amdhsa_system_sgpr_workgroup_info 0
		.amdhsa_system_vgpr_workitem_id 1
		.amdhsa_next_free_vgpr 13
		.amdhsa_next_free_sgpr 16
		.amdhsa_reserve_vcc 1
		.amdhsa_float_round_mode_32 0
		.amdhsa_float_round_mode_16_64 0
		.amdhsa_float_denorm_mode_32 3
		.amdhsa_float_denorm_mode_16_64 3
		.amdhsa_dx10_clamp 1
		.amdhsa_ieee_mode 1
		.amdhsa_fp16_overflow 0
		.amdhsa_workgroup_processor_mode 1
		.amdhsa_memory_ordered 1
		.amdhsa_forward_progress 0
		.amdhsa_shared_vgpr_count 0
		.amdhsa_exception_fp_ieee_invalid_op 0
		.amdhsa_exception_fp_denorm_src 0
		.amdhsa_exception_fp_ieee_div_zero 0
		.amdhsa_exception_fp_ieee_overflow 0
		.amdhsa_exception_fp_ieee_underflow 0
		.amdhsa_exception_fp_ieee_inexact 0
		.amdhsa_exception_int_div_zero 0
	.end_amdhsa_kernel
	.section	.text._ZN12_GLOBAL__N_121softmax_warp_backwardIN3c104HalfES2_fLi6ELb0ELb0ELi64EEEvPT0_PKT_S7_iiiPKb,"axG",@progbits,_ZN12_GLOBAL__N_121softmax_warp_backwardIN3c104HalfES2_fLi6ELb0ELb0ELi64EEEvPT0_PKT_S7_iiiPKb,comdat
.Lfunc_end582:
	.size	_ZN12_GLOBAL__N_121softmax_warp_backwardIN3c104HalfES2_fLi6ELb0ELb0ELi64EEEvPT0_PKT_S7_iiiPKb, .Lfunc_end582-_ZN12_GLOBAL__N_121softmax_warp_backwardIN3c104HalfES2_fLi6ELb0ELb0ELi64EEEvPT0_PKT_S7_iiiPKb
                                        ; -- End function
	.section	.AMDGPU.csdata,"",@progbits
; Kernel info:
; codeLenInByte = 852
; NumSgprs: 18
; NumVgprs: 13
; ScratchSize: 0
; MemoryBound: 0
; FloatMode: 240
; IeeeMode: 1
; LDSByteSize: 0 bytes/workgroup (compile time only)
; SGPRBlocks: 2
; VGPRBlocks: 1
; NumSGPRsForWavesPerEU: 18
; NumVGPRsForWavesPerEU: 13
; Occupancy: 16
; WaveLimiterHint : 0
; COMPUTE_PGM_RSRC2:SCRATCH_EN: 0
; COMPUTE_PGM_RSRC2:USER_SGPR: 15
; COMPUTE_PGM_RSRC2:TRAP_HANDLER: 0
; COMPUTE_PGM_RSRC2:TGID_X_EN: 1
; COMPUTE_PGM_RSRC2:TGID_Y_EN: 0
; COMPUTE_PGM_RSRC2:TGID_Z_EN: 0
; COMPUTE_PGM_RSRC2:TIDIG_COMP_CNT: 1
	.section	.text._ZN12_GLOBAL__N_121softmax_warp_backwardIN3c104HalfES2_fLi6ELb0ELb0ELi32EEEvPT0_PKT_S7_iiiPKb,"axG",@progbits,_ZN12_GLOBAL__N_121softmax_warp_backwardIN3c104HalfES2_fLi6ELb0ELb0ELi32EEEvPT0_PKT_S7_iiiPKb,comdat
	.globl	_ZN12_GLOBAL__N_121softmax_warp_backwardIN3c104HalfES2_fLi6ELb0ELb0ELi32EEEvPT0_PKT_S7_iiiPKb ; -- Begin function _ZN12_GLOBAL__N_121softmax_warp_backwardIN3c104HalfES2_fLi6ELb0ELb0ELi32EEEvPT0_PKT_S7_iiiPKb
	.p2align	8
	.type	_ZN12_GLOBAL__N_121softmax_warp_backwardIN3c104HalfES2_fLi6ELb0ELb0ELi32EEEvPT0_PKT_S7_iiiPKb,@function
_ZN12_GLOBAL__N_121softmax_warp_backwardIN3c104HalfES2_fLi6ELb0ELb0ELi32EEEvPT0_PKT_S7_iiiPKb: ; @_ZN12_GLOBAL__N_121softmax_warp_backwardIN3c104HalfES2_fLi6ELb0ELb0ELi32EEEvPT0_PKT_S7_iiiPKb
; %bb.0:
	s_clause 0x1
	s_load_b32 s2, s[0:1], 0x3c
	s_load_b128 s[4:7], s[0:1], 0x18
	v_bfe_u32 v1, v0, 10, 10
	v_dual_mov_b32 v9, 0 :: v_dual_and_b32 v6, 31, v0
	s_load_b128 s[8:11], s[0:1], 0x0
	v_mov_b32_e32 v8, 0
	v_mov_b32_e32 v10, 0
	s_waitcnt lgkmcnt(0)
	s_lshr_b32 s2, s2, 16
	v_cmp_gt_i32_e32 vcc_lo, s6, v6
	s_mul_i32 s15, s15, s2
	s_load_b64 s[2:3], s[0:1], 0x10
	v_add_lshl_u32 v2, s15, v1, 1
	s_delay_alu instid0(VALU_DEP_1) | instskip(SKIP_1) | instid1(VALU_DEP_1)
	v_mad_u64_u32 v[0:1], null, v2, s5, v[6:7]
	v_sub_nc_u32_e32 v7, s4, v2
	v_cmp_lt_i32_e64 s1, 0, v7
	s_delay_alu instid0(VALU_DEP_3) | instskip(NEXT) | instid1(VALU_DEP_1)
	v_ashrrev_i32_e32 v1, 31, v0
	v_lshlrev_b64 v[0:1], 1, v[0:1]
	s_delay_alu instid0(VALU_DEP_1) | instskip(NEXT) | instid1(VALU_DEP_1)
	v_add_co_u32 v4, s0, s10, v0
	v_add_co_ci_u32_e64 v5, s0, s11, v1, s0
	s_waitcnt lgkmcnt(0)
	v_add_co_u32 v2, s0, s2, v0
	s_delay_alu instid0(VALU_DEP_1) | instskip(SKIP_1) | instid1(SALU_CYCLE_1)
	v_add_co_ci_u32_e64 v3, s0, s3, v1, s0
	s_and_b32 s2, s1, vcc_lo
	s_and_saveexec_b32 s0, s2
	s_cbranch_execz .LBB583_2
; %bb.1:
	global_load_u16 v9, v[4:5], off
	global_load_u16 v10, v[2:3], off
	s_waitcnt vmcnt(1)
	v_cvt_f32_f16_e32 v9, v9
	s_waitcnt vmcnt(0)
	v_cvt_f32_f16_e32 v10, v10
.LBB583_2:
	s_or_b32 exec_lo, exec_lo, s0
	v_or_b32_e32 v6, 32, v6
	v_mov_b32_e32 v11, 0
	s_delay_alu instid0(VALU_DEP_2) | instskip(NEXT) | instid1(VALU_DEP_1)
	v_cmp_gt_i32_e64 s0, s6, v6
	s_and_b32 s3, s1, s0
	s_delay_alu instid0(SALU_CYCLE_1)
	s_and_saveexec_b32 s2, s3
	s_cbranch_execz .LBB583_4
; %bb.3:
	global_load_u16 v6, v[4:5], off offset:64
	global_load_u16 v11, v[2:3], off offset:64
	s_waitcnt vmcnt(1)
	v_cvt_f32_f16_e32 v8, v6
	s_waitcnt vmcnt(0)
	v_cvt_f32_f16_e32 v11, v11
.LBB583_4:
	s_or_b32 exec_lo, exec_lo, s2
	v_cmp_lt_i32_e64 s2, 1, v7
	v_dual_mov_b32 v6, 0 :: v_dual_mov_b32 v13, 0
	v_mov_b32_e32 v12, 0
	s_mov_b32 s7, 0
	s_delay_alu instid0(VALU_DEP_3) | instskip(NEXT) | instid1(SALU_CYCLE_1)
	s_and_b32 s3, s2, vcc_lo
	s_and_saveexec_b32 s4, s3
	s_cbranch_execz .LBB583_6
; %bb.5:
	s_lshl_b64 s[10:11], s[6:7], 1
	s_delay_alu instid0(SALU_CYCLE_1) | instskip(NEXT) | instid1(VALU_DEP_1)
	v_add_co_u32 v12, s3, v4, s10
	v_add_co_ci_u32_e64 v13, s3, s11, v5, s3
	v_add_co_u32 v14, s3, v2, s10
	s_delay_alu instid0(VALU_DEP_1)
	v_add_co_ci_u32_e64 v15, s3, s11, v3, s3
	global_load_u16 v12, v[12:13], off
	global_load_u16 v13, v[14:15], off
	s_waitcnt vmcnt(1)
	v_cvt_f32_f16_e32 v12, v12
	s_waitcnt vmcnt(0)
	v_cvt_f32_f16_e32 v13, v13
.LBB583_6:
	s_or_b32 exec_lo, exec_lo, s4
	v_mov_b32_e32 v14, 0
	s_and_b32 s2, s2, s0
	s_delay_alu instid0(SALU_CYCLE_1)
	s_and_saveexec_b32 s3, s2
	s_cbranch_execz .LBB583_8
; %bb.7:
	s_lshl_b64 s[4:5], s[6:7], 1
	s_delay_alu instid0(SALU_CYCLE_1) | instskip(NEXT) | instid1(VALU_DEP_1)
	v_add_co_u32 v4, s2, v4, s4
	v_add_co_ci_u32_e64 v5, s2, s5, v5, s2
	v_add_co_u32 v2, s2, v2, s4
	s_delay_alu instid0(VALU_DEP_1)
	v_add_co_ci_u32_e64 v3, s2, s5, v3, s2
	global_load_u16 v4, v[4:5], off offset:64
	global_load_u16 v2, v[2:3], off offset:64
	s_waitcnt vmcnt(1)
	v_cvt_f32_f16_e32 v6, v4
	s_waitcnt vmcnt(0)
	v_cvt_f32_f16_e32 v14, v2
.LBB583_8:
	s_or_b32 exec_lo, exec_lo, s3
	v_mbcnt_lo_u32_b32 v2, -1, 0
	v_dual_add_f32 v4, 0, v9 :: v_dual_add_f32 v5, 0, v12
	s_delay_alu instid0(VALU_DEP_2) | instskip(SKIP_1) | instid1(VALU_DEP_2)
	v_xor_b32_e32 v3, 16, v2
	v_xor_b32_e32 v16, 8, v2
	v_cmp_gt_i32_e64 s2, 32, v3
	s_delay_alu instid0(VALU_DEP_1) | instskip(NEXT) | instid1(VALU_DEP_3)
	v_cndmask_b32_e64 v3, v2, v3, s2
	v_cmp_gt_i32_e64 s2, 32, v16
	s_delay_alu instid0(VALU_DEP_2) | instskip(NEXT) | instid1(VALU_DEP_2)
	v_dual_add_f32 v4, v4, v8 :: v_dual_lshlrev_b32 v3, 2, v3
	v_cndmask_b32_e64 v16, v2, v16, s2
	v_add_f32_e32 v5, v5, v6
	ds_bpermute_b32 v15, v3, v4
	v_lshlrev_b32_e32 v16, 2, v16
	ds_bpermute_b32 v3, v3, v5
	s_waitcnt lgkmcnt(1)
	v_add_f32_e32 v4, v4, v15
	s_waitcnt lgkmcnt(0)
	v_add_f32_e32 v3, v5, v3
	ds_bpermute_b32 v5, v16, v4
	ds_bpermute_b32 v15, v16, v3
	v_xor_b32_e32 v16, 4, v2
	s_delay_alu instid0(VALU_DEP_1) | instskip(NEXT) | instid1(VALU_DEP_1)
	v_cmp_gt_i32_e64 s2, 32, v16
	v_cndmask_b32_e64 v16, v2, v16, s2
	s_delay_alu instid0(VALU_DEP_1)
	v_lshlrev_b32_e32 v16, 2, v16
	s_waitcnt lgkmcnt(0)
	v_dual_add_f32 v4, v4, v5 :: v_dual_add_f32 v3, v3, v15
	ds_bpermute_b32 v5, v16, v4
	ds_bpermute_b32 v15, v16, v3
	v_xor_b32_e32 v16, 2, v2
	s_delay_alu instid0(VALU_DEP_1) | instskip(NEXT) | instid1(VALU_DEP_1)
	v_cmp_gt_i32_e64 s2, 32, v16
	v_cndmask_b32_e64 v16, v2, v16, s2
	s_delay_alu instid0(VALU_DEP_1)
	v_lshlrev_b32_e32 v16, 2, v16
	s_waitcnt lgkmcnt(0)
	v_dual_add_f32 v4, v4, v5 :: v_dual_add_f32 v3, v3, v15
	ds_bpermute_b32 v5, v16, v4
	ds_bpermute_b32 v15, v16, v3
	v_xor_b32_e32 v16, 1, v2
	s_delay_alu instid0(VALU_DEP_1) | instskip(NEXT) | instid1(VALU_DEP_1)
	v_cmp_gt_i32_e64 s2, 32, v16
	v_cndmask_b32_e64 v2, v2, v16, s2
	s_delay_alu instid0(VALU_DEP_1)
	v_lshlrev_b32_e32 v16, 2, v2
	s_waitcnt lgkmcnt(1)
	v_add_f32_e32 v4, v4, v5
	s_waitcnt lgkmcnt(0)
	v_add_f32_e32 v2, v3, v15
	ds_bpermute_b32 v5, v16, v4
	ds_bpermute_b32 v3, v16, v2
	s_and_saveexec_b32 s2, s1
	s_cbranch_execz .LBB583_12
; %bb.9:
	v_add_co_u32 v0, s1, s8, v0
	s_delay_alu instid0(VALU_DEP_1)
	v_add_co_ci_u32_e64 v1, s1, s9, v1, s1
	s_waitcnt lgkmcnt(1)
	v_add_f32_e32 v4, v4, v5
	s_and_saveexec_b32 s1, vcc_lo
	s_cbranch_execnz .LBB583_13
; %bb.10:
	s_or_b32 exec_lo, exec_lo, s1
	s_and_saveexec_b32 s1, s0
	s_cbranch_execnz .LBB583_14
.LBB583_11:
	s_or_b32 exec_lo, exec_lo, s1
	v_cmp_ne_u32_e64 s1, 1, v7
	s_delay_alu instid0(VALU_DEP_1)
	s_and_b32 exec_lo, exec_lo, s1
	s_cbranch_execnz .LBB583_15
.LBB583_12:
	s_nop 0
	s_sendmsg sendmsg(MSG_DEALLOC_VGPRS)
	s_endpgm
.LBB583_13:
	s_delay_alu instid0(VALU_DEP_1)
	v_fma_mixlo_f16 v5, -v4, v10, v9
	global_store_b16 v[0:1], v5, off
	s_or_b32 exec_lo, exec_lo, s1
	s_and_saveexec_b32 s1, s0
	s_cbranch_execz .LBB583_11
.LBB583_14:
	v_fma_mixlo_f16 v4, -v4, v11, v8
	global_store_b16 v[0:1], v4, off offset:64
	s_or_b32 exec_lo, exec_lo, s1
	v_cmp_ne_u32_e64 s1, 1, v7
	s_delay_alu instid0(VALU_DEP_1)
	s_and_b32 exec_lo, exec_lo, s1
	s_cbranch_execz .LBB583_12
.LBB583_15:
	s_waitcnt lgkmcnt(0)
	v_add_f32_e32 v2, v2, v3
	s_and_saveexec_b32 s1, vcc_lo
	s_cbranch_execz .LBB583_17
; %bb.16:
	s_lshl_b64 s[2:3], s[6:7], 1
	s_delay_alu instid0(VALU_DEP_1)
	v_fma_mixlo_f16 v5, -v2, v13, v12
	v_add_co_u32 v3, vcc_lo, v0, s2
	v_add_co_ci_u32_e32 v4, vcc_lo, s3, v1, vcc_lo
	global_store_b16 v[3:4], v5, off
.LBB583_17:
	s_or_b32 exec_lo, exec_lo, s1
	s_delay_alu instid0(SALU_CYCLE_1)
	s_and_b32 exec_lo, exec_lo, s0
	s_cbranch_execz .LBB583_12
; %bb.18:
	s_ashr_i32 s7, s6, 31
	v_fma_mixlo_f16 v2, -v2, v14, v6
	s_lshl_b64 s[0:1], s[6:7], 1
	s_delay_alu instid0(SALU_CYCLE_1)
	v_add_co_u32 v0, vcc_lo, v0, s0
	v_add_co_ci_u32_e32 v1, vcc_lo, s1, v1, vcc_lo
	global_store_b16 v[0:1], v2, off offset:64
	s_nop 0
	s_sendmsg sendmsg(MSG_DEALLOC_VGPRS)
	s_endpgm
	.section	.rodata,"a",@progbits
	.p2align	6, 0x0
	.amdhsa_kernel _ZN12_GLOBAL__N_121softmax_warp_backwardIN3c104HalfES2_fLi6ELb0ELb0ELi32EEEvPT0_PKT_S7_iiiPKb
		.amdhsa_group_segment_fixed_size 0
		.amdhsa_private_segment_fixed_size 0
		.amdhsa_kernarg_size 304
		.amdhsa_user_sgpr_count 15
		.amdhsa_user_sgpr_dispatch_ptr 0
		.amdhsa_user_sgpr_queue_ptr 0
		.amdhsa_user_sgpr_kernarg_segment_ptr 1
		.amdhsa_user_sgpr_dispatch_id 0
		.amdhsa_user_sgpr_private_segment_size 0
		.amdhsa_wavefront_size32 1
		.amdhsa_uses_dynamic_stack 0
		.amdhsa_enable_private_segment 0
		.amdhsa_system_sgpr_workgroup_id_x 1
		.amdhsa_system_sgpr_workgroup_id_y 0
		.amdhsa_system_sgpr_workgroup_id_z 0
		.amdhsa_system_sgpr_workgroup_info 0
		.amdhsa_system_vgpr_workitem_id 1
		.amdhsa_next_free_vgpr 17
		.amdhsa_next_free_sgpr 16
		.amdhsa_reserve_vcc 1
		.amdhsa_float_round_mode_32 0
		.amdhsa_float_round_mode_16_64 0
		.amdhsa_float_denorm_mode_32 3
		.amdhsa_float_denorm_mode_16_64 3
		.amdhsa_dx10_clamp 1
		.amdhsa_ieee_mode 1
		.amdhsa_fp16_overflow 0
		.amdhsa_workgroup_processor_mode 1
		.amdhsa_memory_ordered 1
		.amdhsa_forward_progress 0
		.amdhsa_shared_vgpr_count 0
		.amdhsa_exception_fp_ieee_invalid_op 0
		.amdhsa_exception_fp_denorm_src 0
		.amdhsa_exception_fp_ieee_div_zero 0
		.amdhsa_exception_fp_ieee_overflow 0
		.amdhsa_exception_fp_ieee_underflow 0
		.amdhsa_exception_fp_ieee_inexact 0
		.amdhsa_exception_int_div_zero 0
	.end_amdhsa_kernel
	.section	.text._ZN12_GLOBAL__N_121softmax_warp_backwardIN3c104HalfES2_fLi6ELb0ELb0ELi32EEEvPT0_PKT_S7_iiiPKb,"axG",@progbits,_ZN12_GLOBAL__N_121softmax_warp_backwardIN3c104HalfES2_fLi6ELb0ELb0ELi32EEEvPT0_PKT_S7_iiiPKb,comdat
.Lfunc_end583:
	.size	_ZN12_GLOBAL__N_121softmax_warp_backwardIN3c104HalfES2_fLi6ELb0ELb0ELi32EEEvPT0_PKT_S7_iiiPKb, .Lfunc_end583-_ZN12_GLOBAL__N_121softmax_warp_backwardIN3c104HalfES2_fLi6ELb0ELb0ELi32EEEvPT0_PKT_S7_iiiPKb
                                        ; -- End function
	.section	.AMDGPU.csdata,"",@progbits
; Kernel info:
; codeLenInByte = 1108
; NumSgprs: 18
; NumVgprs: 17
; ScratchSize: 0
; MemoryBound: 0
; FloatMode: 240
; IeeeMode: 1
; LDSByteSize: 0 bytes/workgroup (compile time only)
; SGPRBlocks: 2
; VGPRBlocks: 2
; NumSGPRsForWavesPerEU: 18
; NumVGPRsForWavesPerEU: 17
; Occupancy: 16
; WaveLimiterHint : 0
; COMPUTE_PGM_RSRC2:SCRATCH_EN: 0
; COMPUTE_PGM_RSRC2:USER_SGPR: 15
; COMPUTE_PGM_RSRC2:TRAP_HANDLER: 0
; COMPUTE_PGM_RSRC2:TGID_X_EN: 1
; COMPUTE_PGM_RSRC2:TGID_Y_EN: 0
; COMPUTE_PGM_RSRC2:TGID_Z_EN: 0
; COMPUTE_PGM_RSRC2:TIDIG_COMP_CNT: 1
	.section	.text._ZN12_GLOBAL__N_121softmax_warp_backwardIN3c104HalfES2_fLi7ELb0ELb0ELi64EEEvPT0_PKT_S7_iiiPKb,"axG",@progbits,_ZN12_GLOBAL__N_121softmax_warp_backwardIN3c104HalfES2_fLi7ELb0ELb0ELi64EEEvPT0_PKT_S7_iiiPKb,comdat
	.globl	_ZN12_GLOBAL__N_121softmax_warp_backwardIN3c104HalfES2_fLi7ELb0ELb0ELi64EEEvPT0_PKT_S7_iiiPKb ; -- Begin function _ZN12_GLOBAL__N_121softmax_warp_backwardIN3c104HalfES2_fLi7ELb0ELb0ELi64EEEvPT0_PKT_S7_iiiPKb
	.p2align	8
	.type	_ZN12_GLOBAL__N_121softmax_warp_backwardIN3c104HalfES2_fLi7ELb0ELb0ELi64EEEvPT0_PKT_S7_iiiPKb,@function
_ZN12_GLOBAL__N_121softmax_warp_backwardIN3c104HalfES2_fLi7ELb0ELb0ELi64EEEvPT0_PKT_S7_iiiPKb: ; @_ZN12_GLOBAL__N_121softmax_warp_backwardIN3c104HalfES2_fLi7ELb0ELb0ELi64EEEvPT0_PKT_S7_iiiPKb
; %bb.0:
	s_clause 0x1
	s_load_b32 s2, s[0:1], 0x3c
	s_load_b128 s[4:7], s[0:1], 0x18
	v_bfe_u32 v1, v0, 10, 10
	v_dual_mov_b32 v9, 0 :: v_dual_and_b32 v6, 63, v0
	s_load_b128 s[8:11], s[0:1], 0x0
	v_mov_b32_e32 v8, 0
	v_mov_b32_e32 v10, 0
	s_waitcnt lgkmcnt(0)
	s_lshr_b32 s2, s2, 16
	v_cmp_gt_i32_e32 vcc_lo, s6, v6
	s_mul_i32 s15, s15, s2
	s_load_b64 s[2:3], s[0:1], 0x10
	v_add_lshl_u32 v2, s15, v1, 1
	s_delay_alu instid0(VALU_DEP_1) | instskip(SKIP_1) | instid1(VALU_DEP_1)
	v_mad_u64_u32 v[0:1], null, v2, s5, v[6:7]
	v_sub_nc_u32_e32 v7, s4, v2
	v_cmp_lt_i32_e64 s1, 0, v7
	s_delay_alu instid0(VALU_DEP_3) | instskip(NEXT) | instid1(VALU_DEP_1)
	v_ashrrev_i32_e32 v1, 31, v0
	v_lshlrev_b64 v[0:1], 1, v[0:1]
	s_delay_alu instid0(VALU_DEP_1) | instskip(NEXT) | instid1(VALU_DEP_1)
	v_add_co_u32 v4, s0, s10, v0
	v_add_co_ci_u32_e64 v5, s0, s11, v1, s0
	s_waitcnt lgkmcnt(0)
	v_add_co_u32 v2, s0, s2, v0
	s_delay_alu instid0(VALU_DEP_1) | instskip(SKIP_1) | instid1(SALU_CYCLE_1)
	v_add_co_ci_u32_e64 v3, s0, s3, v1, s0
	s_and_b32 s2, s1, vcc_lo
	s_and_saveexec_b32 s0, s2
	s_cbranch_execz .LBB584_2
; %bb.1:
	global_load_u16 v9, v[4:5], off
	global_load_u16 v10, v[2:3], off
	s_waitcnt vmcnt(1)
	v_cvt_f32_f16_e32 v9, v9
	s_waitcnt vmcnt(0)
	v_cvt_f32_f16_e32 v10, v10
.LBB584_2:
	s_or_b32 exec_lo, exec_lo, s0
	v_or_b32_e32 v6, 64, v6
	v_mov_b32_e32 v11, 0
	s_delay_alu instid0(VALU_DEP_2) | instskip(NEXT) | instid1(VALU_DEP_1)
	v_cmp_gt_i32_e64 s0, s6, v6
	s_and_b32 s3, s1, s0
	s_delay_alu instid0(SALU_CYCLE_1)
	s_and_saveexec_b32 s2, s3
	s_cbranch_execz .LBB584_4
; %bb.3:
	global_load_u16 v6, v[4:5], off offset:128
	global_load_u16 v11, v[2:3], off offset:128
	s_waitcnt vmcnt(1)
	v_cvt_f32_f16_e32 v8, v6
	s_waitcnt vmcnt(0)
	v_cvt_f32_f16_e32 v11, v11
.LBB584_4:
	s_or_b32 exec_lo, exec_lo, s2
	v_cmp_lt_i32_e64 s2, 1, v7
	v_dual_mov_b32 v6, 0 :: v_dual_mov_b32 v13, 0
	v_mov_b32_e32 v12, 0
	s_mov_b32 s7, 0
	s_delay_alu instid0(VALU_DEP_3) | instskip(NEXT) | instid1(SALU_CYCLE_1)
	s_and_b32 s3, s2, vcc_lo
	s_and_saveexec_b32 s4, s3
	s_cbranch_execz .LBB584_6
; %bb.5:
	s_lshl_b64 s[10:11], s[6:7], 1
	s_delay_alu instid0(SALU_CYCLE_1) | instskip(NEXT) | instid1(VALU_DEP_1)
	v_add_co_u32 v12, s3, v4, s10
	v_add_co_ci_u32_e64 v13, s3, s11, v5, s3
	v_add_co_u32 v14, s3, v2, s10
	s_delay_alu instid0(VALU_DEP_1)
	v_add_co_ci_u32_e64 v15, s3, s11, v3, s3
	global_load_u16 v12, v[12:13], off
	global_load_u16 v13, v[14:15], off
	s_waitcnt vmcnt(1)
	v_cvt_f32_f16_e32 v12, v12
	s_waitcnt vmcnt(0)
	v_cvt_f32_f16_e32 v13, v13
.LBB584_6:
	s_or_b32 exec_lo, exec_lo, s4
	v_mov_b32_e32 v14, 0
	s_and_b32 s2, s2, s0
	s_delay_alu instid0(SALU_CYCLE_1)
	s_and_saveexec_b32 s3, s2
	s_cbranch_execz .LBB584_8
; %bb.7:
	s_lshl_b64 s[4:5], s[6:7], 1
	s_delay_alu instid0(SALU_CYCLE_1) | instskip(NEXT) | instid1(VALU_DEP_1)
	v_add_co_u32 v4, s2, v4, s4
	v_add_co_ci_u32_e64 v5, s2, s5, v5, s2
	v_add_co_u32 v2, s2, v2, s4
	s_delay_alu instid0(VALU_DEP_1)
	v_add_co_ci_u32_e64 v3, s2, s5, v3, s2
	global_load_u16 v4, v[4:5], off offset:128
	global_load_u16 v2, v[2:3], off offset:128
	s_waitcnt vmcnt(1)
	v_cvt_f32_f16_e32 v6, v4
	s_waitcnt vmcnt(0)
	v_cvt_f32_f16_e32 v14, v2
.LBB584_8:
	s_or_b32 exec_lo, exec_lo, s3
	v_mbcnt_lo_u32_b32 v2, -1, 0
	v_dual_add_f32 v4, 0, v9 :: v_dual_add_f32 v5, 0, v12
	s_delay_alu instid0(VALU_DEP_2) | instskip(SKIP_1) | instid1(VALU_DEP_2)
	v_or_b32_e32 v3, 32, v2
	v_xor_b32_e32 v16, 16, v2
	v_cmp_gt_i32_e64 s2, 64, v3
	s_delay_alu instid0(VALU_DEP_1) | instskip(NEXT) | instid1(VALU_DEP_3)
	v_cndmask_b32_e64 v3, v2, v3, s2
	v_cmp_gt_i32_e64 s2, 64, v16
	s_delay_alu instid0(VALU_DEP_2) | instskip(NEXT) | instid1(VALU_DEP_2)
	v_dual_add_f32 v4, v4, v8 :: v_dual_lshlrev_b32 v3, 2, v3
	v_cndmask_b32_e64 v16, v2, v16, s2
	v_add_f32_e32 v5, v5, v6
	ds_bpermute_b32 v15, v3, v4
	v_lshlrev_b32_e32 v16, 2, v16
	ds_bpermute_b32 v3, v3, v5
	s_waitcnt lgkmcnt(1)
	v_add_f32_e32 v4, v4, v15
	s_waitcnt lgkmcnt(0)
	v_add_f32_e32 v3, v5, v3
	ds_bpermute_b32 v5, v16, v4
	ds_bpermute_b32 v15, v16, v3
	v_xor_b32_e32 v16, 8, v2
	s_delay_alu instid0(VALU_DEP_1) | instskip(NEXT) | instid1(VALU_DEP_1)
	v_cmp_gt_i32_e64 s2, 64, v16
	v_cndmask_b32_e64 v16, v2, v16, s2
	s_delay_alu instid0(VALU_DEP_1)
	v_lshlrev_b32_e32 v16, 2, v16
	s_waitcnt lgkmcnt(0)
	v_dual_add_f32 v4, v4, v5 :: v_dual_add_f32 v3, v3, v15
	ds_bpermute_b32 v5, v16, v4
	ds_bpermute_b32 v15, v16, v3
	v_xor_b32_e32 v16, 4, v2
	s_delay_alu instid0(VALU_DEP_1) | instskip(NEXT) | instid1(VALU_DEP_1)
	v_cmp_gt_i32_e64 s2, 64, v16
	v_cndmask_b32_e64 v16, v2, v16, s2
	s_waitcnt lgkmcnt(0)
	s_delay_alu instid0(VALU_DEP_1)
	v_dual_add_f32 v3, v3, v15 :: v_dual_lshlrev_b32 v16, 2, v16
	ds_bpermute_b32 v15, v16, v3
	s_waitcnt lgkmcnt(0)
	v_dual_add_f32 v4, v4, v5 :: v_dual_add_f32 v3, v3, v15
	ds_bpermute_b32 v5, v16, v4
	v_xor_b32_e32 v16, 2, v2
	s_delay_alu instid0(VALU_DEP_1) | instskip(NEXT) | instid1(VALU_DEP_1)
	v_cmp_gt_i32_e64 s2, 64, v16
	v_cndmask_b32_e64 v16, v2, v16, s2
	s_delay_alu instid0(VALU_DEP_1)
	v_lshlrev_b32_e32 v16, 2, v16
	s_waitcnt lgkmcnt(0)
	v_add_f32_e32 v4, v4, v5
	ds_bpermute_b32 v15, v16, v3
	ds_bpermute_b32 v5, v16, v4
	v_xor_b32_e32 v16, 1, v2
	s_delay_alu instid0(VALU_DEP_1) | instskip(NEXT) | instid1(VALU_DEP_1)
	v_cmp_gt_i32_e64 s2, 64, v16
	v_cndmask_b32_e64 v2, v2, v16, s2
	s_delay_alu instid0(VALU_DEP_1)
	v_lshlrev_b32_e32 v16, 2, v2
	s_waitcnt lgkmcnt(1)
	v_add_f32_e32 v2, v3, v15
	s_waitcnt lgkmcnt(0)
	v_add_f32_e32 v4, v4, v5
	ds_bpermute_b32 v3, v16, v2
	ds_bpermute_b32 v5, v16, v4
	s_and_saveexec_b32 s2, s1
	s_cbranch_execz .LBB584_12
; %bb.9:
	v_add_co_u32 v0, s1, s8, v0
	s_delay_alu instid0(VALU_DEP_1)
	v_add_co_ci_u32_e64 v1, s1, s9, v1, s1
	s_waitcnt lgkmcnt(0)
	v_add_f32_e32 v4, v4, v5
	s_and_saveexec_b32 s1, vcc_lo
	s_cbranch_execnz .LBB584_13
; %bb.10:
	s_or_b32 exec_lo, exec_lo, s1
	s_and_saveexec_b32 s1, s0
	s_cbranch_execnz .LBB584_14
.LBB584_11:
	s_or_b32 exec_lo, exec_lo, s1
	v_cmp_ne_u32_e64 s1, 1, v7
	s_delay_alu instid0(VALU_DEP_1)
	s_and_b32 exec_lo, exec_lo, s1
	s_cbranch_execnz .LBB584_15
.LBB584_12:
	s_nop 0
	s_sendmsg sendmsg(MSG_DEALLOC_VGPRS)
	s_endpgm
.LBB584_13:
	s_delay_alu instid0(VALU_DEP_1)
	v_fma_mixlo_f16 v5, -v4, v10, v9
	global_store_b16 v[0:1], v5, off
	s_or_b32 exec_lo, exec_lo, s1
	s_and_saveexec_b32 s1, s0
	s_cbranch_execz .LBB584_11
.LBB584_14:
	v_fma_mixlo_f16 v4, -v4, v11, v8
	global_store_b16 v[0:1], v4, off offset:128
	s_or_b32 exec_lo, exec_lo, s1
	v_cmp_ne_u32_e64 s1, 1, v7
	s_delay_alu instid0(VALU_DEP_1)
	s_and_b32 exec_lo, exec_lo, s1
	s_cbranch_execz .LBB584_12
.LBB584_15:
	v_add_f32_e32 v2, v2, v3
	s_and_saveexec_b32 s1, vcc_lo
	s_cbranch_execz .LBB584_17
; %bb.16:
	s_lshl_b64 s[2:3], s[6:7], 1
	s_delay_alu instid0(VALU_DEP_1)
	v_fma_mixlo_f16 v5, -v2, v13, v12
	v_add_co_u32 v3, vcc_lo, v0, s2
	v_add_co_ci_u32_e32 v4, vcc_lo, s3, v1, vcc_lo
	global_store_b16 v[3:4], v5, off
.LBB584_17:
	s_or_b32 exec_lo, exec_lo, s1
	s_delay_alu instid0(SALU_CYCLE_1)
	s_and_b32 exec_lo, exec_lo, s0
	s_cbranch_execz .LBB584_12
; %bb.18:
	s_ashr_i32 s7, s6, 31
	v_fma_mixlo_f16 v2, -v2, v14, v6
	s_lshl_b64 s[0:1], s[6:7], 1
	s_delay_alu instid0(SALU_CYCLE_1)
	v_add_co_u32 v0, vcc_lo, v0, s0
	v_add_co_ci_u32_e32 v1, vcc_lo, s1, v1, vcc_lo
	global_store_b16 v[0:1], v2, off offset:128
	s_nop 0
	s_sendmsg sendmsg(MSG_DEALLOC_VGPRS)
	s_endpgm
	.section	.rodata,"a",@progbits
	.p2align	6, 0x0
	.amdhsa_kernel _ZN12_GLOBAL__N_121softmax_warp_backwardIN3c104HalfES2_fLi7ELb0ELb0ELi64EEEvPT0_PKT_S7_iiiPKb
		.amdhsa_group_segment_fixed_size 0
		.amdhsa_private_segment_fixed_size 0
		.amdhsa_kernarg_size 304
		.amdhsa_user_sgpr_count 15
		.amdhsa_user_sgpr_dispatch_ptr 0
		.amdhsa_user_sgpr_queue_ptr 0
		.amdhsa_user_sgpr_kernarg_segment_ptr 1
		.amdhsa_user_sgpr_dispatch_id 0
		.amdhsa_user_sgpr_private_segment_size 0
		.amdhsa_wavefront_size32 1
		.amdhsa_uses_dynamic_stack 0
		.amdhsa_enable_private_segment 0
		.amdhsa_system_sgpr_workgroup_id_x 1
		.amdhsa_system_sgpr_workgroup_id_y 0
		.amdhsa_system_sgpr_workgroup_id_z 0
		.amdhsa_system_sgpr_workgroup_info 0
		.amdhsa_system_vgpr_workitem_id 1
		.amdhsa_next_free_vgpr 17
		.amdhsa_next_free_sgpr 16
		.amdhsa_reserve_vcc 1
		.amdhsa_float_round_mode_32 0
		.amdhsa_float_round_mode_16_64 0
		.amdhsa_float_denorm_mode_32 3
		.amdhsa_float_denorm_mode_16_64 3
		.amdhsa_dx10_clamp 1
		.amdhsa_ieee_mode 1
		.amdhsa_fp16_overflow 0
		.amdhsa_workgroup_processor_mode 1
		.amdhsa_memory_ordered 1
		.amdhsa_forward_progress 0
		.amdhsa_shared_vgpr_count 0
		.amdhsa_exception_fp_ieee_invalid_op 0
		.amdhsa_exception_fp_denorm_src 0
		.amdhsa_exception_fp_ieee_div_zero 0
		.amdhsa_exception_fp_ieee_overflow 0
		.amdhsa_exception_fp_ieee_underflow 0
		.amdhsa_exception_fp_ieee_inexact 0
		.amdhsa_exception_int_div_zero 0
	.end_amdhsa_kernel
	.section	.text._ZN12_GLOBAL__N_121softmax_warp_backwardIN3c104HalfES2_fLi7ELb0ELb0ELi64EEEvPT0_PKT_S7_iiiPKb,"axG",@progbits,_ZN12_GLOBAL__N_121softmax_warp_backwardIN3c104HalfES2_fLi7ELb0ELb0ELi64EEEvPT0_PKT_S7_iiiPKb,comdat
.Lfunc_end584:
	.size	_ZN12_GLOBAL__N_121softmax_warp_backwardIN3c104HalfES2_fLi7ELb0ELb0ELi64EEEvPT0_PKT_S7_iiiPKb, .Lfunc_end584-_ZN12_GLOBAL__N_121softmax_warp_backwardIN3c104HalfES2_fLi7ELb0ELb0ELi64EEEvPT0_PKT_S7_iiiPKb
                                        ; -- End function
	.section	.AMDGPU.csdata,"",@progbits
; Kernel info:
; codeLenInByte = 1168
; NumSgprs: 18
; NumVgprs: 17
; ScratchSize: 0
; MemoryBound: 0
; FloatMode: 240
; IeeeMode: 1
; LDSByteSize: 0 bytes/workgroup (compile time only)
; SGPRBlocks: 2
; VGPRBlocks: 2
; NumSGPRsForWavesPerEU: 18
; NumVGPRsForWavesPerEU: 17
; Occupancy: 16
; WaveLimiterHint : 0
; COMPUTE_PGM_RSRC2:SCRATCH_EN: 0
; COMPUTE_PGM_RSRC2:USER_SGPR: 15
; COMPUTE_PGM_RSRC2:TRAP_HANDLER: 0
; COMPUTE_PGM_RSRC2:TGID_X_EN: 1
; COMPUTE_PGM_RSRC2:TGID_Y_EN: 0
; COMPUTE_PGM_RSRC2:TGID_Z_EN: 0
; COMPUTE_PGM_RSRC2:TIDIG_COMP_CNT: 1
	.section	.text._ZN12_GLOBAL__N_121softmax_warp_backwardIN3c104HalfES2_fLi7ELb0ELb0ELi32EEEvPT0_PKT_S7_iiiPKb,"axG",@progbits,_ZN12_GLOBAL__N_121softmax_warp_backwardIN3c104HalfES2_fLi7ELb0ELb0ELi32EEEvPT0_PKT_S7_iiiPKb,comdat
	.globl	_ZN12_GLOBAL__N_121softmax_warp_backwardIN3c104HalfES2_fLi7ELb0ELb0ELi32EEEvPT0_PKT_S7_iiiPKb ; -- Begin function _ZN12_GLOBAL__N_121softmax_warp_backwardIN3c104HalfES2_fLi7ELb0ELb0ELi32EEEvPT0_PKT_S7_iiiPKb
	.p2align	8
	.type	_ZN12_GLOBAL__N_121softmax_warp_backwardIN3c104HalfES2_fLi7ELb0ELb0ELi32EEEvPT0_PKT_S7_iiiPKb,@function
_ZN12_GLOBAL__N_121softmax_warp_backwardIN3c104HalfES2_fLi7ELb0ELb0ELi32EEEvPT0_PKT_S7_iiiPKb: ; @_ZN12_GLOBAL__N_121softmax_warp_backwardIN3c104HalfES2_fLi7ELb0ELb0ELi32EEEvPT0_PKT_S7_iiiPKb
; %bb.0:
	s_clause 0x1
	s_load_b32 s2, s[0:1], 0x3c
	s_load_b128 s[4:7], s[0:1], 0x18
	v_bfe_u32 v1, v0, 10, 10
	v_dual_mov_b32 v9, 0 :: v_dual_and_b32 v6, 31, v0
	s_clause 0x1
	s_load_b128 s[8:11], s[0:1], 0x0
	s_load_b64 s[12:13], s[0:1], 0x10
	v_mov_b32_e32 v8, 0
	v_mov_b32_e32 v10, 0
	s_waitcnt lgkmcnt(0)
	s_lshr_b32 s2, s2, 16
	v_cmp_gt_i32_e32 vcc_lo, s6, v6
	s_mul_i32 s15, s15, s2
	s_delay_alu instid0(SALU_CYCLE_1) | instskip(NEXT) | instid1(VALU_DEP_1)
	v_add_lshl_u32 v2, s15, v1, 1
	v_mad_u64_u32 v[0:1], null, v2, s5, v[6:7]
	v_sub_nc_u32_e32 v7, s4, v2
	s_delay_alu instid0(VALU_DEP_1) | instskip(NEXT) | instid1(VALU_DEP_3)
	v_cmp_lt_i32_e64 s3, 0, v7
	v_ashrrev_i32_e32 v1, 31, v0
	s_delay_alu instid0(VALU_DEP_2) | instskip(NEXT) | instid1(VALU_DEP_1)
	s_and_b32 s1, s3, vcc_lo
	v_lshlrev_b64 v[0:1], 1, v[0:1]
	s_delay_alu instid0(VALU_DEP_1) | instskip(NEXT) | instid1(VALU_DEP_1)
	v_add_co_u32 v4, s0, s10, v0
	v_add_co_ci_u32_e64 v5, s0, s11, v1, s0
	v_add_co_u32 v2, s0, s12, v0
	s_delay_alu instid0(VALU_DEP_1)
	v_add_co_ci_u32_e64 v3, s0, s13, v1, s0
	s_and_saveexec_b32 s0, s1
	s_cbranch_execz .LBB585_2
; %bb.1:
	global_load_u16 v9, v[4:5], off
	global_load_u16 v10, v[2:3], off
	s_waitcnt vmcnt(1)
	v_cvt_f32_f16_e32 v9, v9
	s_waitcnt vmcnt(0)
	v_cvt_f32_f16_e32 v10, v10
.LBB585_2:
	s_or_b32 exec_lo, exec_lo, s0
	v_or_b32_e32 v11, 32, v6
	s_delay_alu instid0(VALU_DEP_1) | instskip(SKIP_1) | instid1(VALU_DEP_2)
	v_cmp_gt_i32_e64 s0, s6, v11
	v_mov_b32_e32 v11, 0
	s_and_b32 s2, s3, s0
	s_delay_alu instid0(SALU_CYCLE_1)
	s_and_saveexec_b32 s1, s2
	s_cbranch_execz .LBB585_4
; %bb.3:
	global_load_u16 v8, v[4:5], off offset:64
	global_load_u16 v11, v[2:3], off offset:64
	s_waitcnt vmcnt(1)
	v_cvt_f32_f16_e32 v8, v8
	s_waitcnt vmcnt(0)
	v_cvt_f32_f16_e32 v11, v11
.LBB585_4:
	s_or_b32 exec_lo, exec_lo, s1
	v_or_b32_e32 v12, 64, v6
	v_dual_mov_b32 v14, 0 :: v_dual_mov_b32 v13, 0
	s_delay_alu instid0(VALU_DEP_2) | instskip(SKIP_1) | instid1(VALU_DEP_2)
	v_cmp_gt_i32_e64 s1, s6, v12
	v_mov_b32_e32 v12, 0
	s_and_b32 s4, s3, s1
	s_delay_alu instid0(SALU_CYCLE_1)
	s_and_saveexec_b32 s2, s4
	s_cbranch_execz .LBB585_6
; %bb.5:
	global_load_u16 v13, v[4:5], off offset:128
	global_load_u16 v14, v[2:3], off offset:128
	s_waitcnt vmcnt(1)
	v_cvt_f32_f16_e32 v13, v13
	s_waitcnt vmcnt(0)
	v_cvt_f32_f16_e32 v14, v14
.LBB585_6:
	s_or_b32 exec_lo, exec_lo, s2
	v_or_b32_e32 v6, 0x60, v6
	v_mov_b32_e32 v15, 0
	s_delay_alu instid0(VALU_DEP_2) | instskip(NEXT) | instid1(VALU_DEP_1)
	v_cmp_gt_i32_e64 s2, s6, v6
	s_and_b32 s5, s3, s2
	s_delay_alu instid0(SALU_CYCLE_1)
	s_and_saveexec_b32 s4, s5
	s_cbranch_execz .LBB585_8
; %bb.7:
	global_load_u16 v6, v[4:5], off offset:192
	global_load_u16 v15, v[2:3], off offset:192
	s_waitcnt vmcnt(1)
	v_cvt_f32_f16_e32 v12, v6
	s_waitcnt vmcnt(0)
	v_cvt_f32_f16_e32 v15, v15
.LBB585_8:
	s_or_b32 exec_lo, exec_lo, s4
	v_cmp_lt_i32_e64 s4, 1, v7
	v_dual_mov_b32 v6, 0 :: v_dual_mov_b32 v17, 0
	v_mov_b32_e32 v16, 0
	s_mov_b32 s7, 0
	s_delay_alu instid0(VALU_DEP_3) | instskip(NEXT) | instid1(SALU_CYCLE_1)
	s_and_b32 s5, s4, vcc_lo
	s_and_saveexec_b32 s10, s5
	s_cbranch_execz .LBB585_10
; %bb.9:
	s_lshl_b64 s[12:13], s[6:7], 1
	s_delay_alu instid0(SALU_CYCLE_1) | instskip(NEXT) | instid1(VALU_DEP_1)
	v_add_co_u32 v16, s5, v4, s12
	v_add_co_ci_u32_e64 v17, s5, s13, v5, s5
	v_add_co_u32 v18, s5, v2, s12
	s_delay_alu instid0(VALU_DEP_1)
	v_add_co_ci_u32_e64 v19, s5, s13, v3, s5
	global_load_u16 v16, v[16:17], off
	global_load_u16 v17, v[18:19], off
	s_waitcnt vmcnt(1)
	v_cvt_f32_f16_e32 v16, v16
	s_waitcnt vmcnt(0)
	v_cvt_f32_f16_e32 v17, v17
.LBB585_10:
	s_or_b32 exec_lo, exec_lo, s10
	v_mov_b32_e32 v18, 0
	s_and_b32 s5, s4, s0
	s_delay_alu instid0(SALU_CYCLE_1)
	s_and_saveexec_b32 s10, s5
	s_cbranch_execz .LBB585_12
; %bb.11:
	s_lshl_b64 s[12:13], s[6:7], 1
	s_delay_alu instid0(SALU_CYCLE_1) | instskip(NEXT) | instid1(VALU_DEP_1)
	v_add_co_u32 v18, s5, v4, s12
	v_add_co_ci_u32_e64 v19, s5, s13, v5, s5
	v_add_co_u32 v20, s5, v2, s12
	s_delay_alu instid0(VALU_DEP_1)
	v_add_co_ci_u32_e64 v21, s5, s13, v3, s5
	global_load_u16 v6, v[18:19], off offset:64
	global_load_u16 v18, v[20:21], off offset:64
	s_waitcnt vmcnt(1)
	v_cvt_f32_f16_e32 v6, v6
	s_waitcnt vmcnt(0)
	v_cvt_f32_f16_e32 v18, v18
.LBB585_12:
	s_or_b32 exec_lo, exec_lo, s10
	v_dual_mov_b32 v19, 0 :: v_dual_mov_b32 v20, 0
	v_mov_b32_e32 v21, 0
	s_and_b32 s5, s4, s1
	s_delay_alu instid0(SALU_CYCLE_1)
	s_and_saveexec_b32 s10, s5
	s_cbranch_execz .LBB585_14
; %bb.13:
	s_lshl_b64 s[12:13], s[6:7], 1
	s_delay_alu instid0(SALU_CYCLE_1) | instskip(NEXT) | instid1(VALU_DEP_1)
	v_add_co_u32 v20, s5, v4, s12
	v_add_co_ci_u32_e64 v21, s5, s13, v5, s5
	v_add_co_u32 v22, s5, v2, s12
	s_delay_alu instid0(VALU_DEP_1)
	v_add_co_ci_u32_e64 v23, s5, s13, v3, s5
	global_load_u16 v20, v[20:21], off offset:128
	global_load_u16 v21, v[22:23], off offset:128
	s_waitcnt vmcnt(1)
	v_cvt_f32_f16_e32 v20, v20
	s_waitcnt vmcnt(0)
	v_cvt_f32_f16_e32 v21, v21
.LBB585_14:
	s_or_b32 exec_lo, exec_lo, s10
	v_mov_b32_e32 v22, 0
	s_and_b32 s4, s4, s2
	s_delay_alu instid0(SALU_CYCLE_1)
	s_and_saveexec_b32 s5, s4
	s_cbranch_execz .LBB585_16
; %bb.15:
	s_lshl_b64 s[10:11], s[6:7], 1
	s_delay_alu instid0(SALU_CYCLE_1) | instskip(NEXT) | instid1(VALU_DEP_1)
	v_add_co_u32 v4, s4, v4, s10
	v_add_co_ci_u32_e64 v5, s4, s11, v5, s4
	v_add_co_u32 v2, s4, v2, s10
	s_delay_alu instid0(VALU_DEP_1)
	v_add_co_ci_u32_e64 v3, s4, s11, v3, s4
	global_load_u16 v4, v[4:5], off offset:192
	global_load_u16 v2, v[2:3], off offset:192
	s_waitcnt vmcnt(1)
	v_cvt_f32_f16_e32 v19, v4
	s_waitcnt vmcnt(0)
	v_cvt_f32_f16_e32 v22, v2
.LBB585_16:
	s_or_b32 exec_lo, exec_lo, s5
	v_mbcnt_lo_u32_b32 v3, -1, 0
	v_add_f32_e32 v2, 0, v9
	s_delay_alu instid0(VALU_DEP_2) | instskip(NEXT) | instid1(VALU_DEP_2)
	v_xor_b32_e32 v5, 16, v3
	v_add_f32_e32 v2, v2, v8
	v_xor_b32_e32 v24, 8, v3
	s_delay_alu instid0(VALU_DEP_3) | instskip(NEXT) | instid1(VALU_DEP_3)
	v_cmp_gt_i32_e64 s4, 32, v5
	v_add_f32_e32 v2, v2, v13
	s_delay_alu instid0(VALU_DEP_2) | instskip(SKIP_1) | instid1(VALU_DEP_3)
	v_cndmask_b32_e64 v5, v3, v5, s4
	v_add_f32_e32 v4, 0, v16
	v_add_f32_e32 v2, v2, v12
	v_cmp_gt_i32_e64 s4, 32, v24
	s_delay_alu instid0(VALU_DEP_3) | instskip(NEXT) | instid1(VALU_DEP_2)
	v_dual_add_f32 v4, v4, v6 :: v_dual_lshlrev_b32 v5, 2, v5
	v_cndmask_b32_e64 v24, v3, v24, s4
	ds_bpermute_b32 v23, v5, v2
	v_add_f32_e32 v4, v4, v20
	v_lshlrev_b32_e32 v24, 2, v24
	s_delay_alu instid0(VALU_DEP_2)
	v_add_f32_e32 v4, v4, v19
	ds_bpermute_b32 v5, v5, v4
	s_waitcnt lgkmcnt(1)
	v_add_f32_e32 v2, v2, v23
	s_waitcnt lgkmcnt(0)
	v_add_f32_e32 v4, v4, v5
	ds_bpermute_b32 v5, v24, v2
	ds_bpermute_b32 v23, v24, v4
	v_xor_b32_e32 v24, 4, v3
	s_delay_alu instid0(VALU_DEP_1) | instskip(NEXT) | instid1(VALU_DEP_1)
	v_cmp_gt_i32_e64 s4, 32, v24
	v_cndmask_b32_e64 v24, v3, v24, s4
	s_delay_alu instid0(VALU_DEP_1)
	v_lshlrev_b32_e32 v24, 2, v24
	s_waitcnt lgkmcnt(1)
	v_add_f32_e32 v2, v2, v5
	s_waitcnt lgkmcnt(0)
	v_add_f32_e32 v4, v4, v23
	ds_bpermute_b32 v5, v24, v2
	ds_bpermute_b32 v23, v24, v4
	v_xor_b32_e32 v24, 2, v3
	s_delay_alu instid0(VALU_DEP_1) | instskip(NEXT) | instid1(VALU_DEP_1)
	v_cmp_gt_i32_e64 s4, 32, v24
	v_cndmask_b32_e64 v24, v3, v24, s4
	s_delay_alu instid0(VALU_DEP_1)
	v_lshlrev_b32_e32 v24, 2, v24
	s_waitcnt lgkmcnt(0)
	v_dual_add_f32 v2, v2, v5 :: v_dual_add_f32 v5, v4, v23
	ds_bpermute_b32 v4, v24, v2
	ds_bpermute_b32 v23, v24, v5
	v_xor_b32_e32 v24, 1, v3
	s_delay_alu instid0(VALU_DEP_1) | instskip(NEXT) | instid1(VALU_DEP_1)
	v_cmp_gt_i32_e64 s4, 32, v24
	v_cndmask_b32_e64 v3, v3, v24, s4
	s_waitcnt lgkmcnt(1)
	s_delay_alu instid0(VALU_DEP_1)
	v_dual_add_f32 v4, v2, v4 :: v_dual_lshlrev_b32 v3, 2, v3
	s_waitcnt lgkmcnt(0)
	v_add_f32_e32 v2, v5, v23
	ds_bpermute_b32 v5, v3, v4
	ds_bpermute_b32 v3, v3, v2
	s_and_saveexec_b32 s4, s3
	s_cbranch_execz .LBB585_22
; %bb.17:
	v_add_co_u32 v0, s3, s8, v0
	s_delay_alu instid0(VALU_DEP_1)
	v_add_co_ci_u32_e64 v1, s3, s9, v1, s3
	s_waitcnt lgkmcnt(1)
	v_add_f32_e32 v4, v4, v5
	s_and_saveexec_b32 s3, vcc_lo
	s_cbranch_execnz .LBB585_23
; %bb.18:
	s_or_b32 exec_lo, exec_lo, s3
	s_and_saveexec_b32 s3, s0
	s_cbranch_execnz .LBB585_24
.LBB585_19:
	s_or_b32 exec_lo, exec_lo, s3
	s_and_saveexec_b32 s3, s1
	s_cbranch_execnz .LBB585_25
.LBB585_20:
	s_or_b32 exec_lo, exec_lo, s3
	s_and_saveexec_b32 s3, s2
	s_cbranch_execnz .LBB585_26
.LBB585_21:
	s_or_b32 exec_lo, exec_lo, s3
	v_cmp_ne_u32_e64 s3, 1, v7
	s_delay_alu instid0(VALU_DEP_1)
	s_and_b32 exec_lo, exec_lo, s3
	s_cbranch_execnz .LBB585_27
.LBB585_22:
	s_nop 0
	s_sendmsg sendmsg(MSG_DEALLOC_VGPRS)
	s_endpgm
.LBB585_23:
	s_delay_alu instid0(VALU_DEP_1)
	v_fma_mixlo_f16 v5, -v4, v10, v9
	global_store_b16 v[0:1], v5, off
	s_or_b32 exec_lo, exec_lo, s3
	s_and_saveexec_b32 s3, s0
	s_cbranch_execz .LBB585_19
.LBB585_24:
	v_fma_mixlo_f16 v5, -v4, v11, v8
	global_store_b16 v[0:1], v5, off offset:64
	s_or_b32 exec_lo, exec_lo, s3
	s_and_saveexec_b32 s3, s1
	s_cbranch_execz .LBB585_20
.LBB585_25:
	v_fma_mixlo_f16 v5, -v4, v14, v13
	global_store_b16 v[0:1], v5, off offset:128
	s_or_b32 exec_lo, exec_lo, s3
	s_and_saveexec_b32 s3, s2
	s_cbranch_execz .LBB585_21
.LBB585_26:
	v_fma_mixlo_f16 v4, -v4, v15, v12
	global_store_b16 v[0:1], v4, off offset:192
	s_or_b32 exec_lo, exec_lo, s3
	v_cmp_ne_u32_e64 s3, 1, v7
	s_delay_alu instid0(VALU_DEP_1)
	s_and_b32 exec_lo, exec_lo, s3
	s_cbranch_execz .LBB585_22
.LBB585_27:
	s_ashr_i32 s7, s6, 31
	s_waitcnt lgkmcnt(0)
	v_add_f32_e32 v2, v2, v3
	s_lshl_b64 s[4:5], s[6:7], 1
	s_delay_alu instid0(SALU_CYCLE_1) | instskip(NEXT) | instid1(VALU_DEP_1)
	v_add_co_u32 v0, s3, v0, s4
	v_add_co_ci_u32_e64 v1, s3, s5, v1, s3
	s_and_saveexec_b32 s3, vcc_lo
	s_cbranch_execnz .LBB585_31
; %bb.28:
	s_or_b32 exec_lo, exec_lo, s3
	s_and_saveexec_b32 s3, s0
	s_cbranch_execnz .LBB585_32
.LBB585_29:
	s_or_b32 exec_lo, exec_lo, s3
	s_and_saveexec_b32 s0, s1
	s_cbranch_execnz .LBB585_33
.LBB585_30:
	s_or_b32 exec_lo, exec_lo, s0
	s_delay_alu instid0(SALU_CYCLE_1)
	s_and_b32 exec_lo, exec_lo, s2
	s_cbranch_execz .LBB585_22
	s_branch .LBB585_34
.LBB585_31:
	v_fma_mixlo_f16 v3, -v2, v17, v16
	global_store_b16 v[0:1], v3, off
	s_or_b32 exec_lo, exec_lo, s3
	s_and_saveexec_b32 s3, s0
	s_cbranch_execz .LBB585_29
.LBB585_32:
	v_fma_mixlo_f16 v3, -v2, v18, v6
	global_store_b16 v[0:1], v3, off offset:64
	s_or_b32 exec_lo, exec_lo, s3
	s_and_saveexec_b32 s0, s1
	s_cbranch_execz .LBB585_30
.LBB585_33:
	v_fma_mixlo_f16 v3, -v2, v21, v20
	global_store_b16 v[0:1], v3, off offset:128
	s_or_b32 exec_lo, exec_lo, s0
	s_delay_alu instid0(SALU_CYCLE_1)
	s_and_b32 exec_lo, exec_lo, s2
	s_cbranch_execz .LBB585_22
.LBB585_34:
	v_fma_mixlo_f16 v2, -v2, v22, v19
	global_store_b16 v[0:1], v2, off offset:192
	s_nop 0
	s_sendmsg sendmsg(MSG_DEALLOC_VGPRS)
	s_endpgm
	.section	.rodata,"a",@progbits
	.p2align	6, 0x0
	.amdhsa_kernel _ZN12_GLOBAL__N_121softmax_warp_backwardIN3c104HalfES2_fLi7ELb0ELb0ELi32EEEvPT0_PKT_S7_iiiPKb
		.amdhsa_group_segment_fixed_size 0
		.amdhsa_private_segment_fixed_size 0
		.amdhsa_kernarg_size 304
		.amdhsa_user_sgpr_count 15
		.amdhsa_user_sgpr_dispatch_ptr 0
		.amdhsa_user_sgpr_queue_ptr 0
		.amdhsa_user_sgpr_kernarg_segment_ptr 1
		.amdhsa_user_sgpr_dispatch_id 0
		.amdhsa_user_sgpr_private_segment_size 0
		.amdhsa_wavefront_size32 1
		.amdhsa_uses_dynamic_stack 0
		.amdhsa_enable_private_segment 0
		.amdhsa_system_sgpr_workgroup_id_x 1
		.amdhsa_system_sgpr_workgroup_id_y 0
		.amdhsa_system_sgpr_workgroup_id_z 0
		.amdhsa_system_sgpr_workgroup_info 0
		.amdhsa_system_vgpr_workitem_id 1
		.amdhsa_next_free_vgpr 25
		.amdhsa_next_free_sgpr 16
		.amdhsa_reserve_vcc 1
		.amdhsa_float_round_mode_32 0
		.amdhsa_float_round_mode_16_64 0
		.amdhsa_float_denorm_mode_32 3
		.amdhsa_float_denorm_mode_16_64 3
		.amdhsa_dx10_clamp 1
		.amdhsa_ieee_mode 1
		.amdhsa_fp16_overflow 0
		.amdhsa_workgroup_processor_mode 1
		.amdhsa_memory_ordered 1
		.amdhsa_forward_progress 0
		.amdhsa_shared_vgpr_count 0
		.amdhsa_exception_fp_ieee_invalid_op 0
		.amdhsa_exception_fp_denorm_src 0
		.amdhsa_exception_fp_ieee_div_zero 0
		.amdhsa_exception_fp_ieee_overflow 0
		.amdhsa_exception_fp_ieee_underflow 0
		.amdhsa_exception_fp_ieee_inexact 0
		.amdhsa_exception_int_div_zero 0
	.end_amdhsa_kernel
	.section	.text._ZN12_GLOBAL__N_121softmax_warp_backwardIN3c104HalfES2_fLi7ELb0ELb0ELi32EEEvPT0_PKT_S7_iiiPKb,"axG",@progbits,_ZN12_GLOBAL__N_121softmax_warp_backwardIN3c104HalfES2_fLi7ELb0ELb0ELi32EEEvPT0_PKT_S7_iiiPKb,comdat
.Lfunc_end585:
	.size	_ZN12_GLOBAL__N_121softmax_warp_backwardIN3c104HalfES2_fLi7ELb0ELb0ELi32EEEvPT0_PKT_S7_iiiPKb, .Lfunc_end585-_ZN12_GLOBAL__N_121softmax_warp_backwardIN3c104HalfES2_fLi7ELb0ELb0ELi32EEEvPT0_PKT_S7_iiiPKb
                                        ; -- End function
	.section	.AMDGPU.csdata,"",@progbits
; Kernel info:
; codeLenInByte = 1668
; NumSgprs: 18
; NumVgprs: 25
; ScratchSize: 0
; MemoryBound: 0
; FloatMode: 240
; IeeeMode: 1
; LDSByteSize: 0 bytes/workgroup (compile time only)
; SGPRBlocks: 2
; VGPRBlocks: 3
; NumSGPRsForWavesPerEU: 18
; NumVGPRsForWavesPerEU: 25
; Occupancy: 16
; WaveLimiterHint : 0
; COMPUTE_PGM_RSRC2:SCRATCH_EN: 0
; COMPUTE_PGM_RSRC2:USER_SGPR: 15
; COMPUTE_PGM_RSRC2:TRAP_HANDLER: 0
; COMPUTE_PGM_RSRC2:TGID_X_EN: 1
; COMPUTE_PGM_RSRC2:TGID_Y_EN: 0
; COMPUTE_PGM_RSRC2:TGID_Z_EN: 0
; COMPUTE_PGM_RSRC2:TIDIG_COMP_CNT: 1
	.section	.text._ZN12_GLOBAL__N_121softmax_warp_backwardIN3c104HalfES2_fLi8ELb0ELb0ELi64EEEvPT0_PKT_S7_iiiPKb,"axG",@progbits,_ZN12_GLOBAL__N_121softmax_warp_backwardIN3c104HalfES2_fLi8ELb0ELb0ELi64EEEvPT0_PKT_S7_iiiPKb,comdat
	.globl	_ZN12_GLOBAL__N_121softmax_warp_backwardIN3c104HalfES2_fLi8ELb0ELb0ELi64EEEvPT0_PKT_S7_iiiPKb ; -- Begin function _ZN12_GLOBAL__N_121softmax_warp_backwardIN3c104HalfES2_fLi8ELb0ELb0ELi64EEEvPT0_PKT_S7_iiiPKb
	.p2align	8
	.type	_ZN12_GLOBAL__N_121softmax_warp_backwardIN3c104HalfES2_fLi8ELb0ELb0ELi64EEEvPT0_PKT_S7_iiiPKb,@function
_ZN12_GLOBAL__N_121softmax_warp_backwardIN3c104HalfES2_fLi8ELb0ELb0ELi64EEEvPT0_PKT_S7_iiiPKb: ; @_ZN12_GLOBAL__N_121softmax_warp_backwardIN3c104HalfES2_fLi8ELb0ELb0ELi64EEEvPT0_PKT_S7_iiiPKb
; %bb.0:
	s_clause 0x1
	s_load_b32 s2, s[0:1], 0x3c
	s_load_b128 s[8:11], s[0:1], 0x18
	v_bfe_u32 v1, v0, 10, 10
	s_clause 0x1
	s_load_b128 s[4:7], s[0:1], 0x0
	s_load_b64 s[12:13], s[0:1], 0x10
	v_dual_mov_b32 v9, 0 :: v_dual_mov_b32 v10, 0
	v_mov_b32_e32 v7, 0
	s_waitcnt lgkmcnt(0)
	s_lshr_b32 s2, s2, 16
	s_delay_alu instid0(SALU_CYCLE_1) | instskip(SKIP_1) | instid1(VALU_DEP_1)
	v_mad_u64_u32 v[3:4], null, s15, s2, v[1:2]
	v_and_b32_e32 v2, 63, v0
	v_cmp_gt_i32_e32 vcc_lo, s10, v2
	s_delay_alu instid0(VALU_DEP_3) | instskip(SKIP_1) | instid1(VALU_DEP_1)
	v_mad_u64_u32 v[0:1], null, v3, s9, v[2:3]
	v_sub_nc_u32_e32 v8, s8, v3
	v_cmp_lt_i32_e64 s3, 0, v8
	s_delay_alu instid0(VALU_DEP_3) | instskip(NEXT) | instid1(VALU_DEP_2)
	v_ashrrev_i32_e32 v1, 31, v0
	s_and_b32 s1, s3, vcc_lo
	s_delay_alu instid0(VALU_DEP_1) | instskip(NEXT) | instid1(VALU_DEP_1)
	v_lshlrev_b64 v[0:1], 1, v[0:1]
	v_add_co_u32 v3, s0, s6, v0
	s_delay_alu instid0(VALU_DEP_1) | instskip(SKIP_1) | instid1(VALU_DEP_1)
	v_add_co_ci_u32_e64 v4, s0, s7, v1, s0
	v_add_co_u32 v5, s0, s12, v0
	v_add_co_ci_u32_e64 v6, s0, s13, v1, s0
	s_and_saveexec_b32 s0, s1
	s_cbranch_execz .LBB586_2
; %bb.1:
	global_load_u16 v9, v[3:4], off
	global_load_u16 v10, v[5:6], off
	s_waitcnt vmcnt(1)
	v_cvt_f32_f16_e32 v9, v9
	s_waitcnt vmcnt(0)
	v_cvt_f32_f16_e32 v10, v10
.LBB586_2:
	s_or_b32 exec_lo, exec_lo, s0
	v_or_b32_e32 v11, 64, v2
	s_delay_alu instid0(VALU_DEP_1) | instskip(SKIP_1) | instid1(VALU_DEP_2)
	v_cmp_gt_i32_e64 s0, s10, v11
	v_mov_b32_e32 v11, 0
	s_and_b32 s2, s3, s0
	s_delay_alu instid0(SALU_CYCLE_1)
	s_and_saveexec_b32 s1, s2
	s_cbranch_execz .LBB586_4
; %bb.3:
	global_load_u16 v7, v[3:4], off offset:128
	global_load_u16 v11, v[5:6], off offset:128
	s_waitcnt vmcnt(1)
	v_cvt_f32_f16_e32 v7, v7
	s_waitcnt vmcnt(0)
	v_cvt_f32_f16_e32 v11, v11
.LBB586_4:
	s_or_b32 exec_lo, exec_lo, s1
	v_or_b32_e32 v12, 0x80, v2
	v_dual_mov_b32 v14, 0 :: v_dual_mov_b32 v13, 0
	s_delay_alu instid0(VALU_DEP_2) | instskip(SKIP_1) | instid1(VALU_DEP_2)
	v_cmp_gt_i32_e64 s1, s10, v12
	v_mov_b32_e32 v12, 0
	s_and_b32 s6, s3, s1
	s_delay_alu instid0(SALU_CYCLE_1)
	s_and_saveexec_b32 s2, s6
	s_cbranch_execz .LBB586_6
; %bb.5:
	global_load_u16 v13, v[3:4], off offset:256
	global_load_u16 v14, v[5:6], off offset:256
	s_waitcnt vmcnt(1)
	v_cvt_f32_f16_e32 v13, v13
	s_waitcnt vmcnt(0)
	v_cvt_f32_f16_e32 v14, v14
.LBB586_6:
	s_or_b32 exec_lo, exec_lo, s2
	v_or_b32_e32 v2, 0xc0, v2
	s_delay_alu instid0(VALU_DEP_1) | instskip(SKIP_1) | instid1(VALU_DEP_2)
	v_cmp_gt_i32_e64 s2, s10, v2
	v_mov_b32_e32 v2, 0
	s_and_b32 s6, s3, s2
	s_delay_alu instid0(SALU_CYCLE_1)
	s_and_saveexec_b32 s3, s6
	s_cbranch_execz .LBB586_8
; %bb.7:
	global_load_u16 v2, v[3:4], off offset:384
	global_load_u16 v3, v[5:6], off offset:384
	s_waitcnt vmcnt(1)
	v_cvt_f32_f16_e32 v12, v2
	s_waitcnt vmcnt(0)
	v_cvt_f32_f16_e32 v2, v3
.LBB586_8:
	s_or_b32 exec_lo, exec_lo, s3
	v_mbcnt_lo_u32_b32 v4, -1, 0
	s_mov_b32 s6, exec_lo
	s_delay_alu instid0(VALU_DEP_1) | instskip(SKIP_1) | instid1(VALU_DEP_2)
	v_or_b32_e32 v5, 32, v4
	v_xor_b32_e32 v6, 16, v4
	v_cmp_gt_i32_e64 s3, 64, v5
	s_delay_alu instid0(VALU_DEP_1) | instskip(NEXT) | instid1(VALU_DEP_3)
	v_cndmask_b32_e64 v5, v4, v5, s3
	v_cmp_gt_i32_e64 s3, 64, v6
	s_delay_alu instid0(VALU_DEP_2) | instskip(NEXT) | instid1(VALU_DEP_2)
	v_lshlrev_b32_e32 v5, 2, v5
	v_cndmask_b32_e64 v6, v4, v6, s3
	s_delay_alu instid0(VALU_DEP_1) | instskip(NEXT) | instid1(VALU_DEP_1)
	v_dual_add_f32 v3, 0, v9 :: v_dual_lshlrev_b32 v6, 2, v6
	v_add_f32_e32 v3, v3, v7
	s_delay_alu instid0(VALU_DEP_1) | instskip(NEXT) | instid1(VALU_DEP_1)
	v_add_f32_e32 v3, v3, v13
	v_add_f32_e32 v3, v3, v12
	ds_bpermute_b32 v5, v5, v3
	s_waitcnt lgkmcnt(0)
	v_add_f32_e32 v3, v3, v5
	ds_bpermute_b32 v5, v6, v3
	v_xor_b32_e32 v6, 8, v4
	s_delay_alu instid0(VALU_DEP_1) | instskip(NEXT) | instid1(VALU_DEP_1)
	v_cmp_gt_i32_e64 s3, 64, v6
	v_cndmask_b32_e64 v6, v4, v6, s3
	s_waitcnt lgkmcnt(0)
	s_delay_alu instid0(VALU_DEP_1) | instskip(SKIP_2) | instid1(VALU_DEP_1)
	v_dual_add_f32 v3, v3, v5 :: v_dual_lshlrev_b32 v6, 2, v6
	ds_bpermute_b32 v5, v6, v3
	v_xor_b32_e32 v6, 4, v4
	v_cmp_gt_i32_e64 s3, 64, v6
	s_delay_alu instid0(VALU_DEP_1) | instskip(SKIP_1) | instid1(VALU_DEP_1)
	v_cndmask_b32_e64 v6, v4, v6, s3
	s_waitcnt lgkmcnt(0)
	v_dual_add_f32 v3, v3, v5 :: v_dual_lshlrev_b32 v6, 2, v6
	ds_bpermute_b32 v5, v6, v3
	v_xor_b32_e32 v6, 2, v4
	s_delay_alu instid0(VALU_DEP_1) | instskip(NEXT) | instid1(VALU_DEP_1)
	v_cmp_gt_i32_e64 s3, 64, v6
	v_cndmask_b32_e64 v6, v4, v6, s3
	s_waitcnt lgkmcnt(0)
	s_delay_alu instid0(VALU_DEP_1) | instskip(SKIP_2) | instid1(VALU_DEP_1)
	v_dual_add_f32 v3, v3, v5 :: v_dual_lshlrev_b32 v6, 2, v6
	ds_bpermute_b32 v5, v6, v3
	v_xor_b32_e32 v6, 1, v4
	v_cmp_gt_i32_e64 s3, 64, v6
	s_delay_alu instid0(VALU_DEP_1) | instskip(SKIP_1) | instid1(VALU_DEP_1)
	v_cndmask_b32_e64 v4, v4, v6, s3
	s_waitcnt lgkmcnt(0)
	v_dual_add_f32 v3, v3, v5 :: v_dual_lshlrev_b32 v4, 2, v4
	ds_bpermute_b32 v4, v4, v3
	v_cmpx_lt_i32_e32 0, v8
	s_cbranch_execz .LBB586_14
; %bb.9:
	v_add_co_u32 v0, s3, s4, v0
	s_delay_alu instid0(VALU_DEP_1)
	v_add_co_ci_u32_e64 v1, s3, s5, v1, s3
	s_waitcnt lgkmcnt(0)
	v_add_f32_e32 v3, v3, v4
	s_and_saveexec_b32 s3, vcc_lo
	s_cbranch_execnz .LBB586_15
; %bb.10:
	s_or_b32 exec_lo, exec_lo, s3
	s_and_saveexec_b32 s3, s0
	s_cbranch_execnz .LBB586_16
.LBB586_11:
	s_or_b32 exec_lo, exec_lo, s3
	s_and_saveexec_b32 s0, s1
	s_cbranch_execnz .LBB586_17
.LBB586_12:
	s_or_b32 exec_lo, exec_lo, s0
	s_delay_alu instid0(SALU_CYCLE_1)
	s_and_b32 exec_lo, exec_lo, s2
	s_cbranch_execz .LBB586_14
.LBB586_13:
	v_fma_mixlo_f16 v2, -v3, v2, v12
	global_store_b16 v[0:1], v2, off offset:384
.LBB586_14:
	s_nop 0
	s_sendmsg sendmsg(MSG_DEALLOC_VGPRS)
	s_endpgm
.LBB586_15:
	s_delay_alu instid0(VALU_DEP_1)
	v_fma_mixlo_f16 v4, -v3, v10, v9
	global_store_b16 v[0:1], v4, off
	s_or_b32 exec_lo, exec_lo, s3
	s_and_saveexec_b32 s3, s0
	s_cbranch_execz .LBB586_11
.LBB586_16:
	v_fma_mixlo_f16 v4, -v3, v11, v7
	global_store_b16 v[0:1], v4, off offset:128
	s_or_b32 exec_lo, exec_lo, s3
	s_and_saveexec_b32 s0, s1
	s_cbranch_execz .LBB586_12
.LBB586_17:
	v_fma_mixlo_f16 v4, -v3, v14, v13
	global_store_b16 v[0:1], v4, off offset:256
	s_or_b32 exec_lo, exec_lo, s0
	s_delay_alu instid0(SALU_CYCLE_1)
	s_and_b32 exec_lo, exec_lo, s2
	s_cbranch_execnz .LBB586_13
	s_branch .LBB586_14
	.section	.rodata,"a",@progbits
	.p2align	6, 0x0
	.amdhsa_kernel _ZN12_GLOBAL__N_121softmax_warp_backwardIN3c104HalfES2_fLi8ELb0ELb0ELi64EEEvPT0_PKT_S7_iiiPKb
		.amdhsa_group_segment_fixed_size 0
		.amdhsa_private_segment_fixed_size 0
		.amdhsa_kernarg_size 304
		.amdhsa_user_sgpr_count 15
		.amdhsa_user_sgpr_dispatch_ptr 0
		.amdhsa_user_sgpr_queue_ptr 0
		.amdhsa_user_sgpr_kernarg_segment_ptr 1
		.amdhsa_user_sgpr_dispatch_id 0
		.amdhsa_user_sgpr_private_segment_size 0
		.amdhsa_wavefront_size32 1
		.amdhsa_uses_dynamic_stack 0
		.amdhsa_enable_private_segment 0
		.amdhsa_system_sgpr_workgroup_id_x 1
		.amdhsa_system_sgpr_workgroup_id_y 0
		.amdhsa_system_sgpr_workgroup_id_z 0
		.amdhsa_system_sgpr_workgroup_info 0
		.amdhsa_system_vgpr_workitem_id 1
		.amdhsa_next_free_vgpr 15
		.amdhsa_next_free_sgpr 16
		.amdhsa_reserve_vcc 1
		.amdhsa_float_round_mode_32 0
		.amdhsa_float_round_mode_16_64 0
		.amdhsa_float_denorm_mode_32 3
		.amdhsa_float_denorm_mode_16_64 3
		.amdhsa_dx10_clamp 1
		.amdhsa_ieee_mode 1
		.amdhsa_fp16_overflow 0
		.amdhsa_workgroup_processor_mode 1
		.amdhsa_memory_ordered 1
		.amdhsa_forward_progress 0
		.amdhsa_shared_vgpr_count 0
		.amdhsa_exception_fp_ieee_invalid_op 0
		.amdhsa_exception_fp_denorm_src 0
		.amdhsa_exception_fp_ieee_div_zero 0
		.amdhsa_exception_fp_ieee_overflow 0
		.amdhsa_exception_fp_ieee_underflow 0
		.amdhsa_exception_fp_ieee_inexact 0
		.amdhsa_exception_int_div_zero 0
	.end_amdhsa_kernel
	.section	.text._ZN12_GLOBAL__N_121softmax_warp_backwardIN3c104HalfES2_fLi8ELb0ELb0ELi64EEEvPT0_PKT_S7_iiiPKb,"axG",@progbits,_ZN12_GLOBAL__N_121softmax_warp_backwardIN3c104HalfES2_fLi8ELb0ELb0ELi64EEEvPT0_PKT_S7_iiiPKb,comdat
.Lfunc_end586:
	.size	_ZN12_GLOBAL__N_121softmax_warp_backwardIN3c104HalfES2_fLi8ELb0ELb0ELi64EEEvPT0_PKT_S7_iiiPKb, .Lfunc_end586-_ZN12_GLOBAL__N_121softmax_warp_backwardIN3c104HalfES2_fLi8ELb0ELb0ELi64EEEvPT0_PKT_S7_iiiPKb
                                        ; -- End function
	.section	.AMDGPU.csdata,"",@progbits
; Kernel info:
; codeLenInByte = 960
; NumSgprs: 18
; NumVgprs: 15
; ScratchSize: 0
; MemoryBound: 0
; FloatMode: 240
; IeeeMode: 1
; LDSByteSize: 0 bytes/workgroup (compile time only)
; SGPRBlocks: 2
; VGPRBlocks: 1
; NumSGPRsForWavesPerEU: 18
; NumVGPRsForWavesPerEU: 15
; Occupancy: 16
; WaveLimiterHint : 0
; COMPUTE_PGM_RSRC2:SCRATCH_EN: 0
; COMPUTE_PGM_RSRC2:USER_SGPR: 15
; COMPUTE_PGM_RSRC2:TRAP_HANDLER: 0
; COMPUTE_PGM_RSRC2:TGID_X_EN: 1
; COMPUTE_PGM_RSRC2:TGID_Y_EN: 0
; COMPUTE_PGM_RSRC2:TGID_Z_EN: 0
; COMPUTE_PGM_RSRC2:TIDIG_COMP_CNT: 1
	.section	.text._ZN12_GLOBAL__N_121softmax_warp_backwardIN3c104HalfES2_fLi8ELb0ELb0ELi32EEEvPT0_PKT_S7_iiiPKb,"axG",@progbits,_ZN12_GLOBAL__N_121softmax_warp_backwardIN3c104HalfES2_fLi8ELb0ELb0ELi32EEEvPT0_PKT_S7_iiiPKb,comdat
	.globl	_ZN12_GLOBAL__N_121softmax_warp_backwardIN3c104HalfES2_fLi8ELb0ELb0ELi32EEEvPT0_PKT_S7_iiiPKb ; -- Begin function _ZN12_GLOBAL__N_121softmax_warp_backwardIN3c104HalfES2_fLi8ELb0ELb0ELi32EEEvPT0_PKT_S7_iiiPKb
	.p2align	8
	.type	_ZN12_GLOBAL__N_121softmax_warp_backwardIN3c104HalfES2_fLi8ELb0ELb0ELi32EEEvPT0_PKT_S7_iiiPKb,@function
_ZN12_GLOBAL__N_121softmax_warp_backwardIN3c104HalfES2_fLi8ELb0ELb0ELi32EEEvPT0_PKT_S7_iiiPKb: ; @_ZN12_GLOBAL__N_121softmax_warp_backwardIN3c104HalfES2_fLi8ELb0ELb0ELi32EEEvPT0_PKT_S7_iiiPKb
; %bb.0:
	s_clause 0x1
	s_load_b32 s2, s[0:1], 0x3c
	s_load_b128 s[16:19], s[0:1], 0x18
	v_bfe_u32 v1, v0, 10, 10
	s_load_b128 s[8:11], s[0:1], 0x0
	v_dual_mov_b32 v9, 0 :: v_dual_mov_b32 v10, 0
	v_mov_b32_e32 v7, 0
	s_waitcnt lgkmcnt(0)
	s_lshr_b32 s2, s2, 16
	s_delay_alu instid0(SALU_CYCLE_1) | instskip(SKIP_2) | instid1(VALU_DEP_1)
	v_mad_u64_u32 v[3:4], null, s15, s2, v[1:2]
	v_and_b32_e32 v2, 31, v0
	s_load_b64 s[2:3], s[0:1], 0x10
	v_cmp_gt_i32_e32 vcc_lo, s18, v2
	s_delay_alu instid0(VALU_DEP_3) | instskip(SKIP_1) | instid1(VALU_DEP_1)
	v_mad_u64_u32 v[0:1], null, v3, s17, v[2:3]
	v_sub_nc_u32_e32 v8, s16, v3
	v_cmp_lt_i32_e64 s5, 0, v8
	s_delay_alu instid0(VALU_DEP_3) | instskip(NEXT) | instid1(VALU_DEP_2)
	v_ashrrev_i32_e32 v1, 31, v0
	s_and_b32 s1, s5, vcc_lo
	s_delay_alu instid0(VALU_DEP_1) | instskip(NEXT) | instid1(VALU_DEP_1)
	v_lshlrev_b64 v[0:1], 1, v[0:1]
	v_add_co_u32 v3, s0, s10, v0
	s_delay_alu instid0(VALU_DEP_1) | instskip(SKIP_2) | instid1(VALU_DEP_1)
	v_add_co_ci_u32_e64 v4, s0, s11, v1, s0
	s_waitcnt lgkmcnt(0)
	v_add_co_u32 v5, s0, s2, v0
	v_add_co_ci_u32_e64 v6, s0, s3, v1, s0
	s_and_saveexec_b32 s0, s1
	s_cbranch_execz .LBB587_2
; %bb.1:
	global_load_u16 v9, v[3:4], off
	global_load_u16 v10, v[5:6], off
	s_waitcnt vmcnt(1)
	v_cvt_f32_f16_e32 v9, v9
	s_waitcnt vmcnt(0)
	v_cvt_f32_f16_e32 v10, v10
.LBB587_2:
	s_or_b32 exec_lo, exec_lo, s0
	v_or_b32_e32 v11, 32, v2
	s_delay_alu instid0(VALU_DEP_1) | instskip(SKIP_1) | instid1(VALU_DEP_2)
	v_cmp_gt_i32_e64 s0, s18, v11
	v_mov_b32_e32 v11, 0
	s_and_b32 s2, s5, s0
	s_delay_alu instid0(SALU_CYCLE_1)
	s_and_saveexec_b32 s1, s2
	s_cbranch_execz .LBB587_4
; %bb.3:
	global_load_u16 v7, v[3:4], off offset:64
	global_load_u16 v11, v[5:6], off offset:64
	s_waitcnt vmcnt(1)
	v_cvt_f32_f16_e32 v7, v7
	s_waitcnt vmcnt(0)
	v_cvt_f32_f16_e32 v11, v11
.LBB587_4:
	s_or_b32 exec_lo, exec_lo, s1
	v_or_b32_e32 v12, 64, v2
	v_dual_mov_b32 v14, 0 :: v_dual_mov_b32 v13, 0
	s_delay_alu instid0(VALU_DEP_2) | instskip(SKIP_1) | instid1(VALU_DEP_2)
	v_cmp_gt_i32_e64 s1, s18, v12
	v_mov_b32_e32 v12, 0
	s_and_b32 s3, s5, s1
	s_delay_alu instid0(SALU_CYCLE_1)
	s_and_saveexec_b32 s2, s3
	s_cbranch_execz .LBB587_6
; %bb.5:
	global_load_u16 v13, v[3:4], off offset:128
	global_load_u16 v14, v[5:6], off offset:128
	s_waitcnt vmcnt(1)
	v_cvt_f32_f16_e32 v13, v13
	s_waitcnt vmcnt(0)
	v_cvt_f32_f16_e32 v14, v14
.LBB587_6:
	s_or_b32 exec_lo, exec_lo, s2
	v_or_b32_e32 v15, 0x60, v2
	s_delay_alu instid0(VALU_DEP_1) | instskip(SKIP_1) | instid1(VALU_DEP_2)
	v_cmp_gt_i32_e64 s2, s18, v15
	v_mov_b32_e32 v15, 0
	s_and_b32 s4, s5, s2
	s_delay_alu instid0(SALU_CYCLE_1)
	s_and_saveexec_b32 s3, s4
	s_cbranch_execz .LBB587_8
; %bb.7:
	global_load_u16 v12, v[3:4], off offset:192
	global_load_u16 v15, v[5:6], off offset:192
	s_waitcnt vmcnt(1)
	v_cvt_f32_f16_e32 v12, v12
	s_waitcnt vmcnt(0)
	v_cvt_f32_f16_e32 v15, v15
.LBB587_8:
	s_or_b32 exec_lo, exec_lo, s3
	v_or_b32_e32 v16, 0x80, v2
	v_dual_mov_b32 v18, 0 :: v_dual_mov_b32 v17, 0
	s_delay_alu instid0(VALU_DEP_2) | instskip(SKIP_1) | instid1(VALU_DEP_2)
	v_cmp_gt_i32_e64 s3, s18, v16
	v_mov_b32_e32 v16, 0
	s_and_b32 s6, s5, s3
	s_delay_alu instid0(SALU_CYCLE_1)
	s_and_saveexec_b32 s4, s6
	s_cbranch_execz .LBB587_10
; %bb.9:
	global_load_u16 v17, v[3:4], off offset:256
	global_load_u16 v18, v[5:6], off offset:256
	s_waitcnt vmcnt(1)
	v_cvt_f32_f16_e32 v17, v17
	s_waitcnt vmcnt(0)
	v_cvt_f32_f16_e32 v18, v18
.LBB587_10:
	;; [unrolled: 35-line block ×3, first 2 shown]
	s_or_b32 exec_lo, exec_lo, s7
	v_or_b32_e32 v2, 0xe0, v2
	s_delay_alu instid0(VALU_DEP_1) | instskip(SKIP_1) | instid1(VALU_DEP_2)
	v_cmp_gt_i32_e64 s7, s18, v2
	v_mov_b32_e32 v2, 0
	s_and_b32 s10, s5, s7
	s_delay_alu instid0(SALU_CYCLE_1)
	s_and_saveexec_b32 s5, s10
	s_cbranch_execz .LBB587_16
; %bb.15:
	global_load_u16 v2, v[3:4], off offset:448
	global_load_u16 v3, v[5:6], off offset:448
	s_waitcnt vmcnt(1)
	v_cvt_f32_f16_e32 v20, v2
	s_waitcnt vmcnt(0)
	v_cvt_f32_f16_e32 v2, v3
.LBB587_16:
	s_or_b32 exec_lo, exec_lo, s5
	v_mbcnt_lo_u32_b32 v4, -1, 0
	s_mov_b32 s10, exec_lo
	s_delay_alu instid0(VALU_DEP_1) | instskip(SKIP_1) | instid1(VALU_DEP_2)
	v_xor_b32_e32 v5, 16, v4
	v_xor_b32_e32 v6, 8, v4
	v_cmp_gt_i32_e64 s5, 32, v5
	s_delay_alu instid0(VALU_DEP_1) | instskip(NEXT) | instid1(VALU_DEP_3)
	v_cndmask_b32_e64 v5, v4, v5, s5
	v_cmp_gt_i32_e64 s5, 32, v6
	s_delay_alu instid0(VALU_DEP_2) | instskip(NEXT) | instid1(VALU_DEP_2)
	v_lshlrev_b32_e32 v5, 2, v5
	v_cndmask_b32_e64 v6, v4, v6, s5
	s_delay_alu instid0(VALU_DEP_1) | instskip(NEXT) | instid1(VALU_DEP_1)
	v_dual_add_f32 v3, 0, v9 :: v_dual_lshlrev_b32 v6, 2, v6
	v_add_f32_e32 v3, v3, v7
	s_delay_alu instid0(VALU_DEP_1) | instskip(NEXT) | instid1(VALU_DEP_1)
	v_add_f32_e32 v3, v3, v13
	v_add_f32_e32 v3, v3, v12
	s_delay_alu instid0(VALU_DEP_1) | instskip(NEXT) | instid1(VALU_DEP_1)
	v_add_f32_e32 v3, v3, v17
	;; [unrolled: 3-line block ×3, first 2 shown]
	v_add_f32_e32 v3, v3, v20
	ds_bpermute_b32 v5, v5, v3
	s_waitcnt lgkmcnt(0)
	v_add_f32_e32 v3, v3, v5
	ds_bpermute_b32 v5, v6, v3
	v_xor_b32_e32 v6, 4, v4
	s_delay_alu instid0(VALU_DEP_1) | instskip(NEXT) | instid1(VALU_DEP_1)
	v_cmp_gt_i32_e64 s5, 32, v6
	v_cndmask_b32_e64 v6, v4, v6, s5
	s_waitcnt lgkmcnt(0)
	s_delay_alu instid0(VALU_DEP_1) | instskip(SKIP_2) | instid1(VALU_DEP_1)
	v_dual_add_f32 v3, v3, v5 :: v_dual_lshlrev_b32 v6, 2, v6
	ds_bpermute_b32 v5, v6, v3
	v_xor_b32_e32 v6, 2, v4
	v_cmp_gt_i32_e64 s5, 32, v6
	s_delay_alu instid0(VALU_DEP_1) | instskip(SKIP_1) | instid1(VALU_DEP_1)
	v_cndmask_b32_e64 v6, v4, v6, s5
	s_waitcnt lgkmcnt(0)
	v_dual_add_f32 v3, v3, v5 :: v_dual_lshlrev_b32 v6, 2, v6
	ds_bpermute_b32 v5, v6, v3
	v_xor_b32_e32 v6, 1, v4
	s_delay_alu instid0(VALU_DEP_1) | instskip(NEXT) | instid1(VALU_DEP_1)
	v_cmp_gt_i32_e64 s5, 32, v6
	v_cndmask_b32_e64 v4, v4, v6, s5
	s_waitcnt lgkmcnt(0)
	s_delay_alu instid0(VALU_DEP_1)
	v_dual_add_f32 v3, v3, v5 :: v_dual_lshlrev_b32 v4, 2, v4
	ds_bpermute_b32 v4, v4, v3
	v_cmpx_lt_i32_e32 0, v8
	s_cbranch_execz .LBB587_26
; %bb.17:
	v_add_co_u32 v0, s5, s8, v0
	s_delay_alu instid0(VALU_DEP_1)
	v_add_co_ci_u32_e64 v1, s5, s9, v1, s5
	s_waitcnt lgkmcnt(0)
	v_add_f32_e32 v3, v3, v4
	s_and_saveexec_b32 s5, vcc_lo
	s_cbranch_execnz .LBB587_27
; %bb.18:
	s_or_b32 exec_lo, exec_lo, s5
	s_and_saveexec_b32 s5, s0
	s_cbranch_execnz .LBB587_28
.LBB587_19:
	s_or_b32 exec_lo, exec_lo, s5
	s_and_saveexec_b32 s0, s1
	s_cbranch_execnz .LBB587_29
.LBB587_20:
	s_or_b32 exec_lo, exec_lo, s0
	s_and_saveexec_b32 s0, s2
	s_cbranch_execnz .LBB587_30
.LBB587_21:
	s_or_b32 exec_lo, exec_lo, s0
	s_and_saveexec_b32 s0, s3
	s_cbranch_execnz .LBB587_31
.LBB587_22:
	s_or_b32 exec_lo, exec_lo, s0
	s_and_saveexec_b32 s0, s4
	s_cbranch_execnz .LBB587_32
.LBB587_23:
	s_or_b32 exec_lo, exec_lo, s0
	s_and_saveexec_b32 s0, s6
	s_cbranch_execnz .LBB587_33
.LBB587_24:
	s_or_b32 exec_lo, exec_lo, s0
	s_delay_alu instid0(SALU_CYCLE_1)
	s_and_b32 exec_lo, exec_lo, s7
	s_cbranch_execz .LBB587_26
.LBB587_25:
	v_fma_mixlo_f16 v2, -v3, v2, v20
	global_store_b16 v[0:1], v2, off offset:448
.LBB587_26:
	s_nop 0
	s_sendmsg sendmsg(MSG_DEALLOC_VGPRS)
	s_endpgm
.LBB587_27:
	s_delay_alu instid0(VALU_DEP_1)
	v_fma_mixlo_f16 v4, -v3, v10, v9
	global_store_b16 v[0:1], v4, off
	s_or_b32 exec_lo, exec_lo, s5
	s_and_saveexec_b32 s5, s0
	s_cbranch_execz .LBB587_19
.LBB587_28:
	v_fma_mixlo_f16 v4, -v3, v11, v7
	global_store_b16 v[0:1], v4, off offset:64
	s_or_b32 exec_lo, exec_lo, s5
	s_and_saveexec_b32 s0, s1
	s_cbranch_execz .LBB587_20
.LBB587_29:
	v_fma_mixlo_f16 v4, -v3, v14, v13
	global_store_b16 v[0:1], v4, off offset:128
	s_or_b32 exec_lo, exec_lo, s0
	s_and_saveexec_b32 s0, s2
	s_cbranch_execz .LBB587_21
.LBB587_30:
	v_fma_mixlo_f16 v4, -v3, v15, v12
	global_store_b16 v[0:1], v4, off offset:192
	s_or_b32 exec_lo, exec_lo, s0
	s_and_saveexec_b32 s0, s3
	s_cbranch_execz .LBB587_22
.LBB587_31:
	v_fma_mixlo_f16 v4, -v3, v18, v17
	global_store_b16 v[0:1], v4, off offset:256
	s_or_b32 exec_lo, exec_lo, s0
	s_and_saveexec_b32 s0, s4
	s_cbranch_execz .LBB587_23
.LBB587_32:
	v_fma_mixlo_f16 v4, -v3, v19, v16
	global_store_b16 v[0:1], v4, off offset:320
	s_or_b32 exec_lo, exec_lo, s0
	s_and_saveexec_b32 s0, s6
	s_cbranch_execz .LBB587_24
.LBB587_33:
	v_fma_mixlo_f16 v4, -v3, v22, v21
	global_store_b16 v[0:1], v4, off offset:384
	s_or_b32 exec_lo, exec_lo, s0
	s_delay_alu instid0(SALU_CYCLE_1)
	s_and_b32 exec_lo, exec_lo, s7
	s_cbranch_execnz .LBB587_25
	s_branch .LBB587_26
	.section	.rodata,"a",@progbits
	.p2align	6, 0x0
	.amdhsa_kernel _ZN12_GLOBAL__N_121softmax_warp_backwardIN3c104HalfES2_fLi8ELb0ELb0ELi32EEEvPT0_PKT_S7_iiiPKb
		.amdhsa_group_segment_fixed_size 0
		.amdhsa_private_segment_fixed_size 0
		.amdhsa_kernarg_size 304
		.amdhsa_user_sgpr_count 15
		.amdhsa_user_sgpr_dispatch_ptr 0
		.amdhsa_user_sgpr_queue_ptr 0
		.amdhsa_user_sgpr_kernarg_segment_ptr 1
		.amdhsa_user_sgpr_dispatch_id 0
		.amdhsa_user_sgpr_private_segment_size 0
		.amdhsa_wavefront_size32 1
		.amdhsa_uses_dynamic_stack 0
		.amdhsa_enable_private_segment 0
		.amdhsa_system_sgpr_workgroup_id_x 1
		.amdhsa_system_sgpr_workgroup_id_y 0
		.amdhsa_system_sgpr_workgroup_id_z 0
		.amdhsa_system_sgpr_workgroup_info 0
		.amdhsa_system_vgpr_workitem_id 1
		.amdhsa_next_free_vgpr 23
		.amdhsa_next_free_sgpr 20
		.amdhsa_reserve_vcc 1
		.amdhsa_float_round_mode_32 0
		.amdhsa_float_round_mode_16_64 0
		.amdhsa_float_denorm_mode_32 3
		.amdhsa_float_denorm_mode_16_64 3
		.amdhsa_dx10_clamp 1
		.amdhsa_ieee_mode 1
		.amdhsa_fp16_overflow 0
		.amdhsa_workgroup_processor_mode 1
		.amdhsa_memory_ordered 1
		.amdhsa_forward_progress 0
		.amdhsa_shared_vgpr_count 0
		.amdhsa_exception_fp_ieee_invalid_op 0
		.amdhsa_exception_fp_denorm_src 0
		.amdhsa_exception_fp_ieee_div_zero 0
		.amdhsa_exception_fp_ieee_overflow 0
		.amdhsa_exception_fp_ieee_underflow 0
		.amdhsa_exception_fp_ieee_inexact 0
		.amdhsa_exception_int_div_zero 0
	.end_amdhsa_kernel
	.section	.text._ZN12_GLOBAL__N_121softmax_warp_backwardIN3c104HalfES2_fLi8ELb0ELb0ELi32EEEvPT0_PKT_S7_iiiPKb,"axG",@progbits,_ZN12_GLOBAL__N_121softmax_warp_backwardIN3c104HalfES2_fLi8ELb0ELb0ELi32EEEvPT0_PKT_S7_iiiPKb,comdat
.Lfunc_end587:
	.size	_ZN12_GLOBAL__N_121softmax_warp_backwardIN3c104HalfES2_fLi8ELb0ELb0ELi32EEEvPT0_PKT_S7_iiiPKb, .Lfunc_end587-_ZN12_GLOBAL__N_121softmax_warp_backwardIN3c104HalfES2_fLi8ELb0ELb0ELi32EEEvPT0_PKT_S7_iiiPKb
                                        ; -- End function
	.section	.AMDGPU.csdata,"",@progbits
; Kernel info:
; codeLenInByte = 1416
; NumSgprs: 22
; NumVgprs: 23
; ScratchSize: 0
; MemoryBound: 0
; FloatMode: 240
; IeeeMode: 1
; LDSByteSize: 0 bytes/workgroup (compile time only)
; SGPRBlocks: 2
; VGPRBlocks: 2
; NumSGPRsForWavesPerEU: 22
; NumVGPRsForWavesPerEU: 23
; Occupancy: 16
; WaveLimiterHint : 0
; COMPUTE_PGM_RSRC2:SCRATCH_EN: 0
; COMPUTE_PGM_RSRC2:USER_SGPR: 15
; COMPUTE_PGM_RSRC2:TRAP_HANDLER: 0
; COMPUTE_PGM_RSRC2:TGID_X_EN: 1
; COMPUTE_PGM_RSRC2:TGID_Y_EN: 0
; COMPUTE_PGM_RSRC2:TGID_Z_EN: 0
; COMPUTE_PGM_RSRC2:TIDIG_COMP_CNT: 1
	.section	.text._ZN12_GLOBAL__N_121softmax_warp_backwardIN3c104HalfES2_fLi9ELb0ELb0ELi64EEEvPT0_PKT_S7_iiiPKb,"axG",@progbits,_ZN12_GLOBAL__N_121softmax_warp_backwardIN3c104HalfES2_fLi9ELb0ELb0ELi64EEEvPT0_PKT_S7_iiiPKb,comdat
	.globl	_ZN12_GLOBAL__N_121softmax_warp_backwardIN3c104HalfES2_fLi9ELb0ELb0ELi64EEEvPT0_PKT_S7_iiiPKb ; -- Begin function _ZN12_GLOBAL__N_121softmax_warp_backwardIN3c104HalfES2_fLi9ELb0ELb0ELi64EEEvPT0_PKT_S7_iiiPKb
	.p2align	8
	.type	_ZN12_GLOBAL__N_121softmax_warp_backwardIN3c104HalfES2_fLi9ELb0ELb0ELi64EEEvPT0_PKT_S7_iiiPKb,@function
_ZN12_GLOBAL__N_121softmax_warp_backwardIN3c104HalfES2_fLi9ELb0ELb0ELi64EEEvPT0_PKT_S7_iiiPKb: ; @_ZN12_GLOBAL__N_121softmax_warp_backwardIN3c104HalfES2_fLi9ELb0ELb0ELi64EEEvPT0_PKT_S7_iiiPKb
; %bb.0:
	s_clause 0x1
	s_load_b32 s2, s[0:1], 0x3c
	s_load_b128 s[16:19], s[0:1], 0x18
	v_bfe_u32 v1, v0, 10, 10
	s_load_b128 s[8:11], s[0:1], 0x0
	v_dual_mov_b32 v9, 0 :: v_dual_mov_b32 v10, 0
	v_mov_b32_e32 v7, 0
	s_waitcnt lgkmcnt(0)
	s_lshr_b32 s2, s2, 16
	s_delay_alu instid0(SALU_CYCLE_1) | instskip(SKIP_2) | instid1(VALU_DEP_1)
	v_mad_u64_u32 v[3:4], null, s15, s2, v[1:2]
	v_and_b32_e32 v2, 63, v0
	s_load_b64 s[2:3], s[0:1], 0x10
	v_cmp_gt_i32_e32 vcc_lo, s18, v2
	s_delay_alu instid0(VALU_DEP_3) | instskip(SKIP_1) | instid1(VALU_DEP_1)
	v_mad_u64_u32 v[0:1], null, v3, s17, v[2:3]
	v_sub_nc_u32_e32 v8, s16, v3
	v_cmp_lt_i32_e64 s6, 0, v8
	s_delay_alu instid0(VALU_DEP_3) | instskip(NEXT) | instid1(VALU_DEP_2)
	v_ashrrev_i32_e32 v1, 31, v0
	s_and_b32 s1, s6, vcc_lo
	s_delay_alu instid0(VALU_DEP_1) | instskip(NEXT) | instid1(VALU_DEP_1)
	v_lshlrev_b64 v[0:1], 1, v[0:1]
	v_add_co_u32 v3, s0, s10, v0
	s_delay_alu instid0(VALU_DEP_1) | instskip(SKIP_2) | instid1(VALU_DEP_1)
	v_add_co_ci_u32_e64 v4, s0, s11, v1, s0
	s_waitcnt lgkmcnt(0)
	v_add_co_u32 v5, s0, s2, v0
	v_add_co_ci_u32_e64 v6, s0, s3, v1, s0
	s_and_saveexec_b32 s0, s1
	s_cbranch_execz .LBB588_2
; %bb.1:
	global_load_u16 v9, v[3:4], off
	global_load_u16 v10, v[5:6], off
	s_waitcnt vmcnt(1)
	v_cvt_f32_f16_e32 v9, v9
	s_waitcnt vmcnt(0)
	v_cvt_f32_f16_e32 v10, v10
.LBB588_2:
	s_or_b32 exec_lo, exec_lo, s0
	v_or_b32_e32 v11, 64, v2
	s_delay_alu instid0(VALU_DEP_1) | instskip(SKIP_1) | instid1(VALU_DEP_2)
	v_cmp_gt_i32_e64 s0, s18, v11
	v_mov_b32_e32 v11, 0
	s_and_b32 s2, s6, s0
	s_delay_alu instid0(SALU_CYCLE_1)
	s_and_saveexec_b32 s1, s2
	s_cbranch_execz .LBB588_4
; %bb.3:
	global_load_u16 v7, v[3:4], off offset:128
	global_load_u16 v11, v[5:6], off offset:128
	s_waitcnt vmcnt(1)
	v_cvt_f32_f16_e32 v7, v7
	s_waitcnt vmcnt(0)
	v_cvt_f32_f16_e32 v11, v11
.LBB588_4:
	s_or_b32 exec_lo, exec_lo, s1
	v_or_b32_e32 v12, 0x80, v2
	v_dual_mov_b32 v14, 0 :: v_dual_mov_b32 v13, 0
	s_delay_alu instid0(VALU_DEP_2) | instskip(SKIP_1) | instid1(VALU_DEP_2)
	v_cmp_gt_i32_e64 s1, s18, v12
	v_mov_b32_e32 v12, 0
	s_and_b32 s3, s6, s1
	s_delay_alu instid0(SALU_CYCLE_1)
	s_and_saveexec_b32 s2, s3
	s_cbranch_execz .LBB588_6
; %bb.5:
	global_load_u16 v13, v[3:4], off offset:256
	global_load_u16 v14, v[5:6], off offset:256
	s_waitcnt vmcnt(1)
	v_cvt_f32_f16_e32 v13, v13
	s_waitcnt vmcnt(0)
	v_cvt_f32_f16_e32 v14, v14
.LBB588_6:
	s_or_b32 exec_lo, exec_lo, s2
	v_or_b32_e32 v15, 0xc0, v2
	s_delay_alu instid0(VALU_DEP_1) | instskip(SKIP_1) | instid1(VALU_DEP_2)
	v_cmp_gt_i32_e64 s2, s18, v15
	v_mov_b32_e32 v15, 0
	s_and_b32 s4, s6, s2
	s_delay_alu instid0(SALU_CYCLE_1)
	s_and_saveexec_b32 s3, s4
	s_cbranch_execz .LBB588_8
; %bb.7:
	global_load_u16 v12, v[3:4], off offset:384
	global_load_u16 v15, v[5:6], off offset:384
	s_waitcnt vmcnt(1)
	v_cvt_f32_f16_e32 v12, v12
	s_waitcnt vmcnt(0)
	v_cvt_f32_f16_e32 v15, v15
.LBB588_8:
	s_or_b32 exec_lo, exec_lo, s3
	v_or_b32_e32 v16, 0x100, v2
	v_dual_mov_b32 v18, 0 :: v_dual_mov_b32 v17, 0
	s_delay_alu instid0(VALU_DEP_2) | instskip(SKIP_1) | instid1(VALU_DEP_2)
	v_cmp_gt_i32_e64 s3, s18, v16
	v_mov_b32_e32 v16, 0
	s_and_b32 s5, s6, s3
	s_delay_alu instid0(SALU_CYCLE_1)
	s_and_saveexec_b32 s4, s5
	s_cbranch_execz .LBB588_10
; %bb.9:
	global_load_u16 v17, v[3:4], off offset:512
	global_load_u16 v18, v[5:6], off offset:512
	s_waitcnt vmcnt(1)
	v_cvt_f32_f16_e32 v17, v17
	s_waitcnt vmcnt(0)
	v_cvt_f32_f16_e32 v18, v18
.LBB588_10:
	;; [unrolled: 35-line block ×3, first 2 shown]
	s_or_b32 exec_lo, exec_lo, s7
	v_or_b32_e32 v2, 0x1c0, v2
	s_delay_alu instid0(VALU_DEP_1) | instskip(SKIP_1) | instid1(VALU_DEP_2)
	v_cmp_gt_i32_e64 s7, s18, v2
	v_mov_b32_e32 v2, 0
	s_and_b32 s10, s6, s7
	s_delay_alu instid0(SALU_CYCLE_1)
	s_and_saveexec_b32 s6, s10
	s_cbranch_execz .LBB588_16
; %bb.15:
	global_load_u16 v2, v[3:4], off offset:896
	global_load_u16 v3, v[5:6], off offset:896
	s_waitcnt vmcnt(1)
	v_cvt_f32_f16_e32 v20, v2
	s_waitcnt vmcnt(0)
	v_cvt_f32_f16_e32 v2, v3
.LBB588_16:
	s_or_b32 exec_lo, exec_lo, s6
	v_mbcnt_lo_u32_b32 v4, -1, 0
	s_mov_b32 s10, exec_lo
	s_delay_alu instid0(VALU_DEP_1) | instskip(SKIP_1) | instid1(VALU_DEP_2)
	v_or_b32_e32 v5, 32, v4
	v_xor_b32_e32 v6, 16, v4
	v_cmp_gt_i32_e64 s6, 64, v5
	s_delay_alu instid0(VALU_DEP_1) | instskip(NEXT) | instid1(VALU_DEP_3)
	v_cndmask_b32_e64 v5, v4, v5, s6
	v_cmp_gt_i32_e64 s6, 64, v6
	s_delay_alu instid0(VALU_DEP_2) | instskip(NEXT) | instid1(VALU_DEP_2)
	v_lshlrev_b32_e32 v5, 2, v5
	v_cndmask_b32_e64 v6, v4, v6, s6
	s_delay_alu instid0(VALU_DEP_1) | instskip(NEXT) | instid1(VALU_DEP_1)
	v_dual_add_f32 v3, 0, v9 :: v_dual_lshlrev_b32 v6, 2, v6
	v_add_f32_e32 v3, v3, v7
	s_delay_alu instid0(VALU_DEP_1) | instskip(NEXT) | instid1(VALU_DEP_1)
	v_add_f32_e32 v3, v3, v13
	v_add_f32_e32 v3, v3, v12
	s_delay_alu instid0(VALU_DEP_1) | instskip(NEXT) | instid1(VALU_DEP_1)
	v_add_f32_e32 v3, v3, v17
	v_add_f32_e32 v3, v3, v16
	s_delay_alu instid0(VALU_DEP_1) | instskip(NEXT) | instid1(VALU_DEP_1)
	v_add_f32_e32 v3, v3, v21
	v_add_f32_e32 v3, v3, v20
	ds_bpermute_b32 v5, v5, v3
	s_waitcnt lgkmcnt(0)
	v_add_f32_e32 v3, v3, v5
	ds_bpermute_b32 v5, v6, v3
	v_xor_b32_e32 v6, 8, v4
	s_delay_alu instid0(VALU_DEP_1) | instskip(NEXT) | instid1(VALU_DEP_1)
	v_cmp_gt_i32_e64 s6, 64, v6
	v_cndmask_b32_e64 v6, v4, v6, s6
	s_waitcnt lgkmcnt(0)
	s_delay_alu instid0(VALU_DEP_1) | instskip(SKIP_2) | instid1(VALU_DEP_1)
	v_dual_add_f32 v3, v3, v5 :: v_dual_lshlrev_b32 v6, 2, v6
	ds_bpermute_b32 v5, v6, v3
	v_xor_b32_e32 v6, 4, v4
	v_cmp_gt_i32_e64 s6, 64, v6
	s_delay_alu instid0(VALU_DEP_1) | instskip(SKIP_1) | instid1(VALU_DEP_1)
	v_cndmask_b32_e64 v6, v4, v6, s6
	s_waitcnt lgkmcnt(0)
	v_dual_add_f32 v3, v3, v5 :: v_dual_lshlrev_b32 v6, 2, v6
	ds_bpermute_b32 v5, v6, v3
	v_xor_b32_e32 v6, 2, v4
	s_delay_alu instid0(VALU_DEP_1) | instskip(NEXT) | instid1(VALU_DEP_1)
	v_cmp_gt_i32_e64 s6, 64, v6
	v_cndmask_b32_e64 v6, v4, v6, s6
	s_waitcnt lgkmcnt(0)
	s_delay_alu instid0(VALU_DEP_1) | instskip(SKIP_2) | instid1(VALU_DEP_1)
	v_dual_add_f32 v3, v3, v5 :: v_dual_lshlrev_b32 v6, 2, v6
	ds_bpermute_b32 v5, v6, v3
	v_xor_b32_e32 v6, 1, v4
	v_cmp_gt_i32_e64 s6, 64, v6
	s_delay_alu instid0(VALU_DEP_1) | instskip(SKIP_1) | instid1(VALU_DEP_1)
	v_cndmask_b32_e64 v4, v4, v6, s6
	s_waitcnt lgkmcnt(0)
	v_dual_add_f32 v3, v3, v5 :: v_dual_lshlrev_b32 v4, 2, v4
	ds_bpermute_b32 v4, v4, v3
	v_cmpx_lt_i32_e32 0, v8
	s_cbranch_execz .LBB588_26
; %bb.17:
	v_add_co_u32 v0, s6, s8, v0
	s_delay_alu instid0(VALU_DEP_1)
	v_add_co_ci_u32_e64 v1, s6, s9, v1, s6
	s_waitcnt lgkmcnt(0)
	v_add_f32_e32 v3, v3, v4
	s_and_saveexec_b32 s6, vcc_lo
	s_cbranch_execnz .LBB588_27
; %bb.18:
	s_or_b32 exec_lo, exec_lo, s6
	s_and_saveexec_b32 s6, s0
	s_cbranch_execnz .LBB588_28
.LBB588_19:
	s_or_b32 exec_lo, exec_lo, s6
	s_and_saveexec_b32 s0, s1
	s_cbranch_execnz .LBB588_29
.LBB588_20:
	s_or_b32 exec_lo, exec_lo, s0
	s_and_saveexec_b32 s0, s2
	s_cbranch_execnz .LBB588_30
.LBB588_21:
	s_or_b32 exec_lo, exec_lo, s0
	s_and_saveexec_b32 s0, s3
	s_cbranch_execnz .LBB588_31
.LBB588_22:
	s_or_b32 exec_lo, exec_lo, s0
	s_and_saveexec_b32 s0, s4
	s_cbranch_execnz .LBB588_32
.LBB588_23:
	s_or_b32 exec_lo, exec_lo, s0
	s_and_saveexec_b32 s0, s5
	s_cbranch_execnz .LBB588_33
.LBB588_24:
	s_or_b32 exec_lo, exec_lo, s0
	s_delay_alu instid0(SALU_CYCLE_1)
	s_and_b32 exec_lo, exec_lo, s7
	s_cbranch_execz .LBB588_26
.LBB588_25:
	v_fma_mixlo_f16 v2, -v3, v2, v20
	global_store_b16 v[0:1], v2, off offset:896
.LBB588_26:
	s_nop 0
	s_sendmsg sendmsg(MSG_DEALLOC_VGPRS)
	s_endpgm
.LBB588_27:
	s_delay_alu instid0(VALU_DEP_1)
	v_fma_mixlo_f16 v4, -v3, v10, v9
	global_store_b16 v[0:1], v4, off
	s_or_b32 exec_lo, exec_lo, s6
	s_and_saveexec_b32 s6, s0
	s_cbranch_execz .LBB588_19
.LBB588_28:
	v_fma_mixlo_f16 v4, -v3, v11, v7
	global_store_b16 v[0:1], v4, off offset:128
	s_or_b32 exec_lo, exec_lo, s6
	s_and_saveexec_b32 s0, s1
	s_cbranch_execz .LBB588_20
.LBB588_29:
	v_fma_mixlo_f16 v4, -v3, v14, v13
	global_store_b16 v[0:1], v4, off offset:256
	s_or_b32 exec_lo, exec_lo, s0
	s_and_saveexec_b32 s0, s2
	s_cbranch_execz .LBB588_21
.LBB588_30:
	v_fma_mixlo_f16 v4, -v3, v15, v12
	global_store_b16 v[0:1], v4, off offset:384
	s_or_b32 exec_lo, exec_lo, s0
	s_and_saveexec_b32 s0, s3
	s_cbranch_execz .LBB588_22
.LBB588_31:
	v_fma_mixlo_f16 v4, -v3, v18, v17
	global_store_b16 v[0:1], v4, off offset:512
	s_or_b32 exec_lo, exec_lo, s0
	s_and_saveexec_b32 s0, s4
	s_cbranch_execz .LBB588_23
.LBB588_32:
	v_fma_mixlo_f16 v4, -v3, v19, v16
	global_store_b16 v[0:1], v4, off offset:640
	s_or_b32 exec_lo, exec_lo, s0
	s_and_saveexec_b32 s0, s5
	s_cbranch_execz .LBB588_24
.LBB588_33:
	v_fma_mixlo_f16 v4, -v3, v22, v21
	global_store_b16 v[0:1], v4, off offset:768
	s_or_b32 exec_lo, exec_lo, s0
	s_delay_alu instid0(SALU_CYCLE_1)
	s_and_b32 exec_lo, exec_lo, s7
	s_cbranch_execnz .LBB588_25
	s_branch .LBB588_26
	.section	.rodata,"a",@progbits
	.p2align	6, 0x0
	.amdhsa_kernel _ZN12_GLOBAL__N_121softmax_warp_backwardIN3c104HalfES2_fLi9ELb0ELb0ELi64EEEvPT0_PKT_S7_iiiPKb
		.amdhsa_group_segment_fixed_size 0
		.amdhsa_private_segment_fixed_size 0
		.amdhsa_kernarg_size 304
		.amdhsa_user_sgpr_count 15
		.amdhsa_user_sgpr_dispatch_ptr 0
		.amdhsa_user_sgpr_queue_ptr 0
		.amdhsa_user_sgpr_kernarg_segment_ptr 1
		.amdhsa_user_sgpr_dispatch_id 0
		.amdhsa_user_sgpr_private_segment_size 0
		.amdhsa_wavefront_size32 1
		.amdhsa_uses_dynamic_stack 0
		.amdhsa_enable_private_segment 0
		.amdhsa_system_sgpr_workgroup_id_x 1
		.amdhsa_system_sgpr_workgroup_id_y 0
		.amdhsa_system_sgpr_workgroup_id_z 0
		.amdhsa_system_sgpr_workgroup_info 0
		.amdhsa_system_vgpr_workitem_id 1
		.amdhsa_next_free_vgpr 23
		.amdhsa_next_free_sgpr 20
		.amdhsa_reserve_vcc 1
		.amdhsa_float_round_mode_32 0
		.amdhsa_float_round_mode_16_64 0
		.amdhsa_float_denorm_mode_32 3
		.amdhsa_float_denorm_mode_16_64 3
		.amdhsa_dx10_clamp 1
		.amdhsa_ieee_mode 1
		.amdhsa_fp16_overflow 0
		.amdhsa_workgroup_processor_mode 1
		.amdhsa_memory_ordered 1
		.amdhsa_forward_progress 0
		.amdhsa_shared_vgpr_count 0
		.amdhsa_exception_fp_ieee_invalid_op 0
		.amdhsa_exception_fp_denorm_src 0
		.amdhsa_exception_fp_ieee_div_zero 0
		.amdhsa_exception_fp_ieee_overflow 0
		.amdhsa_exception_fp_ieee_underflow 0
		.amdhsa_exception_fp_ieee_inexact 0
		.amdhsa_exception_int_div_zero 0
	.end_amdhsa_kernel
	.section	.text._ZN12_GLOBAL__N_121softmax_warp_backwardIN3c104HalfES2_fLi9ELb0ELb0ELi64EEEvPT0_PKT_S7_iiiPKb,"axG",@progbits,_ZN12_GLOBAL__N_121softmax_warp_backwardIN3c104HalfES2_fLi9ELb0ELb0ELi64EEEvPT0_PKT_S7_iiiPKb,comdat
.Lfunc_end588:
	.size	_ZN12_GLOBAL__N_121softmax_warp_backwardIN3c104HalfES2_fLi9ELb0ELb0ELi64EEEvPT0_PKT_S7_iiiPKb, .Lfunc_end588-_ZN12_GLOBAL__N_121softmax_warp_backwardIN3c104HalfES2_fLi9ELb0ELb0ELi64EEEvPT0_PKT_S7_iiiPKb
                                        ; -- End function
	.section	.AMDGPU.csdata,"",@progbits
; Kernel info:
; codeLenInByte = 1464
; NumSgprs: 22
; NumVgprs: 23
; ScratchSize: 0
; MemoryBound: 0
; FloatMode: 240
; IeeeMode: 1
; LDSByteSize: 0 bytes/workgroup (compile time only)
; SGPRBlocks: 2
; VGPRBlocks: 2
; NumSGPRsForWavesPerEU: 22
; NumVGPRsForWavesPerEU: 23
; Occupancy: 16
; WaveLimiterHint : 0
; COMPUTE_PGM_RSRC2:SCRATCH_EN: 0
; COMPUTE_PGM_RSRC2:USER_SGPR: 15
; COMPUTE_PGM_RSRC2:TRAP_HANDLER: 0
; COMPUTE_PGM_RSRC2:TGID_X_EN: 1
; COMPUTE_PGM_RSRC2:TGID_Y_EN: 0
; COMPUTE_PGM_RSRC2:TGID_Z_EN: 0
; COMPUTE_PGM_RSRC2:TIDIG_COMP_CNT: 1
	.section	.text._ZN12_GLOBAL__N_121softmax_warp_backwardIN3c104HalfES2_fLi9ELb0ELb0ELi32EEEvPT0_PKT_S7_iiiPKb,"axG",@progbits,_ZN12_GLOBAL__N_121softmax_warp_backwardIN3c104HalfES2_fLi9ELb0ELb0ELi32EEEvPT0_PKT_S7_iiiPKb,comdat
	.globl	_ZN12_GLOBAL__N_121softmax_warp_backwardIN3c104HalfES2_fLi9ELb0ELb0ELi32EEEvPT0_PKT_S7_iiiPKb ; -- Begin function _ZN12_GLOBAL__N_121softmax_warp_backwardIN3c104HalfES2_fLi9ELb0ELb0ELi32EEEvPT0_PKT_S7_iiiPKb
	.p2align	8
	.type	_ZN12_GLOBAL__N_121softmax_warp_backwardIN3c104HalfES2_fLi9ELb0ELb0ELi32EEEvPT0_PKT_S7_iiiPKb,@function
_ZN12_GLOBAL__N_121softmax_warp_backwardIN3c104HalfES2_fLi9ELb0ELb0ELi32EEEvPT0_PKT_S7_iiiPKb: ; @_ZN12_GLOBAL__N_121softmax_warp_backwardIN3c104HalfES2_fLi9ELb0ELb0ELi32EEEvPT0_PKT_S7_iiiPKb
; %bb.0:
	s_clause 0x1
	s_load_b32 s2, s[0:1], 0x3c
	s_load_b128 s[20:23], s[0:1], 0x18
	v_bfe_u32 v1, v0, 10, 10
	s_load_b128 s[16:19], s[0:1], 0x0
	v_dual_mov_b32 v9, 0 :: v_dual_mov_b32 v10, 0
	v_mov_b32_e32 v7, 0
	s_waitcnt lgkmcnt(0)
	s_lshr_b32 s2, s2, 16
	s_delay_alu instid0(SALU_CYCLE_1) | instskip(SKIP_2) | instid1(VALU_DEP_1)
	v_mad_u64_u32 v[3:4], null, s15, s2, v[1:2]
	v_and_b32_e32 v2, 31, v0
	s_load_b64 s[2:3], s[0:1], 0x10
	v_cmp_gt_i32_e32 vcc_lo, s22, v2
	s_delay_alu instid0(VALU_DEP_3) | instskip(SKIP_1) | instid1(VALU_DEP_1)
	v_mad_u64_u32 v[0:1], null, v3, s21, v[2:3]
	v_sub_nc_u32_e32 v8, s20, v3
	v_cmp_lt_i32_e64 s6, 0, v8
	s_delay_alu instid0(VALU_DEP_3) | instskip(NEXT) | instid1(VALU_DEP_2)
	v_ashrrev_i32_e32 v1, 31, v0
	s_and_b32 s1, s6, vcc_lo
	s_delay_alu instid0(VALU_DEP_1) | instskip(NEXT) | instid1(VALU_DEP_1)
	v_lshlrev_b64 v[0:1], 1, v[0:1]
	v_add_co_u32 v3, s0, s18, v0
	s_delay_alu instid0(VALU_DEP_1) | instskip(SKIP_2) | instid1(VALU_DEP_1)
	v_add_co_ci_u32_e64 v4, s0, s19, v1, s0
	s_waitcnt lgkmcnt(0)
	v_add_co_u32 v5, s0, s2, v0
	v_add_co_ci_u32_e64 v6, s0, s3, v1, s0
	s_and_saveexec_b32 s0, s1
	s_cbranch_execz .LBB589_2
; %bb.1:
	global_load_u16 v9, v[3:4], off
	global_load_u16 v10, v[5:6], off
	s_waitcnt vmcnt(1)
	v_cvt_f32_f16_e32 v9, v9
	s_waitcnt vmcnt(0)
	v_cvt_f32_f16_e32 v10, v10
.LBB589_2:
	s_or_b32 exec_lo, exec_lo, s0
	v_or_b32_e32 v11, 32, v2
	s_delay_alu instid0(VALU_DEP_1) | instskip(SKIP_1) | instid1(VALU_DEP_2)
	v_cmp_gt_i32_e64 s0, s22, v11
	v_mov_b32_e32 v11, 0
	s_and_b32 s2, s6, s0
	s_delay_alu instid0(SALU_CYCLE_1)
	s_and_saveexec_b32 s1, s2
	s_cbranch_execz .LBB589_4
; %bb.3:
	global_load_u16 v7, v[3:4], off offset:64
	global_load_u16 v11, v[5:6], off offset:64
	s_waitcnt vmcnt(1)
	v_cvt_f32_f16_e32 v7, v7
	s_waitcnt vmcnt(0)
	v_cvt_f32_f16_e32 v11, v11
.LBB589_4:
	s_or_b32 exec_lo, exec_lo, s1
	v_or_b32_e32 v12, 64, v2
	v_dual_mov_b32 v14, 0 :: v_dual_mov_b32 v13, 0
	s_delay_alu instid0(VALU_DEP_2) | instskip(SKIP_1) | instid1(VALU_DEP_2)
	v_cmp_gt_i32_e64 s1, s22, v12
	v_mov_b32_e32 v12, 0
	s_and_b32 s3, s6, s1
	s_delay_alu instid0(SALU_CYCLE_1)
	s_and_saveexec_b32 s2, s3
	s_cbranch_execz .LBB589_6
; %bb.5:
	global_load_u16 v13, v[3:4], off offset:128
	global_load_u16 v14, v[5:6], off offset:128
	s_waitcnt vmcnt(1)
	v_cvt_f32_f16_e32 v13, v13
	s_waitcnt vmcnt(0)
	v_cvt_f32_f16_e32 v14, v14
.LBB589_6:
	s_or_b32 exec_lo, exec_lo, s2
	v_or_b32_e32 v15, 0x60, v2
	s_delay_alu instid0(VALU_DEP_1) | instskip(SKIP_1) | instid1(VALU_DEP_2)
	v_cmp_gt_i32_e64 s2, s22, v15
	v_mov_b32_e32 v15, 0
	s_and_b32 s4, s6, s2
	s_delay_alu instid0(SALU_CYCLE_1)
	s_and_saveexec_b32 s3, s4
	s_cbranch_execz .LBB589_8
; %bb.7:
	global_load_u16 v12, v[3:4], off offset:192
	global_load_u16 v15, v[5:6], off offset:192
	s_waitcnt vmcnt(1)
	v_cvt_f32_f16_e32 v12, v12
	s_waitcnt vmcnt(0)
	v_cvt_f32_f16_e32 v15, v15
.LBB589_8:
	s_or_b32 exec_lo, exec_lo, s3
	v_or_b32_e32 v16, 0x80, v2
	v_dual_mov_b32 v18, 0 :: v_dual_mov_b32 v17, 0
	s_delay_alu instid0(VALU_DEP_2) | instskip(SKIP_1) | instid1(VALU_DEP_2)
	v_cmp_gt_i32_e64 s3, s22, v16
	v_mov_b32_e32 v16, 0
	s_and_b32 s5, s6, s3
	s_delay_alu instid0(SALU_CYCLE_1)
	s_and_saveexec_b32 s4, s5
	s_cbranch_execz .LBB589_10
; %bb.9:
	global_load_u16 v17, v[3:4], off offset:256
	global_load_u16 v18, v[5:6], off offset:256
	s_waitcnt vmcnt(1)
	v_cvt_f32_f16_e32 v17, v17
	s_waitcnt vmcnt(0)
	v_cvt_f32_f16_e32 v18, v18
.LBB589_10:
	;; [unrolled: 35-line block ×7, first 2 shown]
	s_or_b32 exec_lo, exec_lo, s15
	v_or_b32_e32 v2, 0x1e0, v2
	s_delay_alu instid0(VALU_DEP_1) | instskip(SKIP_1) | instid1(VALU_DEP_2)
	v_cmp_gt_i32_e64 s15, s22, v2
	v_mov_b32_e32 v2, 0
	s_and_b32 s18, s6, s15
	s_delay_alu instid0(SALU_CYCLE_1)
	s_and_saveexec_b32 s6, s18
	s_cbranch_execz .LBB589_32
; %bb.31:
	global_load_u16 v2, v[3:4], off offset:960
	global_load_u16 v3, v[5:6], off offset:960
	s_waitcnt vmcnt(1)
	v_cvt_f32_f16_e32 v36, v2
	s_waitcnt vmcnt(0)
	v_cvt_f32_f16_e32 v2, v3
.LBB589_32:
	s_or_b32 exec_lo, exec_lo, s6
	v_mbcnt_lo_u32_b32 v4, -1, 0
	s_mov_b32 s18, exec_lo
	s_delay_alu instid0(VALU_DEP_1) | instskip(SKIP_1) | instid1(VALU_DEP_2)
	v_xor_b32_e32 v5, 16, v4
	v_xor_b32_e32 v6, 8, v4
	v_cmp_gt_i32_e64 s6, 32, v5
	s_delay_alu instid0(VALU_DEP_1) | instskip(NEXT) | instid1(VALU_DEP_3)
	v_cndmask_b32_e64 v5, v4, v5, s6
	v_cmp_gt_i32_e64 s6, 32, v6
	s_delay_alu instid0(VALU_DEP_2) | instskip(NEXT) | instid1(VALU_DEP_2)
	v_lshlrev_b32_e32 v5, 2, v5
	v_cndmask_b32_e64 v6, v4, v6, s6
	s_delay_alu instid0(VALU_DEP_1) | instskip(NEXT) | instid1(VALU_DEP_1)
	v_dual_add_f32 v3, 0, v9 :: v_dual_lshlrev_b32 v6, 2, v6
	v_add_f32_e32 v3, v3, v7
	s_delay_alu instid0(VALU_DEP_1) | instskip(NEXT) | instid1(VALU_DEP_1)
	v_add_f32_e32 v3, v3, v13
	v_add_f32_e32 v3, v3, v12
	s_delay_alu instid0(VALU_DEP_1) | instskip(NEXT) | instid1(VALU_DEP_1)
	v_add_f32_e32 v3, v3, v17
	;; [unrolled: 3-line block ×7, first 2 shown]
	v_add_f32_e32 v3, v3, v36
	ds_bpermute_b32 v5, v5, v3
	s_waitcnt lgkmcnt(0)
	v_add_f32_e32 v3, v3, v5
	ds_bpermute_b32 v5, v6, v3
	v_xor_b32_e32 v6, 4, v4
	s_delay_alu instid0(VALU_DEP_1) | instskip(NEXT) | instid1(VALU_DEP_1)
	v_cmp_gt_i32_e64 s6, 32, v6
	v_cndmask_b32_e64 v6, v4, v6, s6
	s_waitcnt lgkmcnt(0)
	s_delay_alu instid0(VALU_DEP_1) | instskip(SKIP_2) | instid1(VALU_DEP_1)
	v_dual_add_f32 v3, v3, v5 :: v_dual_lshlrev_b32 v6, 2, v6
	ds_bpermute_b32 v5, v6, v3
	v_xor_b32_e32 v6, 2, v4
	v_cmp_gt_i32_e64 s6, 32, v6
	s_delay_alu instid0(VALU_DEP_1) | instskip(SKIP_1) | instid1(VALU_DEP_1)
	v_cndmask_b32_e64 v6, v4, v6, s6
	s_waitcnt lgkmcnt(0)
	v_dual_add_f32 v3, v3, v5 :: v_dual_lshlrev_b32 v6, 2, v6
	ds_bpermute_b32 v5, v6, v3
	v_xor_b32_e32 v6, 1, v4
	s_delay_alu instid0(VALU_DEP_1) | instskip(NEXT) | instid1(VALU_DEP_1)
	v_cmp_gt_i32_e64 s6, 32, v6
	v_cndmask_b32_e64 v4, v4, v6, s6
	s_waitcnt lgkmcnt(0)
	s_delay_alu instid0(VALU_DEP_1)
	v_dual_add_f32 v3, v3, v5 :: v_dual_lshlrev_b32 v4, 2, v4
	ds_bpermute_b32 v4, v4, v3
	v_cmpx_lt_i32_e32 0, v8
	s_cbranch_execz .LBB589_50
; %bb.33:
	v_add_co_u32 v0, s6, s16, v0
	s_delay_alu instid0(VALU_DEP_1)
	v_add_co_ci_u32_e64 v1, s6, s17, v1, s6
	s_waitcnt lgkmcnt(0)
	v_add_f32_e32 v3, v3, v4
	s_and_saveexec_b32 s6, vcc_lo
	s_cbranch_execnz .LBB589_51
; %bb.34:
	s_or_b32 exec_lo, exec_lo, s6
	s_and_saveexec_b32 s6, s0
	s_cbranch_execnz .LBB589_52
.LBB589_35:
	s_or_b32 exec_lo, exec_lo, s6
	s_and_saveexec_b32 s0, s1
	s_cbranch_execnz .LBB589_53
.LBB589_36:
	s_or_b32 exec_lo, exec_lo, s0
	s_and_saveexec_b32 s0, s2
	s_cbranch_execnz .LBB589_54
.LBB589_37:
	s_or_b32 exec_lo, exec_lo, s0
	s_and_saveexec_b32 s0, s3
	s_cbranch_execnz .LBB589_55
.LBB589_38:
	s_or_b32 exec_lo, exec_lo, s0
	s_and_saveexec_b32 s0, s4
	s_cbranch_execnz .LBB589_56
.LBB589_39:
	s_or_b32 exec_lo, exec_lo, s0
	s_and_saveexec_b32 s0, s5
	s_cbranch_execnz .LBB589_57
.LBB589_40:
	s_or_b32 exec_lo, exec_lo, s0
	s_and_saveexec_b32 s0, s7
	s_cbranch_execnz .LBB589_58
.LBB589_41:
	s_or_b32 exec_lo, exec_lo, s0
	s_and_saveexec_b32 s0, s8
	s_cbranch_execnz .LBB589_59
.LBB589_42:
	s_or_b32 exec_lo, exec_lo, s0
	s_and_saveexec_b32 s0, s9
	s_cbranch_execnz .LBB589_60
.LBB589_43:
	s_or_b32 exec_lo, exec_lo, s0
	s_and_saveexec_b32 s0, s10
	s_cbranch_execnz .LBB589_61
.LBB589_44:
	s_or_b32 exec_lo, exec_lo, s0
	s_and_saveexec_b32 s0, s11
	s_cbranch_execnz .LBB589_62
.LBB589_45:
	s_or_b32 exec_lo, exec_lo, s0
	s_and_saveexec_b32 s0, s12
	s_cbranch_execnz .LBB589_63
.LBB589_46:
	s_or_b32 exec_lo, exec_lo, s0
	s_and_saveexec_b32 s0, s13
	s_cbranch_execnz .LBB589_64
.LBB589_47:
	s_or_b32 exec_lo, exec_lo, s0
	s_and_saveexec_b32 s0, s14
	s_cbranch_execnz .LBB589_65
.LBB589_48:
	s_or_b32 exec_lo, exec_lo, s0
	s_delay_alu instid0(SALU_CYCLE_1)
	s_and_b32 exec_lo, exec_lo, s15
	s_cbranch_execz .LBB589_50
.LBB589_49:
	v_fma_mixlo_f16 v2, -v3, v2, v36
	global_store_b16 v[0:1], v2, off offset:960
.LBB589_50:
	s_nop 0
	s_sendmsg sendmsg(MSG_DEALLOC_VGPRS)
	s_endpgm
.LBB589_51:
	s_delay_alu instid0(VALU_DEP_1)
	v_fma_mixlo_f16 v4, -v3, v10, v9
	global_store_b16 v[0:1], v4, off
	s_or_b32 exec_lo, exec_lo, s6
	s_and_saveexec_b32 s6, s0
	s_cbranch_execz .LBB589_35
.LBB589_52:
	v_fma_mixlo_f16 v4, -v3, v11, v7
	global_store_b16 v[0:1], v4, off offset:64
	s_or_b32 exec_lo, exec_lo, s6
	s_and_saveexec_b32 s0, s1
	s_cbranch_execz .LBB589_36
.LBB589_53:
	v_fma_mixlo_f16 v4, -v3, v14, v13
	global_store_b16 v[0:1], v4, off offset:128
	s_or_b32 exec_lo, exec_lo, s0
	s_and_saveexec_b32 s0, s2
	s_cbranch_execz .LBB589_37
.LBB589_54:
	v_fma_mixlo_f16 v4, -v3, v15, v12
	global_store_b16 v[0:1], v4, off offset:192
	s_or_b32 exec_lo, exec_lo, s0
	s_and_saveexec_b32 s0, s3
	s_cbranch_execz .LBB589_38
.LBB589_55:
	v_fma_mixlo_f16 v4, -v3, v18, v17
	global_store_b16 v[0:1], v4, off offset:256
	s_or_b32 exec_lo, exec_lo, s0
	s_and_saveexec_b32 s0, s4
	s_cbranch_execz .LBB589_39
.LBB589_56:
	v_fma_mixlo_f16 v4, -v3, v19, v16
	global_store_b16 v[0:1], v4, off offset:320
	s_or_b32 exec_lo, exec_lo, s0
	s_and_saveexec_b32 s0, s5
	s_cbranch_execz .LBB589_40
.LBB589_57:
	v_fma_mixlo_f16 v4, -v3, v22, v21
	global_store_b16 v[0:1], v4, off offset:384
	s_or_b32 exec_lo, exec_lo, s0
	s_and_saveexec_b32 s0, s7
	s_cbranch_execz .LBB589_41
.LBB589_58:
	v_fma_mixlo_f16 v4, -v3, v23, v20
	global_store_b16 v[0:1], v4, off offset:448
	s_or_b32 exec_lo, exec_lo, s0
	s_and_saveexec_b32 s0, s8
	s_cbranch_execz .LBB589_42
.LBB589_59:
	v_fma_mixlo_f16 v4, -v3, v26, v25
	global_store_b16 v[0:1], v4, off offset:512
	s_or_b32 exec_lo, exec_lo, s0
	s_and_saveexec_b32 s0, s9
	s_cbranch_execz .LBB589_43
.LBB589_60:
	v_fma_mixlo_f16 v4, -v3, v27, v24
	global_store_b16 v[0:1], v4, off offset:576
	s_or_b32 exec_lo, exec_lo, s0
	s_and_saveexec_b32 s0, s10
	s_cbranch_execz .LBB589_44
.LBB589_61:
	v_fma_mixlo_f16 v4, -v3, v30, v29
	global_store_b16 v[0:1], v4, off offset:640
	s_or_b32 exec_lo, exec_lo, s0
	s_and_saveexec_b32 s0, s11
	s_cbranch_execz .LBB589_45
.LBB589_62:
	v_fma_mixlo_f16 v4, -v3, v31, v28
	global_store_b16 v[0:1], v4, off offset:704
	s_or_b32 exec_lo, exec_lo, s0
	s_and_saveexec_b32 s0, s12
	s_cbranch_execz .LBB589_46
.LBB589_63:
	v_fma_mixlo_f16 v4, -v3, v34, v33
	global_store_b16 v[0:1], v4, off offset:768
	s_or_b32 exec_lo, exec_lo, s0
	s_and_saveexec_b32 s0, s13
	s_cbranch_execz .LBB589_47
.LBB589_64:
	v_fma_mixlo_f16 v4, -v3, v35, v32
	global_store_b16 v[0:1], v4, off offset:832
	s_or_b32 exec_lo, exec_lo, s0
	s_and_saveexec_b32 s0, s14
	s_cbranch_execz .LBB589_48
.LBB589_65:
	v_fma_mixlo_f16 v4, -v3, v38, v37
	global_store_b16 v[0:1], v4, off offset:896
	s_or_b32 exec_lo, exec_lo, s0
	s_delay_alu instid0(SALU_CYCLE_1)
	s_and_b32 exec_lo, exec_lo, s15
	s_cbranch_execnz .LBB589_49
	s_branch .LBB589_50
	.section	.rodata,"a",@progbits
	.p2align	6, 0x0
	.amdhsa_kernel _ZN12_GLOBAL__N_121softmax_warp_backwardIN3c104HalfES2_fLi9ELb0ELb0ELi32EEEvPT0_PKT_S7_iiiPKb
		.amdhsa_group_segment_fixed_size 0
		.amdhsa_private_segment_fixed_size 0
		.amdhsa_kernarg_size 304
		.amdhsa_user_sgpr_count 15
		.amdhsa_user_sgpr_dispatch_ptr 0
		.amdhsa_user_sgpr_queue_ptr 0
		.amdhsa_user_sgpr_kernarg_segment_ptr 1
		.amdhsa_user_sgpr_dispatch_id 0
		.amdhsa_user_sgpr_private_segment_size 0
		.amdhsa_wavefront_size32 1
		.amdhsa_uses_dynamic_stack 0
		.amdhsa_enable_private_segment 0
		.amdhsa_system_sgpr_workgroup_id_x 1
		.amdhsa_system_sgpr_workgroup_id_y 0
		.amdhsa_system_sgpr_workgroup_id_z 0
		.amdhsa_system_sgpr_workgroup_info 0
		.amdhsa_system_vgpr_workitem_id 1
		.amdhsa_next_free_vgpr 39
		.amdhsa_next_free_sgpr 24
		.amdhsa_reserve_vcc 1
		.amdhsa_float_round_mode_32 0
		.amdhsa_float_round_mode_16_64 0
		.amdhsa_float_denorm_mode_32 3
		.amdhsa_float_denorm_mode_16_64 3
		.amdhsa_dx10_clamp 1
		.amdhsa_ieee_mode 1
		.amdhsa_fp16_overflow 0
		.amdhsa_workgroup_processor_mode 1
		.amdhsa_memory_ordered 1
		.amdhsa_forward_progress 0
		.amdhsa_shared_vgpr_count 0
		.amdhsa_exception_fp_ieee_invalid_op 0
		.amdhsa_exception_fp_denorm_src 0
		.amdhsa_exception_fp_ieee_div_zero 0
		.amdhsa_exception_fp_ieee_overflow 0
		.amdhsa_exception_fp_ieee_underflow 0
		.amdhsa_exception_fp_ieee_inexact 0
		.amdhsa_exception_int_div_zero 0
	.end_amdhsa_kernel
	.section	.text._ZN12_GLOBAL__N_121softmax_warp_backwardIN3c104HalfES2_fLi9ELb0ELb0ELi32EEEvPT0_PKT_S7_iiiPKb,"axG",@progbits,_ZN12_GLOBAL__N_121softmax_warp_backwardIN3c104HalfES2_fLi9ELb0ELb0ELi32EEEvPT0_PKT_S7_iiiPKb,comdat
.Lfunc_end589:
	.size	_ZN12_GLOBAL__N_121softmax_warp_backwardIN3c104HalfES2_fLi9ELb0ELb0ELi32EEEvPT0_PKT_S7_iiiPKb, .Lfunc_end589-_ZN12_GLOBAL__N_121softmax_warp_backwardIN3c104HalfES2_fLi9ELb0ELb0ELi32EEEvPT0_PKT_S7_iiiPKb
                                        ; -- End function
	.section	.AMDGPU.csdata,"",@progbits
; Kernel info:
; codeLenInByte = 2424
; NumSgprs: 26
; NumVgprs: 39
; ScratchSize: 0
; MemoryBound: 0
; FloatMode: 240
; IeeeMode: 1
; LDSByteSize: 0 bytes/workgroup (compile time only)
; SGPRBlocks: 3
; VGPRBlocks: 4
; NumSGPRsForWavesPerEU: 26
; NumVGPRsForWavesPerEU: 39
; Occupancy: 16
; WaveLimiterHint : 0
; COMPUTE_PGM_RSRC2:SCRATCH_EN: 0
; COMPUTE_PGM_RSRC2:USER_SGPR: 15
; COMPUTE_PGM_RSRC2:TRAP_HANDLER: 0
; COMPUTE_PGM_RSRC2:TGID_X_EN: 1
; COMPUTE_PGM_RSRC2:TGID_Y_EN: 0
; COMPUTE_PGM_RSRC2:TGID_Z_EN: 0
; COMPUTE_PGM_RSRC2:TIDIG_COMP_CNT: 1
	.section	.text._ZN12_GLOBAL__N_121softmax_warp_backwardIN3c104HalfES2_fLi10ELb0ELb0ELi64EEEvPT0_PKT_S7_iiiPKb,"axG",@progbits,_ZN12_GLOBAL__N_121softmax_warp_backwardIN3c104HalfES2_fLi10ELb0ELb0ELi64EEEvPT0_PKT_S7_iiiPKb,comdat
	.globl	_ZN12_GLOBAL__N_121softmax_warp_backwardIN3c104HalfES2_fLi10ELb0ELb0ELi64EEEvPT0_PKT_S7_iiiPKb ; -- Begin function _ZN12_GLOBAL__N_121softmax_warp_backwardIN3c104HalfES2_fLi10ELb0ELb0ELi64EEEvPT0_PKT_S7_iiiPKb
	.p2align	8
	.type	_ZN12_GLOBAL__N_121softmax_warp_backwardIN3c104HalfES2_fLi10ELb0ELb0ELi64EEEvPT0_PKT_S7_iiiPKb,@function
_ZN12_GLOBAL__N_121softmax_warp_backwardIN3c104HalfES2_fLi10ELb0ELb0ELi64EEEvPT0_PKT_S7_iiiPKb: ; @_ZN12_GLOBAL__N_121softmax_warp_backwardIN3c104HalfES2_fLi10ELb0ELb0ELi64EEEvPT0_PKT_S7_iiiPKb
; %bb.0:
	s_clause 0x1
	s_load_b32 s2, s[0:1], 0x3c
	s_load_b128 s[20:23], s[0:1], 0x18
	v_bfe_u32 v1, v0, 10, 10
	v_dual_mov_b32 v10, 0 :: v_dual_and_b32 v19, 0x3ff, v0
	s_load_b128 s[16:19], s[0:1], 0x0
	s_delay_alu instid0(VALU_DEP_1) | instskip(SKIP_2) | instid1(SALU_CYCLE_1)
	v_dual_mov_b32 v9, 0 :: v_dual_and_b32 v6, 63, v19
	s_waitcnt lgkmcnt(0)
	s_lshr_b32 s2, s2, 16
	v_mad_u64_u32 v[2:3], null, s15, s2, v[1:2]
	s_load_b64 s[2:3], s[0:1], 0x10
	s_delay_alu instid0(VALU_DEP_1) | instskip(SKIP_3) | instid1(VALU_DEP_2)
	v_mad_u64_u32 v[0:1], null, v2, s21, v[6:7]
	v_mov_b32_e32 v7, 0
	v_sub_nc_u32_e32 v8, s20, v2
	v_cmp_gt_i32_e32 vcc_lo, s22, v6
	v_cmp_lt_i32_e64 s6, 0, v8
	v_ashrrev_i32_e32 v1, 31, v0
	s_delay_alu instid0(VALU_DEP_2) | instskip(NEXT) | instid1(VALU_DEP_1)
	s_and_b32 s1, s6, vcc_lo
	v_lshlrev_b64 v[0:1], 1, v[0:1]
	s_delay_alu instid0(VALU_DEP_1) | instskip(NEXT) | instid1(VALU_DEP_1)
	v_add_co_u32 v2, s0, s18, v0
	v_add_co_ci_u32_e64 v3, s0, s19, v1, s0
	s_waitcnt lgkmcnt(0)
	v_add_co_u32 v4, s0, s2, v0
	s_delay_alu instid0(VALU_DEP_1)
	v_add_co_ci_u32_e64 v5, s0, s3, v1, s0
	s_and_saveexec_b32 s0, s1
	s_cbranch_execz .LBB590_2
; %bb.1:
	global_load_u16 v9, v[2:3], off
	global_load_u16 v10, v[4:5], off
	s_waitcnt vmcnt(1)
	v_cvt_f32_f16_e32 v9, v9
	s_waitcnt vmcnt(0)
	v_cvt_f32_f16_e32 v10, v10
.LBB590_2:
	s_or_b32 exec_lo, exec_lo, s0
	v_or_b32_e32 v11, 64, v6
	s_delay_alu instid0(VALU_DEP_1) | instskip(SKIP_1) | instid1(VALU_DEP_2)
	v_cmp_gt_i32_e64 s0, s22, v11
	v_mov_b32_e32 v11, 0
	s_and_b32 s2, s6, s0
	s_delay_alu instid0(SALU_CYCLE_1)
	s_and_saveexec_b32 s1, s2
	s_cbranch_execz .LBB590_4
; %bb.3:
	global_load_u16 v7, v[2:3], off offset:128
	global_load_u16 v11, v[4:5], off offset:128
	s_waitcnt vmcnt(1)
	v_cvt_f32_f16_e32 v7, v7
	s_waitcnt vmcnt(0)
	v_cvt_f32_f16_e32 v11, v11
.LBB590_4:
	s_or_b32 exec_lo, exec_lo, s1
	v_or_b32_e32 v12, 0x80, v6
	v_dual_mov_b32 v14, 0 :: v_dual_mov_b32 v13, 0
	s_delay_alu instid0(VALU_DEP_2) | instskip(SKIP_1) | instid1(VALU_DEP_2)
	v_cmp_gt_i32_e64 s1, s22, v12
	v_mov_b32_e32 v12, 0
	s_and_b32 s3, s6, s1
	s_delay_alu instid0(SALU_CYCLE_1)
	s_and_saveexec_b32 s2, s3
	s_cbranch_execz .LBB590_6
; %bb.5:
	global_load_u16 v13, v[2:3], off offset:256
	global_load_u16 v14, v[4:5], off offset:256
	s_waitcnt vmcnt(1)
	v_cvt_f32_f16_e32 v13, v13
	s_waitcnt vmcnt(0)
	v_cvt_f32_f16_e32 v14, v14
.LBB590_6:
	s_or_b32 exec_lo, exec_lo, s2
	v_or_b32_e32 v15, 0xc0, v6
	s_delay_alu instid0(VALU_DEP_1) | instskip(SKIP_1) | instid1(VALU_DEP_2)
	v_cmp_gt_i32_e64 s2, s22, v15
	v_mov_b32_e32 v15, 0
	s_and_b32 s4, s6, s2
	s_delay_alu instid0(SALU_CYCLE_1)
	s_and_saveexec_b32 s3, s4
	s_cbranch_execz .LBB590_8
; %bb.7:
	global_load_u16 v12, v[2:3], off offset:384
	global_load_u16 v15, v[4:5], off offset:384
	s_waitcnt vmcnt(1)
	v_cvt_f32_f16_e32 v12, v12
	s_waitcnt vmcnt(0)
	v_cvt_f32_f16_e32 v15, v15
.LBB590_8:
	s_or_b32 exec_lo, exec_lo, s3
	v_or_b32_e32 v16, 0x100, v6
	v_dual_mov_b32 v18, 0 :: v_dual_mov_b32 v17, 0
	s_delay_alu instid0(VALU_DEP_2) | instskip(SKIP_1) | instid1(VALU_DEP_2)
	v_cmp_gt_i32_e64 s3, s22, v16
	v_mov_b32_e32 v16, 0
	s_and_b32 s5, s6, s3
	s_delay_alu instid0(SALU_CYCLE_1)
	s_and_saveexec_b32 s4, s5
	s_cbranch_execz .LBB590_10
; %bb.9:
	global_load_u16 v17, v[2:3], off offset:512
	global_load_u16 v18, v[4:5], off offset:512
	s_waitcnt vmcnt(1)
	v_cvt_f32_f16_e32 v17, v17
	s_waitcnt vmcnt(0)
	v_cvt_f32_f16_e32 v18, v18
.LBB590_10:
	;; [unrolled: 35-line block ×7, first 2 shown]
	s_or_b32 exec_lo, exec_lo, s15
	v_or_b32_e32 v19, 0x3c0, v19
	s_delay_alu instid0(VALU_DEP_1) | instskip(SKIP_1) | instid1(VALU_DEP_2)
	v_cmp_gt_i32_e64 s15, s22, v19
	v_mov_b32_e32 v19, 0
	s_and_b32 s18, s6, s15
	s_delay_alu instid0(SALU_CYCLE_1)
	s_and_saveexec_b32 s6, s18
	s_cbranch_execz .LBB590_32
; %bb.31:
	global_load_u16 v2, v[2:3], off offset:1920
	global_load_u16 v3, v[4:5], off offset:1920
	s_waitcnt vmcnt(1)
	v_cvt_f32_f16_e32 v6, v2
	s_waitcnt vmcnt(0)
	v_cvt_f32_f16_e32 v19, v3
.LBB590_32:
	s_or_b32 exec_lo, exec_lo, s6
	v_mbcnt_lo_u32_b32 v3, -1, 0
	v_add_f32_e32 v2, 0, v9
	s_mov_b32 s18, exec_lo
	s_delay_alu instid0(VALU_DEP_2) | instskip(SKIP_1) | instid1(VALU_DEP_2)
	v_or_b32_e32 v4, 32, v3
	v_xor_b32_e32 v5, 16, v3
	v_cmp_gt_i32_e64 s6, 64, v4
	s_delay_alu instid0(VALU_DEP_1) | instskip(NEXT) | instid1(VALU_DEP_3)
	v_cndmask_b32_e64 v4, v3, v4, s6
	v_cmp_gt_i32_e64 s6, 64, v5
	s_delay_alu instid0(VALU_DEP_2) | instskip(NEXT) | instid1(VALU_DEP_2)
	v_lshlrev_b32_e32 v4, 2, v4
	v_cndmask_b32_e64 v5, v3, v5, s6
	s_delay_alu instid0(VALU_DEP_1) | instskip(NEXT) | instid1(VALU_DEP_1)
	v_dual_add_f32 v2, v2, v7 :: v_dual_lshlrev_b32 v5, 2, v5
	v_add_f32_e32 v2, v2, v13
	s_delay_alu instid0(VALU_DEP_1) | instskip(NEXT) | instid1(VALU_DEP_1)
	v_add_f32_e32 v2, v2, v12
	v_add_f32_e32 v2, v2, v17
	s_delay_alu instid0(VALU_DEP_1) | instskip(NEXT) | instid1(VALU_DEP_1)
	v_add_f32_e32 v2, v2, v16
	;; [unrolled: 3-line block ×6, first 2 shown]
	v_add_f32_e32 v2, v2, v37
	s_delay_alu instid0(VALU_DEP_1)
	v_add_f32_e32 v2, v2, v6
	ds_bpermute_b32 v4, v4, v2
	s_waitcnt lgkmcnt(0)
	v_add_f32_e32 v2, v2, v4
	ds_bpermute_b32 v4, v5, v2
	v_xor_b32_e32 v5, 8, v3
	s_delay_alu instid0(VALU_DEP_1) | instskip(NEXT) | instid1(VALU_DEP_1)
	v_cmp_gt_i32_e64 s6, 64, v5
	v_cndmask_b32_e64 v5, v3, v5, s6
	s_waitcnt lgkmcnt(0)
	s_delay_alu instid0(VALU_DEP_1) | instskip(SKIP_2) | instid1(VALU_DEP_1)
	v_dual_add_f32 v2, v2, v4 :: v_dual_lshlrev_b32 v5, 2, v5
	ds_bpermute_b32 v4, v5, v2
	v_xor_b32_e32 v5, 4, v3
	v_cmp_gt_i32_e64 s6, 64, v5
	s_delay_alu instid0(VALU_DEP_1) | instskip(SKIP_1) | instid1(VALU_DEP_1)
	v_cndmask_b32_e64 v5, v3, v5, s6
	s_waitcnt lgkmcnt(0)
	v_dual_add_f32 v2, v2, v4 :: v_dual_lshlrev_b32 v5, 2, v5
	ds_bpermute_b32 v4, v5, v2
	v_xor_b32_e32 v5, 2, v3
	s_delay_alu instid0(VALU_DEP_1) | instskip(NEXT) | instid1(VALU_DEP_1)
	v_cmp_gt_i32_e64 s6, 64, v5
	v_cndmask_b32_e64 v5, v3, v5, s6
	s_waitcnt lgkmcnt(0)
	s_delay_alu instid0(VALU_DEP_1) | instskip(SKIP_2) | instid1(VALU_DEP_1)
	v_dual_add_f32 v2, v2, v4 :: v_dual_lshlrev_b32 v5, 2, v5
	ds_bpermute_b32 v4, v5, v2
	v_xor_b32_e32 v5, 1, v3
	v_cmp_gt_i32_e64 s6, 64, v5
	s_delay_alu instid0(VALU_DEP_1) | instskip(SKIP_1) | instid1(VALU_DEP_1)
	v_cndmask_b32_e64 v3, v3, v5, s6
	s_waitcnt lgkmcnt(0)
	v_dual_add_f32 v2, v2, v4 :: v_dual_lshlrev_b32 v3, 2, v3
	ds_bpermute_b32 v3, v3, v2
	v_cmpx_lt_i32_e32 0, v8
	s_cbranch_execz .LBB590_50
; %bb.33:
	v_add_co_u32 v0, s6, s16, v0
	s_delay_alu instid0(VALU_DEP_1)
	v_add_co_ci_u32_e64 v1, s6, s17, v1, s6
	s_waitcnt lgkmcnt(0)
	v_add_f32_e32 v2, v2, v3
	s_and_saveexec_b32 s6, vcc_lo
	s_cbranch_execnz .LBB590_51
; %bb.34:
	s_or_b32 exec_lo, exec_lo, s6
	s_and_saveexec_b32 s6, s0
	s_cbranch_execnz .LBB590_52
.LBB590_35:
	s_or_b32 exec_lo, exec_lo, s6
	s_and_saveexec_b32 s0, s1
	s_cbranch_execnz .LBB590_53
.LBB590_36:
	s_or_b32 exec_lo, exec_lo, s0
	s_and_saveexec_b32 s0, s2
	s_cbranch_execnz .LBB590_54
.LBB590_37:
	s_or_b32 exec_lo, exec_lo, s0
	s_and_saveexec_b32 s0, s3
	s_cbranch_execnz .LBB590_55
.LBB590_38:
	s_or_b32 exec_lo, exec_lo, s0
	s_and_saveexec_b32 s0, s4
	s_cbranch_execnz .LBB590_56
.LBB590_39:
	s_or_b32 exec_lo, exec_lo, s0
	s_and_saveexec_b32 s0, s5
	s_cbranch_execnz .LBB590_57
.LBB590_40:
	s_or_b32 exec_lo, exec_lo, s0
	s_and_saveexec_b32 s0, s7
	s_cbranch_execnz .LBB590_58
.LBB590_41:
	s_or_b32 exec_lo, exec_lo, s0
	s_and_saveexec_b32 s0, s8
	s_cbranch_execnz .LBB590_59
.LBB590_42:
	s_or_b32 exec_lo, exec_lo, s0
	s_and_saveexec_b32 s0, s9
	s_cbranch_execnz .LBB590_60
.LBB590_43:
	s_or_b32 exec_lo, exec_lo, s0
	s_and_saveexec_b32 s0, s10
	s_cbranch_execnz .LBB590_61
.LBB590_44:
	s_or_b32 exec_lo, exec_lo, s0
	s_and_saveexec_b32 s0, s11
	s_cbranch_execnz .LBB590_62
.LBB590_45:
	s_or_b32 exec_lo, exec_lo, s0
	s_and_saveexec_b32 s0, s12
	s_cbranch_execnz .LBB590_63
.LBB590_46:
	s_or_b32 exec_lo, exec_lo, s0
	s_and_saveexec_b32 s0, s13
	s_cbranch_execnz .LBB590_64
.LBB590_47:
	s_or_b32 exec_lo, exec_lo, s0
	s_and_saveexec_b32 s0, s14
	s_cbranch_execnz .LBB590_65
.LBB590_48:
	s_or_b32 exec_lo, exec_lo, s0
	s_delay_alu instid0(SALU_CYCLE_1)
	s_and_b32 exec_lo, exec_lo, s15
	s_cbranch_execz .LBB590_50
.LBB590_49:
	v_fma_mixlo_f16 v2, -v2, v19, v6
	global_store_b16 v[0:1], v2, off offset:1920
.LBB590_50:
	s_nop 0
	s_sendmsg sendmsg(MSG_DEALLOC_VGPRS)
	s_endpgm
.LBB590_51:
	s_delay_alu instid0(VALU_DEP_1)
	v_fma_mixlo_f16 v3, -v2, v10, v9
	global_store_b16 v[0:1], v3, off
	s_or_b32 exec_lo, exec_lo, s6
	s_and_saveexec_b32 s6, s0
	s_cbranch_execz .LBB590_35
.LBB590_52:
	v_fma_mixlo_f16 v3, -v2, v11, v7
	global_store_b16 v[0:1], v3, off offset:128
	s_or_b32 exec_lo, exec_lo, s6
	s_and_saveexec_b32 s0, s1
	s_cbranch_execz .LBB590_36
.LBB590_53:
	v_fma_mixlo_f16 v3, -v2, v14, v13
	global_store_b16 v[0:1], v3, off offset:256
	s_or_b32 exec_lo, exec_lo, s0
	s_and_saveexec_b32 s0, s2
	s_cbranch_execz .LBB590_37
.LBB590_54:
	v_fma_mixlo_f16 v3, -v2, v15, v12
	global_store_b16 v[0:1], v3, off offset:384
	s_or_b32 exec_lo, exec_lo, s0
	s_and_saveexec_b32 s0, s3
	s_cbranch_execz .LBB590_38
.LBB590_55:
	v_fma_mixlo_f16 v3, -v2, v18, v17
	global_store_b16 v[0:1], v3, off offset:512
	s_or_b32 exec_lo, exec_lo, s0
	s_and_saveexec_b32 s0, s4
	s_cbranch_execz .LBB590_39
.LBB590_56:
	v_fma_mixlo_f16 v3, -v2, v20, v16
	global_store_b16 v[0:1], v3, off offset:640
	s_or_b32 exec_lo, exec_lo, s0
	s_and_saveexec_b32 s0, s5
	s_cbranch_execz .LBB590_40
.LBB590_57:
	v_fma_mixlo_f16 v3, -v2, v23, v22
	global_store_b16 v[0:1], v3, off offset:768
	s_or_b32 exec_lo, exec_lo, s0
	s_and_saveexec_b32 s0, s7
	s_cbranch_execz .LBB590_41
.LBB590_58:
	v_fma_mixlo_f16 v3, -v2, v24, v21
	global_store_b16 v[0:1], v3, off offset:896
	s_or_b32 exec_lo, exec_lo, s0
	s_and_saveexec_b32 s0, s8
	s_cbranch_execz .LBB590_42
.LBB590_59:
	v_fma_mixlo_f16 v3, -v2, v27, v26
	global_store_b16 v[0:1], v3, off offset:1024
	s_or_b32 exec_lo, exec_lo, s0
	s_and_saveexec_b32 s0, s9
	s_cbranch_execz .LBB590_43
.LBB590_60:
	v_fma_mixlo_f16 v3, -v2, v28, v25
	global_store_b16 v[0:1], v3, off offset:1152
	s_or_b32 exec_lo, exec_lo, s0
	s_and_saveexec_b32 s0, s10
	s_cbranch_execz .LBB590_44
.LBB590_61:
	v_fma_mixlo_f16 v3, -v2, v31, v30
	global_store_b16 v[0:1], v3, off offset:1280
	s_or_b32 exec_lo, exec_lo, s0
	s_and_saveexec_b32 s0, s11
	s_cbranch_execz .LBB590_45
.LBB590_62:
	v_fma_mixlo_f16 v3, -v2, v32, v29
	global_store_b16 v[0:1], v3, off offset:1408
	s_or_b32 exec_lo, exec_lo, s0
	s_and_saveexec_b32 s0, s12
	s_cbranch_execz .LBB590_46
.LBB590_63:
	v_fma_mixlo_f16 v3, -v2, v35, v34
	global_store_b16 v[0:1], v3, off offset:1536
	s_or_b32 exec_lo, exec_lo, s0
	s_and_saveexec_b32 s0, s13
	s_cbranch_execz .LBB590_47
.LBB590_64:
	v_fma_mixlo_f16 v3, -v2, v36, v33
	global_store_b16 v[0:1], v3, off offset:1664
	s_or_b32 exec_lo, exec_lo, s0
	s_and_saveexec_b32 s0, s14
	s_cbranch_execz .LBB590_48
.LBB590_65:
	v_fma_mixlo_f16 v3, -v2, v38, v37
	global_store_b16 v[0:1], v3, off offset:1792
	s_or_b32 exec_lo, exec_lo, s0
	s_delay_alu instid0(SALU_CYCLE_1)
	s_and_b32 exec_lo, exec_lo, s15
	s_cbranch_execnz .LBB590_49
	s_branch .LBB590_50
	.section	.rodata,"a",@progbits
	.p2align	6, 0x0
	.amdhsa_kernel _ZN12_GLOBAL__N_121softmax_warp_backwardIN3c104HalfES2_fLi10ELb0ELb0ELi64EEEvPT0_PKT_S7_iiiPKb
		.amdhsa_group_segment_fixed_size 0
		.amdhsa_private_segment_fixed_size 0
		.amdhsa_kernarg_size 304
		.amdhsa_user_sgpr_count 15
		.amdhsa_user_sgpr_dispatch_ptr 0
		.amdhsa_user_sgpr_queue_ptr 0
		.amdhsa_user_sgpr_kernarg_segment_ptr 1
		.amdhsa_user_sgpr_dispatch_id 0
		.amdhsa_user_sgpr_private_segment_size 0
		.amdhsa_wavefront_size32 1
		.amdhsa_uses_dynamic_stack 0
		.amdhsa_enable_private_segment 0
		.amdhsa_system_sgpr_workgroup_id_x 1
		.amdhsa_system_sgpr_workgroup_id_y 0
		.amdhsa_system_sgpr_workgroup_id_z 0
		.amdhsa_system_sgpr_workgroup_info 0
		.amdhsa_system_vgpr_workitem_id 1
		.amdhsa_next_free_vgpr 39
		.amdhsa_next_free_sgpr 24
		.amdhsa_reserve_vcc 1
		.amdhsa_float_round_mode_32 0
		.amdhsa_float_round_mode_16_64 0
		.amdhsa_float_denorm_mode_32 3
		.amdhsa_float_denorm_mode_16_64 3
		.amdhsa_dx10_clamp 1
		.amdhsa_ieee_mode 1
		.amdhsa_fp16_overflow 0
		.amdhsa_workgroup_processor_mode 1
		.amdhsa_memory_ordered 1
		.amdhsa_forward_progress 0
		.amdhsa_shared_vgpr_count 0
		.amdhsa_exception_fp_ieee_invalid_op 0
		.amdhsa_exception_fp_denorm_src 0
		.amdhsa_exception_fp_ieee_div_zero 0
		.amdhsa_exception_fp_ieee_overflow 0
		.amdhsa_exception_fp_ieee_underflow 0
		.amdhsa_exception_fp_ieee_inexact 0
		.amdhsa_exception_int_div_zero 0
	.end_amdhsa_kernel
	.section	.text._ZN12_GLOBAL__N_121softmax_warp_backwardIN3c104HalfES2_fLi10ELb0ELb0ELi64EEEvPT0_PKT_S7_iiiPKb,"axG",@progbits,_ZN12_GLOBAL__N_121softmax_warp_backwardIN3c104HalfES2_fLi10ELb0ELb0ELi64EEEvPT0_PKT_S7_iiiPKb,comdat
.Lfunc_end590:
	.size	_ZN12_GLOBAL__N_121softmax_warp_backwardIN3c104HalfES2_fLi10ELb0ELb0ELi64EEEvPT0_PKT_S7_iiiPKb, .Lfunc_end590-_ZN12_GLOBAL__N_121softmax_warp_backwardIN3c104HalfES2_fLi10ELb0ELb0ELi64EEEvPT0_PKT_S7_iiiPKb
                                        ; -- End function
	.section	.AMDGPU.csdata,"",@progbits
; Kernel info:
; codeLenInByte = 2480
; NumSgprs: 26
; NumVgprs: 39
; ScratchSize: 0
; MemoryBound: 0
; FloatMode: 240
; IeeeMode: 1
; LDSByteSize: 0 bytes/workgroup (compile time only)
; SGPRBlocks: 3
; VGPRBlocks: 4
; NumSGPRsForWavesPerEU: 26
; NumVGPRsForWavesPerEU: 39
; Occupancy: 16
; WaveLimiterHint : 0
; COMPUTE_PGM_RSRC2:SCRATCH_EN: 0
; COMPUTE_PGM_RSRC2:USER_SGPR: 15
; COMPUTE_PGM_RSRC2:TRAP_HANDLER: 0
; COMPUTE_PGM_RSRC2:TGID_X_EN: 1
; COMPUTE_PGM_RSRC2:TGID_Y_EN: 0
; COMPUTE_PGM_RSRC2:TGID_Z_EN: 0
; COMPUTE_PGM_RSRC2:TIDIG_COMP_CNT: 1
	.section	.text._ZN12_GLOBAL__N_121softmax_warp_backwardIN3c104HalfES2_fLi10ELb0ELb0ELi32EEEvPT0_PKT_S7_iiiPKb,"axG",@progbits,_ZN12_GLOBAL__N_121softmax_warp_backwardIN3c104HalfES2_fLi10ELb0ELb0ELi32EEEvPT0_PKT_S7_iiiPKb,comdat
	.globl	_ZN12_GLOBAL__N_121softmax_warp_backwardIN3c104HalfES2_fLi10ELb0ELb0ELi32EEEvPT0_PKT_S7_iiiPKb ; -- Begin function _ZN12_GLOBAL__N_121softmax_warp_backwardIN3c104HalfES2_fLi10ELb0ELb0ELi32EEEvPT0_PKT_S7_iiiPKb
	.p2align	8
	.type	_ZN12_GLOBAL__N_121softmax_warp_backwardIN3c104HalfES2_fLi10ELb0ELb0ELi32EEEvPT0_PKT_S7_iiiPKb,@function
_ZN12_GLOBAL__N_121softmax_warp_backwardIN3c104HalfES2_fLi10ELb0ELb0ELi32EEEvPT0_PKT_S7_iiiPKb: ; @_ZN12_GLOBAL__N_121softmax_warp_backwardIN3c104HalfES2_fLi10ELb0ELb0ELi32EEEvPT0_PKT_S7_iiiPKb
; %bb.0:
	s_clause 0x1
	s_load_b32 s2, s[0:1], 0x3c
	s_load_b128 s[40:43], s[0:1], 0x18
	v_bfe_u32 v1, v0, 10, 10
	v_dual_mov_b32 v10, 0 :: v_dual_and_b32 v21, 0x3ff, v0
	s_load_b128 s[36:39], s[0:1], 0x0
	s_delay_alu instid0(VALU_DEP_1) | instskip(SKIP_2) | instid1(SALU_CYCLE_1)
	v_dual_mov_b32 v9, 0 :: v_dual_and_b32 v6, 31, v21
	s_waitcnt lgkmcnt(0)
	s_lshr_b32 s2, s2, 16
	v_mad_u64_u32 v[2:3], null, s15, s2, v[1:2]
	s_load_b64 s[2:3], s[0:1], 0x10
	s_delay_alu instid0(VALU_DEP_1) | instskip(SKIP_3) | instid1(VALU_DEP_2)
	v_mad_u64_u32 v[0:1], null, v2, s41, v[6:7]
	v_mov_b32_e32 v7, 0
	v_sub_nc_u32_e32 v8, s40, v2
	v_cmp_gt_i32_e32 vcc_lo, s42, v6
	v_cmp_lt_i32_e64 s7, 0, v8
	v_ashrrev_i32_e32 v1, 31, v0
	s_delay_alu instid0(VALU_DEP_2) | instskip(NEXT) | instid1(VALU_DEP_1)
	s_and_b32 s1, s7, vcc_lo
	v_lshlrev_b64 v[0:1], 1, v[0:1]
	s_delay_alu instid0(VALU_DEP_1) | instskip(NEXT) | instid1(VALU_DEP_1)
	v_add_co_u32 v2, s0, s38, v0
	v_add_co_ci_u32_e64 v3, s0, s39, v1, s0
	s_waitcnt lgkmcnt(0)
	v_add_co_u32 v4, s0, s2, v0
	s_delay_alu instid0(VALU_DEP_1)
	v_add_co_ci_u32_e64 v5, s0, s3, v1, s0
	s_and_saveexec_b32 s0, s1
	s_cbranch_execz .LBB591_2
; %bb.1:
	global_load_u16 v9, v[2:3], off
	global_load_u16 v10, v[4:5], off
	s_waitcnt vmcnt(1)
	v_cvt_f32_f16_e32 v9, v9
	s_waitcnt vmcnt(0)
	v_cvt_f32_f16_e32 v10, v10
.LBB591_2:
	s_or_b32 exec_lo, exec_lo, s0
	v_or_b32_e32 v11, 32, v6
	s_delay_alu instid0(VALU_DEP_1) | instskip(SKIP_1) | instid1(VALU_DEP_2)
	v_cmp_gt_i32_e64 s0, s42, v11
	v_mov_b32_e32 v11, 0
	s_and_b32 s2, s7, s0
	s_delay_alu instid0(SALU_CYCLE_1)
	s_and_saveexec_b32 s1, s2
	s_cbranch_execz .LBB591_4
; %bb.3:
	global_load_u16 v7, v[2:3], off offset:64
	global_load_u16 v11, v[4:5], off offset:64
	s_waitcnt vmcnt(1)
	v_cvt_f32_f16_e32 v7, v7
	s_waitcnt vmcnt(0)
	v_cvt_f32_f16_e32 v11, v11
.LBB591_4:
	s_or_b32 exec_lo, exec_lo, s1
	v_or_b32_e32 v12, 64, v6
	v_dual_mov_b32 v14, 0 :: v_dual_mov_b32 v13, 0
	s_delay_alu instid0(VALU_DEP_2) | instskip(SKIP_1) | instid1(VALU_DEP_2)
	v_cmp_gt_i32_e64 s1, s42, v12
	v_mov_b32_e32 v12, 0
	s_and_b32 s3, s7, s1
	s_delay_alu instid0(SALU_CYCLE_1)
	s_and_saveexec_b32 s2, s3
	s_cbranch_execz .LBB591_6
; %bb.5:
	global_load_u16 v13, v[2:3], off offset:128
	global_load_u16 v14, v[4:5], off offset:128
	s_waitcnt vmcnt(1)
	v_cvt_f32_f16_e32 v13, v13
	s_waitcnt vmcnt(0)
	v_cvt_f32_f16_e32 v14, v14
.LBB591_6:
	s_or_b32 exec_lo, exec_lo, s2
	v_or_b32_e32 v15, 0x60, v6
	s_delay_alu instid0(VALU_DEP_1) | instskip(SKIP_1) | instid1(VALU_DEP_2)
	v_cmp_gt_i32_e64 s2, s42, v15
	v_mov_b32_e32 v15, 0
	s_and_b32 s4, s7, s2
	s_delay_alu instid0(SALU_CYCLE_1)
	s_and_saveexec_b32 s3, s4
	s_cbranch_execz .LBB591_8
; %bb.7:
	global_load_u16 v12, v[2:3], off offset:192
	global_load_u16 v15, v[4:5], off offset:192
	s_waitcnt vmcnt(1)
	v_cvt_f32_f16_e32 v12, v12
	s_waitcnt vmcnt(0)
	v_cvt_f32_f16_e32 v15, v15
.LBB591_8:
	s_or_b32 exec_lo, exec_lo, s3
	v_or_b32_e32 v16, 0x80, v6
	v_dual_mov_b32 v18, 0 :: v_dual_mov_b32 v17, 0
	s_delay_alu instid0(VALU_DEP_2) | instskip(SKIP_1) | instid1(VALU_DEP_2)
	v_cmp_gt_i32_e64 s3, s42, v16
	v_mov_b32_e32 v16, 0
	s_and_b32 s5, s7, s3
	s_delay_alu instid0(SALU_CYCLE_1)
	s_and_saveexec_b32 s4, s5
	s_cbranch_execz .LBB591_10
; %bb.9:
	global_load_u16 v17, v[2:3], off offset:256
	global_load_u16 v18, v[4:5], off offset:256
	s_waitcnt vmcnt(1)
	v_cvt_f32_f16_e32 v17, v17
	s_waitcnt vmcnt(0)
	v_cvt_f32_f16_e32 v18, v18
.LBB591_10:
	;; [unrolled: 35-line block ×15, first 2 shown]
	s_or_b32 exec_lo, exec_lo, s31
	v_or_b32_e32 v21, 0x3e0, v21
	s_delay_alu instid0(VALU_DEP_1) | instskip(SKIP_1) | instid1(VALU_DEP_2)
	v_cmp_gt_i32_e64 s31, s42, v21
	v_mov_b32_e32 v21, 0
	s_and_b32 s33, s7, s31
	s_delay_alu instid0(SALU_CYCLE_1)
	s_and_saveexec_b32 s7, s33
	s_cbranch_execz .LBB591_64
; %bb.63:
	global_load_u16 v2, v[2:3], off offset:1984
	global_load_u16 v3, v[4:5], off offset:1984
	s_waitcnt vmcnt(1)
	v_cvt_f32_f16_e32 v6, v2
	s_waitcnt vmcnt(0)
	v_cvt_f32_f16_e32 v21, v3
.LBB591_64:
	s_or_b32 exec_lo, exec_lo, s7
	v_mbcnt_lo_u32_b32 v3, -1, 0
	v_add_f32_e32 v2, 0, v9
	s_mov_b32 s33, exec_lo
	s_delay_alu instid0(VALU_DEP_2) | instskip(SKIP_1) | instid1(VALU_DEP_2)
	v_xor_b32_e32 v4, 16, v3
	v_xor_b32_e32 v5, 8, v3
	v_cmp_gt_i32_e64 s7, 32, v4
	s_delay_alu instid0(VALU_DEP_1) | instskip(NEXT) | instid1(VALU_DEP_3)
	v_cndmask_b32_e64 v4, v3, v4, s7
	v_cmp_gt_i32_e64 s7, 32, v5
	s_delay_alu instid0(VALU_DEP_2) | instskip(NEXT) | instid1(VALU_DEP_2)
	v_lshlrev_b32_e32 v4, 2, v4
	v_cndmask_b32_e64 v5, v3, v5, s7
	s_delay_alu instid0(VALU_DEP_1) | instskip(NEXT) | instid1(VALU_DEP_1)
	v_dual_add_f32 v2, v2, v7 :: v_dual_lshlrev_b32 v5, 2, v5
	v_add_f32_e32 v2, v2, v13
	s_delay_alu instid0(VALU_DEP_1) | instskip(NEXT) | instid1(VALU_DEP_1)
	v_add_f32_e32 v2, v2, v12
	v_add_f32_e32 v2, v2, v17
	s_delay_alu instid0(VALU_DEP_1) | instskip(NEXT) | instid1(VALU_DEP_1)
	v_add_f32_e32 v2, v2, v16
	;; [unrolled: 3-line block ×14, first 2 shown]
	v_add_f32_e32 v2, v2, v69
	s_delay_alu instid0(VALU_DEP_1)
	v_add_f32_e32 v2, v2, v6
	ds_bpermute_b32 v4, v4, v2
	s_waitcnt lgkmcnt(0)
	v_add_f32_e32 v2, v2, v4
	ds_bpermute_b32 v4, v5, v2
	v_xor_b32_e32 v5, 4, v3
	s_delay_alu instid0(VALU_DEP_1) | instskip(NEXT) | instid1(VALU_DEP_1)
	v_cmp_gt_i32_e64 s7, 32, v5
	v_cndmask_b32_e64 v5, v3, v5, s7
	s_waitcnt lgkmcnt(0)
	s_delay_alu instid0(VALU_DEP_1) | instskip(SKIP_2) | instid1(VALU_DEP_1)
	v_dual_add_f32 v2, v2, v4 :: v_dual_lshlrev_b32 v5, 2, v5
	ds_bpermute_b32 v4, v5, v2
	v_xor_b32_e32 v5, 2, v3
	v_cmp_gt_i32_e64 s7, 32, v5
	s_delay_alu instid0(VALU_DEP_1) | instskip(SKIP_1) | instid1(VALU_DEP_1)
	v_cndmask_b32_e64 v5, v3, v5, s7
	s_waitcnt lgkmcnt(0)
	v_dual_add_f32 v2, v2, v4 :: v_dual_lshlrev_b32 v5, 2, v5
	ds_bpermute_b32 v4, v5, v2
	v_xor_b32_e32 v5, 1, v3
	s_delay_alu instid0(VALU_DEP_1) | instskip(NEXT) | instid1(VALU_DEP_1)
	v_cmp_gt_i32_e64 s7, 32, v5
	v_cndmask_b32_e64 v3, v3, v5, s7
	s_waitcnt lgkmcnt(0)
	s_delay_alu instid0(VALU_DEP_1)
	v_dual_add_f32 v2, v2, v4 :: v_dual_lshlrev_b32 v3, 2, v3
	ds_bpermute_b32 v3, v3, v2
	v_cmpx_lt_i32_e32 0, v8
	s_cbranch_execz .LBB591_98
; %bb.65:
	v_add_co_u32 v0, s7, s36, v0
	s_delay_alu instid0(VALU_DEP_1)
	v_add_co_ci_u32_e64 v1, s7, s37, v1, s7
	s_waitcnt lgkmcnt(0)
	v_add_f32_e32 v2, v2, v3
	s_and_saveexec_b32 s7, vcc_lo
	s_cbranch_execnz .LBB591_99
; %bb.66:
	s_or_b32 exec_lo, exec_lo, s7
	s_and_saveexec_b32 s7, s0
	s_cbranch_execnz .LBB591_100
.LBB591_67:
	s_or_b32 exec_lo, exec_lo, s7
	s_and_saveexec_b32 s0, s1
	s_cbranch_execnz .LBB591_101
.LBB591_68:
	s_or_b32 exec_lo, exec_lo, s0
	s_and_saveexec_b32 s0, s2
	s_cbranch_execnz .LBB591_102
.LBB591_69:
	s_or_b32 exec_lo, exec_lo, s0
	s_and_saveexec_b32 s0, s3
	s_cbranch_execnz .LBB591_103
.LBB591_70:
	s_or_b32 exec_lo, exec_lo, s0
	s_and_saveexec_b32 s0, s4
	s_cbranch_execnz .LBB591_104
.LBB591_71:
	s_or_b32 exec_lo, exec_lo, s0
	s_and_saveexec_b32 s0, s5
	s_cbranch_execnz .LBB591_105
.LBB591_72:
	s_or_b32 exec_lo, exec_lo, s0
	s_and_saveexec_b32 s0, s6
	s_cbranch_execnz .LBB591_106
.LBB591_73:
	s_or_b32 exec_lo, exec_lo, s0
	s_and_saveexec_b32 s0, s8
	s_cbranch_execnz .LBB591_107
.LBB591_74:
	s_or_b32 exec_lo, exec_lo, s0
	s_and_saveexec_b32 s0, s9
	s_cbranch_execnz .LBB591_108
.LBB591_75:
	s_or_b32 exec_lo, exec_lo, s0
	s_and_saveexec_b32 s0, s10
	s_cbranch_execnz .LBB591_109
.LBB591_76:
	s_or_b32 exec_lo, exec_lo, s0
	s_and_saveexec_b32 s0, s11
	s_cbranch_execnz .LBB591_110
.LBB591_77:
	s_or_b32 exec_lo, exec_lo, s0
	s_and_saveexec_b32 s0, s12
	s_cbranch_execnz .LBB591_111
.LBB591_78:
	s_or_b32 exec_lo, exec_lo, s0
	s_and_saveexec_b32 s0, s13
	s_cbranch_execnz .LBB591_112
.LBB591_79:
	s_or_b32 exec_lo, exec_lo, s0
	s_and_saveexec_b32 s0, s14
	s_cbranch_execnz .LBB591_113
.LBB591_80:
	s_or_b32 exec_lo, exec_lo, s0
	s_and_saveexec_b32 s0, s15
	s_cbranch_execnz .LBB591_114
.LBB591_81:
	s_or_b32 exec_lo, exec_lo, s0
	s_and_saveexec_b32 s0, s16
	s_cbranch_execnz .LBB591_115
.LBB591_82:
	s_or_b32 exec_lo, exec_lo, s0
	s_and_saveexec_b32 s0, s17
	s_cbranch_execnz .LBB591_116
.LBB591_83:
	s_or_b32 exec_lo, exec_lo, s0
	s_and_saveexec_b32 s0, s18
	s_cbranch_execnz .LBB591_117
.LBB591_84:
	s_or_b32 exec_lo, exec_lo, s0
	s_and_saveexec_b32 s0, s19
	s_cbranch_execnz .LBB591_118
.LBB591_85:
	s_or_b32 exec_lo, exec_lo, s0
	s_and_saveexec_b32 s0, s20
	s_cbranch_execnz .LBB591_119
.LBB591_86:
	s_or_b32 exec_lo, exec_lo, s0
	s_and_saveexec_b32 s0, s21
	s_cbranch_execnz .LBB591_120
.LBB591_87:
	s_or_b32 exec_lo, exec_lo, s0
	s_and_saveexec_b32 s0, s22
	s_cbranch_execnz .LBB591_121
.LBB591_88:
	s_or_b32 exec_lo, exec_lo, s0
	s_and_saveexec_b32 s0, s23
	s_cbranch_execnz .LBB591_122
.LBB591_89:
	s_or_b32 exec_lo, exec_lo, s0
	s_and_saveexec_b32 s0, s24
	s_cbranch_execnz .LBB591_123
.LBB591_90:
	s_or_b32 exec_lo, exec_lo, s0
	s_and_saveexec_b32 s0, s25
	s_cbranch_execnz .LBB591_124
.LBB591_91:
	s_or_b32 exec_lo, exec_lo, s0
	s_and_saveexec_b32 s0, s26
	s_cbranch_execnz .LBB591_125
.LBB591_92:
	s_or_b32 exec_lo, exec_lo, s0
	s_and_saveexec_b32 s0, s27
	s_cbranch_execnz .LBB591_126
.LBB591_93:
	s_or_b32 exec_lo, exec_lo, s0
	s_and_saveexec_b32 s0, s28
	s_cbranch_execnz .LBB591_127
.LBB591_94:
	s_or_b32 exec_lo, exec_lo, s0
	s_and_saveexec_b32 s0, s29
	s_cbranch_execnz .LBB591_128
.LBB591_95:
	s_or_b32 exec_lo, exec_lo, s0
	s_and_saveexec_b32 s0, s30
	s_cbranch_execnz .LBB591_129
.LBB591_96:
	s_or_b32 exec_lo, exec_lo, s0
	s_delay_alu instid0(SALU_CYCLE_1)
	s_and_b32 exec_lo, exec_lo, s31
	s_cbranch_execz .LBB591_98
.LBB591_97:
	v_fma_mixlo_f16 v2, -v2, v21, v6
	global_store_b16 v[0:1], v2, off offset:1984
.LBB591_98:
	s_nop 0
	s_sendmsg sendmsg(MSG_DEALLOC_VGPRS)
	s_endpgm
.LBB591_99:
	s_delay_alu instid0(VALU_DEP_1)
	v_fma_mixlo_f16 v3, -v2, v10, v9
	global_store_b16 v[0:1], v3, off
	s_or_b32 exec_lo, exec_lo, s7
	s_and_saveexec_b32 s7, s0
	s_cbranch_execz .LBB591_67
.LBB591_100:
	v_fma_mixlo_f16 v3, -v2, v11, v7
	global_store_b16 v[0:1], v3, off offset:64
	s_or_b32 exec_lo, exec_lo, s7
	s_and_saveexec_b32 s0, s1
	s_cbranch_execz .LBB591_68
.LBB591_101:
	v_fma_mixlo_f16 v3, -v2, v14, v13
	global_store_b16 v[0:1], v3, off offset:128
	s_or_b32 exec_lo, exec_lo, s0
	s_and_saveexec_b32 s0, s2
	s_cbranch_execz .LBB591_69
.LBB591_102:
	v_fma_mixlo_f16 v3, -v2, v15, v12
	global_store_b16 v[0:1], v3, off offset:192
	s_or_b32 exec_lo, exec_lo, s0
	s_and_saveexec_b32 s0, s3
	s_cbranch_execz .LBB591_70
.LBB591_103:
	v_fma_mixlo_f16 v3, -v2, v18, v17
	global_store_b16 v[0:1], v3, off offset:256
	s_or_b32 exec_lo, exec_lo, s0
	s_and_saveexec_b32 s0, s4
	s_cbranch_execz .LBB591_71
.LBB591_104:
	v_fma_mixlo_f16 v3, -v2, v19, v16
	global_store_b16 v[0:1], v3, off offset:320
	s_or_b32 exec_lo, exec_lo, s0
	s_and_saveexec_b32 s0, s5
	s_cbranch_execz .LBB591_72
.LBB591_105:
	v_fma_mixlo_f16 v3, -v2, v23, v22
	global_store_b16 v[0:1], v3, off offset:384
	s_or_b32 exec_lo, exec_lo, s0
	s_and_saveexec_b32 s0, s6
	s_cbranch_execz .LBB591_73
.LBB591_106:
	v_fma_mixlo_f16 v3, -v2, v24, v20
	global_store_b16 v[0:1], v3, off offset:448
	s_or_b32 exec_lo, exec_lo, s0
	s_and_saveexec_b32 s0, s8
	s_cbranch_execz .LBB591_74
.LBB591_107:
	v_fma_mixlo_f16 v3, -v2, v27, v26
	global_store_b16 v[0:1], v3, off offset:512
	s_or_b32 exec_lo, exec_lo, s0
	s_and_saveexec_b32 s0, s9
	s_cbranch_execz .LBB591_75
.LBB591_108:
	v_fma_mixlo_f16 v3, -v2, v28, v25
	global_store_b16 v[0:1], v3, off offset:576
	s_or_b32 exec_lo, exec_lo, s0
	s_and_saveexec_b32 s0, s10
	s_cbranch_execz .LBB591_76
.LBB591_109:
	v_fma_mixlo_f16 v3, -v2, v31, v30
	global_store_b16 v[0:1], v3, off offset:640
	s_or_b32 exec_lo, exec_lo, s0
	s_and_saveexec_b32 s0, s11
	s_cbranch_execz .LBB591_77
.LBB591_110:
	v_fma_mixlo_f16 v3, -v2, v32, v29
	global_store_b16 v[0:1], v3, off offset:704
	s_or_b32 exec_lo, exec_lo, s0
	s_and_saveexec_b32 s0, s12
	s_cbranch_execz .LBB591_78
.LBB591_111:
	v_fma_mixlo_f16 v3, -v2, v35, v34
	global_store_b16 v[0:1], v3, off offset:768
	s_or_b32 exec_lo, exec_lo, s0
	s_and_saveexec_b32 s0, s13
	s_cbranch_execz .LBB591_79
.LBB591_112:
	v_fma_mixlo_f16 v3, -v2, v36, v33
	global_store_b16 v[0:1], v3, off offset:832
	s_or_b32 exec_lo, exec_lo, s0
	s_and_saveexec_b32 s0, s14
	s_cbranch_execz .LBB591_80
.LBB591_113:
	v_fma_mixlo_f16 v3, -v2, v39, v38
	global_store_b16 v[0:1], v3, off offset:896
	s_or_b32 exec_lo, exec_lo, s0
	s_and_saveexec_b32 s0, s15
	s_cbranch_execz .LBB591_81
.LBB591_114:
	v_fma_mixlo_f16 v3, -v2, v40, v37
	global_store_b16 v[0:1], v3, off offset:960
	s_or_b32 exec_lo, exec_lo, s0
	s_and_saveexec_b32 s0, s16
	s_cbranch_execz .LBB591_82
.LBB591_115:
	v_fma_mixlo_f16 v3, -v2, v43, v42
	global_store_b16 v[0:1], v3, off offset:1024
	s_or_b32 exec_lo, exec_lo, s0
	s_and_saveexec_b32 s0, s17
	s_cbranch_execz .LBB591_83
.LBB591_116:
	v_fma_mixlo_f16 v3, -v2, v44, v41
	global_store_b16 v[0:1], v3, off offset:1088
	s_or_b32 exec_lo, exec_lo, s0
	s_and_saveexec_b32 s0, s18
	s_cbranch_execz .LBB591_84
.LBB591_117:
	v_fma_mixlo_f16 v3, -v2, v47, v46
	global_store_b16 v[0:1], v3, off offset:1152
	s_or_b32 exec_lo, exec_lo, s0
	s_and_saveexec_b32 s0, s19
	s_cbranch_execz .LBB591_85
.LBB591_118:
	v_fma_mixlo_f16 v3, -v2, v48, v45
	global_store_b16 v[0:1], v3, off offset:1216
	s_or_b32 exec_lo, exec_lo, s0
	s_and_saveexec_b32 s0, s20
	s_cbranch_execz .LBB591_86
.LBB591_119:
	v_fma_mixlo_f16 v3, -v2, v51, v50
	global_store_b16 v[0:1], v3, off offset:1280
	s_or_b32 exec_lo, exec_lo, s0
	s_and_saveexec_b32 s0, s21
	s_cbranch_execz .LBB591_87
.LBB591_120:
	v_fma_mixlo_f16 v3, -v2, v52, v49
	global_store_b16 v[0:1], v3, off offset:1344
	s_or_b32 exec_lo, exec_lo, s0
	s_and_saveexec_b32 s0, s22
	s_cbranch_execz .LBB591_88
.LBB591_121:
	v_fma_mixlo_f16 v3, -v2, v55, v54
	global_store_b16 v[0:1], v3, off offset:1408
	s_or_b32 exec_lo, exec_lo, s0
	s_and_saveexec_b32 s0, s23
	s_cbranch_execz .LBB591_89
.LBB591_122:
	v_fma_mixlo_f16 v3, -v2, v56, v53
	global_store_b16 v[0:1], v3, off offset:1472
	s_or_b32 exec_lo, exec_lo, s0
	s_and_saveexec_b32 s0, s24
	s_cbranch_execz .LBB591_90
.LBB591_123:
	v_fma_mixlo_f16 v3, -v2, v59, v58
	global_store_b16 v[0:1], v3, off offset:1536
	s_or_b32 exec_lo, exec_lo, s0
	s_and_saveexec_b32 s0, s25
	s_cbranch_execz .LBB591_91
.LBB591_124:
	v_fma_mixlo_f16 v3, -v2, v60, v57
	global_store_b16 v[0:1], v3, off offset:1600
	s_or_b32 exec_lo, exec_lo, s0
	s_and_saveexec_b32 s0, s26
	s_cbranch_execz .LBB591_92
.LBB591_125:
	v_fma_mixlo_f16 v3, -v2, v63, v62
	global_store_b16 v[0:1], v3, off offset:1664
	s_or_b32 exec_lo, exec_lo, s0
	s_and_saveexec_b32 s0, s27
	s_cbranch_execz .LBB591_93
.LBB591_126:
	v_fma_mixlo_f16 v3, -v2, v64, v61
	global_store_b16 v[0:1], v3, off offset:1728
	s_or_b32 exec_lo, exec_lo, s0
	s_and_saveexec_b32 s0, s28
	s_cbranch_execz .LBB591_94
.LBB591_127:
	v_fma_mixlo_f16 v3, -v2, v67, v66
	global_store_b16 v[0:1], v3, off offset:1792
	s_or_b32 exec_lo, exec_lo, s0
	s_and_saveexec_b32 s0, s29
	s_cbranch_execz .LBB591_95
.LBB591_128:
	v_fma_mixlo_f16 v3, -v2, v68, v65
	global_store_b16 v[0:1], v3, off offset:1856
	s_or_b32 exec_lo, exec_lo, s0
	s_and_saveexec_b32 s0, s30
	s_cbranch_execz .LBB591_96
.LBB591_129:
	v_fma_mixlo_f16 v3, -v2, v70, v69
	global_store_b16 v[0:1], v3, off offset:1920
	s_or_b32 exec_lo, exec_lo, s0
	s_delay_alu instid0(SALU_CYCLE_1)
	s_and_b32 exec_lo, exec_lo, s31
	s_cbranch_execnz .LBB591_97
	s_branch .LBB591_98
	.section	.rodata,"a",@progbits
	.p2align	6, 0x0
	.amdhsa_kernel _ZN12_GLOBAL__N_121softmax_warp_backwardIN3c104HalfES2_fLi10ELb0ELb0ELi32EEEvPT0_PKT_S7_iiiPKb
		.amdhsa_group_segment_fixed_size 0
		.amdhsa_private_segment_fixed_size 0
		.amdhsa_kernarg_size 304
		.amdhsa_user_sgpr_count 15
		.amdhsa_user_sgpr_dispatch_ptr 0
		.amdhsa_user_sgpr_queue_ptr 0
		.amdhsa_user_sgpr_kernarg_segment_ptr 1
		.amdhsa_user_sgpr_dispatch_id 0
		.amdhsa_user_sgpr_private_segment_size 0
		.amdhsa_wavefront_size32 1
		.amdhsa_uses_dynamic_stack 0
		.amdhsa_enable_private_segment 0
		.amdhsa_system_sgpr_workgroup_id_x 1
		.amdhsa_system_sgpr_workgroup_id_y 0
		.amdhsa_system_sgpr_workgroup_id_z 0
		.amdhsa_system_sgpr_workgroup_info 0
		.amdhsa_system_vgpr_workitem_id 1
		.amdhsa_next_free_vgpr 71
		.amdhsa_next_free_sgpr 44
		.amdhsa_reserve_vcc 1
		.amdhsa_float_round_mode_32 0
		.amdhsa_float_round_mode_16_64 0
		.amdhsa_float_denorm_mode_32 3
		.amdhsa_float_denorm_mode_16_64 3
		.amdhsa_dx10_clamp 1
		.amdhsa_ieee_mode 1
		.amdhsa_fp16_overflow 0
		.amdhsa_workgroup_processor_mode 1
		.amdhsa_memory_ordered 1
		.amdhsa_forward_progress 0
		.amdhsa_shared_vgpr_count 0
		.amdhsa_exception_fp_ieee_invalid_op 0
		.amdhsa_exception_fp_denorm_src 0
		.amdhsa_exception_fp_ieee_div_zero 0
		.amdhsa_exception_fp_ieee_overflow 0
		.amdhsa_exception_fp_ieee_underflow 0
		.amdhsa_exception_fp_ieee_inexact 0
		.amdhsa_exception_int_div_zero 0
	.end_amdhsa_kernel
	.section	.text._ZN12_GLOBAL__N_121softmax_warp_backwardIN3c104HalfES2_fLi10ELb0ELb0ELi32EEEvPT0_PKT_S7_iiiPKb,"axG",@progbits,_ZN12_GLOBAL__N_121softmax_warp_backwardIN3c104HalfES2_fLi10ELb0ELb0ELi32EEEvPT0_PKT_S7_iiiPKb,comdat
.Lfunc_end591:
	.size	_ZN12_GLOBAL__N_121softmax_warp_backwardIN3c104HalfES2_fLi10ELb0ELb0ELi32EEEvPT0_PKT_S7_iiiPKb, .Lfunc_end591-_ZN12_GLOBAL__N_121softmax_warp_backwardIN3c104HalfES2_fLi10ELb0ELb0ELi32EEEvPT0_PKT_S7_iiiPKb
                                        ; -- End function
	.section	.AMDGPU.csdata,"",@progbits
; Kernel info:
; codeLenInByte = 4448
; NumSgprs: 46
; NumVgprs: 71
; ScratchSize: 0
; MemoryBound: 0
; FloatMode: 240
; IeeeMode: 1
; LDSByteSize: 0 bytes/workgroup (compile time only)
; SGPRBlocks: 5
; VGPRBlocks: 8
; NumSGPRsForWavesPerEU: 46
; NumVGPRsForWavesPerEU: 71
; Occupancy: 16
; WaveLimiterHint : 0
; COMPUTE_PGM_RSRC2:SCRATCH_EN: 0
; COMPUTE_PGM_RSRC2:USER_SGPR: 15
; COMPUTE_PGM_RSRC2:TRAP_HANDLER: 0
; COMPUTE_PGM_RSRC2:TGID_X_EN: 1
; COMPUTE_PGM_RSRC2:TGID_Y_EN: 0
; COMPUTE_PGM_RSRC2:TGID_Z_EN: 0
; COMPUTE_PGM_RSRC2:TIDIG_COMP_CNT: 1
	.section	.text._ZN2at6native12_GLOBAL__N_124cunn_SoftMaxBackwardSmemILi8EN3c104HalfEfS4_NS1_23SoftMaxBackwardEpilogueEEEvPT0_PKT2_SA_l,"axG",@progbits,_ZN2at6native12_GLOBAL__N_124cunn_SoftMaxBackwardSmemILi8EN3c104HalfEfS4_NS1_23SoftMaxBackwardEpilogueEEEvPT0_PKT2_SA_l,comdat
	.globl	_ZN2at6native12_GLOBAL__N_124cunn_SoftMaxBackwardSmemILi8EN3c104HalfEfS4_NS1_23SoftMaxBackwardEpilogueEEEvPT0_PKT2_SA_l ; -- Begin function _ZN2at6native12_GLOBAL__N_124cunn_SoftMaxBackwardSmemILi8EN3c104HalfEfS4_NS1_23SoftMaxBackwardEpilogueEEEvPT0_PKT2_SA_l
	.p2align	8
	.type	_ZN2at6native12_GLOBAL__N_124cunn_SoftMaxBackwardSmemILi8EN3c104HalfEfS4_NS1_23SoftMaxBackwardEpilogueEEEvPT0_PKT2_SA_l,@function
_ZN2at6native12_GLOBAL__N_124cunn_SoftMaxBackwardSmemILi8EN3c104HalfEfS4_NS1_23SoftMaxBackwardEpilogueEEEvPT0_PKT2_SA_l: ; @_ZN2at6native12_GLOBAL__N_124cunn_SoftMaxBackwardSmemILi8EN3c104HalfEfS4_NS1_23SoftMaxBackwardEpilogueEEEvPT0_PKT2_SA_l
; %bb.0:
	s_load_b256 s[4:11], s[0:1], 0x0
	v_dual_mov_b32 v2, 0 :: v_dual_lshlrev_b32 v1, 3, v0
	v_lshl_add_u32 v5, v0, 4, 0
	s_waitcnt lgkmcnt(0)
	s_delay_alu instid0(VALU_DEP_2)
	v_cmp_gt_i64_e32 vcc_lo, s[10:11], v[1:2]
	s_mul_i32 s2, s15, s11
	s_mul_hi_u32 s3, s15, s10
	s_mul_i32 s12, s15, s10
	s_add_i32 s13, s3, s2
	s_and_saveexec_b32 s3, vcc_lo
	s_cbranch_execz .LBB592_4
; %bb.1:
	s_load_b32 s2, s[0:1], 0x2c
	s_lshl_b64 s[14:15], s[12:13], 1
	v_lshl_add_u32 v6, v0, 4, 0
	s_add_u32 s8, s8, s14
	s_addc_u32 s9, s9, s15
	v_dual_mov_b32 v2, 0 :: v_dual_mov_b32 v3, v0
	s_mov_b32 s15, 0
	s_waitcnt lgkmcnt(0)
	s_and_b32 s14, s2, 0xffff
	s_delay_alu instid0(SALU_CYCLE_1)
	v_add_lshl_u32 v1, v0, s14, 3
	s_lshl_b32 s16, s14, 3
	s_lshl_b32 s17, s14, 4
	s_set_inst_prefetch_distance 0x1
	.p2align	6
.LBB592_2:                              ; =>This Inner Loop Header: Depth=1
	v_ashrrev_i32_e32 v4, 31, v3
	s_delay_alu instid0(VALU_DEP_1) | instskip(SKIP_1) | instid1(VALU_DEP_2)
	v_lshlrev_b64 v[7:8], 4, v[3:4]
	v_add_nc_u32_e32 v3, s14, v3
	v_add_co_u32 v7, s2, s8, v7
	s_delay_alu instid0(VALU_DEP_1)
	v_add_co_ci_u32_e64 v8, s2, s9, v8, s2
	global_load_b128 v[7:10], v[7:8], off
	s_waitcnt vmcnt(0)
	v_cvt_f32_f16_e32 v4, v7
	v_lshrrev_b32_e32 v11, 16, v7
	v_cvt_f32_f16_e32 v12, v8
	ds_store_b128 v6, v[7:10]
	v_add_nc_u32_e32 v6, s17, v6
	v_add_f32_e32 v2, v2, v4
	v_cvt_f32_f16_e32 v4, v11
	v_lshrrev_b32_e32 v11, 16, v8
	s_delay_alu instid0(VALU_DEP_2) | instskip(NEXT) | instid1(VALU_DEP_2)
	v_add_f32_e32 v2, v2, v4
	v_cvt_f32_f16_e32 v4, v11
	v_lshrrev_b32_e32 v11, 16, v9
	s_delay_alu instid0(VALU_DEP_3) | instskip(SKIP_1) | instid1(VALU_DEP_2)
	v_add_f32_e32 v2, v2, v12
	v_cvt_f32_f16_e32 v12, v9
	v_add_f32_e32 v2, v2, v4
	s_delay_alu instid0(VALU_DEP_4) | instskip(SKIP_1) | instid1(VALU_DEP_3)
	v_cvt_f32_f16_e32 v4, v11
	v_lshrrev_b32_e32 v11, 16, v10
	v_add_f32_e32 v2, v2, v12
	v_cvt_f32_f16_e32 v12, v10
	s_delay_alu instid0(VALU_DEP_3) | instskip(NEXT) | instid1(VALU_DEP_3)
	v_cvt_f32_f16_e32 v11, v11
	v_add_f32_e32 v4, v2, v4
	v_ashrrev_i32_e32 v2, 31, v1
	s_delay_alu instid0(VALU_DEP_2) | instskip(NEXT) | instid1(VALU_DEP_2)
	v_add_f32_e32 v4, v4, v12
	v_cmp_le_i64_e64 s2, s[10:11], v[1:2]
	s_delay_alu instid0(VALU_DEP_2) | instskip(NEXT) | instid1(VALU_DEP_2)
	v_dual_add_f32 v2, v4, v11 :: v_dual_add_nc_u32 v1, s16, v1
	s_or_b32 s15, s2, s15
	s_delay_alu instid0(SALU_CYCLE_1)
	s_and_not1_b32 exec_lo, exec_lo, s15
	s_cbranch_execnz .LBB592_2
; %bb.3:
	s_set_inst_prefetch_distance 0x2
	s_or_b32 exec_lo, exec_lo, s15
.LBB592_4:
	s_delay_alu instid0(SALU_CYCLE_1)
	s_or_b32 exec_lo, exec_lo, s3
	v_mbcnt_lo_u32_b32 v6, -1, 0
	s_lshl_b32 s3, s10, 1
	s_mov_b32 s8, exec_lo
	s_add_i32 s3, s3, 0
	s_waitcnt lgkmcnt(0)
	v_cmp_gt_u32_e64 s2, 16, v6
	s_barrier
	buffer_gl0_inv
	v_cndmask_b32_e64 v1, 0, 1, s2
	v_cmp_gt_u32_e64 s2, 24, v6
	s_delay_alu instid0(VALU_DEP_2) | instskip(NEXT) | instid1(VALU_DEP_2)
	v_lshlrev_b32_e32 v1, 4, v1
	v_cndmask_b32_e64 v3, 0, 1, s2
	v_cmp_gt_u32_e64 s2, 28, v6
	s_delay_alu instid0(VALU_DEP_3) | instskip(NEXT) | instid1(VALU_DEP_3)
	v_add_lshl_u32 v1, v1, v6, 2
	v_lshlrev_b32_e32 v3, 3, v3
	ds_bpermute_b32 v4, v1, v2
	v_add_lshl_u32 v3, v3, v6, 2
	s_waitcnt lgkmcnt(0)
	v_add_f32_e32 v4, v2, v4
	v_cndmask_b32_e64 v2, 0, 1, s2
	v_cmp_gt_u32_e64 s2, 30, v6
	ds_bpermute_b32 v7, v3, v4
	s_waitcnt lgkmcnt(0)
	v_dual_add_f32 v7, v4, v7 :: v_dual_lshlrev_b32 v2, 2, v2
	s_delay_alu instid0(VALU_DEP_1) | instskip(SKIP_4) | instid1(VALU_DEP_1)
	v_add_lshl_u32 v2, v2, v6, 2
	v_cndmask_b32_e64 v4, 0, 1, s2
	v_cmp_ne_u32_e64 s2, 31, v6
	ds_bpermute_b32 v8, v2, v7
	v_lshlrev_b32_e32 v4, 1, v4
	v_add_lshl_u32 v4, v4, v6, 2
	v_add_co_ci_u32_e64 v6, s2, 0, v6, s2
	s_waitcnt lgkmcnt(0)
	s_delay_alu instid0(VALU_DEP_1)
	v_dual_add_f32 v7, v7, v8 :: v_dual_lshlrev_b32 v6, 2, v6
	ds_bpermute_b32 v8, v4, v7
	s_waitcnt lgkmcnt(0)
	v_add_f32_e32 v8, v7, v8
	v_and_b32_e32 v7, 31, v0
	ds_bpermute_b32 v9, v6, v8
	v_cmpx_eq_u32_e32 0, v7
	s_cbranch_execz .LBB592_6
; %bb.5:
	v_lshrrev_b32_e32 v10, 3, v0
	s_waitcnt lgkmcnt(0)
	v_add_f32_e32 v8, v8, v9
	s_delay_alu instid0(VALU_DEP_2)
	v_add_nc_u32_e32 v10, s3, v10
	ds_store_b32 v10, v8
.LBB592_6:
	s_or_b32 exec_lo, exec_lo, s8
	s_waitcnt lgkmcnt(0)
	s_barrier
	buffer_gl0_inv
	s_load_b32 s1, s[0:1], 0x2c
	v_mov_b32_e32 v8, 0
	s_mov_b32 s2, exec_lo
	s_waitcnt lgkmcnt(0)
	s_bfe_u32 s0, s1, 0xb0005
	s_delay_alu instid0(SALU_CYCLE_1)
	v_cmpx_gt_u32_e64 s0, v0
	s_cbranch_execz .LBB592_8
; %bb.7:
	v_lshl_add_u32 v7, v7, 2, s3
	ds_load_b32 v8, v7
.LBB592_8:
	s_or_b32 exec_lo, exec_lo, s2
	s_delay_alu instid0(SALU_CYCLE_1)
	s_mov_b32 s2, exec_lo
	v_cmpx_gt_u32_e32 32, v0
	s_cbranch_execz .LBB592_10
; %bb.9:
	s_waitcnt lgkmcnt(0)
	ds_bpermute_b32 v1, v1, v8
	s_waitcnt lgkmcnt(0)
	v_add_f32_e32 v1, v8, v1
	ds_bpermute_b32 v3, v3, v1
	s_waitcnt lgkmcnt(0)
	v_add_f32_e32 v1, v1, v3
	;; [unrolled: 3-line block ×5, first 2 shown]
.LBB592_10:
	s_or_b32 exec_lo, exec_lo, s2
	s_delay_alu instid0(SALU_CYCLE_1)
	s_mov_b32 s2, exec_lo
	v_cmpx_eq_u32_e32 0, v0
	s_cbranch_execz .LBB592_12
; %bb.11:
	v_mov_b32_e32 v1, s3
	s_waitcnt lgkmcnt(0)
	ds_store_b32 v1, v8
.LBB592_12:
	s_or_b32 exec_lo, exec_lo, s2
	s_waitcnt lgkmcnt(0)
	s_barrier
	buffer_gl0_inv
	s_and_saveexec_b32 s0, vcc_lo
	s_cbranch_execz .LBB592_15
; %bb.13:
	v_mov_b32_e32 v1, s3
	s_lshl_b64 s[8:9], s[12:13], 1
	s_and_b32 s1, s1, 0xffff
	s_add_u32 s2, s4, s8
	v_add_lshl_u32 v2, v0, s1, 3
	ds_load_b32 v4, v1
	s_addc_u32 s3, s5, s9
	s_add_u32 s4, s6, s8
	s_addc_u32 s5, s7, s9
	s_lshl_b32 s6, s1, 3
	s_mov_b32 s7, 0
	s_lshl_b32 s8, s1, 4
	s_set_inst_prefetch_distance 0x1
	.p2align	6
.LBB592_14:                             ; =>This Inner Loop Header: Depth=1
	v_ashrrev_i32_e32 v1, 31, v0
	ds_load_b128 v[10:13], v5
	v_ashrrev_i32_e32 v3, 31, v2
	v_add_nc_u32_e32 v5, s8, v5
	v_lshlrev_b64 v[17:18], 4, v[0:1]
	v_add_nc_u32_e32 v0, s1, v0
	s_delay_alu instid0(VALU_DEP_2) | instskip(NEXT) | instid1(VALU_DEP_3)
	v_add_co_u32 v6, vcc_lo, s4, v17
	v_add_co_ci_u32_e32 v7, vcc_lo, s5, v18, vcc_lo
	v_add_co_u32 v19, s0, s2, v17
	v_cmp_le_i64_e32 vcc_lo, s[10:11], v[2:3]
	global_load_b128 v[6:9], v[6:7], off
	v_add_co_ci_u32_e64 v20, s0, s3, v18, s0
	v_add_nc_u32_e32 v2, s6, v2
	s_or_b32 s7, vcc_lo, s7
	s_waitcnt vmcnt(0) lgkmcnt(0)
	v_fma_mixlo_f16 v14, -v4, v6, v10 op_sel_hi:[0,1,1]
	v_fma_mixlo_f16 v17, -v4, v9, v13 op_sel_hi:[0,1,1]
	;; [unrolled: 1-line block ×4, first 2 shown]
	s_delay_alu instid0(VALU_DEP_4) | instskip(NEXT) | instid1(VALU_DEP_4)
	v_fma_mixhi_f16 v14, -v4, v6, v10 op_sel:[0,1,1] op_sel_hi:[0,1,1]
	v_fma_mixhi_f16 v17, -v4, v9, v13 op_sel:[0,1,1] op_sel_hi:[0,1,1]
	s_delay_alu instid0(VALU_DEP_4) | instskip(NEXT) | instid1(VALU_DEP_4)
	v_fma_mixhi_f16 v16, -v4, v8, v12 op_sel:[0,1,1] op_sel_hi:[0,1,1]
	v_fma_mixhi_f16 v15, -v4, v7, v11 op_sel:[0,1,1] op_sel_hi:[0,1,1]
	global_store_b128 v[19:20], v[14:17], off
	s_and_not1_b32 exec_lo, exec_lo, s7
	s_cbranch_execnz .LBB592_14
.LBB592_15:
	s_set_inst_prefetch_distance 0x2
	s_nop 0
	s_sendmsg sendmsg(MSG_DEALLOC_VGPRS)
	s_endpgm
	.section	.rodata,"a",@progbits
	.p2align	6, 0x0
	.amdhsa_kernel _ZN2at6native12_GLOBAL__N_124cunn_SoftMaxBackwardSmemILi8EN3c104HalfEfS4_NS1_23SoftMaxBackwardEpilogueEEEvPT0_PKT2_SA_l
		.amdhsa_group_segment_fixed_size 0
		.amdhsa_private_segment_fixed_size 0
		.amdhsa_kernarg_size 288
		.amdhsa_user_sgpr_count 15
		.amdhsa_user_sgpr_dispatch_ptr 0
		.amdhsa_user_sgpr_queue_ptr 0
		.amdhsa_user_sgpr_kernarg_segment_ptr 1
		.amdhsa_user_sgpr_dispatch_id 0
		.amdhsa_user_sgpr_private_segment_size 0
		.amdhsa_wavefront_size32 1
		.amdhsa_uses_dynamic_stack 0
		.amdhsa_enable_private_segment 0
		.amdhsa_system_sgpr_workgroup_id_x 1
		.amdhsa_system_sgpr_workgroup_id_y 0
		.amdhsa_system_sgpr_workgroup_id_z 0
		.amdhsa_system_sgpr_workgroup_info 0
		.amdhsa_system_vgpr_workitem_id 0
		.amdhsa_next_free_vgpr 21
		.amdhsa_next_free_sgpr 18
		.amdhsa_reserve_vcc 1
		.amdhsa_float_round_mode_32 0
		.amdhsa_float_round_mode_16_64 0
		.amdhsa_float_denorm_mode_32 3
		.amdhsa_float_denorm_mode_16_64 3
		.amdhsa_dx10_clamp 1
		.amdhsa_ieee_mode 1
		.amdhsa_fp16_overflow 0
		.amdhsa_workgroup_processor_mode 1
		.amdhsa_memory_ordered 1
		.amdhsa_forward_progress 0
		.amdhsa_shared_vgpr_count 0
		.amdhsa_exception_fp_ieee_invalid_op 0
		.amdhsa_exception_fp_denorm_src 0
		.amdhsa_exception_fp_ieee_div_zero 0
		.amdhsa_exception_fp_ieee_overflow 0
		.amdhsa_exception_fp_ieee_underflow 0
		.amdhsa_exception_fp_ieee_inexact 0
		.amdhsa_exception_int_div_zero 0
	.end_amdhsa_kernel
	.section	.text._ZN2at6native12_GLOBAL__N_124cunn_SoftMaxBackwardSmemILi8EN3c104HalfEfS4_NS1_23SoftMaxBackwardEpilogueEEEvPT0_PKT2_SA_l,"axG",@progbits,_ZN2at6native12_GLOBAL__N_124cunn_SoftMaxBackwardSmemILi8EN3c104HalfEfS4_NS1_23SoftMaxBackwardEpilogueEEEvPT0_PKT2_SA_l,comdat
.Lfunc_end592:
	.size	_ZN2at6native12_GLOBAL__N_124cunn_SoftMaxBackwardSmemILi8EN3c104HalfEfS4_NS1_23SoftMaxBackwardEpilogueEEEvPT0_PKT2_SA_l, .Lfunc_end592-_ZN2at6native12_GLOBAL__N_124cunn_SoftMaxBackwardSmemILi8EN3c104HalfEfS4_NS1_23SoftMaxBackwardEpilogueEEEvPT0_PKT2_SA_l
                                        ; -- End function
	.section	.AMDGPU.csdata,"",@progbits
; Kernel info:
; codeLenInByte = 1152
; NumSgprs: 20
; NumVgprs: 21
; ScratchSize: 0
; MemoryBound: 0
; FloatMode: 240
; IeeeMode: 1
; LDSByteSize: 0 bytes/workgroup (compile time only)
; SGPRBlocks: 2
; VGPRBlocks: 2
; NumSGPRsForWavesPerEU: 20
; NumVGPRsForWavesPerEU: 21
; Occupancy: 16
; WaveLimiterHint : 0
; COMPUTE_PGM_RSRC2:SCRATCH_EN: 0
; COMPUTE_PGM_RSRC2:USER_SGPR: 15
; COMPUTE_PGM_RSRC2:TRAP_HANDLER: 0
; COMPUTE_PGM_RSRC2:TGID_X_EN: 1
; COMPUTE_PGM_RSRC2:TGID_Y_EN: 0
; COMPUTE_PGM_RSRC2:TGID_Z_EN: 0
; COMPUTE_PGM_RSRC2:TIDIG_COMP_CNT: 0
	.section	.text._ZN2at6native12_GLOBAL__N_120cunn_SoftMaxBackwardILi8EN3c104HalfEfS4_NS1_23SoftMaxBackwardEpilogueEEEvPT0_PKT2_SA_l,"axG",@progbits,_ZN2at6native12_GLOBAL__N_120cunn_SoftMaxBackwardILi8EN3c104HalfEfS4_NS1_23SoftMaxBackwardEpilogueEEEvPT0_PKT2_SA_l,comdat
	.globl	_ZN2at6native12_GLOBAL__N_120cunn_SoftMaxBackwardILi8EN3c104HalfEfS4_NS1_23SoftMaxBackwardEpilogueEEEvPT0_PKT2_SA_l ; -- Begin function _ZN2at6native12_GLOBAL__N_120cunn_SoftMaxBackwardILi8EN3c104HalfEfS4_NS1_23SoftMaxBackwardEpilogueEEEvPT0_PKT2_SA_l
	.p2align	8
	.type	_ZN2at6native12_GLOBAL__N_120cunn_SoftMaxBackwardILi8EN3c104HalfEfS4_NS1_23SoftMaxBackwardEpilogueEEEvPT0_PKT2_SA_l,@function
_ZN2at6native12_GLOBAL__N_120cunn_SoftMaxBackwardILi8EN3c104HalfEfS4_NS1_23SoftMaxBackwardEpilogueEEEvPT0_PKT2_SA_l: ; @_ZN2at6native12_GLOBAL__N_120cunn_SoftMaxBackwardILi8EN3c104HalfEfS4_NS1_23SoftMaxBackwardEpilogueEEEvPT0_PKT2_SA_l
; %bb.0:
	s_load_b256 s[4:11], s[0:1], 0x0
	s_mov_b32 s27, 0
	s_waitcnt lgkmcnt(0)
	s_mul_i32 s3, s15, s11
	s_mul_hi_u32 s12, s15, s10
	s_mul_i32 s2, s15, s10
	s_add_i32 s3, s12, s3
	v_cmp_lt_i64_e64 s14, 0x7ffffffe, s[10:11]
	s_lshl_b64 s[22:23], s[2:3], 1
	s_delay_alu instid0(SALU_CYCLE_1) | instskip(SKIP_2) | instid1(SALU_CYCLE_1)
	s_add_u32 s12, s8, s22
	s_addc_u32 s13, s9, s23
	s_bfe_u32 s26, s12, 0x30001
	s_cmp_lg_u32 s26, 0
	s_cselect_b32 s24, -1, 0
	s_and_b32 vcc_lo, exec_lo, s14
	s_cbranch_vccz .LBB593_16
; %bb.1:
	v_mov_b32_e32 v1, 0
	s_and_b32 vcc_lo, exec_lo, s24
	s_cbranch_vccz .LBB593_39
; %bb.2:
	s_lshl_b32 s2, s26, 1
	s_delay_alu instid0(VALU_DEP_1)
	v_mov_b32_e32 v8, v1
	s_sub_u32 s18, s12, s2
	s_mov_b32 s20, 0
	s_subb_u32 s19, s13, 0
	s_mov_b32 s2, exec_lo
	v_cmpx_le_u64_e64 s[26:27], v[0:1]
	s_cbranch_execz .LBB593_4
; %bb.3:
	v_lshlrev_b32_e32 v2, 1, v0
	global_load_u16 v2, v2, s[18:19]
	s_waitcnt vmcnt(0)
	v_cvt_f32_f16_e32 v2, v2
	s_delay_alu instid0(VALU_DEP_1)
	v_add_f32_e32 v8, 0, v2
.LBB593_4:
	s_or_b32 exec_lo, exec_lo, s2
	s_load_b32 s16, s[0:1], 0x2c
	s_add_u32 s17, s26, s10
	s_addc_u32 s21, 0, s11
	s_add_u32 s2, s0, 32
	s_addc_u32 s3, s1, 0
	s_waitcnt lgkmcnt(0)
	s_and_b32 s25, s16, 0xffff
	s_delay_alu instid0(SALU_CYCLE_1) | instskip(SKIP_2) | instid1(SALU_CYCLE_1)
	s_sub_u32 s16, s17, s25
	s_subb_u32 s17, s21, 0
	s_lshl_b32 s21, s25, 1
	s_add_u32 s18, s18, s21
	s_addc_u32 s19, s19, 0
	s_and_b32 vcc_lo, exec_lo, s20
	s_cbranch_vccz .LBB593_6
.LBB593_5:
	v_mov_b32_e32 v8, 0
	s_add_u32 s2, s0, 32
	s_addc_u32 s3, s1, 0
	s_mov_b64 s[16:17], s[10:11]
	s_mov_b64 s[18:19], s[12:13]
.LBB593_6:
	s_load_b32 s20, s[2:3], 0x0
	v_mov_b32_e32 v2, 0
	s_mov_b32 s21, s17
	s_waitcnt lgkmcnt(0)
	s_cmp_lt_u32 s15, s20
	s_cselect_b32 s20, 12, 18
	s_delay_alu instid0(SALU_CYCLE_1)
	s_add_u32 s2, s2, s20
	s_addc_u32 s3, s3, 0
	s_mov_b32 s20, 0
	global_load_u16 v2, v2, s[2:3]
	s_waitcnt vmcnt(0)
	v_readfirstlane_b32 s2, v2
	v_and_b32_e32 v9, 0xffff, v2
	s_delay_alu instid0(VALU_DEP_2) | instskip(NEXT) | instid1(SALU_CYCLE_1)
	s_and_b32 s2, 0xffff, s2
	s_lshl_b32 s3, s2, 3
	s_cmp_lg_u64 s[20:21], 0
	s_cbranch_scc0 .LBB593_40
; %bb.7:
	v_cvt_f32_u32_e32 v2, s3
	s_sub_u32 s25, 0, s3
	s_subb_u32 s28, 0, 0
	s_delay_alu instid0(VALU_DEP_1) | instskip(NEXT) | instid1(VALU_DEP_1)
	v_fmamk_f32 v2, 0, 0x4f800000, v2
	v_rcp_f32_e32 v2, v2
	s_waitcnt_depctr 0xfff
	v_mul_f32_e32 v2, 0x5f7ffffc, v2
	s_delay_alu instid0(VALU_DEP_1) | instskip(NEXT) | instid1(VALU_DEP_1)
	v_mul_f32_e32 v3, 0x2f800000, v2
	v_trunc_f32_e32 v3, v3
	s_delay_alu instid0(VALU_DEP_1) | instskip(SKIP_1) | instid1(VALU_DEP_2)
	v_fmamk_f32 v2, v3, 0xcf800000, v2
	v_cvt_u32_f32_e32 v3, v3
	v_cvt_u32_f32_e32 v2, v2
	s_delay_alu instid0(VALU_DEP_2) | instskip(NEXT) | instid1(VALU_DEP_2)
	v_readfirstlane_b32 s2, v3
	v_readfirstlane_b32 s21, v2
	s_delay_alu instid0(VALU_DEP_2) | instskip(NEXT) | instid1(VALU_DEP_1)
	s_mul_i32 s29, s25, s2
	s_mul_hi_u32 s31, s25, s21
	s_mul_i32 s30, s28, s21
	s_add_i32 s29, s31, s29
	s_mul_i32 s33, s25, s21
	s_add_i32 s29, s29, s30
	s_mul_hi_u32 s31, s21, s33
	s_mul_hi_u32 s34, s2, s33
	s_mul_i32 s30, s2, s33
	s_mul_hi_u32 s33, s21, s29
	s_mul_i32 s21, s21, s29
	s_mul_hi_u32 s35, s2, s29
	s_add_u32 s21, s31, s21
	s_addc_u32 s31, 0, s33
	s_add_u32 s21, s21, s30
	s_mul_i32 s29, s2, s29
	s_addc_u32 s21, s31, s34
	s_addc_u32 s30, s35, 0
	s_add_u32 s21, s21, s29
	s_addc_u32 s29, 0, s30
	v_add_co_u32 v2, s21, v2, s21
	s_delay_alu instid0(VALU_DEP_1) | instskip(SKIP_1) | instid1(VALU_DEP_1)
	s_cmp_lg_u32 s21, 0
	s_addc_u32 s2, s2, s29
	v_readfirstlane_b32 s21, v2
	s_mul_i32 s29, s25, s2
	s_delay_alu instid0(VALU_DEP_1)
	s_mul_hi_u32 s30, s25, s21
	s_mul_i32 s28, s28, s21
	s_add_i32 s29, s30, s29
	s_mul_i32 s25, s25, s21
	s_add_i32 s29, s29, s28
	s_mul_hi_u32 s30, s2, s25
	s_mul_i32 s31, s2, s25
	s_mul_hi_u32 s25, s21, s25
	s_mul_hi_u32 s33, s21, s29
	s_mul_i32 s21, s21, s29
	s_mul_hi_u32 s28, s2, s29
	s_add_u32 s21, s25, s21
	s_addc_u32 s25, 0, s33
	s_add_u32 s21, s21, s31
	s_mul_i32 s29, s2, s29
	s_addc_u32 s21, s25, s30
	s_addc_u32 s25, s28, 0
	s_add_u32 s21, s21, s29
	s_addc_u32 s25, 0, s25
	v_add_co_u32 v2, s21, v2, s21
	s_delay_alu instid0(VALU_DEP_1) | instskip(SKIP_1) | instid1(VALU_DEP_1)
	s_cmp_lg_u32 s21, 0
	s_addc_u32 s2, s2, s25
	v_readfirstlane_b32 s21, v2
	s_mul_i32 s28, s16, s2
	s_mul_hi_u32 s25, s16, s2
	s_mul_hi_u32 s29, s17, s2
	s_mul_i32 s2, s17, s2
	s_mul_hi_u32 s30, s16, s21
	s_mul_hi_u32 s31, s17, s21
	s_mul_i32 s21, s17, s21
	s_add_u32 s28, s30, s28
	s_addc_u32 s25, 0, s25
	s_add_u32 s21, s28, s21
	s_addc_u32 s21, s25, s31
	s_addc_u32 s25, s29, 0
	s_add_u32 s2, s21, s2
	s_addc_u32 s21, 0, s25
	s_mul_hi_u32 s25, s3, s2
	s_mul_i32 s2, s3, s2
	s_mul_i32 s21, s3, s21
	v_sub_co_u32 v2, s2, s16, s2
	s_add_i32 s25, s25, s21
	s_cmp_lg_u32 s2, 0
	s_delay_alu instid0(VALU_DEP_1) | instskip(SKIP_2) | instid1(VALU_DEP_1)
	v_sub_co_u32 v3, s2, v2, s3
	s_subb_u32 s21, s17, s25
	s_cmp_lg_u32 s2, 0
	v_cmp_le_u32_e32 vcc_lo, s3, v3
	v_sub_co_u32 v4, s2, v3, s3
	s_subb_u32 s25, s21, 0
	s_cmp_lg_u32 s2, 0
	v_cndmask_b32_e64 v5, 0, -1, vcc_lo
	s_subb_u32 s2, s25, 0
	s_cmp_eq_u32 s25, 0
	v_mov_b32_e32 v7, s2
	s_cselect_b32 vcc_lo, -1, 0
	s_cmp_eq_u32 s21, 0
	v_cndmask_b32_e32 v5, -1, v5, vcc_lo
	v_cmp_le_u32_e32 vcc_lo, s3, v2
	s_cselect_b32 s2, -1, 0
	v_cndmask_b32_e64 v6, 0, -1, vcc_lo
	s_delay_alu instid0(VALU_DEP_3) | instskip(NEXT) | instid1(VALU_DEP_2)
	v_cmp_ne_u32_e32 vcc_lo, 0, v5
	v_cndmask_b32_e64 v5, -1, v6, s2
	v_cndmask_b32_e32 v6, s25, v7, vcc_lo
	v_cndmask_b32_e32 v4, v3, v4, vcc_lo
	s_delay_alu instid0(VALU_DEP_3) | instskip(NEXT) | instid1(VALU_DEP_2)
	v_cmp_ne_u32_e32 vcc_lo, 0, v5
	v_cndmask_b32_e32 v2, v2, v4, vcc_lo
	s_delay_alu instid0(VALU_DEP_4)
	v_cndmask_b32_e32 v3, s21, v6, vcc_lo
	s_and_not1_b32 vcc_lo, exec_lo, s20
	s_cbranch_vccnz .LBB593_9
.LBB593_8:
	v_cvt_f32_u32_e32 v2, s3
	s_sub_i32 s2, 0, s3
	s_delay_alu instid0(VALU_DEP_1) | instskip(SKIP_2) | instid1(VALU_DEP_1)
	v_rcp_iflag_f32_e32 v2, v2
	s_waitcnt_depctr 0xfff
	v_mul_f32_e32 v2, 0x4f7ffffe, v2
	v_cvt_u32_f32_e32 v2, v2
	s_delay_alu instid0(VALU_DEP_1) | instskip(NEXT) | instid1(VALU_DEP_1)
	v_mul_lo_u32 v3, s2, v2
	v_mul_hi_u32 v3, v2, v3
	s_delay_alu instid0(VALU_DEP_1) | instskip(NEXT) | instid1(VALU_DEP_1)
	v_add_nc_u32_e32 v2, v2, v3
	v_mul_hi_u32 v2, s16, v2
	s_delay_alu instid0(VALU_DEP_1) | instskip(NEXT) | instid1(VALU_DEP_1)
	v_mul_lo_u32 v2, v2, s3
	v_sub_nc_u32_e32 v2, s16, v2
	s_delay_alu instid0(VALU_DEP_1) | instskip(SKIP_1) | instid1(VALU_DEP_2)
	v_subrev_nc_u32_e32 v3, s3, v2
	v_cmp_le_u32_e32 vcc_lo, s3, v2
	v_cndmask_b32_e32 v2, v2, v3, vcc_lo
	s_delay_alu instid0(VALU_DEP_1) | instskip(SKIP_1) | instid1(VALU_DEP_2)
	v_subrev_nc_u32_e32 v3, s3, v2
	v_cmp_le_u32_e32 vcc_lo, s3, v2
	v_dual_cndmask_b32 v2, v2, v3 :: v_dual_mov_b32 v3, 0
.LBB593_9:
	v_dual_mov_b32 v7, v1 :: v_dual_lshlrev_b32 v4, 4, v0
	s_delay_alu instid0(VALU_DEP_2) | instskip(NEXT) | instid1(VALU_DEP_3)
	v_sub_co_u32 v2, vcc_lo, s16, v2
	v_sub_co_ci_u32_e32 v3, vcc_lo, s17, v3, vcc_lo
	s_delay_alu instid0(VALU_DEP_3) | instskip(NEXT) | instid1(VALU_DEP_1)
	v_add_co_u32 v4, s2, s18, v4
	v_add_co_ci_u32_e64 v5, null, s19, 0, s2
	v_lshlrev_b32_e32 v10, 4, v9
	v_mov_b32_e32 v6, v0
	s_mov_b32 s3, 0
	s_set_inst_prefetch_distance 0x1
	.p2align	6
.LBB593_10:                             ; =>This Inner Loop Header: Depth=1
	global_load_b128 v[11:14], v[4:5], off
	v_add_co_u32 v6, vcc_lo, v6, v9
	v_add_co_ci_u32_e32 v7, vcc_lo, 0, v7, vcc_lo
	v_add_co_u32 v4, s2, v4, v10
	s_delay_alu instid0(VALU_DEP_1) | instskip(SKIP_3) | instid1(VALU_DEP_2)
	v_add_co_ci_u32_e64 v5, s2, 0, v5, s2
	s_waitcnt vmcnt(0)
	v_cvt_f32_f16_e32 v1, v11
	v_lshrrev_b32_e32 v11, 16, v11
	v_add_f32_e32 v1, v8, v1
	s_delay_alu instid0(VALU_DEP_2) | instskip(SKIP_2) | instid1(VALU_DEP_3)
	v_cvt_f32_f16_e32 v8, v11
	v_lshrrev_b32_e32 v11, 16, v12
	v_cvt_f32_f16_e32 v12, v12
	v_add_f32_e32 v1, v1, v8
	s_delay_alu instid0(VALU_DEP_3) | instskip(SKIP_1) | instid1(VALU_DEP_3)
	v_cvt_f32_f16_e32 v8, v11
	v_lshrrev_b32_e32 v11, 16, v13
	v_add_f32_e32 v1, v1, v12
	v_cvt_f32_f16_e32 v12, v13
	v_lshrrev_b32_e32 v13, 16, v14
	v_cvt_f32_f16_e32 v14, v14
	s_delay_alu instid0(VALU_DEP_4) | instskip(SKIP_1) | instid1(VALU_DEP_2)
	v_add_f32_e32 v1, v1, v8
	v_cvt_f32_f16_e32 v8, v11
	v_add_f32_e32 v1, v1, v12
	v_lshlrev_b64 v[11:12], 3, v[6:7]
	s_delay_alu instid0(VALU_DEP_2) | instskip(SKIP_1) | instid1(VALU_DEP_3)
	v_add_f32_e32 v1, v1, v8
	v_cvt_f32_f16_e32 v8, v13
	v_cmp_ge_i64_e32 vcc_lo, v[11:12], v[2:3]
	s_delay_alu instid0(VALU_DEP_3) | instskip(SKIP_1) | instid1(VALU_DEP_1)
	v_add_f32_e32 v1, v1, v14
	s_or_b32 s3, vcc_lo, s3
	v_add_f32_e32 v8, v1, v8
	s_and_not1_b32 exec_lo, exec_lo, s3
	s_cbranch_execnz .LBB593_10
; %bb.11:
	s_set_inst_prefetch_distance 0x2
	s_or_b32 exec_lo, exec_lo, s3
	v_add_co_u32 v1, vcc_lo, v2, v0
	v_add_co_ci_u32_e32 v2, vcc_lo, 0, v3, vcc_lo
	s_mov_b32 s2, exec_lo
	s_delay_alu instid0(VALU_DEP_1)
	v_cmpx_gt_i64_e64 s[16:17], v[1:2]
	s_cbranch_execz .LBB593_15
; %bb.12:
	s_mov_b32 s3, 0
.LBB593_13:                             ; =>This Inner Loop Header: Depth=1
	v_lshlrev_b64 v[3:4], 1, v[1:2]
	s_delay_alu instid0(VALU_DEP_1) | instskip(NEXT) | instid1(VALU_DEP_2)
	v_add_co_u32 v3, vcc_lo, s18, v3
	v_add_co_ci_u32_e32 v4, vcc_lo, s19, v4, vcc_lo
	v_add_co_u32 v1, vcc_lo, v1, v9
	v_add_co_ci_u32_e32 v2, vcc_lo, 0, v2, vcc_lo
	global_load_u16 v3, v[3:4], off
	v_cmp_le_i64_e32 vcc_lo, s[16:17], v[1:2]
	s_or_b32 s3, vcc_lo, s3
	s_waitcnt vmcnt(0)
	v_cvt_f32_f16_e32 v3, v3
	s_delay_alu instid0(VALU_DEP_1)
	v_add_f32_e32 v8, v8, v3
	s_and_not1_b32 exec_lo, exec_lo, s3
	s_cbranch_execnz .LBB593_13
; %bb.14:
	s_or_b32 exec_lo, exec_lo, s3
.LBB593_15:
	s_delay_alu instid0(SALU_CYCLE_1)
	s_or_b32 exec_lo, exec_lo, s2
	s_branch .LBB593_31
.LBB593_16:
                                        ; implicit-def: $vgpr8
	s_cbranch_execz .LBB593_31
; %bb.17:
	s_and_b32 vcc_lo, exec_lo, s24
	s_cbranch_vccz .LBB593_41
; %bb.18:
	s_lshl_b64 s[2:3], s[26:27], 1
	v_cmp_le_u32_e32 vcc_lo, s26, v0
	s_sub_u32 s18, s12, s2
	s_subb_u32 s19, s13, s3
	s_add_i32 s3, s26, s10
	v_mov_b32_e32 v8, 0
	v_cmp_gt_i32_e64 s2, s3, v0
	s_delay_alu instid0(VALU_DEP_1) | instskip(NEXT) | instid1(SALU_CYCLE_1)
	s_and_b32 s16, vcc_lo, s2
	s_and_saveexec_b32 s2, s16
	s_cbranch_execz .LBB593_20
; %bb.19:
	v_lshlrev_b32_e32 v1, 1, v0
	global_load_u16 v1, v1, s[18:19]
	s_waitcnt vmcnt(0)
	v_cvt_f32_f16_e32 v1, v1
	s_delay_alu instid0(VALU_DEP_1)
	v_add_f32_e32 v8, 0, v1
.LBB593_20:
	s_or_b32 exec_lo, exec_lo, s2
	s_load_b32 s2, s[0:1], 0x2c
	s_add_u32 s16, s0, 32
	s_addc_u32 s17, s1, 0
	s_waitcnt lgkmcnt(0)
	s_and_b32 s2, s2, 0xffff
	s_delay_alu instid0(SALU_CYCLE_1) | instskip(SKIP_1) | instid1(SALU_CYCLE_1)
	v_sub_nc_u32_e64 v1, s3, s2 clamp
	s_lshl_b32 s2, s2, 1
	s_add_u32 s2, s18, s2
	s_addc_u32 s3, s19, 0
	s_delay_alu instid0(VALU_DEP_1)
	v_readfirstlane_b32 s20, v1
	s_branch .LBB593_22
.LBB593_21:
	v_mov_b32_e32 v8, 0
	s_add_u32 s16, s0, 32
	s_addc_u32 s17, s1, 0
	s_mov_b32 s20, s10
	s_mov_b64 s[2:3], s[12:13]
.LBB593_22:
	s_load_b32 s18, s[16:17], 0x0
	v_mov_b32_e32 v1, 0
	s_waitcnt lgkmcnt(0)
	s_cmp_lt_u32 s15, s18
	s_cselect_b32 s18, 12, 18
	s_delay_alu instid0(SALU_CYCLE_1) | instskip(SKIP_4) | instid1(VALU_DEP_1)
	s_add_u32 s16, s16, s18
	s_addc_u32 s17, s17, 0
	global_load_u16 v3, v1, s[16:17]
	s_waitcnt vmcnt(0)
	v_readfirstlane_b32 s16, v3
	s_lshl_b32 s16, s16, 3
	s_delay_alu instid0(SALU_CYCLE_1) | instskip(SKIP_1) | instid1(VALU_DEP_1)
	v_cvt_f32_u32_e32 v1, s16
	s_sub_i32 s18, 0, s16
	v_rcp_iflag_f32_e32 v1, v1
	s_waitcnt_depctr 0xfff
	v_mul_f32_e32 v1, 0x4f7ffffe, v1
	s_delay_alu instid0(VALU_DEP_1) | instskip(NEXT) | instid1(VALU_DEP_1)
	v_cvt_u32_f32_e32 v1, v1
	v_readfirstlane_b32 s17, v1
	v_lshlrev_b32_e32 v1, 3, v0
	s_delay_alu instid0(VALU_DEP_2) | instskip(NEXT) | instid1(SALU_CYCLE_1)
	s_mul_i32 s18, s18, s17
	s_mul_hi_u32 s18, s17, s18
	s_delay_alu instid0(SALU_CYCLE_1) | instskip(NEXT) | instid1(SALU_CYCLE_1)
	s_add_i32 s17, s17, s18
	s_mul_hi_u32 s17, s20, s17
	s_delay_alu instid0(SALU_CYCLE_1) | instskip(NEXT) | instid1(SALU_CYCLE_1)
	s_mul_i32 s17, s17, s16
	s_sub_i32 s17, s20, s17
	s_delay_alu instid0(SALU_CYCLE_1) | instskip(SKIP_2) | instid1(SALU_CYCLE_1)
	s_sub_i32 s18, s17, s16
	s_cmp_ge_u32 s17, s16
	s_cselect_b32 s17, s18, s17
	s_sub_i32 s18, s17, s16
	s_cmp_ge_u32 s17, s16
	s_cselect_b32 s16, s18, s17
	s_mov_b32 s18, 0
	s_sub_i32 s16, s20, s16
	s_mov_b32 s17, exec_lo
	v_cmpx_gt_i32_e64 s16, v1
	s_cbranch_execz .LBB593_26
; %bb.23:
	v_mov_b32_e32 v1, v0
	s_set_inst_prefetch_distance 0x1
	.p2align	6
.LBB593_24:                             ; =>This Inner Loop Header: Depth=1
	s_delay_alu instid0(VALU_DEP_1) | instskip(NEXT) | instid1(VALU_DEP_1)
	v_ashrrev_i32_e32 v2, 31, v1
	v_lshlrev_b64 v[4:5], 4, v[1:2]
	v_add_nc_u32_e32 v1, v1, v3
	s_delay_alu instid0(VALU_DEP_2) | instskip(NEXT) | instid1(VALU_DEP_3)
	v_add_co_u32 v4, vcc_lo, s2, v4
	v_add_co_ci_u32_e32 v5, vcc_lo, s3, v5, vcc_lo
	global_load_b128 v[4:7], v[4:5], off
	s_waitcnt vmcnt(0)
	v_cvt_f32_f16_e32 v2, v4
	v_lshrrev_b32_e32 v4, 16, v4
	s_delay_alu instid0(VALU_DEP_2) | instskip(NEXT) | instid1(VALU_DEP_2)
	v_add_f32_e32 v2, v8, v2
	v_cvt_f32_f16_e32 v4, v4
	v_lshrrev_b32_e32 v8, 16, v5
	v_cvt_f32_f16_e32 v5, v5
	s_delay_alu instid0(VALU_DEP_3) | instskip(NEXT) | instid1(VALU_DEP_3)
	v_add_f32_e32 v2, v2, v4
	v_cvt_f32_f16_e32 v4, v8
	s_delay_alu instid0(VALU_DEP_2) | instskip(SKIP_2) | instid1(VALU_DEP_3)
	v_add_f32_e32 v2, v2, v5
	v_lshrrev_b32_e32 v5, 16, v6
	v_cvt_f32_f16_e32 v6, v6
	v_add_f32_e32 v2, v2, v4
	s_delay_alu instid0(VALU_DEP_3) | instskip(SKIP_1) | instid1(VALU_DEP_3)
	v_cvt_f32_f16_e32 v4, v5
	v_lshrrev_b32_e32 v5, 16, v7
	v_add_f32_e32 v2, v2, v6
	v_cvt_f32_f16_e32 v6, v7
	s_delay_alu instid0(VALU_DEP_3) | instskip(NEXT) | instid1(VALU_DEP_3)
	v_cvt_f32_f16_e32 v5, v5
	v_add_f32_e32 v2, v2, v4
	v_lshlrev_b32_e32 v4, 3, v1
	s_delay_alu instid0(VALU_DEP_2) | instskip(NEXT) | instid1(VALU_DEP_2)
	v_add_f32_e32 v2, v2, v6
	v_cmp_le_i32_e32 vcc_lo, s16, v4
	s_delay_alu instid0(VALU_DEP_2) | instskip(SKIP_1) | instid1(SALU_CYCLE_1)
	v_add_f32_e32 v8, v2, v5
	s_or_b32 s18, vcc_lo, s18
	s_and_not1_b32 exec_lo, exec_lo, s18
	s_cbranch_execnz .LBB593_24
; %bb.25:
	s_set_inst_prefetch_distance 0x2
	s_or_b32 exec_lo, exec_lo, s18
.LBB593_26:
	s_delay_alu instid0(SALU_CYCLE_1) | instskip(SKIP_2) | instid1(VALU_DEP_1)
	s_or_b32 exec_lo, exec_lo, s17
	v_add_nc_u32_e32 v1, s16, v0
	s_mov_b32 s16, exec_lo
	v_cmpx_gt_i32_e64 s20, v1
	s_cbranch_execz .LBB593_30
; %bb.27:
	s_mov_b32 s17, 0
.LBB593_28:                             ; =>This Inner Loop Header: Depth=1
	v_ashrrev_i32_e32 v2, 31, v1
	s_delay_alu instid0(VALU_DEP_1) | instskip(NEXT) | instid1(VALU_DEP_1)
	v_lshlrev_b64 v[4:5], 1, v[1:2]
	v_add_co_u32 v4, vcc_lo, s2, v4
	s_delay_alu instid0(VALU_DEP_2) | instskip(SKIP_3) | instid1(VALU_DEP_1)
	v_add_co_ci_u32_e32 v5, vcc_lo, s3, v5, vcc_lo
	global_load_u16 v2, v[4:5], off
	s_waitcnt vmcnt(0)
	v_cvt_f32_f16_e32 v2, v2
	v_dual_add_f32 v8, v8, v2 :: v_dual_add_nc_u32 v1, v1, v3
	s_delay_alu instid0(VALU_DEP_1) | instskip(SKIP_1) | instid1(SALU_CYCLE_1)
	v_cmp_le_i32_e32 vcc_lo, s20, v1
	s_or_b32 s17, vcc_lo, s17
	s_and_not1_b32 exec_lo, exec_lo, s17
	s_cbranch_execnz .LBB593_28
; %bb.29:
	s_or_b32 exec_lo, exec_lo, s17
.LBB593_30:
	s_delay_alu instid0(SALU_CYCLE_1)
	s_or_b32 exec_lo, exec_lo, s16
.LBB593_31:
	v_lshl_add_u32 v1, v0, 2, 0
	s_barrier
	buffer_gl0_inv
	s_add_u32 s2, s0, 32
	ds_store_b32 v1, v8
	s_waitcnt lgkmcnt(0)
	s_barrier
	buffer_gl0_inv
	s_load_b32 s16, s[0:1], 0x2c
	s_addc_u32 s3, s1, 0
	s_waitcnt lgkmcnt(0)
	s_bfe_u32 s0, s16, 0xb0005
	s_delay_alu instid0(SALU_CYCLE_1) | instskip(NEXT) | instid1(SALU_CYCLE_1)
	s_min_u32 s1, s0, 32
	v_cmp_gt_u32_e32 vcc_lo, s1, v0
	s_and_saveexec_b32 s1, vcc_lo
	s_cbranch_execz .LBB593_33
; %bb.32:
	v_mad_u32_u24 v10, 0x7c, v0, v1
	ds_load_2addr_b32 v[2:3], v10 offset1:1
	ds_load_2addr_b32 v[4:5], v10 offset0:2 offset1:3
	ds_load_2addr_b32 v[6:7], v10 offset0:4 offset1:5
	;; [unrolled: 1-line block ×3, first 2 shown]
	s_waitcnt lgkmcnt(3)
	v_add_f32_e32 v2, 0, v2
	s_delay_alu instid0(VALU_DEP_1) | instskip(SKIP_1) | instid1(VALU_DEP_1)
	v_add_f32_e32 v2, v2, v3
	s_waitcnt lgkmcnt(2)
	v_add_f32_e32 v2, v2, v4
	s_delay_alu instid0(VALU_DEP_1) | instskip(SKIP_1) | instid1(VALU_DEP_1)
	v_add_f32_e32 v2, v2, v5
	s_waitcnt lgkmcnt(1)
	v_add_f32_e32 v4, v2, v6
	ds_load_2addr_b32 v[2:3], v10 offset0:8 offset1:9
	v_add_f32_e32 v4, v4, v7
	s_waitcnt lgkmcnt(1)
	s_delay_alu instid0(VALU_DEP_1)
	v_add_f32_e32 v6, v4, v8
	ds_load_2addr_b32 v[4:5], v10 offset0:10 offset1:11
	v_add_f32_e32 v11, v6, v9
	ds_load_2addr_b32 v[6:7], v10 offset0:12 offset1:13
	ds_load_2addr_b32 v[8:9], v10 offset0:14 offset1:15
	s_waitcnt lgkmcnt(3)
	v_add_f32_e32 v2, v11, v2
	s_delay_alu instid0(VALU_DEP_1) | instskip(SKIP_1) | instid1(VALU_DEP_1)
	v_add_f32_e32 v2, v2, v3
	s_waitcnt lgkmcnt(2)
	v_add_f32_e32 v2, v2, v4
	s_delay_alu instid0(VALU_DEP_1) | instskip(SKIP_1) | instid1(VALU_DEP_1)
	v_add_f32_e32 v2, v2, v5
	s_waitcnt lgkmcnt(1)
	v_add_f32_e32 v4, v2, v6
	ds_load_2addr_b32 v[2:3], v10 offset0:16 offset1:17
	v_add_f32_e32 v4, v4, v7
	s_waitcnt lgkmcnt(1)
	s_delay_alu instid0(VALU_DEP_1)
	v_add_f32_e32 v6, v4, v8
	ds_load_2addr_b32 v[4:5], v10 offset0:18 offset1:19
	v_add_f32_e32 v11, v6, v9
	ds_load_2addr_b32 v[6:7], v10 offset0:20 offset1:21
	ds_load_2addr_b32 v[8:9], v10 offset0:22 offset1:23
	;; [unrolled: 19-line block ×3, first 2 shown]
	s_waitcnt lgkmcnt(3)
	v_add_f32_e32 v2, v11, v2
	s_delay_alu instid0(VALU_DEP_1) | instskip(SKIP_1) | instid1(VALU_DEP_1)
	v_add_f32_e32 v2, v2, v3
	s_waitcnt lgkmcnt(2)
	v_add_f32_e32 v2, v2, v4
	s_delay_alu instid0(VALU_DEP_1) | instskip(SKIP_1) | instid1(VALU_DEP_1)
	v_add_f32_e32 v2, v2, v5
	;; [unrolled: 4-line block ×3, first 2 shown]
	s_waitcnt lgkmcnt(0)
	v_add_f32_e32 v2, v2, v8
	s_delay_alu instid0(VALU_DEP_1)
	v_add_f32_e32 v2, v2, v9
	ds_store_b32 v1, v2
.LBB593_33:
	s_or_b32 exec_lo, exec_lo, s1
	s_and_b32 s18, s16, 0xffff
	s_mov_b32 s1, exec_lo
	s_waitcnt lgkmcnt(0)
	s_barrier
	buffer_gl0_inv
	v_cmpx_eq_u32_e32 0, v0
	s_cbranch_execz .LBB593_46
; %bb.34:
	v_mov_b32_e32 v1, 0
	s_cmp_lt_u32 s18, 32
	s_cbranch_scc1 .LBB593_45
; %bb.35:
	v_mov_b32_e32 v1, 0
	s_add_i32 s16, s0, -1
	s_delay_alu instid0(SALU_CYCLE_1)
	s_cmp_lt_u32 s16, 7
	s_cbranch_scc1 .LBB593_42
; %bb.36:
	s_and_b32 s16, s0, 0x7f8
	s_mov_b32 s17, 0
	s_mov_b32 s19, 0
	.p2align	6
.LBB593_37:                             ; =>This Inner Loop Header: Depth=1
	s_delay_alu instid0(SALU_CYCLE_1)
	v_mov_b32_e32 v8, s19
	s_add_i32 s17, s17, 8
	s_add_i32 s19, s19, 32
	s_cmp_eq_u32 s16, s17
	ds_load_2addr_b32 v[2:3], v8 offset1:1
	ds_load_2addr_b32 v[4:5], v8 offset0:2 offset1:3
	ds_load_2addr_b32 v[6:7], v8 offset0:4 offset1:5
	;; [unrolled: 1-line block ×3, first 2 shown]
	s_waitcnt lgkmcnt(3)
	v_add_f32_e32 v1, v1, v2
	s_delay_alu instid0(VALU_DEP_1) | instskip(SKIP_1) | instid1(VALU_DEP_1)
	v_add_f32_e32 v1, v1, v3
	s_waitcnt lgkmcnt(2)
	v_add_f32_e32 v1, v1, v4
	s_delay_alu instid0(VALU_DEP_1) | instskip(SKIP_1) | instid1(VALU_DEP_1)
	v_add_f32_e32 v1, v1, v5
	;; [unrolled: 4-line block ×3, first 2 shown]
	s_waitcnt lgkmcnt(0)
	v_add_f32_e32 v1, v1, v8
	s_delay_alu instid0(VALU_DEP_1)
	v_add_f32_e32 v1, v1, v9
	s_cbranch_scc0 .LBB593_37
; %bb.38:
	s_and_b32 s0, s0, 7
	s_delay_alu instid0(SALU_CYCLE_1)
	s_cmp_eq_u32 s0, 0
	s_cbranch_scc0 .LBB593_43
	s_branch .LBB593_45
.LBB593_39:
                                        ; implicit-def: $sgpr18_sgpr19
                                        ; implicit-def: $sgpr16_sgpr17
                                        ; implicit-def: $vgpr8
                                        ; implicit-def: $sgpr2_sgpr3
	s_cbranch_execnz .LBB593_5
	s_branch .LBB593_6
.LBB593_40:
                                        ; implicit-def: $vgpr2_vgpr3
	s_branch .LBB593_8
.LBB593_41:
                                        ; implicit-def: $sgpr2_sgpr3
                                        ; implicit-def: $sgpr20
                                        ; implicit-def: $vgpr8
                                        ; implicit-def: $sgpr16_sgpr17
	s_cbranch_execnz .LBB593_21
	s_branch .LBB593_22
.LBB593_42:
	s_mov_b32 s16, 0
	s_and_b32 s0, s0, 7
	s_delay_alu instid0(SALU_CYCLE_1)
	s_cmp_eq_u32 s0, 0
	s_cbranch_scc1 .LBB593_45
.LBB593_43:
	s_lshl_b32 s16, s16, 2
	s_delay_alu instid0(SALU_CYCLE_1)
	s_add_i32 s16, s16, 0
.LBB593_44:                             ; =>This Inner Loop Header: Depth=1
	s_delay_alu instid0(SALU_CYCLE_1)
	v_mov_b32_e32 v2, s16
	s_add_i32 s0, s0, -1
	s_add_i32 s16, s16, 4
	s_cmp_lg_u32 s0, 0
	ds_load_b32 v2, v2
	s_waitcnt lgkmcnt(0)
	v_add_f32_e32 v1, v1, v2
	s_cbranch_scc1 .LBB593_44
.LBB593_45:
	v_mov_b32_e32 v2, 0
	ds_store_b32 v2, v1
.LBB593_46:
	s_or_b32 exec_lo, exec_lo, s1
	v_mov_b32_e32 v1, 0
	s_waitcnt lgkmcnt(0)
	s_barrier
	buffer_gl0_inv
	s_add_u32 s16, s4, s22
	ds_load_b32 v8, v1
	s_addc_u32 s17, s5, s23
	s_add_u32 s20, s6, s22
	s_mov_b32 s25, 0
	s_addc_u32 s21, s7, s23
	s_bfe_u32 s24, s16, 0x30001
	s_bfe_u32 s0, s20, 0x30001
	s_mov_b32 s1, s25
	s_delay_alu instid0(SALU_CYCLE_1) | instskip(SKIP_3) | instid1(SALU_CYCLE_1)
	s_cmp_eq_u64 s[24:25], s[0:1]
	s_cselect_b32 s0, -1, 0
	s_cmp_eq_u64 s[24:25], s[26:27]
	s_cselect_b32 s1, -1, 0
	s_and_b32 s0, s0, s1
	s_delay_alu instid0(SALU_CYCLE_1)
	s_and_not1_b32 vcc_lo, exec_lo, s0
	s_mov_b32 s0, -1
	s_cbranch_vccz .LBB593_65
; %bb.47:
	s_and_b32 vcc_lo, exec_lo, s14
	s_cbranch_vccz .LBB593_56
; %bb.48:
	s_lshl_b32 s1, s18, 3
	s_mov_b32 s30, 0
	v_cvt_f32_u32_e32 v1, s1
	s_sub_i32 s19, 0, s1
	s_delay_alu instid0(VALU_DEP_1) | instskip(SKIP_2) | instid1(VALU_DEP_1)
	v_rcp_iflag_f32_e32 v1, v1
	s_waitcnt_depctr 0xfff
	v_mul_f32_e32 v1, 0x4f7ffffe, v1
	v_cvt_u32_f32_e32 v1, v1
	s_delay_alu instid0(VALU_DEP_1) | instskip(SKIP_1) | instid1(VALU_DEP_2)
	v_readfirstlane_b32 s0, v1
	v_mov_b32_e32 v1, 0
	s_mul_i32 s19, s19, s0
	s_delay_alu instid0(VALU_DEP_1) | instskip(SKIP_1) | instid1(SALU_CYCLE_1)
	v_dual_mov_b32 v3, v1 :: v_dual_mov_b32 v2, v0
	s_mul_hi_u32 s19, s0, s19
	s_add_i32 s0, s0, s19
	s_delay_alu instid0(SALU_CYCLE_1) | instskip(NEXT) | instid1(SALU_CYCLE_1)
	s_mul_hi_u32 s0, s10, s0
	s_mul_i32 s0, s0, s1
	s_delay_alu instid0(SALU_CYCLE_1) | instskip(NEXT) | instid1(SALU_CYCLE_1)
	s_sub_i32 s0, s10, s0
	s_sub_i32 s19, s0, s1
	s_cmp_ge_u32 s0, s1
	s_cselect_b32 s0, s19, s0
	s_delay_alu instid0(SALU_CYCLE_1)
	s_sub_i32 s19, s0, s1
	s_cmp_ge_u32 s0, s1
	s_cselect_b32 s0, s19, s0
	s_bfe_i64 s[26:27], s[10:11], 0x200000
	s_mov_b32 s19, exec_lo
	s_sub_u32 s28, s26, s0
	s_subb_u32 s29, s27, 0
	s_delay_alu instid0(SALU_CYCLE_1)
	v_cmpx_gt_i64_e64 s[28:29], v[0:1]
	s_cbranch_execz .LBB593_52
; %bb.49:
	v_lshlrev_b64 v[2:3], 1, v[0:1]
	s_lshl_b32 s31, s18, 1
	s_lshl_b32 s33, s18, 4
	s_delay_alu instid0(VALU_DEP_1) | instskip(NEXT) | instid1(VALU_DEP_2)
	v_add_co_u32 v4, vcc_lo, s22, v2
	v_add_co_ci_u32_e32 v5, vcc_lo, s23, v3, vcc_lo
	v_dual_mov_b32 v3, v1 :: v_dual_mov_b32 v2, v0
.LBB593_50:                             ; =>This Inner Loop Header: Depth=1
	s_delay_alu instid0(VALU_DEP_3) | instskip(NEXT) | instid1(VALU_DEP_3)
	v_add_co_u32 v6, vcc_lo, s6, v4
	v_add_co_ci_u32_e32 v7, vcc_lo, s7, v5, vcc_lo
	v_add_co_u32 v9, vcc_lo, s8, v4
	v_add_co_ci_u32_e32 v10, vcc_lo, s9, v5, vcc_lo
	global_load_u16 v1, v[6:7], off
	global_load_u16 v23, v[9:10], off
	v_add_co_u32 v6, vcc_lo, v6, s31
	v_add_co_ci_u32_e32 v7, vcc_lo, 0, v7, vcc_lo
	v_add_co_u32 v9, vcc_lo, v9, s31
	v_add_co_ci_u32_e32 v10, vcc_lo, 0, v10, vcc_lo
	s_delay_alu instid0(VALU_DEP_4) | instskip(NEXT) | instid1(VALU_DEP_4)
	v_add_co_u32 v11, vcc_lo, v6, s31
	v_add_co_ci_u32_e32 v12, vcc_lo, 0, v7, vcc_lo
	s_delay_alu instid0(VALU_DEP_4) | instskip(NEXT) | instid1(VALU_DEP_4)
	v_add_co_u32 v13, vcc_lo, v9, s31
	v_add_co_ci_u32_e32 v14, vcc_lo, 0, v10, vcc_lo
	global_load_u16 v24, v[6:7], off
	global_load_u16 v25, v[9:10], off
	;; [unrolled: 1-line block ×4, first 2 shown]
	v_add_co_u32 v6, vcc_lo, v11, s31
	v_add_co_ci_u32_e32 v7, vcc_lo, 0, v12, vcc_lo
	v_add_co_u32 v9, vcc_lo, v13, s31
	v_add_co_ci_u32_e32 v10, vcc_lo, 0, v14, vcc_lo
	s_delay_alu instid0(VALU_DEP_4) | instskip(NEXT) | instid1(VALU_DEP_4)
	v_add_co_u32 v11, vcc_lo, v6, s31
	v_add_co_ci_u32_e32 v12, vcc_lo, 0, v7, vcc_lo
	s_delay_alu instid0(VALU_DEP_4) | instskip(NEXT) | instid1(VALU_DEP_4)
	v_add_co_u32 v13, vcc_lo, v9, s31
	v_add_co_ci_u32_e32 v14, vcc_lo, 0, v10, vcc_lo
	global_load_u16 v28, v[6:7], off
	global_load_u16 v29, v[9:10], off
	;; [unrolled: 1-line block ×4, first 2 shown]
	v_add_co_u32 v6, vcc_lo, v11, s31
	v_add_co_ci_u32_e32 v7, vcc_lo, 0, v12, vcc_lo
	v_add_co_u32 v9, vcc_lo, v13, s31
	v_add_co_ci_u32_e32 v10, vcc_lo, 0, v14, vcc_lo
	global_load_u16 v32, v[6:7], off
	v_add_co_u32 v6, vcc_lo, v6, s31
	v_add_co_ci_u32_e32 v7, vcc_lo, 0, v7, vcc_lo
	v_add_co_u32 v11, vcc_lo, v9, s31
	v_add_co_ci_u32_e32 v12, vcc_lo, 0, v10, vcc_lo
	s_delay_alu instid0(VALU_DEP_4) | instskip(NEXT) | instid1(VALU_DEP_4)
	v_add_co_u32 v13, vcc_lo, v6, s31
	v_add_co_ci_u32_e32 v14, vcc_lo, 0, v7, vcc_lo
	s_delay_alu instid0(VALU_DEP_4) | instskip(NEXT) | instid1(VALU_DEP_4)
	v_add_co_u32 v15, vcc_lo, v11, s31
	v_add_co_ci_u32_e32 v16, vcc_lo, 0, v12, vcc_lo
	global_load_u16 v33, v[9:10], off
	global_load_u16 v34, v[6:7], off
	;; [unrolled: 1-line block ×5, first 2 shown]
	v_add_co_u32 v6, vcc_lo, s4, v4
	v_add_co_ci_u32_e32 v7, vcc_lo, s5, v5, vcc_lo
	v_add_co_u32 v2, vcc_lo, v2, s1
	v_add_co_ci_u32_e32 v3, vcc_lo, 0, v3, vcc_lo
	;; [unrolled: 2-line block ×4, first 2 shown]
	v_cmp_le_i64_e32 vcc_lo, s[28:29], v[2:3]
	s_delay_alu instid0(VALU_DEP_3) | instskip(NEXT) | instid1(VALU_DEP_1)
	v_add_co_u32 v11, s0, v9, s31
	v_add_co_ci_u32_e64 v12, s0, 0, v10, s0
	s_or_b32 s30, vcc_lo, s30
	s_delay_alu instid0(VALU_DEP_2) | instskip(NEXT) | instid1(VALU_DEP_2)
	v_add_co_u32 v13, vcc_lo, v11, s31
	v_add_co_ci_u32_e32 v14, vcc_lo, 0, v12, vcc_lo
	s_delay_alu instid0(VALU_DEP_2) | instskip(NEXT) | instid1(VALU_DEP_2)
	v_add_co_u32 v15, vcc_lo, v13, s31
	v_add_co_ci_u32_e32 v16, vcc_lo, 0, v14, vcc_lo
	;; [unrolled: 3-line block ×5, first 2 shown]
	s_waitcnt vmcnt(14) lgkmcnt(0)
	v_fma_mixlo_f16 v1, -v8, v1, v23 op_sel_hi:[0,1,1]
	global_store_b16 v[6:7], v1, off
	s_waitcnt vmcnt(12)
	v_fma_mixlo_f16 v1, -v8, v24, v25 op_sel_hi:[0,1,1]
	s_waitcnt vmcnt(10)
	v_fma_mixlo_f16 v6, -v8, v26, v27 op_sel_hi:[0,1,1]
	s_clause 0x1
	global_store_b16 v[9:10], v1, off
	global_store_b16 v[11:12], v6, off
	s_waitcnt vmcnt(8)
	v_fma_mixlo_f16 v1, -v8, v28, v29 op_sel_hi:[0,1,1]
	s_waitcnt vmcnt(6)
	v_fma_mixlo_f16 v6, -v8, v30, v31 op_sel_hi:[0,1,1]
	s_waitcnt vmcnt(4)
	v_fma_mixlo_f16 v7, -v8, v32, v33 op_sel_hi:[0,1,1]
	s_waitcnt vmcnt(2)
	v_fma_mixlo_f16 v9, -v8, v34, v35 op_sel_hi:[0,1,1]
	s_waitcnt vmcnt(0)
	v_fma_mixlo_f16 v10, -v8, v36, v37 op_sel_hi:[0,1,1]
	s_clause 0x2
	global_store_b16 v[13:14], v1, off
	global_store_b16 v[15:16], v6, off
	;; [unrolled: 1-line block ×5, first 2 shown]
	s_and_not1_b32 exec_lo, exec_lo, s30
	s_cbranch_execnz .LBB593_50
; %bb.51:
	s_or_b32 exec_lo, exec_lo, s30
.LBB593_52:
	s_delay_alu instid0(SALU_CYCLE_1) | instskip(NEXT) | instid1(SALU_CYCLE_1)
	s_or_b32 exec_lo, exec_lo, s19
	s_mov_b32 s1, exec_lo
	v_cmpx_gt_i64_e64 s[26:27], v[2:3]
	s_cbranch_execz .LBB593_55
; %bb.53:
	v_lshlrev_b64 v[4:5], 1, v[2:3]
	s_mov_b32 s19, 0
	s_delay_alu instid0(VALU_DEP_1) | instskip(NEXT) | instid1(VALU_DEP_2)
	v_add_co_u32 v1, vcc_lo, s22, v4
	v_add_co_ci_u32_e32 v4, vcc_lo, s23, v5, vcc_lo
	s_lshl_b32 s22, s18, 1
	.p2align	6
.LBB593_54:                             ; =>This Inner Loop Header: Depth=1
	s_delay_alu instid0(VALU_DEP_2) | instskip(NEXT) | instid1(VALU_DEP_2)
	v_add_co_u32 v5, vcc_lo, s8, v1
	v_add_co_ci_u32_e32 v6, vcc_lo, s9, v4, vcc_lo
	v_add_co_u32 v9, vcc_lo, s6, v1
	v_add_co_ci_u32_e32 v10, vcc_lo, s7, v4, vcc_lo
	v_add_co_u32 v2, vcc_lo, v2, s18
	global_load_u16 v7, v[5:6], off
	global_load_u16 v9, v[9:10], off
	v_add_co_ci_u32_e32 v3, vcc_lo, 0, v3, vcc_lo
	v_add_co_u32 v5, vcc_lo, s4, v1
	v_add_co_ci_u32_e32 v6, vcc_lo, s5, v4, vcc_lo
	s_delay_alu instid0(VALU_DEP_3) | instskip(SKIP_1) | instid1(VALU_DEP_1)
	v_cmp_le_i64_e32 vcc_lo, s[26:27], v[2:3]
	v_add_co_u32 v1, s0, v1, s22
	v_add_co_ci_u32_e64 v4, s0, 0, v4, s0
	s_or_b32 s19, vcc_lo, s19
	s_waitcnt vmcnt(0) lgkmcnt(0)
	v_fma_mixlo_f16 v7, -v8, v9, v7 op_sel_hi:[0,1,1]
	global_store_b16 v[5:6], v7, off
	s_and_not1_b32 exec_lo, exec_lo, s19
	s_cbranch_execnz .LBB593_54
.LBB593_55:
	s_or_b32 exec_lo, exec_lo, s1
	s_mov_b32 s0, 0
.LBB593_56:
	s_delay_alu instid0(SALU_CYCLE_1)
	s_and_b32 vcc_lo, exec_lo, s0
	s_cbranch_vccz .LBB593_92
; %bb.57:
	s_lshl_b32 s0, s18, 3
	s_mov_b32 s5, 0
	v_cvt_f32_u32_e32 v1, s0
	s_sub_i32 s4, 0, s0
	s_delay_alu instid0(VALU_DEP_1) | instskip(SKIP_2) | instid1(VALU_DEP_1)
	v_rcp_iflag_f32_e32 v1, v1
	s_waitcnt_depctr 0xfff
	v_mul_f32_e32 v1, 0x4f7ffffe, v1
	v_cvt_u32_f32_e32 v1, v1
	s_delay_alu instid0(VALU_DEP_1) | instskip(SKIP_1) | instid1(VALU_DEP_2)
	v_readfirstlane_b32 s1, v1
	v_mov_b32_e32 v1, v0
	s_mul_i32 s4, s4, s1
	s_delay_alu instid0(SALU_CYCLE_1) | instskip(NEXT) | instid1(SALU_CYCLE_1)
	s_mul_hi_u32 s4, s1, s4
	s_add_i32 s1, s1, s4
	s_delay_alu instid0(SALU_CYCLE_1) | instskip(NEXT) | instid1(SALU_CYCLE_1)
	s_mul_hi_u32 s1, s10, s1
	s_mul_i32 s1, s1, s0
	s_delay_alu instid0(SALU_CYCLE_1) | instskip(NEXT) | instid1(SALU_CYCLE_1)
	s_sub_i32 s1, s10, s1
	s_sub_i32 s4, s1, s0
	s_cmp_ge_u32 s1, s0
	s_cselect_b32 s1, s4, s1
	s_delay_alu instid0(SALU_CYCLE_1) | instskip(SKIP_4) | instid1(SALU_CYCLE_1)
	s_sub_i32 s4, s1, s0
	s_cmp_ge_u32 s1, s0
	s_cselect_b32 s0, s4, s1
	s_mov_b32 s1, exec_lo
	s_sub_i32 s4, s10, s0
	v_cmpx_gt_i32_e64 s4, v0
	s_cbranch_execz .LBB593_61
; %bb.58:
	s_add_i32 s22, s18, s18
	v_dual_mov_b32 v2, 0 :: v_dual_mov_b32 v1, v0
	s_add_i32 s0, s22, s18
	s_lshl_b32 s6, s18, 1
	s_mul_i32 s7, s18, 3
	s_lshl_b32 s8, s18, 2
	s_mul_i32 s9, s18, 5
	s_mul_i32 s19, s18, 6
	;; [unrolled: 1-line block ×3, first 2 shown]
	s_add_i32 s26, s22, s0
.LBB593_59:                             ; =>This Inner Loop Header: Depth=1
	v_lshlrev_b64 v[3:4], 1, v[1:2]
	v_dual_mov_b32 v6, v2 :: v_dual_add_nc_u32 v5, s18, v1
	v_dual_mov_b32 v10, v2 :: v_dual_add_nc_u32 v9, s6, v1
	;; [unrolled: 1-line block ×3, first 2 shown]
	s_delay_alu instid0(VALU_DEP_4)
	v_add_co_u32 v21, vcc_lo, s20, v3
	v_add_co_ci_u32_e32 v22, vcc_lo, s21, v4, vcc_lo
	v_lshlrev_b64 v[6:7], 1, v[5:6]
	v_add_co_u32 v23, vcc_lo, s12, v3
	v_add_co_ci_u32_e32 v24, vcc_lo, s13, v4, vcc_lo
	v_lshlrev_b64 v[9:10], 1, v[9:10]
	global_load_u16 v49, v[21:22], off
	global_load_u16 v50, v[23:24], off
	v_add_co_u32 v21, vcc_lo, s20, v6
	v_add_co_ci_u32_e32 v22, vcc_lo, s21, v7, vcc_lo
	v_add_co_u32 v23, vcc_lo, s12, v6
	v_add_co_ci_u32_e32 v24, vcc_lo, s13, v7, vcc_lo
	v_lshlrev_b64 v[11:12], 1, v[11:12]
	v_add_co_u32 v25, vcc_lo, s20, v9
	v_dual_mov_b32 v14, v2 :: v_dual_add_nc_u32 v13, s8, v1
	v_add_co_ci_u32_e32 v26, vcc_lo, s21, v10, vcc_lo
	v_add_co_u32 v27, vcc_lo, s12, v9
	v_add_co_ci_u32_e32 v28, vcc_lo, s13, v10, vcc_lo
	s_delay_alu instid0(VALU_DEP_4)
	v_lshlrev_b64 v[13:14], 1, v[13:14]
	v_add_co_u32 v29, vcc_lo, s20, v11
	v_dual_mov_b32 v16, v2 :: v_dual_add_nc_u32 v15, s9, v1
	v_add_co_ci_u32_e32 v30, vcc_lo, s21, v12, vcc_lo
	v_add_co_u32 v31, vcc_lo, s12, v11
	v_add_co_ci_u32_e32 v32, vcc_lo, s13, v12, vcc_lo
	s_delay_alu instid0(VALU_DEP_4)
	;; [unrolled: 7-line block ×3, first 2 shown]
	v_lshlrev_b64 v[17:18], 1, v[17:18]
	v_add_co_u32 v37, vcc_lo, s20, v15
	v_add_nc_u32_e32 v1, s23, v1
	v_add_co_ci_u32_e32 v38, vcc_lo, s21, v16, vcc_lo
	v_add_co_u32 v39, vcc_lo, s12, v15
	v_add_co_ci_u32_e32 v40, vcc_lo, s13, v16, vcc_lo
	s_delay_alu instid0(VALU_DEP_4)
	v_lshlrev_b64 v[19:20], 1, v[1:2]
	v_add_co_u32 v41, vcc_lo, s20, v17
	v_add_co_ci_u32_e32 v42, vcc_lo, s21, v18, vcc_lo
	v_add_co_u32 v43, vcc_lo, s12, v17
	v_add_co_ci_u32_e32 v44, vcc_lo, s13, v18, vcc_lo
	;; [unrolled: 2-line block ×4, first 2 shown]
	global_load_u16 v21, v[21:22], off
	global_load_u16 v22, v[23:24], off
	;; [unrolled: 1-line block ×14, first 2 shown]
	v_add3_u32 v1, s22, s26, v5
	v_add_co_u32 v5, s0, s16, v6
	s_delay_alu instid0(VALU_DEP_1) | instskip(SKIP_1) | instid1(VALU_DEP_1)
	v_add_co_ci_u32_e64 v6, s0, s17, v7, s0
	v_add_co_u32 v9, s0, s16, v9
	v_add_co_ci_u32_e64 v10, s0, s17, v10, s0
	v_add_co_u32 v11, s0, s16, v11
	v_add_co_u32 v3, vcc_lo, s16, v3
	v_add_co_ci_u32_e64 v12, s0, s17, v12, s0
	v_add_co_u32 v13, s0, s16, v13
	v_add_co_ci_u32_e32 v4, vcc_lo, s17, v4, vcc_lo
	v_add_co_ci_u32_e64 v14, s0, s17, v14, s0
	v_add_co_u32 v15, s0, s16, v15
	v_cmp_le_i32_e32 vcc_lo, s4, v1
	v_add_co_ci_u32_e64 v16, s0, s17, v16, s0
	v_add_co_u32 v17, s0, s16, v17
	s_delay_alu instid0(VALU_DEP_1)
	v_add_co_ci_u32_e64 v18, s0, s17, v18, s0
	v_add_co_u32 v19, s0, s16, v19
	s_or_b32 s5, vcc_lo, s5
	v_add_co_ci_u32_e64 v20, s0, s17, v20, s0
	s_waitcnt vmcnt(14) lgkmcnt(0)
	v_fma_mixlo_f16 v7, -v8, v49, v50 op_sel_hi:[0,1,1]
	global_store_b16 v[3:4], v7, off
	s_waitcnt vmcnt(12)
	v_fma_mixlo_f16 v3, -v8, v21, v22 op_sel_hi:[0,1,1]
	s_waitcnt vmcnt(10)
	v_fma_mixlo_f16 v4, -v8, v23, v24 op_sel_hi:[0,1,1]
	;; [unrolled: 2-line block ×7, first 2 shown]
	s_clause 0x6
	global_store_b16 v[5:6], v3, off
	global_store_b16 v[9:10], v4, off
	;; [unrolled: 1-line block ×7, first 2 shown]
	s_and_not1_b32 exec_lo, exec_lo, s5
	s_cbranch_execnz .LBB593_59
; %bb.60:
	s_or_b32 exec_lo, exec_lo, s5
.LBB593_61:
	s_delay_alu instid0(SALU_CYCLE_1) | instskip(NEXT) | instid1(SALU_CYCLE_1)
	s_or_b32 exec_lo, exec_lo, s1
	s_mov_b32 s1, exec_lo
	v_cmpx_gt_i32_e64 s10, v1
	s_cbranch_execz .LBB593_64
; %bb.62:
	s_mov_b32 s4, 0
	.p2align	6
.LBB593_63:                             ; =>This Inner Loop Header: Depth=1
	v_ashrrev_i32_e32 v2, 31, v1
	s_delay_alu instid0(VALU_DEP_1) | instskip(SKIP_1) | instid1(VALU_DEP_2)
	v_lshlrev_b64 v[2:3], 1, v[1:2]
	v_add_nc_u32_e32 v1, s18, v1
	v_add_co_u32 v4, vcc_lo, s12, v2
	s_delay_alu instid0(VALU_DEP_3)
	v_add_co_ci_u32_e32 v5, vcc_lo, s13, v3, vcc_lo
	v_add_co_u32 v6, vcc_lo, s20, v2
	v_add_co_ci_u32_e32 v7, vcc_lo, s21, v3, vcc_lo
	v_cmp_le_i32_e32 vcc_lo, s10, v1
	global_load_u16 v4, v[4:5], off
	global_load_u16 v5, v[6:7], off
	v_add_co_u32 v2, s0, s16, v2
	s_delay_alu instid0(VALU_DEP_1)
	v_add_co_ci_u32_e64 v3, s0, s17, v3, s0
	s_or_b32 s4, vcc_lo, s4
	s_waitcnt vmcnt(0) lgkmcnt(0)
	v_fma_mixlo_f16 v4, -v8, v5, v4 op_sel_hi:[0,1,1]
	global_store_b16 v[2:3], v4, off
	s_and_not1_b32 exec_lo, exec_lo, s4
	s_cbranch_execnz .LBB593_63
.LBB593_64:
	s_or_b32 exec_lo, exec_lo, s1
	s_mov_b32 s0, 0
.LBB593_65:
	s_delay_alu instid0(SALU_CYCLE_1)
	s_and_not1_b32 vcc_lo, exec_lo, s0
	s_cbranch_vccnz .LBB593_93
.LBB593_66:
	s_cmp_lg_u64 s[24:25], 0
	s_mov_b32 s1, -1
	s_cselect_b32 s30, -1, 0
	s_and_b32 vcc_lo, exec_lo, s14
	v_cndmask_b32_e64 v1, 0, 1, s30
	s_delay_alu instid0(VALU_DEP_1)
	v_cmp_ne_u32_e64 s0, 1, v1
	s_cbranch_vccz .LBB593_81
; %bb.67:
	v_mov_b32_e32 v1, 0
	s_delay_alu instid0(VALU_DEP_2)
	s_and_b32 vcc_lo, exec_lo, s0
	s_mov_b64 s[4:5], s[10:11]
	s_mov_b64 s[6:7], s[16:17]
	;; [unrolled: 1-line block ×4, first 2 shown]
	s_cbranch_vccnz .LBB593_71
; %bb.68:
	s_lshl_b32 s4, s24, 1
	s_mov_b32 s19, 0
	s_sub_u32 s0, s16, s4
	s_subb_u32 s1, s17, 0
	s_sub_u32 s8, s20, s4
	s_subb_u32 s9, s21, 0
	;; [unrolled: 2-line block ×3, first 2 shown]
	s_mov_b32 s4, exec_lo
	v_cmpx_le_u64_e64 s[24:25], v[0:1]
	s_cbranch_execz .LBB593_70
; %bb.69:
	v_lshlrev_b64 v[2:3], 1, v[0:1]
	s_delay_alu instid0(VALU_DEP_1) | instskip(NEXT) | instid1(VALU_DEP_2)
	v_add_co_u32 v4, vcc_lo, s14, v2
	v_add_co_ci_u32_e32 v5, vcc_lo, s23, v3, vcc_lo
	v_add_co_u32 v6, vcc_lo, s8, v2
	v_add_co_ci_u32_e32 v7, vcc_lo, s9, v3, vcc_lo
	v_add_co_u32 v2, vcc_lo, s0, v2
	global_load_u16 v4, v[4:5], off
	global_load_u16 v5, v[6:7], off
	v_add_co_ci_u32_e32 v3, vcc_lo, s1, v3, vcc_lo
	s_waitcnt vmcnt(0) lgkmcnt(0)
	v_fma_mixlo_f16 v4, -v8, v5, v4 op_sel_hi:[0,1,1]
	global_store_b16 v[2:3], v4, off
.LBB593_70:
	s_or_b32 exec_lo, exec_lo, s4
	s_add_u32 s4, s24, s10
	s_addc_u32 s5, 0, s11
	s_delay_alu instid0(SALU_CYCLE_1) | instskip(NEXT) | instid1(VALU_DEP_1)
	v_cmp_lt_i64_e64 s6, s[4:5], s[18:19]
	s_and_b32 s6, s6, exec_lo
	s_cselect_b32 s6, s4, s18
	s_cselect_b32 s7, s5, 0
	s_sub_u32 s4, s4, s6
	s_subb_u32 s5, s5, s7
	s_lshl_b32 s11, s18, 1
	s_delay_alu instid0(SALU_CYCLE_1)
	s_add_u32 s6, s0, s11
	s_addc_u32 s7, s1, 0
	s_add_u32 s8, s8, s11
	s_addc_u32 s9, s9, 0
	;; [unrolled: 2-line block ×3, first 2 shown]
.LBB593_71:
	s_load_b32 s0, s[2:3], 0x0
	v_mov_b32_e32 v2, 0
	s_mov_b32 s26, 0
	s_mov_b32 s27, s5
	s_waitcnt lgkmcnt(0)
	s_cmp_lt_u32 s15, s0
	s_cselect_b32 s0, 12, 18
	s_delay_alu instid0(SALU_CYCLE_1) | instskip(SKIP_4) | instid1(VALU_DEP_1)
	s_add_u32 s0, s2, s0
	s_addc_u32 s1, s3, 0
	global_load_u16 v2, v2, s[0:1]
	s_waitcnt vmcnt(0)
	v_readfirstlane_b32 s0, v2
	s_and_b32 s11, s0, 0xffff
	s_delay_alu instid0(SALU_CYCLE_1)
	s_lshl_b32 s1, s11, 3
	s_cmp_lg_u64 s[26:27], 0
	s_cbranch_scc0 .LBB593_94
; %bb.72:
	v_cvt_f32_ubyte0_e32 v2, 0
	v_cvt_f32_u32_e32 v3, s1
	s_sub_u32 s19, 0, s1
	s_subb_u32 s25, 0, 0
	s_delay_alu instid0(VALU_DEP_1) | instskip(NEXT) | instid1(VALU_DEP_1)
	v_fmamk_f32 v2, v2, 0x4f800000, v3
	v_rcp_f32_e32 v2, v2
	s_waitcnt_depctr 0xfff
	v_mul_f32_e32 v2, 0x5f7ffffc, v2
	s_delay_alu instid0(VALU_DEP_1) | instskip(NEXT) | instid1(VALU_DEP_1)
	v_mul_f32_e32 v3, 0x2f800000, v2
	v_trunc_f32_e32 v3, v3
	s_delay_alu instid0(VALU_DEP_1) | instskip(SKIP_1) | instid1(VALU_DEP_2)
	v_fmamk_f32 v2, v3, 0xcf800000, v2
	v_cvt_u32_f32_e32 v3, v3
	v_cvt_u32_f32_e32 v2, v2
	s_delay_alu instid0(VALU_DEP_2) | instskip(NEXT) | instid1(VALU_DEP_2)
	v_readfirstlane_b32 s0, v3
	v_readfirstlane_b32 s14, v2
	s_delay_alu instid0(VALU_DEP_2) | instskip(NEXT) | instid1(VALU_DEP_1)
	s_mul_i32 s27, s19, s0
	s_mul_hi_u32 s29, s19, s14
	s_mul_i32 s28, s25, s14
	s_add_i32 s27, s29, s27
	s_mul_i32 s31, s19, s14
	s_add_i32 s27, s27, s28
	s_mul_hi_u32 s29, s14, s31
	s_mul_hi_u32 s33, s0, s31
	s_mul_i32 s28, s0, s31
	s_mul_hi_u32 s31, s14, s27
	s_mul_i32 s14, s14, s27
	s_mul_hi_u32 s34, s0, s27
	s_add_u32 s14, s29, s14
	s_addc_u32 s29, 0, s31
	s_add_u32 s14, s14, s28
	s_mul_i32 s27, s0, s27
	s_addc_u32 s14, s29, s33
	s_addc_u32 s28, s34, 0
	s_add_u32 s14, s14, s27
	s_addc_u32 s27, 0, s28
	v_add_co_u32 v2, s14, v2, s14
	s_delay_alu instid0(VALU_DEP_1) | instskip(SKIP_1) | instid1(VALU_DEP_1)
	s_cmp_lg_u32 s14, 0
	s_addc_u32 s0, s0, s27
	v_readfirstlane_b32 s14, v2
	s_mul_i32 s27, s19, s0
	s_delay_alu instid0(VALU_DEP_1)
	s_mul_hi_u32 s28, s19, s14
	s_mul_i32 s25, s25, s14
	s_add_i32 s27, s28, s27
	s_mul_i32 s19, s19, s14
	s_add_i32 s27, s27, s25
	s_mul_hi_u32 s28, s0, s19
	s_mul_i32 s29, s0, s19
	s_mul_hi_u32 s19, s14, s19
	s_mul_hi_u32 s31, s14, s27
	s_mul_i32 s14, s14, s27
	s_mul_hi_u32 s25, s0, s27
	s_add_u32 s14, s19, s14
	s_addc_u32 s19, 0, s31
	s_add_u32 s14, s14, s29
	s_mul_i32 s27, s0, s27
	s_addc_u32 s14, s19, s28
	s_addc_u32 s19, s25, 0
	s_add_u32 s14, s14, s27
	s_addc_u32 s19, 0, s19
	v_add_co_u32 v2, s14, v2, s14
	s_delay_alu instid0(VALU_DEP_1) | instskip(SKIP_2) | instid1(VALU_DEP_1)
	s_cmp_lg_u32 s14, 0
	s_addc_u32 s0, s0, s19
	s_ashr_i32 s28, s5, 31
	v_readfirstlane_b32 s14, v2
	s_add_u32 s34, s4, s28
	s_mov_b32 s29, s28
	s_addc_u32 s35, s5, s28
	s_delay_alu instid0(SALU_CYCLE_1) | instskip(NEXT) | instid1(SALU_CYCLE_1)
	s_xor_b64 s[34:35], s[34:35], s[28:29]
	s_mul_i32 s25, s34, s0
	s_mul_hi_u32 s27, s34, s14
	s_mul_hi_u32 s19, s34, s0
	;; [unrolled: 1-line block ×3, first 2 shown]
	s_mul_i32 s14, s35, s14
	s_add_u32 s25, s27, s25
	s_addc_u32 s19, 0, s19
	s_mul_hi_u32 s29, s35, s0
	s_add_u32 s14, s25, s14
	s_mul_i32 s0, s35, s0
	s_addc_u32 s14, s19, s31
	s_addc_u32 s19, s29, 0
	s_add_u32 s0, s14, s0
	s_addc_u32 s14, 0, s19
	s_mul_hi_u32 s19, s1, s0
	s_mul_i32 s0, s1, s0
	s_mul_i32 s14, s1, s14
	v_sub_co_u32 v2, s0, s34, s0
	s_add_i32 s19, s19, s14
	s_cmp_lg_u32 s0, 0
	s_delay_alu instid0(VALU_DEP_1) | instskip(SKIP_2) | instid1(VALU_DEP_1)
	v_sub_co_u32 v3, s0, v2, s1
	s_subb_u32 s14, s35, s19
	s_cmp_lg_u32 s0, 0
	v_cmp_le_u32_e32 vcc_lo, s1, v3
	v_sub_co_u32 v4, s0, v3, s1
	s_subb_u32 s19, s14, 0
	s_cmp_lg_u32 s0, 0
	v_cndmask_b32_e64 v5, 0, -1, vcc_lo
	s_subb_u32 s0, s19, 0
	s_cmp_eq_u32 s19, 0
	v_mov_b32_e32 v7, s0
	s_cselect_b32 vcc_lo, -1, 0
	s_cmp_eq_u32 s14, 0
	v_cndmask_b32_e32 v5, -1, v5, vcc_lo
	v_cmp_le_u32_e32 vcc_lo, s1, v2
	s_cselect_b32 s0, -1, 0
	v_cndmask_b32_e64 v6, 0, -1, vcc_lo
	s_delay_alu instid0(VALU_DEP_3) | instskip(NEXT) | instid1(VALU_DEP_2)
	v_cmp_ne_u32_e32 vcc_lo, 0, v5
	v_cndmask_b32_e64 v5, -1, v6, s0
	v_cndmask_b32_e32 v6, s19, v7, vcc_lo
	v_cndmask_b32_e32 v3, v3, v4, vcc_lo
	s_delay_alu instid0(VALU_DEP_3) | instskip(NEXT) | instid1(VALU_DEP_2)
	v_cmp_ne_u32_e32 vcc_lo, 0, v5
	v_cndmask_b32_e32 v2, v2, v3, vcc_lo
	s_delay_alu instid0(VALU_DEP_4) | instskip(NEXT) | instid1(VALU_DEP_2)
	v_cndmask_b32_e32 v4, s14, v6, vcc_lo
	v_xor_b32_e32 v2, s28, v2
	s_delay_alu instid0(VALU_DEP_2) | instskip(NEXT) | instid1(VALU_DEP_2)
	v_xor_b32_e32 v3, s28, v4
	v_sub_co_u32 v2, vcc_lo, v2, s28
	s_delay_alu instid0(VALU_DEP_2)
	v_subrev_co_ci_u32_e32 v3, vcc_lo, s28, v3, vcc_lo
	s_and_not1_b32 vcc_lo, exec_lo, s26
	s_cbranch_vccnz .LBB593_74
.LBB593_73:
	v_cvt_f32_u32_e32 v2, s1
	s_sub_i32 s0, 0, s1
	s_delay_alu instid0(VALU_DEP_1) | instskip(SKIP_2) | instid1(VALU_DEP_1)
	v_rcp_iflag_f32_e32 v2, v2
	s_waitcnt_depctr 0xfff
	v_mul_f32_e32 v2, 0x4f7ffffe, v2
	v_cvt_u32_f32_e32 v2, v2
	s_delay_alu instid0(VALU_DEP_1) | instskip(NEXT) | instid1(VALU_DEP_1)
	v_mul_lo_u32 v3, s0, v2
	v_mul_hi_u32 v3, v2, v3
	s_delay_alu instid0(VALU_DEP_1) | instskip(NEXT) | instid1(VALU_DEP_1)
	v_add_nc_u32_e32 v2, v2, v3
	v_mul_hi_u32 v2, s4, v2
	s_delay_alu instid0(VALU_DEP_1) | instskip(NEXT) | instid1(VALU_DEP_1)
	v_mul_lo_u32 v2, v2, s1
	v_sub_nc_u32_e32 v2, s4, v2
	s_delay_alu instid0(VALU_DEP_1) | instskip(SKIP_1) | instid1(VALU_DEP_2)
	v_subrev_nc_u32_e32 v3, s1, v2
	v_cmp_le_u32_e32 vcc_lo, s1, v2
	v_cndmask_b32_e32 v2, v2, v3, vcc_lo
	s_delay_alu instid0(VALU_DEP_1) | instskip(SKIP_1) | instid1(VALU_DEP_2)
	v_subrev_nc_u32_e32 v3, s1, v2
	v_cmp_le_u32_e32 vcc_lo, s1, v2
	v_dual_cndmask_b32 v2, v2, v3 :: v_dual_mov_b32 v3, 0
.LBB593_74:
	s_delay_alu instid0(VALU_DEP_1) | instskip(SKIP_1) | instid1(VALU_DEP_3)
	v_sub_co_u32 v2, vcc_lo, s4, v2
	v_lshlrev_b64 v[4:5], 3, v[0:1]
	v_sub_co_ci_u32_e32 v3, vcc_lo, s5, v3, vcc_lo
	s_mov_b32 s14, exec_lo
	s_delay_alu instid0(VALU_DEP_1)
	v_cmpx_lt_i64_e64 v[4:5], v[2:3]
	s_cbranch_execz .LBB593_77
; %bb.75:
	v_lshlrev_b64 v[4:5], 4, v[0:1]
	v_dual_mov_b32 v7, v1 :: v_dual_mov_b32 v6, v0
	s_lshl_b32 s19, s11, 4
	s_mov_b32 s25, 0
	s_mov_b64 s[0:1], s[22:23]
	s_mov_b64 s[26:27], s[8:9]
	;; [unrolled: 1-line block ×3, first 2 shown]
	s_set_inst_prefetch_distance 0x1
	.p2align	6
.LBB593_76:                             ; =>This Inner Loop Header: Depth=1
	v_add_co_u32 v9, vcc_lo, s26, v4
	v_add_co_ci_u32_e32 v10, vcc_lo, s27, v5, vcc_lo
	v_add_co_u32 v13, vcc_lo, s0, v4
	v_add_co_ci_u32_e32 v14, vcc_lo, s1, v5, vcc_lo
	v_add_co_u32 v21, vcc_lo, s28, v4
	global_load_b128 v[9:12], v[9:10], off
	global_load_b128 v[13:16], v[13:14], off
	v_add_co_ci_u32_e32 v22, vcc_lo, s29, v5, vcc_lo
	v_add_co_u32 v6, vcc_lo, v6, s11
	v_add_co_ci_u32_e32 v7, vcc_lo, 0, v7, vcc_lo
	s_add_u32 s28, s28, s19
	s_addc_u32 s29, s29, 0
	s_add_u32 s26, s26, s19
	s_delay_alu instid0(VALU_DEP_1) | instskip(SKIP_3) | instid1(VALU_DEP_1)
	v_lshlrev_b64 v[23:24], 3, v[6:7]
	s_addc_u32 s27, s27, 0
	s_add_u32 s0, s0, s19
	s_addc_u32 s1, s1, 0
	v_cmp_ge_i64_e32 vcc_lo, v[23:24], v[2:3]
	s_or_b32 s25, vcc_lo, s25
	s_waitcnt vmcnt(0)
	v_fma_mixlo_f16 v20, -v8, v12, v16 op_sel_hi:[0,1,1]
	v_fma_mixlo_f16 v19, -v8, v11, v15 op_sel_hi:[0,1,1]
	;; [unrolled: 1-line block ×4, first 2 shown]
	s_delay_alu instid0(VALU_DEP_4) | instskip(NEXT) | instid1(VALU_DEP_4)
	v_fma_mixhi_f16 v20, -v8, v12, v16 op_sel:[0,1,1] op_sel_hi:[0,1,1]
	v_fma_mixhi_f16 v19, -v8, v11, v15 op_sel:[0,1,1] op_sel_hi:[0,1,1]
	s_delay_alu instid0(VALU_DEP_4) | instskip(NEXT) | instid1(VALU_DEP_4)
	v_fma_mixhi_f16 v18, -v8, v10, v14 op_sel:[0,1,1] op_sel_hi:[0,1,1]
	v_fma_mixhi_f16 v17, -v8, v9, v13 op_sel:[0,1,1] op_sel_hi:[0,1,1]
	global_store_b128 v[21:22], v[17:20], off
	s_and_not1_b32 exec_lo, exec_lo, s25
	s_cbranch_execnz .LBB593_76
.LBB593_77:
	s_set_inst_prefetch_distance 0x2
	s_or_b32 exec_lo, exec_lo, s14
	v_add_co_u32 v1, vcc_lo, v2, v0
	v_add_co_ci_u32_e32 v2, vcc_lo, 0, v3, vcc_lo
	s_mov_b32 s1, exec_lo
	s_delay_alu instid0(VALU_DEP_1)
	v_cmpx_gt_i64_e64 s[4:5], v[1:2]
	s_cbranch_execz .LBB593_80
; %bb.78:
	v_lshlrev_b64 v[3:4], 1, v[1:2]
	s_lshl_b32 s14, s11, 1
	s_mov_b32 s19, 0
	.p2align	6
.LBB593_79:                             ; =>This Inner Loop Header: Depth=1
	s_delay_alu instid0(VALU_DEP_1) | instskip(NEXT) | instid1(VALU_DEP_2)
	v_add_co_u32 v5, vcc_lo, s22, v3
	v_add_co_ci_u32_e32 v6, vcc_lo, s23, v4, vcc_lo
	v_add_co_u32 v9, vcc_lo, s8, v3
	v_add_co_ci_u32_e32 v10, vcc_lo, s9, v4, vcc_lo
	v_add_co_u32 v1, vcc_lo, v1, s11
	global_load_u16 v7, v[5:6], off
	global_load_u16 v9, v[9:10], off
	v_add_co_ci_u32_e32 v2, vcc_lo, 0, v2, vcc_lo
	v_add_co_u32 v5, vcc_lo, s6, v3
	v_add_co_ci_u32_e32 v6, vcc_lo, s7, v4, vcc_lo
	s_delay_alu instid0(VALU_DEP_3) | instskip(SKIP_1) | instid1(VALU_DEP_1)
	v_cmp_le_i64_e32 vcc_lo, s[4:5], v[1:2]
	v_add_co_u32 v3, s0, v3, s14
	v_add_co_ci_u32_e64 v4, s0, 0, v4, s0
	s_or_b32 s19, vcc_lo, s19
	s_waitcnt vmcnt(0)
	v_fma_mixlo_f16 v7, -v8, v9, v7 op_sel_hi:[0,1,1]
	global_store_b16 v[5:6], v7, off
	s_and_not1_b32 exec_lo, exec_lo, s19
	s_cbranch_execnz .LBB593_79
.LBB593_80:
	s_or_b32 exec_lo, exec_lo, s1
	s_mov_b32 s1, 0
.LBB593_81:
	s_delay_alu instid0(SALU_CYCLE_1)
	s_and_b32 vcc_lo, exec_lo, s1
	s_cbranch_vccz .LBB593_93
; %bb.82:
	s_and_not1_b32 vcc_lo, exec_lo, s30
	s_cbranch_vccnz .LBB593_86
; %bb.83:
	s_lshl_b32 s1, s24, 1
	s_mov_b32 s8, exec_lo
	s_sub_u32 s5, s16, s1
	s_subb_u32 s6, s17, 0
	s_sub_u32 s0, s20, s1
	s_subb_u32 s7, s21, 0
	s_sub_u32 s1, s12, s1
	s_subb_u32 s4, s13, 0
	v_cmpx_le_u32_e64 s24, v0
	s_cbranch_execz .LBB593_85
; %bb.84:
	v_mov_b32_e32 v1, 0
	s_delay_alu instid0(VALU_DEP_1) | instskip(NEXT) | instid1(VALU_DEP_1)
	v_lshlrev_b64 v[1:2], 1, v[0:1]
	v_add_co_u32 v3, vcc_lo, s1, v1
	s_delay_alu instid0(VALU_DEP_2)
	v_add_co_ci_u32_e32 v4, vcc_lo, s4, v2, vcc_lo
	v_add_co_u32 v5, vcc_lo, s0, v1
	v_add_co_ci_u32_e32 v6, vcc_lo, s7, v2, vcc_lo
	v_add_co_u32 v1, vcc_lo, s5, v1
	global_load_u16 v3, v[3:4], off
	global_load_u16 v4, v[5:6], off
	v_add_co_ci_u32_e32 v2, vcc_lo, s6, v2, vcc_lo
	s_waitcnt vmcnt(0) lgkmcnt(0)
	v_fma_mixlo_f16 v3, -v8, v4, v3 op_sel_hi:[0,1,1]
	global_store_b16 v[1:2], v3, off
.LBB593_85:
	s_or_b32 exec_lo, exec_lo, s8
	s_add_i32 s8, s24, s10
	s_delay_alu instid0(SALU_CYCLE_1) | instskip(SKIP_1) | instid1(SALU_CYCLE_1)
	v_sub_nc_u32_e64 v1, s8, s18 clamp
	s_lshl_b32 s8, s18, 1
	s_add_u32 s16, s5, s8
	s_addc_u32 s17, s6, 0
	s_delay_alu instid0(VALU_DEP_1)
	v_readfirstlane_b32 s10, v1
	s_add_u32 s20, s0, s8
	s_addc_u32 s21, s7, 0
	s_add_u32 s12, s1, s8
	s_addc_u32 s13, s4, 0
.LBB593_86:
	s_load_b32 s0, s[2:3], 0x0
	v_mov_b32_e32 v1, 0
	s_waitcnt lgkmcnt(0)
	s_cmp_lt_u32 s15, s0
	s_cselect_b32 s0, 12, 18
	s_delay_alu instid0(SALU_CYCLE_1) | instskip(SKIP_4) | instid1(VALU_DEP_1)
	s_add_u32 s0, s2, s0
	s_addc_u32 s1, s3, 0
	global_load_u16 v3, v1, s[0:1]
	s_waitcnt vmcnt(0)
	v_readfirstlane_b32 s0, v3
	s_lshl_b32 s0, s0, 3
	s_delay_alu instid0(SALU_CYCLE_1) | instskip(SKIP_1) | instid1(VALU_DEP_1)
	v_cvt_f32_u32_e32 v1, s0
	s_sub_i32 s2, 0, s0
	v_rcp_iflag_f32_e32 v1, v1
	s_waitcnt_depctr 0xfff
	v_mul_f32_e32 v1, 0x4f7ffffe, v1
	s_delay_alu instid0(VALU_DEP_1) | instskip(NEXT) | instid1(VALU_DEP_1)
	v_cvt_u32_f32_e32 v1, v1
	v_readfirstlane_b32 s1, v1
	v_lshlrev_b32_e32 v1, 3, v0
	s_delay_alu instid0(VALU_DEP_2) | instskip(NEXT) | instid1(SALU_CYCLE_1)
	s_mul_i32 s2, s2, s1
	s_mul_hi_u32 s2, s1, s2
	s_delay_alu instid0(SALU_CYCLE_1) | instskip(NEXT) | instid1(SALU_CYCLE_1)
	s_add_i32 s1, s1, s2
	s_mul_hi_u32 s1, s10, s1
	s_delay_alu instid0(SALU_CYCLE_1) | instskip(NEXT) | instid1(SALU_CYCLE_1)
	s_mul_i32 s1, s1, s0
	s_sub_i32 s1, s10, s1
	s_delay_alu instid0(SALU_CYCLE_1) | instskip(SKIP_2) | instid1(SALU_CYCLE_1)
	s_sub_i32 s2, s1, s0
	s_cmp_ge_u32 s1, s0
	s_cselect_b32 s1, s2, s1
	s_sub_i32 s2, s1, s0
	s_cmp_ge_u32 s1, s0
	s_cselect_b32 s0, s2, s1
	s_mov_b32 s2, 0
	s_sub_i32 s0, s10, s0
	s_mov_b32 s1, exec_lo
	v_cmpx_gt_i32_e64 s0, v1
	s_cbranch_execz .LBB593_89
; %bb.87:
	v_mov_b32_e32 v1, v0
	s_set_inst_prefetch_distance 0x1
	.p2align	6
.LBB593_88:                             ; =>This Inner Loop Header: Depth=1
	s_delay_alu instid0(VALU_DEP_1) | instskip(NEXT) | instid1(VALU_DEP_1)
	v_ashrrev_i32_e32 v2, 31, v1
	v_lshlrev_b64 v[13:14], 4, v[1:2]
	v_add_nc_u32_e32 v1, v1, v3
	s_delay_alu instid0(VALU_DEP_1) | instskip(NEXT) | instid1(VALU_DEP_3)
	v_lshlrev_b32_e32 v2, 3, v1
	v_add_co_u32 v4, vcc_lo, s20, v13
	s_delay_alu instid0(VALU_DEP_4)
	v_add_co_ci_u32_e32 v5, vcc_lo, s21, v14, vcc_lo
	v_add_co_u32 v9, vcc_lo, s12, v13
	v_add_co_ci_u32_e32 v10, vcc_lo, s13, v14, vcc_lo
	global_load_b128 v[4:7], v[4:5], off
	global_load_b128 v[9:12], v[9:10], off
	v_add_co_u32 v17, vcc_lo, s16, v13
	v_add_co_ci_u32_e32 v18, vcc_lo, s17, v14, vcc_lo
	v_cmp_le_i32_e32 vcc_lo, s0, v2
	s_or_b32 s2, vcc_lo, s2
	s_waitcnt vmcnt(0)
	v_fma_mixlo_f16 v16, -v8, v7, v12 op_sel_hi:[0,1,1]
	v_fma_mixlo_f16 v15, -v8, v6, v11 op_sel_hi:[0,1,1]
	v_fma_mixlo_f16 v14, -v8, v5, v10 op_sel_hi:[0,1,1]
	v_fma_mixlo_f16 v13, -v8, v4, v9 op_sel_hi:[0,1,1]
	s_delay_alu instid0(VALU_DEP_4) | instskip(NEXT) | instid1(VALU_DEP_4)
	v_fma_mixhi_f16 v16, -v8, v7, v12 op_sel:[0,1,1] op_sel_hi:[0,1,1]
	v_fma_mixhi_f16 v15, -v8, v6, v11 op_sel:[0,1,1] op_sel_hi:[0,1,1]
	s_delay_alu instid0(VALU_DEP_4) | instskip(NEXT) | instid1(VALU_DEP_4)
	v_fma_mixhi_f16 v14, -v8, v5, v10 op_sel:[0,1,1] op_sel_hi:[0,1,1]
	v_fma_mixhi_f16 v13, -v8, v4, v9 op_sel:[0,1,1] op_sel_hi:[0,1,1]
	global_store_b128 v[17:18], v[13:16], off
	s_and_not1_b32 exec_lo, exec_lo, s2
	s_cbranch_execnz .LBB593_88
.LBB593_89:
	s_set_inst_prefetch_distance 0x2
	s_or_b32 exec_lo, exec_lo, s1
	v_add_nc_u32_e32 v0, s0, v0
	s_mov_b32 s0, exec_lo
	s_delay_alu instid0(VALU_DEP_1)
	v_cmpx_gt_i32_e64 s10, v0
	s_cbranch_execz .LBB593_93
; %bb.90:
	s_mov_b32 s1, 0
	.p2align	6
.LBB593_91:                             ; =>This Inner Loop Header: Depth=1
	v_ashrrev_i32_e32 v1, 31, v0
	s_delay_alu instid0(VALU_DEP_1) | instskip(SKIP_1) | instid1(VALU_DEP_2)
	v_lshlrev_b64 v[1:2], 1, v[0:1]
	v_add_nc_u32_e32 v0, v0, v3
	v_add_co_u32 v4, vcc_lo, s12, v1
	s_delay_alu instid0(VALU_DEP_3)
	v_add_co_ci_u32_e32 v5, vcc_lo, s13, v2, vcc_lo
	v_add_co_u32 v6, vcc_lo, s20, v1
	v_add_co_ci_u32_e32 v7, vcc_lo, s21, v2, vcc_lo
	v_cmp_le_i32_e32 vcc_lo, s10, v0
	global_load_u16 v4, v[4:5], off
	global_load_u16 v5, v[6:7], off
	v_add_co_u32 v1, s0, s16, v1
	s_delay_alu instid0(VALU_DEP_1)
	v_add_co_ci_u32_e64 v2, s0, s17, v2, s0
	s_or_b32 s1, vcc_lo, s1
	s_waitcnt vmcnt(0)
	v_fma_mixlo_f16 v4, -v8, v5, v4 op_sel_hi:[0,1,1]
	global_store_b16 v[1:2], v4, off
	s_and_not1_b32 exec_lo, exec_lo, s1
	s_cbranch_execnz .LBB593_91
	s_branch .LBB593_93
.LBB593_92:
	s_cbranch_execz .LBB593_66
.LBB593_93:
	s_nop 0
	s_sendmsg sendmsg(MSG_DEALLOC_VGPRS)
	s_endpgm
.LBB593_94:
                                        ; implicit-def: $vgpr2_vgpr3
	s_branch .LBB593_73
	.section	.rodata,"a",@progbits
	.p2align	6, 0x0
	.amdhsa_kernel _ZN2at6native12_GLOBAL__N_120cunn_SoftMaxBackwardILi8EN3c104HalfEfS4_NS1_23SoftMaxBackwardEpilogueEEEvPT0_PKT2_SA_l
		.amdhsa_group_segment_fixed_size 0
		.amdhsa_private_segment_fixed_size 0
		.amdhsa_kernarg_size 288
		.amdhsa_user_sgpr_count 15
		.amdhsa_user_sgpr_dispatch_ptr 0
		.amdhsa_user_sgpr_queue_ptr 0
		.amdhsa_user_sgpr_kernarg_segment_ptr 1
		.amdhsa_user_sgpr_dispatch_id 0
		.amdhsa_user_sgpr_private_segment_size 0
		.amdhsa_wavefront_size32 1
		.amdhsa_uses_dynamic_stack 0
		.amdhsa_enable_private_segment 0
		.amdhsa_system_sgpr_workgroup_id_x 1
		.amdhsa_system_sgpr_workgroup_id_y 0
		.amdhsa_system_sgpr_workgroup_id_z 0
		.amdhsa_system_sgpr_workgroup_info 0
		.amdhsa_system_vgpr_workitem_id 0
		.amdhsa_next_free_vgpr 51
		.amdhsa_next_free_sgpr 36
		.amdhsa_reserve_vcc 1
		.amdhsa_float_round_mode_32 0
		.amdhsa_float_round_mode_16_64 0
		.amdhsa_float_denorm_mode_32 3
		.amdhsa_float_denorm_mode_16_64 3
		.amdhsa_dx10_clamp 1
		.amdhsa_ieee_mode 1
		.amdhsa_fp16_overflow 0
		.amdhsa_workgroup_processor_mode 1
		.amdhsa_memory_ordered 1
		.amdhsa_forward_progress 0
		.amdhsa_shared_vgpr_count 0
		.amdhsa_exception_fp_ieee_invalid_op 0
		.amdhsa_exception_fp_denorm_src 0
		.amdhsa_exception_fp_ieee_div_zero 0
		.amdhsa_exception_fp_ieee_overflow 0
		.amdhsa_exception_fp_ieee_underflow 0
		.amdhsa_exception_fp_ieee_inexact 0
		.amdhsa_exception_int_div_zero 0
	.end_amdhsa_kernel
	.section	.text._ZN2at6native12_GLOBAL__N_120cunn_SoftMaxBackwardILi8EN3c104HalfEfS4_NS1_23SoftMaxBackwardEpilogueEEEvPT0_PKT2_SA_l,"axG",@progbits,_ZN2at6native12_GLOBAL__N_120cunn_SoftMaxBackwardILi8EN3c104HalfEfS4_NS1_23SoftMaxBackwardEpilogueEEEvPT0_PKT2_SA_l,comdat
.Lfunc_end593:
	.size	_ZN2at6native12_GLOBAL__N_120cunn_SoftMaxBackwardILi8EN3c104HalfEfS4_NS1_23SoftMaxBackwardEpilogueEEEvPT0_PKT2_SA_l, .Lfunc_end593-_ZN2at6native12_GLOBAL__N_120cunn_SoftMaxBackwardILi8EN3c104HalfEfS4_NS1_23SoftMaxBackwardEpilogueEEEvPT0_PKT2_SA_l
                                        ; -- End function
	.section	.AMDGPU.csdata,"",@progbits
; Kernel info:
; codeLenInByte = 7496
; NumSgprs: 38
; NumVgprs: 51
; ScratchSize: 0
; MemoryBound: 0
; FloatMode: 240
; IeeeMode: 1
; LDSByteSize: 0 bytes/workgroup (compile time only)
; SGPRBlocks: 4
; VGPRBlocks: 6
; NumSGPRsForWavesPerEU: 38
; NumVGPRsForWavesPerEU: 51
; Occupancy: 16
; WaveLimiterHint : 0
; COMPUTE_PGM_RSRC2:SCRATCH_EN: 0
; COMPUTE_PGM_RSRC2:USER_SGPR: 15
; COMPUTE_PGM_RSRC2:TRAP_HANDLER: 0
; COMPUTE_PGM_RSRC2:TGID_X_EN: 1
; COMPUTE_PGM_RSRC2:TGID_Y_EN: 0
; COMPUTE_PGM_RSRC2:TGID_Z_EN: 0
; COMPUTE_PGM_RSRC2:TIDIG_COMP_CNT: 0
	.section	.text._ZN12_GLOBAL__N_121softmax_warp_backwardIfN3c104HalfEfLi0ELb0ELb0ELi64EEEvPT0_PKT_S7_iiiPKb,"axG",@progbits,_ZN12_GLOBAL__N_121softmax_warp_backwardIfN3c104HalfEfLi0ELb0ELb0ELi64EEEvPT0_PKT_S7_iiiPKb,comdat
	.globl	_ZN12_GLOBAL__N_121softmax_warp_backwardIfN3c104HalfEfLi0ELb0ELb0ELi64EEEvPT0_PKT_S7_iiiPKb ; -- Begin function _ZN12_GLOBAL__N_121softmax_warp_backwardIfN3c104HalfEfLi0ELb0ELb0ELi64EEEvPT0_PKT_S7_iiiPKb
	.p2align	8
	.type	_ZN12_GLOBAL__N_121softmax_warp_backwardIfN3c104HalfEfLi0ELb0ELb0ELi64EEEvPT0_PKT_S7_iiiPKb,@function
_ZN12_GLOBAL__N_121softmax_warp_backwardIfN3c104HalfEfLi0ELb0ELb0ELi64EEEvPT0_PKT_S7_iiiPKb: ; @_ZN12_GLOBAL__N_121softmax_warp_backwardIfN3c104HalfEfLi0ELb0ELb0ELi64EEEvPT0_PKT_S7_iiiPKb
; %bb.0:
	s_clause 0x1
	s_load_b32 s2, s[0:1], 0x3c
	s_load_b128 s[4:7], s[0:1], 0x18
	v_bfe_u32 v0, v0, 10, 10
	s_load_b128 s[8:11], s[0:1], 0x0
	v_dual_mov_b32 v7, 0 :: v_dual_mov_b32 v8, 0
	v_mov_b32_e32 v9, 0
	s_waitcnt lgkmcnt(0)
	s_lshr_b32 s2, s2, 16
	s_cmp_gt_i32 s6, 0
	s_mul_i32 s15, s15, s2
	s_load_b64 s[2:3], s[0:1], 0x10
	v_add_lshl_u32 v2, s15, v0, 1
	s_cselect_b32 s1, -1, 0
	s_delay_alu instid0(VALU_DEP_1) | instskip(SKIP_1) | instid1(VALU_DEP_1)
	v_mul_lo_u32 v0, v2, s5
	v_sub_nc_u32_e32 v6, s4, v2
	v_cmp_lt_i32_e32 vcc_lo, 0, v6
	s_delay_alu instid0(VALU_DEP_3) | instskip(NEXT) | instid1(VALU_DEP_1)
	v_ashrrev_i32_e32 v1, 31, v0
	v_lshlrev_b64 v[2:3], 2, v[0:1]
	s_delay_alu instid0(VALU_DEP_1) | instskip(NEXT) | instid1(VALU_DEP_1)
	v_add_co_u32 v4, s0, s10, v2
	v_add_co_ci_u32_e64 v5, s0, s11, v3, s0
	s_waitcnt lgkmcnt(0)
	v_add_co_u32 v2, s0, s2, v2
	s_delay_alu instid0(VALU_DEP_1) | instskip(SKIP_1) | instid1(SALU_CYCLE_1)
	v_add_co_ci_u32_e64 v3, s0, s3, v3, s0
	s_and_b32 s2, s1, vcc_lo
	s_and_saveexec_b32 s0, s2
	s_cbranch_execz .LBB594_2
; %bb.1:
	global_load_b32 v8, v[4:5], off
	global_load_b32 v9, v[2:3], off
.LBB594_2:
	s_or_b32 exec_lo, exec_lo, s0
	v_cmp_lt_i32_e64 s0, 1, v6
	v_mov_b32_e32 v10, 0
	s_mov_b32 s7, 0
	s_delay_alu instid0(VALU_DEP_2) | instskip(NEXT) | instid1(SALU_CYCLE_1)
	s_and_b32 s0, s1, s0
	s_and_saveexec_b32 s2, s0
	s_cbranch_execz .LBB594_4
; %bb.3:
	s_lshl_b64 s[4:5], s[6:7], 2
	s_delay_alu instid0(SALU_CYCLE_1) | instskip(NEXT) | instid1(VALU_DEP_1)
	v_add_co_u32 v4, s0, v4, s4
	v_add_co_ci_u32_e64 v5, s0, s5, v5, s0
	v_add_co_u32 v2, s0, v2, s4
	s_delay_alu instid0(VALU_DEP_1)
	v_add_co_ci_u32_e64 v3, s0, s5, v3, s0
	global_load_b32 v7, v[4:5], off
	global_load_b32 v10, v[2:3], off
.LBB594_4:
	s_or_b32 exec_lo, exec_lo, s2
	s_and_saveexec_b32 s0, vcc_lo
	s_cbranch_execz .LBB594_10
; %bb.5:
	v_lshlrev_b64 v[0:1], 1, v[0:1]
	v_cndmask_b32_e64 v2, 0, 1, s1
	s_delay_alu instid0(VALU_DEP_2) | instskip(NEXT) | instid1(VALU_DEP_3)
	v_add_co_u32 v0, vcc_lo, s8, v0
	v_add_co_ci_u32_e32 v1, vcc_lo, s9, v1, vcc_lo
	s_and_not1_b32 vcc_lo, exec_lo, s1
	s_cbranch_vccnz .LBB594_7
; %bb.6:
	s_waitcnt vmcnt(1)
	v_add_f32_e32 v3, 0, v8
	s_waitcnt vmcnt(0)
	s_delay_alu instid0(VALU_DEP_1)
	v_fma_mixlo_f16 v3, -v3, v9, v8
	global_store_b16 v[0:1], v3, off
.LBB594_7:
	v_cmp_ne_u32_e32 vcc_lo, 1, v6
	s_and_b32 exec_lo, exec_lo, vcc_lo
	s_cbranch_execz .LBB594_10
; %bb.8:
	v_cmp_ne_u32_e32 vcc_lo, 1, v2
	s_cbranch_vccnz .LBB594_10
; %bb.9:
	s_waitcnt vmcnt(1)
	v_add_f32_e32 v2, 0, v7
	s_lshl_b64 s[0:1], s[6:7], 1
	s_delay_alu instid0(SALU_CYCLE_1) | instskip(SKIP_1) | instid1(VALU_DEP_2)
	v_add_co_u32 v0, vcc_lo, v0, s0
	s_waitcnt vmcnt(0)
	v_fma_mixlo_f16 v2, -v2, v10, v7
	v_add_co_ci_u32_e32 v1, vcc_lo, s1, v1, vcc_lo
	global_store_b16 v[0:1], v2, off
.LBB594_10:
	s_nop 0
	s_sendmsg sendmsg(MSG_DEALLOC_VGPRS)
	s_endpgm
	.section	.rodata,"a",@progbits
	.p2align	6, 0x0
	.amdhsa_kernel _ZN12_GLOBAL__N_121softmax_warp_backwardIfN3c104HalfEfLi0ELb0ELb0ELi64EEEvPT0_PKT_S7_iiiPKb
		.amdhsa_group_segment_fixed_size 0
		.amdhsa_private_segment_fixed_size 0
		.amdhsa_kernarg_size 304
		.amdhsa_user_sgpr_count 15
		.amdhsa_user_sgpr_dispatch_ptr 0
		.amdhsa_user_sgpr_queue_ptr 0
		.amdhsa_user_sgpr_kernarg_segment_ptr 1
		.amdhsa_user_sgpr_dispatch_id 0
		.amdhsa_user_sgpr_private_segment_size 0
		.amdhsa_wavefront_size32 1
		.amdhsa_uses_dynamic_stack 0
		.amdhsa_enable_private_segment 0
		.amdhsa_system_sgpr_workgroup_id_x 1
		.amdhsa_system_sgpr_workgroup_id_y 0
		.amdhsa_system_sgpr_workgroup_id_z 0
		.amdhsa_system_sgpr_workgroup_info 0
		.amdhsa_system_vgpr_workitem_id 1
		.amdhsa_next_free_vgpr 11
		.amdhsa_next_free_sgpr 16
		.amdhsa_reserve_vcc 1
		.amdhsa_float_round_mode_32 0
		.amdhsa_float_round_mode_16_64 0
		.amdhsa_float_denorm_mode_32 3
		.amdhsa_float_denorm_mode_16_64 3
		.amdhsa_dx10_clamp 1
		.amdhsa_ieee_mode 1
		.amdhsa_fp16_overflow 0
		.amdhsa_workgroup_processor_mode 1
		.amdhsa_memory_ordered 1
		.amdhsa_forward_progress 0
		.amdhsa_shared_vgpr_count 0
		.amdhsa_exception_fp_ieee_invalid_op 0
		.amdhsa_exception_fp_denorm_src 0
		.amdhsa_exception_fp_ieee_div_zero 0
		.amdhsa_exception_fp_ieee_overflow 0
		.amdhsa_exception_fp_ieee_underflow 0
		.amdhsa_exception_fp_ieee_inexact 0
		.amdhsa_exception_int_div_zero 0
	.end_amdhsa_kernel
	.section	.text._ZN12_GLOBAL__N_121softmax_warp_backwardIfN3c104HalfEfLi0ELb0ELb0ELi64EEEvPT0_PKT_S7_iiiPKb,"axG",@progbits,_ZN12_GLOBAL__N_121softmax_warp_backwardIfN3c104HalfEfLi0ELb0ELb0ELi64EEEvPT0_PKT_S7_iiiPKb,comdat
.Lfunc_end594:
	.size	_ZN12_GLOBAL__N_121softmax_warp_backwardIfN3c104HalfEfLi0ELb0ELb0ELi64EEEvPT0_PKT_S7_iiiPKb, .Lfunc_end594-_ZN12_GLOBAL__N_121softmax_warp_backwardIfN3c104HalfEfLi0ELb0ELb0ELi64EEEvPT0_PKT_S7_iiiPKb
                                        ; -- End function
	.section	.AMDGPU.csdata,"",@progbits
; Kernel info:
; codeLenInByte = 452
; NumSgprs: 18
; NumVgprs: 11
; ScratchSize: 0
; MemoryBound: 0
; FloatMode: 240
; IeeeMode: 1
; LDSByteSize: 0 bytes/workgroup (compile time only)
; SGPRBlocks: 2
; VGPRBlocks: 1
; NumSGPRsForWavesPerEU: 18
; NumVGPRsForWavesPerEU: 11
; Occupancy: 16
; WaveLimiterHint : 0
; COMPUTE_PGM_RSRC2:SCRATCH_EN: 0
; COMPUTE_PGM_RSRC2:USER_SGPR: 15
; COMPUTE_PGM_RSRC2:TRAP_HANDLER: 0
; COMPUTE_PGM_RSRC2:TGID_X_EN: 1
; COMPUTE_PGM_RSRC2:TGID_Y_EN: 0
; COMPUTE_PGM_RSRC2:TGID_Z_EN: 0
; COMPUTE_PGM_RSRC2:TIDIG_COMP_CNT: 1
	.section	.text._ZN12_GLOBAL__N_121softmax_warp_backwardIfN3c104HalfEfLi0ELb0ELb0ELi32EEEvPT0_PKT_S7_iiiPKb,"axG",@progbits,_ZN12_GLOBAL__N_121softmax_warp_backwardIfN3c104HalfEfLi0ELb0ELb0ELi32EEEvPT0_PKT_S7_iiiPKb,comdat
	.globl	_ZN12_GLOBAL__N_121softmax_warp_backwardIfN3c104HalfEfLi0ELb0ELb0ELi32EEEvPT0_PKT_S7_iiiPKb ; -- Begin function _ZN12_GLOBAL__N_121softmax_warp_backwardIfN3c104HalfEfLi0ELb0ELb0ELi32EEEvPT0_PKT_S7_iiiPKb
	.p2align	8
	.type	_ZN12_GLOBAL__N_121softmax_warp_backwardIfN3c104HalfEfLi0ELb0ELb0ELi32EEEvPT0_PKT_S7_iiiPKb,@function
_ZN12_GLOBAL__N_121softmax_warp_backwardIfN3c104HalfEfLi0ELb0ELb0ELi32EEEvPT0_PKT_S7_iiiPKb: ; @_ZN12_GLOBAL__N_121softmax_warp_backwardIfN3c104HalfEfLi0ELb0ELb0ELi32EEEvPT0_PKT_S7_iiiPKb
; %bb.0:
	s_clause 0x1
	s_load_b32 s2, s[0:1], 0x3c
	s_load_b128 s[4:7], s[0:1], 0x18
	v_bfe_u32 v0, v0, 10, 10
	s_load_b128 s[8:11], s[0:1], 0x0
	v_dual_mov_b32 v7, 0 :: v_dual_mov_b32 v8, 0
	v_mov_b32_e32 v9, 0
	s_waitcnt lgkmcnt(0)
	s_lshr_b32 s2, s2, 16
	s_cmp_gt_i32 s6, 0
	s_mul_i32 s15, s15, s2
	s_load_b64 s[2:3], s[0:1], 0x10
	v_add_lshl_u32 v2, s15, v0, 1
	s_cselect_b32 s1, -1, 0
	s_delay_alu instid0(VALU_DEP_1) | instskip(SKIP_1) | instid1(VALU_DEP_1)
	v_mul_lo_u32 v0, v2, s5
	v_sub_nc_u32_e32 v6, s4, v2
	v_cmp_lt_i32_e32 vcc_lo, 0, v6
	s_delay_alu instid0(VALU_DEP_3) | instskip(NEXT) | instid1(VALU_DEP_1)
	v_ashrrev_i32_e32 v1, 31, v0
	v_lshlrev_b64 v[2:3], 2, v[0:1]
	s_delay_alu instid0(VALU_DEP_1) | instskip(NEXT) | instid1(VALU_DEP_1)
	v_add_co_u32 v4, s0, s10, v2
	v_add_co_ci_u32_e64 v5, s0, s11, v3, s0
	s_waitcnt lgkmcnt(0)
	v_add_co_u32 v2, s0, s2, v2
	s_delay_alu instid0(VALU_DEP_1) | instskip(SKIP_1) | instid1(SALU_CYCLE_1)
	v_add_co_ci_u32_e64 v3, s0, s3, v3, s0
	s_and_b32 s2, s1, vcc_lo
	s_and_saveexec_b32 s0, s2
	s_cbranch_execz .LBB595_2
; %bb.1:
	global_load_b32 v8, v[4:5], off
	global_load_b32 v9, v[2:3], off
.LBB595_2:
	s_or_b32 exec_lo, exec_lo, s0
	v_cmp_lt_i32_e64 s0, 1, v6
	v_mov_b32_e32 v10, 0
	s_mov_b32 s7, 0
	s_delay_alu instid0(VALU_DEP_2) | instskip(NEXT) | instid1(SALU_CYCLE_1)
	s_and_b32 s0, s1, s0
	s_and_saveexec_b32 s2, s0
	s_cbranch_execz .LBB595_4
; %bb.3:
	s_lshl_b64 s[4:5], s[6:7], 2
	s_delay_alu instid0(SALU_CYCLE_1) | instskip(NEXT) | instid1(VALU_DEP_1)
	v_add_co_u32 v4, s0, v4, s4
	v_add_co_ci_u32_e64 v5, s0, s5, v5, s0
	v_add_co_u32 v2, s0, v2, s4
	s_delay_alu instid0(VALU_DEP_1)
	v_add_co_ci_u32_e64 v3, s0, s5, v3, s0
	global_load_b32 v7, v[4:5], off
	global_load_b32 v10, v[2:3], off
.LBB595_4:
	s_or_b32 exec_lo, exec_lo, s2
	s_and_saveexec_b32 s0, vcc_lo
	s_cbranch_execz .LBB595_10
; %bb.5:
	v_lshlrev_b64 v[0:1], 1, v[0:1]
	v_cndmask_b32_e64 v2, 0, 1, s1
	s_delay_alu instid0(VALU_DEP_2) | instskip(NEXT) | instid1(VALU_DEP_3)
	v_add_co_u32 v0, vcc_lo, s8, v0
	v_add_co_ci_u32_e32 v1, vcc_lo, s9, v1, vcc_lo
	s_and_not1_b32 vcc_lo, exec_lo, s1
	s_cbranch_vccnz .LBB595_7
; %bb.6:
	s_waitcnt vmcnt(1)
	v_add_f32_e32 v3, 0, v8
	s_waitcnt vmcnt(0)
	s_delay_alu instid0(VALU_DEP_1)
	v_fma_mixlo_f16 v3, -v3, v9, v8
	global_store_b16 v[0:1], v3, off
.LBB595_7:
	v_cmp_ne_u32_e32 vcc_lo, 1, v6
	s_and_b32 exec_lo, exec_lo, vcc_lo
	s_cbranch_execz .LBB595_10
; %bb.8:
	v_cmp_ne_u32_e32 vcc_lo, 1, v2
	s_cbranch_vccnz .LBB595_10
; %bb.9:
	s_waitcnt vmcnt(1)
	v_add_f32_e32 v2, 0, v7
	s_lshl_b64 s[0:1], s[6:7], 1
	s_delay_alu instid0(SALU_CYCLE_1) | instskip(SKIP_1) | instid1(VALU_DEP_2)
	v_add_co_u32 v0, vcc_lo, v0, s0
	s_waitcnt vmcnt(0)
	v_fma_mixlo_f16 v2, -v2, v10, v7
	v_add_co_ci_u32_e32 v1, vcc_lo, s1, v1, vcc_lo
	global_store_b16 v[0:1], v2, off
.LBB595_10:
	s_nop 0
	s_sendmsg sendmsg(MSG_DEALLOC_VGPRS)
	s_endpgm
	.section	.rodata,"a",@progbits
	.p2align	6, 0x0
	.amdhsa_kernel _ZN12_GLOBAL__N_121softmax_warp_backwardIfN3c104HalfEfLi0ELb0ELb0ELi32EEEvPT0_PKT_S7_iiiPKb
		.amdhsa_group_segment_fixed_size 0
		.amdhsa_private_segment_fixed_size 0
		.amdhsa_kernarg_size 304
		.amdhsa_user_sgpr_count 15
		.amdhsa_user_sgpr_dispatch_ptr 0
		.amdhsa_user_sgpr_queue_ptr 0
		.amdhsa_user_sgpr_kernarg_segment_ptr 1
		.amdhsa_user_sgpr_dispatch_id 0
		.amdhsa_user_sgpr_private_segment_size 0
		.amdhsa_wavefront_size32 1
		.amdhsa_uses_dynamic_stack 0
		.amdhsa_enable_private_segment 0
		.amdhsa_system_sgpr_workgroup_id_x 1
		.amdhsa_system_sgpr_workgroup_id_y 0
		.amdhsa_system_sgpr_workgroup_id_z 0
		.amdhsa_system_sgpr_workgroup_info 0
		.amdhsa_system_vgpr_workitem_id 1
		.amdhsa_next_free_vgpr 11
		.amdhsa_next_free_sgpr 16
		.amdhsa_reserve_vcc 1
		.amdhsa_float_round_mode_32 0
		.amdhsa_float_round_mode_16_64 0
		.amdhsa_float_denorm_mode_32 3
		.amdhsa_float_denorm_mode_16_64 3
		.amdhsa_dx10_clamp 1
		.amdhsa_ieee_mode 1
		.amdhsa_fp16_overflow 0
		.amdhsa_workgroup_processor_mode 1
		.amdhsa_memory_ordered 1
		.amdhsa_forward_progress 0
		.amdhsa_shared_vgpr_count 0
		.amdhsa_exception_fp_ieee_invalid_op 0
		.amdhsa_exception_fp_denorm_src 0
		.amdhsa_exception_fp_ieee_div_zero 0
		.amdhsa_exception_fp_ieee_overflow 0
		.amdhsa_exception_fp_ieee_underflow 0
		.amdhsa_exception_fp_ieee_inexact 0
		.amdhsa_exception_int_div_zero 0
	.end_amdhsa_kernel
	.section	.text._ZN12_GLOBAL__N_121softmax_warp_backwardIfN3c104HalfEfLi0ELb0ELb0ELi32EEEvPT0_PKT_S7_iiiPKb,"axG",@progbits,_ZN12_GLOBAL__N_121softmax_warp_backwardIfN3c104HalfEfLi0ELb0ELb0ELi32EEEvPT0_PKT_S7_iiiPKb,comdat
.Lfunc_end595:
	.size	_ZN12_GLOBAL__N_121softmax_warp_backwardIfN3c104HalfEfLi0ELb0ELb0ELi32EEEvPT0_PKT_S7_iiiPKb, .Lfunc_end595-_ZN12_GLOBAL__N_121softmax_warp_backwardIfN3c104HalfEfLi0ELb0ELb0ELi32EEEvPT0_PKT_S7_iiiPKb
                                        ; -- End function
	.section	.AMDGPU.csdata,"",@progbits
; Kernel info:
; codeLenInByte = 452
; NumSgprs: 18
; NumVgprs: 11
; ScratchSize: 0
; MemoryBound: 0
; FloatMode: 240
; IeeeMode: 1
; LDSByteSize: 0 bytes/workgroup (compile time only)
; SGPRBlocks: 2
; VGPRBlocks: 1
; NumSGPRsForWavesPerEU: 18
; NumVGPRsForWavesPerEU: 11
; Occupancy: 16
; WaveLimiterHint : 0
; COMPUTE_PGM_RSRC2:SCRATCH_EN: 0
; COMPUTE_PGM_RSRC2:USER_SGPR: 15
; COMPUTE_PGM_RSRC2:TRAP_HANDLER: 0
; COMPUTE_PGM_RSRC2:TGID_X_EN: 1
; COMPUTE_PGM_RSRC2:TGID_Y_EN: 0
; COMPUTE_PGM_RSRC2:TGID_Z_EN: 0
; COMPUTE_PGM_RSRC2:TIDIG_COMP_CNT: 1
	.section	.text._ZN12_GLOBAL__N_121softmax_warp_backwardIfN3c104HalfEfLi1ELb0ELb0ELi64EEEvPT0_PKT_S7_iiiPKb,"axG",@progbits,_ZN12_GLOBAL__N_121softmax_warp_backwardIfN3c104HalfEfLi1ELb0ELb0ELi64EEEvPT0_PKT_S7_iiiPKb,comdat
	.globl	_ZN12_GLOBAL__N_121softmax_warp_backwardIfN3c104HalfEfLi1ELb0ELb0ELi64EEEvPT0_PKT_S7_iiiPKb ; -- Begin function _ZN12_GLOBAL__N_121softmax_warp_backwardIfN3c104HalfEfLi1ELb0ELb0ELi64EEEvPT0_PKT_S7_iiiPKb
	.p2align	8
	.type	_ZN12_GLOBAL__N_121softmax_warp_backwardIfN3c104HalfEfLi1ELb0ELb0ELi64EEEvPT0_PKT_S7_iiiPKb,@function
_ZN12_GLOBAL__N_121softmax_warp_backwardIfN3c104HalfEfLi1ELb0ELb0ELi64EEEvPT0_PKT_S7_iiiPKb: ; @_ZN12_GLOBAL__N_121softmax_warp_backwardIfN3c104HalfEfLi1ELb0ELb0ELi64EEEvPT0_PKT_S7_iiiPKb
; %bb.0:
	s_clause 0x1
	s_load_b32 s2, s[0:1], 0x3c
	s_load_b128 s[4:7], s[0:1], 0x18
	v_bfe_u32 v1, v0, 10, 10
	v_dual_mov_b32 v7, 0 :: v_dual_and_b32 v4, 1, v0
	v_dual_mov_b32 v8, 0 :: v_dual_mov_b32 v9, 0
	s_waitcnt lgkmcnt(0)
	s_lshr_b32 s2, s2, 16
	s_delay_alu instid0(VALU_DEP_2)
	v_cmp_gt_i32_e32 vcc_lo, s6, v4
	s_mul_i32 s15, s15, s2
	s_clause 0x1
	s_load_b128 s[8:11], s[0:1], 0x0
	s_load_b64 s[2:3], s[0:1], 0x10
	v_add_lshl_u32 v2, s15, v1, 1
	s_delay_alu instid0(VALU_DEP_1) | instskip(SKIP_1) | instid1(VALU_DEP_1)
	v_mul_lo_u32 v1, v2, s5
	v_sub_nc_u32_e32 v6, s4, v2
	v_cmp_lt_i32_e64 s0, 0, v6
	s_delay_alu instid0(VALU_DEP_3) | instskip(NEXT) | instid1(VALU_DEP_1)
	v_or_b32_e32 v0, v1, v4
	v_ashrrev_i32_e32 v1, 31, v0
	s_delay_alu instid0(VALU_DEP_1) | instskip(SKIP_1) | instid1(VALU_DEP_1)
	v_lshlrev_b64 v[2:3], 2, v[0:1]
	s_waitcnt lgkmcnt(0)
	v_add_co_u32 v4, s1, s10, v2
	s_delay_alu instid0(VALU_DEP_1) | instskip(SKIP_1) | instid1(VALU_DEP_1)
	v_add_co_ci_u32_e64 v5, s1, s11, v3, s1
	v_add_co_u32 v2, s1, s2, v2
	v_add_co_ci_u32_e64 v3, s1, s3, v3, s1
	s_and_b32 s2, vcc_lo, s0
	s_delay_alu instid0(SALU_CYCLE_1)
	s_and_saveexec_b32 s1, s2
	s_cbranch_execz .LBB596_2
; %bb.1:
	global_load_b32 v8, v[4:5], off
	global_load_b32 v9, v[2:3], off
.LBB596_2:
	s_or_b32 exec_lo, exec_lo, s1
	v_cmp_lt_i32_e64 s1, 1, v6
	v_mov_b32_e32 v10, 0
	s_mov_b32 s7, 0
	s_delay_alu instid0(VALU_DEP_2) | instskip(NEXT) | instid1(SALU_CYCLE_1)
	s_and_b32 s1, vcc_lo, s1
	s_and_saveexec_b32 s2, s1
	s_cbranch_execz .LBB596_4
; %bb.3:
	s_lshl_b64 s[4:5], s[6:7], 2
	s_delay_alu instid0(SALU_CYCLE_1) | instskip(NEXT) | instid1(VALU_DEP_1)
	v_add_co_u32 v4, s1, v4, s4
	v_add_co_ci_u32_e64 v5, s1, s5, v5, s1
	v_add_co_u32 v2, s1, v2, s4
	s_delay_alu instid0(VALU_DEP_1)
	v_add_co_ci_u32_e64 v3, s1, s5, v3, s1
	global_load_b32 v7, v[4:5], off
	global_load_b32 v10, v[2:3], off
.LBB596_4:
	s_or_b32 exec_lo, exec_lo, s2
	v_mbcnt_lo_u32_b32 v2, -1, 0
	s_delay_alu instid0(VALU_DEP_1) | instskip(SKIP_1) | instid1(VALU_DEP_2)
	v_and_b32_e32 v3, 30, v2
	v_xor_b32_e32 v4, 1, v2
	v_add_nc_u32_e32 v3, 2, v3
	s_delay_alu instid0(VALU_DEP_1) | instskip(NEXT) | instid1(VALU_DEP_1)
	v_cmp_lt_i32_e64 s1, v4, v3
	v_cndmask_b32_e64 v2, v2, v4, s1
	s_waitcnt vmcnt(1)
	s_delay_alu instid0(VALU_DEP_1)
	v_dual_add_f32 v4, 0, v8 :: v_dual_lshlrev_b32 v3, 2, v2
	v_add_f32_e32 v2, 0, v7
	ds_bpermute_b32 v5, v3, v4
	ds_bpermute_b32 v3, v3, v2
	s_and_saveexec_b32 s1, s0
	s_cbranch_execz .LBB596_10
; %bb.5:
	v_lshlrev_b64 v[0:1], 1, v[0:1]
	s_delay_alu instid0(VALU_DEP_1) | instskip(NEXT) | instid1(VALU_DEP_1)
	v_add_co_u32 v0, s0, s8, v0
	v_add_co_ci_u32_e64 v1, s0, s9, v1, s0
	s_and_saveexec_b32 s0, vcc_lo
	s_cbranch_execz .LBB596_7
; %bb.6:
	s_waitcnt lgkmcnt(1)
	v_add_f32_e32 v4, v4, v5
	s_waitcnt vmcnt(0)
	s_delay_alu instid0(VALU_DEP_1)
	v_fma_mixlo_f16 v4, -v4, v9, v8
	global_store_b16 v[0:1], v4, off
.LBB596_7:
	s_or_b32 exec_lo, exec_lo, s0
	v_cmp_ne_u32_e64 s0, 1, v6
	s_delay_alu instid0(VALU_DEP_1)
	s_and_b32 exec_lo, exec_lo, s0
	s_cbranch_execz .LBB596_10
; %bb.8:
	s_and_b32 exec_lo, exec_lo, vcc_lo
	s_cbranch_execz .LBB596_10
; %bb.9:
	s_waitcnt lgkmcnt(0)
	v_add_f32_e32 v2, v2, v3
	s_lshl_b64 s[0:1], s[6:7], 1
	s_delay_alu instid0(SALU_CYCLE_1) | instskip(SKIP_1) | instid1(VALU_DEP_2)
	v_add_co_u32 v0, vcc_lo, v0, s0
	s_waitcnt vmcnt(0)
	v_fma_mixlo_f16 v2, -v2, v10, v7
	v_add_co_ci_u32_e32 v1, vcc_lo, s1, v1, vcc_lo
	global_store_b16 v[0:1], v2, off
.LBB596_10:
	s_nop 0
	s_sendmsg sendmsg(MSG_DEALLOC_VGPRS)
	s_endpgm
	.section	.rodata,"a",@progbits
	.p2align	6, 0x0
	.amdhsa_kernel _ZN12_GLOBAL__N_121softmax_warp_backwardIfN3c104HalfEfLi1ELb0ELb0ELi64EEEvPT0_PKT_S7_iiiPKb
		.amdhsa_group_segment_fixed_size 0
		.amdhsa_private_segment_fixed_size 0
		.amdhsa_kernarg_size 304
		.amdhsa_user_sgpr_count 15
		.amdhsa_user_sgpr_dispatch_ptr 0
		.amdhsa_user_sgpr_queue_ptr 0
		.amdhsa_user_sgpr_kernarg_segment_ptr 1
		.amdhsa_user_sgpr_dispatch_id 0
		.amdhsa_user_sgpr_private_segment_size 0
		.amdhsa_wavefront_size32 1
		.amdhsa_uses_dynamic_stack 0
		.amdhsa_enable_private_segment 0
		.amdhsa_system_sgpr_workgroup_id_x 1
		.amdhsa_system_sgpr_workgroup_id_y 0
		.amdhsa_system_sgpr_workgroup_id_z 0
		.amdhsa_system_sgpr_workgroup_info 0
		.amdhsa_system_vgpr_workitem_id 1
		.amdhsa_next_free_vgpr 11
		.amdhsa_next_free_sgpr 16
		.amdhsa_reserve_vcc 1
		.amdhsa_float_round_mode_32 0
		.amdhsa_float_round_mode_16_64 0
		.amdhsa_float_denorm_mode_32 3
		.amdhsa_float_denorm_mode_16_64 3
		.amdhsa_dx10_clamp 1
		.amdhsa_ieee_mode 1
		.amdhsa_fp16_overflow 0
		.amdhsa_workgroup_processor_mode 1
		.amdhsa_memory_ordered 1
		.amdhsa_forward_progress 0
		.amdhsa_shared_vgpr_count 0
		.amdhsa_exception_fp_ieee_invalid_op 0
		.amdhsa_exception_fp_denorm_src 0
		.amdhsa_exception_fp_ieee_div_zero 0
		.amdhsa_exception_fp_ieee_overflow 0
		.amdhsa_exception_fp_ieee_underflow 0
		.amdhsa_exception_fp_ieee_inexact 0
		.amdhsa_exception_int_div_zero 0
	.end_amdhsa_kernel
	.section	.text._ZN12_GLOBAL__N_121softmax_warp_backwardIfN3c104HalfEfLi1ELb0ELb0ELi64EEEvPT0_PKT_S7_iiiPKb,"axG",@progbits,_ZN12_GLOBAL__N_121softmax_warp_backwardIfN3c104HalfEfLi1ELb0ELb0ELi64EEEvPT0_PKT_S7_iiiPKb,comdat
.Lfunc_end596:
	.size	_ZN12_GLOBAL__N_121softmax_warp_backwardIfN3c104HalfEfLi1ELb0ELb0ELi64EEEvPT0_PKT_S7_iiiPKb, .Lfunc_end596-_ZN12_GLOBAL__N_121softmax_warp_backwardIfN3c104HalfEfLi1ELb0ELb0ELi64EEEvPT0_PKT_S7_iiiPKb
                                        ; -- End function
	.section	.AMDGPU.csdata,"",@progbits
; Kernel info:
; codeLenInByte = 560
; NumSgprs: 18
; NumVgprs: 11
; ScratchSize: 0
; MemoryBound: 0
; FloatMode: 240
; IeeeMode: 1
; LDSByteSize: 0 bytes/workgroup (compile time only)
; SGPRBlocks: 2
; VGPRBlocks: 1
; NumSGPRsForWavesPerEU: 18
; NumVGPRsForWavesPerEU: 11
; Occupancy: 16
; WaveLimiterHint : 0
; COMPUTE_PGM_RSRC2:SCRATCH_EN: 0
; COMPUTE_PGM_RSRC2:USER_SGPR: 15
; COMPUTE_PGM_RSRC2:TRAP_HANDLER: 0
; COMPUTE_PGM_RSRC2:TGID_X_EN: 1
; COMPUTE_PGM_RSRC2:TGID_Y_EN: 0
; COMPUTE_PGM_RSRC2:TGID_Z_EN: 0
; COMPUTE_PGM_RSRC2:TIDIG_COMP_CNT: 1
	.section	.text._ZN12_GLOBAL__N_121softmax_warp_backwardIfN3c104HalfEfLi1ELb0ELb0ELi32EEEvPT0_PKT_S7_iiiPKb,"axG",@progbits,_ZN12_GLOBAL__N_121softmax_warp_backwardIfN3c104HalfEfLi1ELb0ELb0ELi32EEEvPT0_PKT_S7_iiiPKb,comdat
	.globl	_ZN12_GLOBAL__N_121softmax_warp_backwardIfN3c104HalfEfLi1ELb0ELb0ELi32EEEvPT0_PKT_S7_iiiPKb ; -- Begin function _ZN12_GLOBAL__N_121softmax_warp_backwardIfN3c104HalfEfLi1ELb0ELb0ELi32EEEvPT0_PKT_S7_iiiPKb
	.p2align	8
	.type	_ZN12_GLOBAL__N_121softmax_warp_backwardIfN3c104HalfEfLi1ELb0ELb0ELi32EEEvPT0_PKT_S7_iiiPKb,@function
_ZN12_GLOBAL__N_121softmax_warp_backwardIfN3c104HalfEfLi1ELb0ELb0ELi32EEEvPT0_PKT_S7_iiiPKb: ; @_ZN12_GLOBAL__N_121softmax_warp_backwardIfN3c104HalfEfLi1ELb0ELb0ELi32EEEvPT0_PKT_S7_iiiPKb
; %bb.0:
	s_clause 0x1
	s_load_b32 s2, s[0:1], 0x3c
	s_load_b128 s[4:7], s[0:1], 0x18
	v_bfe_u32 v1, v0, 10, 10
	v_dual_mov_b32 v7, 0 :: v_dual_and_b32 v4, 1, v0
	v_dual_mov_b32 v8, 0 :: v_dual_mov_b32 v9, 0
	s_waitcnt lgkmcnt(0)
	s_lshr_b32 s2, s2, 16
	s_delay_alu instid0(VALU_DEP_2)
	v_cmp_gt_i32_e32 vcc_lo, s6, v4
	s_mul_i32 s15, s15, s2
	s_clause 0x1
	s_load_b128 s[8:11], s[0:1], 0x0
	s_load_b64 s[2:3], s[0:1], 0x10
	v_add_lshl_u32 v2, s15, v1, 1
	s_delay_alu instid0(VALU_DEP_1) | instskip(SKIP_1) | instid1(VALU_DEP_1)
	v_mul_lo_u32 v1, v2, s5
	v_sub_nc_u32_e32 v6, s4, v2
	v_cmp_lt_i32_e64 s0, 0, v6
	s_delay_alu instid0(VALU_DEP_3) | instskip(NEXT) | instid1(VALU_DEP_1)
	v_or_b32_e32 v0, v1, v4
	v_ashrrev_i32_e32 v1, 31, v0
	s_delay_alu instid0(VALU_DEP_1) | instskip(SKIP_1) | instid1(VALU_DEP_1)
	v_lshlrev_b64 v[2:3], 2, v[0:1]
	s_waitcnt lgkmcnt(0)
	v_add_co_u32 v4, s1, s10, v2
	s_delay_alu instid0(VALU_DEP_1) | instskip(SKIP_1) | instid1(VALU_DEP_1)
	v_add_co_ci_u32_e64 v5, s1, s11, v3, s1
	v_add_co_u32 v2, s1, s2, v2
	v_add_co_ci_u32_e64 v3, s1, s3, v3, s1
	s_and_b32 s2, vcc_lo, s0
	s_delay_alu instid0(SALU_CYCLE_1)
	s_and_saveexec_b32 s1, s2
	s_cbranch_execz .LBB597_2
; %bb.1:
	global_load_b32 v8, v[4:5], off
	global_load_b32 v9, v[2:3], off
.LBB597_2:
	s_or_b32 exec_lo, exec_lo, s1
	v_cmp_lt_i32_e64 s1, 1, v6
	v_mov_b32_e32 v10, 0
	s_mov_b32 s7, 0
	s_delay_alu instid0(VALU_DEP_2) | instskip(NEXT) | instid1(SALU_CYCLE_1)
	s_and_b32 s1, vcc_lo, s1
	s_and_saveexec_b32 s2, s1
	s_cbranch_execz .LBB597_4
; %bb.3:
	s_lshl_b64 s[4:5], s[6:7], 2
	s_delay_alu instid0(SALU_CYCLE_1) | instskip(NEXT) | instid1(VALU_DEP_1)
	v_add_co_u32 v4, s1, v4, s4
	v_add_co_ci_u32_e64 v5, s1, s5, v5, s1
	v_add_co_u32 v2, s1, v2, s4
	s_delay_alu instid0(VALU_DEP_1)
	v_add_co_ci_u32_e64 v3, s1, s5, v3, s1
	global_load_b32 v7, v[4:5], off
	global_load_b32 v10, v[2:3], off
.LBB597_4:
	s_or_b32 exec_lo, exec_lo, s2
	v_mbcnt_lo_u32_b32 v2, -1, 0
	s_delay_alu instid0(VALU_DEP_1) | instskip(SKIP_1) | instid1(VALU_DEP_2)
	v_and_b32_e32 v3, 30, v2
	v_xor_b32_e32 v4, 1, v2
	v_add_nc_u32_e32 v3, 2, v3
	s_delay_alu instid0(VALU_DEP_1) | instskip(NEXT) | instid1(VALU_DEP_1)
	v_cmp_lt_i32_e64 s1, v4, v3
	v_cndmask_b32_e64 v2, v2, v4, s1
	s_waitcnt vmcnt(1)
	s_delay_alu instid0(VALU_DEP_1)
	v_dual_add_f32 v4, 0, v8 :: v_dual_lshlrev_b32 v3, 2, v2
	v_add_f32_e32 v2, 0, v7
	ds_bpermute_b32 v5, v3, v4
	ds_bpermute_b32 v3, v3, v2
	s_and_saveexec_b32 s1, s0
	s_cbranch_execz .LBB597_10
; %bb.5:
	v_lshlrev_b64 v[0:1], 1, v[0:1]
	s_delay_alu instid0(VALU_DEP_1) | instskip(NEXT) | instid1(VALU_DEP_1)
	v_add_co_u32 v0, s0, s8, v0
	v_add_co_ci_u32_e64 v1, s0, s9, v1, s0
	s_and_saveexec_b32 s0, vcc_lo
	s_cbranch_execz .LBB597_7
; %bb.6:
	s_waitcnt lgkmcnt(1)
	v_add_f32_e32 v4, v4, v5
	s_waitcnt vmcnt(0)
	s_delay_alu instid0(VALU_DEP_1)
	v_fma_mixlo_f16 v4, -v4, v9, v8
	global_store_b16 v[0:1], v4, off
.LBB597_7:
	s_or_b32 exec_lo, exec_lo, s0
	v_cmp_ne_u32_e64 s0, 1, v6
	s_delay_alu instid0(VALU_DEP_1)
	s_and_b32 exec_lo, exec_lo, s0
	s_cbranch_execz .LBB597_10
; %bb.8:
	s_and_b32 exec_lo, exec_lo, vcc_lo
	s_cbranch_execz .LBB597_10
; %bb.9:
	s_waitcnt lgkmcnt(0)
	v_add_f32_e32 v2, v2, v3
	s_lshl_b64 s[0:1], s[6:7], 1
	s_delay_alu instid0(SALU_CYCLE_1) | instskip(SKIP_1) | instid1(VALU_DEP_2)
	v_add_co_u32 v0, vcc_lo, v0, s0
	s_waitcnt vmcnt(0)
	v_fma_mixlo_f16 v2, -v2, v10, v7
	v_add_co_ci_u32_e32 v1, vcc_lo, s1, v1, vcc_lo
	global_store_b16 v[0:1], v2, off
.LBB597_10:
	s_nop 0
	s_sendmsg sendmsg(MSG_DEALLOC_VGPRS)
	s_endpgm
	.section	.rodata,"a",@progbits
	.p2align	6, 0x0
	.amdhsa_kernel _ZN12_GLOBAL__N_121softmax_warp_backwardIfN3c104HalfEfLi1ELb0ELb0ELi32EEEvPT0_PKT_S7_iiiPKb
		.amdhsa_group_segment_fixed_size 0
		.amdhsa_private_segment_fixed_size 0
		.amdhsa_kernarg_size 304
		.amdhsa_user_sgpr_count 15
		.amdhsa_user_sgpr_dispatch_ptr 0
		.amdhsa_user_sgpr_queue_ptr 0
		.amdhsa_user_sgpr_kernarg_segment_ptr 1
		.amdhsa_user_sgpr_dispatch_id 0
		.amdhsa_user_sgpr_private_segment_size 0
		.amdhsa_wavefront_size32 1
		.amdhsa_uses_dynamic_stack 0
		.amdhsa_enable_private_segment 0
		.amdhsa_system_sgpr_workgroup_id_x 1
		.amdhsa_system_sgpr_workgroup_id_y 0
		.amdhsa_system_sgpr_workgroup_id_z 0
		.amdhsa_system_sgpr_workgroup_info 0
		.amdhsa_system_vgpr_workitem_id 1
		.amdhsa_next_free_vgpr 11
		.amdhsa_next_free_sgpr 16
		.amdhsa_reserve_vcc 1
		.amdhsa_float_round_mode_32 0
		.amdhsa_float_round_mode_16_64 0
		.amdhsa_float_denorm_mode_32 3
		.amdhsa_float_denorm_mode_16_64 3
		.amdhsa_dx10_clamp 1
		.amdhsa_ieee_mode 1
		.amdhsa_fp16_overflow 0
		.amdhsa_workgroup_processor_mode 1
		.amdhsa_memory_ordered 1
		.amdhsa_forward_progress 0
		.amdhsa_shared_vgpr_count 0
		.amdhsa_exception_fp_ieee_invalid_op 0
		.amdhsa_exception_fp_denorm_src 0
		.amdhsa_exception_fp_ieee_div_zero 0
		.amdhsa_exception_fp_ieee_overflow 0
		.amdhsa_exception_fp_ieee_underflow 0
		.amdhsa_exception_fp_ieee_inexact 0
		.amdhsa_exception_int_div_zero 0
	.end_amdhsa_kernel
	.section	.text._ZN12_GLOBAL__N_121softmax_warp_backwardIfN3c104HalfEfLi1ELb0ELb0ELi32EEEvPT0_PKT_S7_iiiPKb,"axG",@progbits,_ZN12_GLOBAL__N_121softmax_warp_backwardIfN3c104HalfEfLi1ELb0ELb0ELi32EEEvPT0_PKT_S7_iiiPKb,comdat
.Lfunc_end597:
	.size	_ZN12_GLOBAL__N_121softmax_warp_backwardIfN3c104HalfEfLi1ELb0ELb0ELi32EEEvPT0_PKT_S7_iiiPKb, .Lfunc_end597-_ZN12_GLOBAL__N_121softmax_warp_backwardIfN3c104HalfEfLi1ELb0ELb0ELi32EEEvPT0_PKT_S7_iiiPKb
                                        ; -- End function
	.section	.AMDGPU.csdata,"",@progbits
; Kernel info:
; codeLenInByte = 560
; NumSgprs: 18
; NumVgprs: 11
; ScratchSize: 0
; MemoryBound: 0
; FloatMode: 240
; IeeeMode: 1
; LDSByteSize: 0 bytes/workgroup (compile time only)
; SGPRBlocks: 2
; VGPRBlocks: 1
; NumSGPRsForWavesPerEU: 18
; NumVGPRsForWavesPerEU: 11
; Occupancy: 16
; WaveLimiterHint : 0
; COMPUTE_PGM_RSRC2:SCRATCH_EN: 0
; COMPUTE_PGM_RSRC2:USER_SGPR: 15
; COMPUTE_PGM_RSRC2:TRAP_HANDLER: 0
; COMPUTE_PGM_RSRC2:TGID_X_EN: 1
; COMPUTE_PGM_RSRC2:TGID_Y_EN: 0
; COMPUTE_PGM_RSRC2:TGID_Z_EN: 0
; COMPUTE_PGM_RSRC2:TIDIG_COMP_CNT: 1
	.section	.text._ZN12_GLOBAL__N_121softmax_warp_backwardIfN3c104HalfEfLi2ELb0ELb0ELi64EEEvPT0_PKT_S7_iiiPKb,"axG",@progbits,_ZN12_GLOBAL__N_121softmax_warp_backwardIfN3c104HalfEfLi2ELb0ELb0ELi64EEEvPT0_PKT_S7_iiiPKb,comdat
	.globl	_ZN12_GLOBAL__N_121softmax_warp_backwardIfN3c104HalfEfLi2ELb0ELb0ELi64EEEvPT0_PKT_S7_iiiPKb ; -- Begin function _ZN12_GLOBAL__N_121softmax_warp_backwardIfN3c104HalfEfLi2ELb0ELb0ELi64EEEvPT0_PKT_S7_iiiPKb
	.p2align	8
	.type	_ZN12_GLOBAL__N_121softmax_warp_backwardIfN3c104HalfEfLi2ELb0ELb0ELi64EEEvPT0_PKT_S7_iiiPKb,@function
_ZN12_GLOBAL__N_121softmax_warp_backwardIfN3c104HalfEfLi2ELb0ELb0ELi64EEEvPT0_PKT_S7_iiiPKb: ; @_ZN12_GLOBAL__N_121softmax_warp_backwardIfN3c104HalfEfLi2ELb0ELb0ELi64EEEvPT0_PKT_S7_iiiPKb
; %bb.0:
	s_clause 0x1
	s_load_b32 s2, s[0:1], 0x3c
	s_load_b128 s[4:7], s[0:1], 0x18
	v_bfe_u32 v1, v0, 10, 10
	v_dual_mov_b32 v7, 0 :: v_dual_and_b32 v2, 3, v0
	s_load_b128 s[8:11], s[0:1], 0x0
	v_mov_b32_e32 v8, 0
	s_waitcnt lgkmcnt(0)
	s_lshr_b32 s2, s2, 16
	v_cmp_gt_i32_e32 vcc_lo, s6, v2
	s_mul_i32 s15, s15, s2
	s_load_b64 s[2:3], s[0:1], 0x10
	v_add_lshl_u32 v3, s15, v1, 1
	s_delay_alu instid0(VALU_DEP_1) | instskip(SKIP_1) | instid1(VALU_DEP_1)
	v_mad_u64_u32 v[0:1], null, v3, s5, v[2:3]
	v_sub_nc_u32_e32 v6, s4, v3
	v_cmp_lt_i32_e64 s0, 0, v6
	s_delay_alu instid0(VALU_DEP_3) | instskip(NEXT) | instid1(VALU_DEP_1)
	v_ashrrev_i32_e32 v1, 31, v0
	v_lshlrev_b64 v[9:10], 2, v[0:1]
	s_delay_alu instid0(VALU_DEP_1) | instskip(NEXT) | instid1(VALU_DEP_1)
	v_add_co_u32 v4, s1, s10, v9
	v_add_co_ci_u32_e64 v5, s1, s11, v10, s1
	s_waitcnt lgkmcnt(0)
	v_add_co_u32 v2, s1, s2, v9
	v_mov_b32_e32 v9, 0
	v_add_co_ci_u32_e64 v3, s1, s3, v10, s1
	s_and_b32 s2, vcc_lo, s0
	s_delay_alu instid0(SALU_CYCLE_1)
	s_and_saveexec_b32 s1, s2
	s_cbranch_execz .LBB598_2
; %bb.1:
	global_load_b32 v8, v[4:5], off
	global_load_b32 v9, v[2:3], off
.LBB598_2:
	s_or_b32 exec_lo, exec_lo, s1
	v_cmp_lt_i32_e64 s1, 1, v6
	v_mov_b32_e32 v10, 0
	s_mov_b32 s7, 0
	s_delay_alu instid0(VALU_DEP_2) | instskip(NEXT) | instid1(SALU_CYCLE_1)
	s_and_b32 s1, vcc_lo, s1
	s_and_saveexec_b32 s2, s1
	s_cbranch_execz .LBB598_4
; %bb.3:
	s_lshl_b64 s[4:5], s[6:7], 2
	s_delay_alu instid0(SALU_CYCLE_1) | instskip(NEXT) | instid1(VALU_DEP_1)
	v_add_co_u32 v4, s1, v4, s4
	v_add_co_ci_u32_e64 v5, s1, s5, v5, s1
	v_add_co_u32 v2, s1, v2, s4
	s_delay_alu instid0(VALU_DEP_1)
	v_add_co_ci_u32_e64 v3, s1, s5, v3, s1
	global_load_b32 v7, v[4:5], off
	global_load_b32 v10, v[2:3], off
.LBB598_4:
	s_or_b32 exec_lo, exec_lo, s2
	v_mbcnt_lo_u32_b32 v2, -1, 0
	s_waitcnt vmcnt(1)
	v_add_f32_e32 v5, 0, v8
	v_add_f32_e32 v11, 0, v7
	s_delay_alu instid0(VALU_DEP_3) | instskip(SKIP_1) | instid1(VALU_DEP_2)
	v_and_b32_e32 v3, 28, v2
	v_xor_b32_e32 v4, 2, v2
	v_add_nc_u32_e32 v3, 4, v3
	s_delay_alu instid0(VALU_DEP_1) | instskip(NEXT) | instid1(VALU_DEP_1)
	v_cmp_lt_i32_e64 s1, v4, v3
	v_cndmask_b32_e64 v4, v2, v4, s1
	s_delay_alu instid0(VALU_DEP_1) | instskip(SKIP_3) | instid1(VALU_DEP_1)
	v_lshlrev_b32_e32 v4, 2, v4
	ds_bpermute_b32 v12, v4, v5
	ds_bpermute_b32 v13, v4, v11
	v_xor_b32_e32 v4, 1, v2
	v_cmp_lt_i32_e64 s1, v4, v3
	s_delay_alu instid0(VALU_DEP_1) | instskip(SKIP_1) | instid1(VALU_DEP_1)
	v_cndmask_b32_e64 v2, v2, v4, s1
	s_waitcnt lgkmcnt(1)
	v_dual_add_f32 v4, v5, v12 :: v_dual_lshlrev_b32 v3, 2, v2
	s_waitcnt lgkmcnt(0)
	v_add_f32_e32 v2, v11, v13
	ds_bpermute_b32 v5, v3, v4
	ds_bpermute_b32 v3, v3, v2
	s_and_saveexec_b32 s1, s0
	s_cbranch_execz .LBB598_10
; %bb.5:
	v_lshlrev_b64 v[0:1], 1, v[0:1]
	s_delay_alu instid0(VALU_DEP_1) | instskip(NEXT) | instid1(VALU_DEP_1)
	v_add_co_u32 v0, s0, s8, v0
	v_add_co_ci_u32_e64 v1, s0, s9, v1, s0
	s_and_saveexec_b32 s0, vcc_lo
	s_cbranch_execz .LBB598_7
; %bb.6:
	s_waitcnt lgkmcnt(1)
	v_add_f32_e32 v4, v4, v5
	s_waitcnt vmcnt(0)
	s_delay_alu instid0(VALU_DEP_1)
	v_fma_mixlo_f16 v4, -v4, v9, v8
	global_store_b16 v[0:1], v4, off
.LBB598_7:
	s_or_b32 exec_lo, exec_lo, s0
	v_cmp_ne_u32_e64 s0, 1, v6
	s_delay_alu instid0(VALU_DEP_1)
	s_and_b32 exec_lo, exec_lo, s0
	s_cbranch_execz .LBB598_10
; %bb.8:
	s_and_b32 exec_lo, exec_lo, vcc_lo
	s_cbranch_execz .LBB598_10
; %bb.9:
	s_waitcnt lgkmcnt(0)
	v_add_f32_e32 v2, v2, v3
	s_lshl_b64 s[0:1], s[6:7], 1
	s_delay_alu instid0(SALU_CYCLE_1) | instskip(SKIP_1) | instid1(VALU_DEP_2)
	v_add_co_u32 v0, vcc_lo, v0, s0
	s_waitcnt vmcnt(0)
	v_fma_mixlo_f16 v2, -v2, v10, v7
	v_add_co_ci_u32_e32 v1, vcc_lo, s1, v1, vcc_lo
	global_store_b16 v[0:1], v2, off
.LBB598_10:
	s_nop 0
	s_sendmsg sendmsg(MSG_DEALLOC_VGPRS)
	s_endpgm
	.section	.rodata,"a",@progbits
	.p2align	6, 0x0
	.amdhsa_kernel _ZN12_GLOBAL__N_121softmax_warp_backwardIfN3c104HalfEfLi2ELb0ELb0ELi64EEEvPT0_PKT_S7_iiiPKb
		.amdhsa_group_segment_fixed_size 0
		.amdhsa_private_segment_fixed_size 0
		.amdhsa_kernarg_size 304
		.amdhsa_user_sgpr_count 15
		.amdhsa_user_sgpr_dispatch_ptr 0
		.amdhsa_user_sgpr_queue_ptr 0
		.amdhsa_user_sgpr_kernarg_segment_ptr 1
		.amdhsa_user_sgpr_dispatch_id 0
		.amdhsa_user_sgpr_private_segment_size 0
		.amdhsa_wavefront_size32 1
		.amdhsa_uses_dynamic_stack 0
		.amdhsa_enable_private_segment 0
		.amdhsa_system_sgpr_workgroup_id_x 1
		.amdhsa_system_sgpr_workgroup_id_y 0
		.amdhsa_system_sgpr_workgroup_id_z 0
		.amdhsa_system_sgpr_workgroup_info 0
		.amdhsa_system_vgpr_workitem_id 1
		.amdhsa_next_free_vgpr 14
		.amdhsa_next_free_sgpr 16
		.amdhsa_reserve_vcc 1
		.amdhsa_float_round_mode_32 0
		.amdhsa_float_round_mode_16_64 0
		.amdhsa_float_denorm_mode_32 3
		.amdhsa_float_denorm_mode_16_64 3
		.amdhsa_dx10_clamp 1
		.amdhsa_ieee_mode 1
		.amdhsa_fp16_overflow 0
		.amdhsa_workgroup_processor_mode 1
		.amdhsa_memory_ordered 1
		.amdhsa_forward_progress 0
		.amdhsa_shared_vgpr_count 0
		.amdhsa_exception_fp_ieee_invalid_op 0
		.amdhsa_exception_fp_denorm_src 0
		.amdhsa_exception_fp_ieee_div_zero 0
		.amdhsa_exception_fp_ieee_overflow 0
		.amdhsa_exception_fp_ieee_underflow 0
		.amdhsa_exception_fp_ieee_inexact 0
		.amdhsa_exception_int_div_zero 0
	.end_amdhsa_kernel
	.section	.text._ZN12_GLOBAL__N_121softmax_warp_backwardIfN3c104HalfEfLi2ELb0ELb0ELi64EEEvPT0_PKT_S7_iiiPKb,"axG",@progbits,_ZN12_GLOBAL__N_121softmax_warp_backwardIfN3c104HalfEfLi2ELb0ELb0ELi64EEEvPT0_PKT_S7_iiiPKb,comdat
.Lfunc_end598:
	.size	_ZN12_GLOBAL__N_121softmax_warp_backwardIfN3c104HalfEfLi2ELb0ELb0ELi64EEEvPT0_PKT_S7_iiiPKb, .Lfunc_end598-_ZN12_GLOBAL__N_121softmax_warp_backwardIfN3c104HalfEfLi2ELb0ELb0ELi64EEEvPT0_PKT_S7_iiiPKb
                                        ; -- End function
	.section	.AMDGPU.csdata,"",@progbits
; Kernel info:
; codeLenInByte = 604
; NumSgprs: 18
; NumVgprs: 14
; ScratchSize: 0
; MemoryBound: 0
; FloatMode: 240
; IeeeMode: 1
; LDSByteSize: 0 bytes/workgroup (compile time only)
; SGPRBlocks: 2
; VGPRBlocks: 1
; NumSGPRsForWavesPerEU: 18
; NumVGPRsForWavesPerEU: 14
; Occupancy: 16
; WaveLimiterHint : 0
; COMPUTE_PGM_RSRC2:SCRATCH_EN: 0
; COMPUTE_PGM_RSRC2:USER_SGPR: 15
; COMPUTE_PGM_RSRC2:TRAP_HANDLER: 0
; COMPUTE_PGM_RSRC2:TGID_X_EN: 1
; COMPUTE_PGM_RSRC2:TGID_Y_EN: 0
; COMPUTE_PGM_RSRC2:TGID_Z_EN: 0
; COMPUTE_PGM_RSRC2:TIDIG_COMP_CNT: 1
	.section	.text._ZN12_GLOBAL__N_121softmax_warp_backwardIfN3c104HalfEfLi2ELb0ELb0ELi32EEEvPT0_PKT_S7_iiiPKb,"axG",@progbits,_ZN12_GLOBAL__N_121softmax_warp_backwardIfN3c104HalfEfLi2ELb0ELb0ELi32EEEvPT0_PKT_S7_iiiPKb,comdat
	.globl	_ZN12_GLOBAL__N_121softmax_warp_backwardIfN3c104HalfEfLi2ELb0ELb0ELi32EEEvPT0_PKT_S7_iiiPKb ; -- Begin function _ZN12_GLOBAL__N_121softmax_warp_backwardIfN3c104HalfEfLi2ELb0ELb0ELi32EEEvPT0_PKT_S7_iiiPKb
	.p2align	8
	.type	_ZN12_GLOBAL__N_121softmax_warp_backwardIfN3c104HalfEfLi2ELb0ELb0ELi32EEEvPT0_PKT_S7_iiiPKb,@function
_ZN12_GLOBAL__N_121softmax_warp_backwardIfN3c104HalfEfLi2ELb0ELb0ELi32EEEvPT0_PKT_S7_iiiPKb: ; @_ZN12_GLOBAL__N_121softmax_warp_backwardIfN3c104HalfEfLi2ELb0ELb0ELi32EEEvPT0_PKT_S7_iiiPKb
; %bb.0:
	s_clause 0x1
	s_load_b32 s2, s[0:1], 0x3c
	s_load_b128 s[4:7], s[0:1], 0x18
	v_bfe_u32 v1, v0, 10, 10
	v_dual_mov_b32 v7, 0 :: v_dual_and_b32 v2, 3, v0
	s_load_b128 s[8:11], s[0:1], 0x0
	v_mov_b32_e32 v8, 0
	s_waitcnt lgkmcnt(0)
	s_lshr_b32 s2, s2, 16
	v_cmp_gt_i32_e32 vcc_lo, s6, v2
	s_mul_i32 s15, s15, s2
	s_load_b64 s[2:3], s[0:1], 0x10
	v_add_lshl_u32 v3, s15, v1, 1
	s_delay_alu instid0(VALU_DEP_1) | instskip(SKIP_1) | instid1(VALU_DEP_1)
	v_mad_u64_u32 v[0:1], null, v3, s5, v[2:3]
	v_sub_nc_u32_e32 v6, s4, v3
	v_cmp_lt_i32_e64 s0, 0, v6
	s_delay_alu instid0(VALU_DEP_3) | instskip(NEXT) | instid1(VALU_DEP_1)
	v_ashrrev_i32_e32 v1, 31, v0
	v_lshlrev_b64 v[9:10], 2, v[0:1]
	s_delay_alu instid0(VALU_DEP_1) | instskip(NEXT) | instid1(VALU_DEP_1)
	v_add_co_u32 v4, s1, s10, v9
	v_add_co_ci_u32_e64 v5, s1, s11, v10, s1
	s_waitcnt lgkmcnt(0)
	v_add_co_u32 v2, s1, s2, v9
	v_mov_b32_e32 v9, 0
	v_add_co_ci_u32_e64 v3, s1, s3, v10, s1
	s_and_b32 s2, vcc_lo, s0
	s_delay_alu instid0(SALU_CYCLE_1)
	s_and_saveexec_b32 s1, s2
	s_cbranch_execz .LBB599_2
; %bb.1:
	global_load_b32 v8, v[4:5], off
	global_load_b32 v9, v[2:3], off
.LBB599_2:
	s_or_b32 exec_lo, exec_lo, s1
	v_cmp_lt_i32_e64 s1, 1, v6
	v_mov_b32_e32 v10, 0
	s_mov_b32 s7, 0
	s_delay_alu instid0(VALU_DEP_2) | instskip(NEXT) | instid1(SALU_CYCLE_1)
	s_and_b32 s1, vcc_lo, s1
	s_and_saveexec_b32 s2, s1
	s_cbranch_execz .LBB599_4
; %bb.3:
	s_lshl_b64 s[4:5], s[6:7], 2
	s_delay_alu instid0(SALU_CYCLE_1) | instskip(NEXT) | instid1(VALU_DEP_1)
	v_add_co_u32 v4, s1, v4, s4
	v_add_co_ci_u32_e64 v5, s1, s5, v5, s1
	v_add_co_u32 v2, s1, v2, s4
	s_delay_alu instid0(VALU_DEP_1)
	v_add_co_ci_u32_e64 v3, s1, s5, v3, s1
	global_load_b32 v7, v[4:5], off
	global_load_b32 v10, v[2:3], off
.LBB599_4:
	s_or_b32 exec_lo, exec_lo, s2
	v_mbcnt_lo_u32_b32 v2, -1, 0
	s_waitcnt vmcnt(1)
	v_add_f32_e32 v5, 0, v8
	v_add_f32_e32 v11, 0, v7
	s_delay_alu instid0(VALU_DEP_3) | instskip(SKIP_1) | instid1(VALU_DEP_2)
	v_and_b32_e32 v3, 28, v2
	v_xor_b32_e32 v4, 2, v2
	v_add_nc_u32_e32 v3, 4, v3
	s_delay_alu instid0(VALU_DEP_1) | instskip(NEXT) | instid1(VALU_DEP_1)
	v_cmp_lt_i32_e64 s1, v4, v3
	v_cndmask_b32_e64 v4, v2, v4, s1
	s_delay_alu instid0(VALU_DEP_1) | instskip(SKIP_3) | instid1(VALU_DEP_1)
	v_lshlrev_b32_e32 v4, 2, v4
	ds_bpermute_b32 v12, v4, v5
	ds_bpermute_b32 v13, v4, v11
	v_xor_b32_e32 v4, 1, v2
	v_cmp_lt_i32_e64 s1, v4, v3
	s_delay_alu instid0(VALU_DEP_1) | instskip(SKIP_1) | instid1(VALU_DEP_1)
	v_cndmask_b32_e64 v2, v2, v4, s1
	s_waitcnt lgkmcnt(1)
	v_dual_add_f32 v4, v5, v12 :: v_dual_lshlrev_b32 v3, 2, v2
	s_waitcnt lgkmcnt(0)
	v_add_f32_e32 v2, v11, v13
	ds_bpermute_b32 v5, v3, v4
	ds_bpermute_b32 v3, v3, v2
	s_and_saveexec_b32 s1, s0
	s_cbranch_execz .LBB599_10
; %bb.5:
	v_lshlrev_b64 v[0:1], 1, v[0:1]
	s_delay_alu instid0(VALU_DEP_1) | instskip(NEXT) | instid1(VALU_DEP_1)
	v_add_co_u32 v0, s0, s8, v0
	v_add_co_ci_u32_e64 v1, s0, s9, v1, s0
	s_and_saveexec_b32 s0, vcc_lo
	s_cbranch_execz .LBB599_7
; %bb.6:
	s_waitcnt lgkmcnt(1)
	v_add_f32_e32 v4, v4, v5
	s_waitcnt vmcnt(0)
	s_delay_alu instid0(VALU_DEP_1)
	v_fma_mixlo_f16 v4, -v4, v9, v8
	global_store_b16 v[0:1], v4, off
.LBB599_7:
	s_or_b32 exec_lo, exec_lo, s0
	v_cmp_ne_u32_e64 s0, 1, v6
	s_delay_alu instid0(VALU_DEP_1)
	s_and_b32 exec_lo, exec_lo, s0
	s_cbranch_execz .LBB599_10
; %bb.8:
	s_and_b32 exec_lo, exec_lo, vcc_lo
	s_cbranch_execz .LBB599_10
; %bb.9:
	s_waitcnt lgkmcnt(0)
	v_add_f32_e32 v2, v2, v3
	s_lshl_b64 s[0:1], s[6:7], 1
	s_delay_alu instid0(SALU_CYCLE_1) | instskip(SKIP_1) | instid1(VALU_DEP_2)
	v_add_co_u32 v0, vcc_lo, v0, s0
	s_waitcnt vmcnt(0)
	v_fma_mixlo_f16 v2, -v2, v10, v7
	v_add_co_ci_u32_e32 v1, vcc_lo, s1, v1, vcc_lo
	global_store_b16 v[0:1], v2, off
.LBB599_10:
	s_nop 0
	s_sendmsg sendmsg(MSG_DEALLOC_VGPRS)
	s_endpgm
	.section	.rodata,"a",@progbits
	.p2align	6, 0x0
	.amdhsa_kernel _ZN12_GLOBAL__N_121softmax_warp_backwardIfN3c104HalfEfLi2ELb0ELb0ELi32EEEvPT0_PKT_S7_iiiPKb
		.amdhsa_group_segment_fixed_size 0
		.amdhsa_private_segment_fixed_size 0
		.amdhsa_kernarg_size 304
		.amdhsa_user_sgpr_count 15
		.amdhsa_user_sgpr_dispatch_ptr 0
		.amdhsa_user_sgpr_queue_ptr 0
		.amdhsa_user_sgpr_kernarg_segment_ptr 1
		.amdhsa_user_sgpr_dispatch_id 0
		.amdhsa_user_sgpr_private_segment_size 0
		.amdhsa_wavefront_size32 1
		.amdhsa_uses_dynamic_stack 0
		.amdhsa_enable_private_segment 0
		.amdhsa_system_sgpr_workgroup_id_x 1
		.amdhsa_system_sgpr_workgroup_id_y 0
		.amdhsa_system_sgpr_workgroup_id_z 0
		.amdhsa_system_sgpr_workgroup_info 0
		.amdhsa_system_vgpr_workitem_id 1
		.amdhsa_next_free_vgpr 14
		.amdhsa_next_free_sgpr 16
		.amdhsa_reserve_vcc 1
		.amdhsa_float_round_mode_32 0
		.amdhsa_float_round_mode_16_64 0
		.amdhsa_float_denorm_mode_32 3
		.amdhsa_float_denorm_mode_16_64 3
		.amdhsa_dx10_clamp 1
		.amdhsa_ieee_mode 1
		.amdhsa_fp16_overflow 0
		.amdhsa_workgroup_processor_mode 1
		.amdhsa_memory_ordered 1
		.amdhsa_forward_progress 0
		.amdhsa_shared_vgpr_count 0
		.amdhsa_exception_fp_ieee_invalid_op 0
		.amdhsa_exception_fp_denorm_src 0
		.amdhsa_exception_fp_ieee_div_zero 0
		.amdhsa_exception_fp_ieee_overflow 0
		.amdhsa_exception_fp_ieee_underflow 0
		.amdhsa_exception_fp_ieee_inexact 0
		.amdhsa_exception_int_div_zero 0
	.end_amdhsa_kernel
	.section	.text._ZN12_GLOBAL__N_121softmax_warp_backwardIfN3c104HalfEfLi2ELb0ELb0ELi32EEEvPT0_PKT_S7_iiiPKb,"axG",@progbits,_ZN12_GLOBAL__N_121softmax_warp_backwardIfN3c104HalfEfLi2ELb0ELb0ELi32EEEvPT0_PKT_S7_iiiPKb,comdat
.Lfunc_end599:
	.size	_ZN12_GLOBAL__N_121softmax_warp_backwardIfN3c104HalfEfLi2ELb0ELb0ELi32EEEvPT0_PKT_S7_iiiPKb, .Lfunc_end599-_ZN12_GLOBAL__N_121softmax_warp_backwardIfN3c104HalfEfLi2ELb0ELb0ELi32EEEvPT0_PKT_S7_iiiPKb
                                        ; -- End function
	.section	.AMDGPU.csdata,"",@progbits
; Kernel info:
; codeLenInByte = 604
; NumSgprs: 18
; NumVgprs: 14
; ScratchSize: 0
; MemoryBound: 0
; FloatMode: 240
; IeeeMode: 1
; LDSByteSize: 0 bytes/workgroup (compile time only)
; SGPRBlocks: 2
; VGPRBlocks: 1
; NumSGPRsForWavesPerEU: 18
; NumVGPRsForWavesPerEU: 14
; Occupancy: 16
; WaveLimiterHint : 0
; COMPUTE_PGM_RSRC2:SCRATCH_EN: 0
; COMPUTE_PGM_RSRC2:USER_SGPR: 15
; COMPUTE_PGM_RSRC2:TRAP_HANDLER: 0
; COMPUTE_PGM_RSRC2:TGID_X_EN: 1
; COMPUTE_PGM_RSRC2:TGID_Y_EN: 0
; COMPUTE_PGM_RSRC2:TGID_Z_EN: 0
; COMPUTE_PGM_RSRC2:TIDIG_COMP_CNT: 1
	.section	.text._ZN12_GLOBAL__N_121softmax_warp_backwardIfN3c104HalfEfLi3ELb0ELb0ELi64EEEvPT0_PKT_S7_iiiPKb,"axG",@progbits,_ZN12_GLOBAL__N_121softmax_warp_backwardIfN3c104HalfEfLi3ELb0ELb0ELi64EEEvPT0_PKT_S7_iiiPKb,comdat
	.globl	_ZN12_GLOBAL__N_121softmax_warp_backwardIfN3c104HalfEfLi3ELb0ELb0ELi64EEEvPT0_PKT_S7_iiiPKb ; -- Begin function _ZN12_GLOBAL__N_121softmax_warp_backwardIfN3c104HalfEfLi3ELb0ELb0ELi64EEEvPT0_PKT_S7_iiiPKb
	.p2align	8
	.type	_ZN12_GLOBAL__N_121softmax_warp_backwardIfN3c104HalfEfLi3ELb0ELb0ELi64EEEvPT0_PKT_S7_iiiPKb,@function
_ZN12_GLOBAL__N_121softmax_warp_backwardIfN3c104HalfEfLi3ELb0ELb0ELi64EEEvPT0_PKT_S7_iiiPKb: ; @_ZN12_GLOBAL__N_121softmax_warp_backwardIfN3c104HalfEfLi3ELb0ELb0ELi64EEEvPT0_PKT_S7_iiiPKb
; %bb.0:
	s_clause 0x1
	s_load_b32 s2, s[0:1], 0x3c
	s_load_b128 s[4:7], s[0:1], 0x18
	v_bfe_u32 v1, v0, 10, 10
	v_dual_mov_b32 v7, 0 :: v_dual_and_b32 v2, 7, v0
	s_load_b128 s[8:11], s[0:1], 0x0
	v_mov_b32_e32 v8, 0
	s_waitcnt lgkmcnt(0)
	s_lshr_b32 s2, s2, 16
	v_cmp_gt_i32_e32 vcc_lo, s6, v2
	s_mul_i32 s15, s15, s2
	s_load_b64 s[2:3], s[0:1], 0x10
	v_add_lshl_u32 v3, s15, v1, 1
	s_delay_alu instid0(VALU_DEP_1) | instskip(SKIP_1) | instid1(VALU_DEP_1)
	v_mad_u64_u32 v[0:1], null, v3, s5, v[2:3]
	v_sub_nc_u32_e32 v6, s4, v3
	v_cmp_lt_i32_e64 s0, 0, v6
	s_delay_alu instid0(VALU_DEP_3) | instskip(NEXT) | instid1(VALU_DEP_1)
	v_ashrrev_i32_e32 v1, 31, v0
	v_lshlrev_b64 v[9:10], 2, v[0:1]
	s_delay_alu instid0(VALU_DEP_1) | instskip(NEXT) | instid1(VALU_DEP_1)
	v_add_co_u32 v4, s1, s10, v9
	v_add_co_ci_u32_e64 v5, s1, s11, v10, s1
	s_waitcnt lgkmcnt(0)
	v_add_co_u32 v2, s1, s2, v9
	v_mov_b32_e32 v9, 0
	v_add_co_ci_u32_e64 v3, s1, s3, v10, s1
	s_and_b32 s2, vcc_lo, s0
	s_delay_alu instid0(SALU_CYCLE_1)
	s_and_saveexec_b32 s1, s2
	s_cbranch_execz .LBB600_2
; %bb.1:
	global_load_b32 v8, v[4:5], off
	global_load_b32 v9, v[2:3], off
.LBB600_2:
	s_or_b32 exec_lo, exec_lo, s1
	v_cmp_lt_i32_e64 s1, 1, v6
	v_mov_b32_e32 v10, 0
	s_mov_b32 s7, 0
	s_delay_alu instid0(VALU_DEP_2) | instskip(NEXT) | instid1(SALU_CYCLE_1)
	s_and_b32 s1, vcc_lo, s1
	s_and_saveexec_b32 s2, s1
	s_cbranch_execz .LBB600_4
; %bb.3:
	s_lshl_b64 s[4:5], s[6:7], 2
	s_delay_alu instid0(SALU_CYCLE_1) | instskip(NEXT) | instid1(VALU_DEP_1)
	v_add_co_u32 v4, s1, v4, s4
	v_add_co_ci_u32_e64 v5, s1, s5, v5, s1
	v_add_co_u32 v2, s1, v2, s4
	s_delay_alu instid0(VALU_DEP_1)
	v_add_co_ci_u32_e64 v3, s1, s5, v3, s1
	global_load_b32 v7, v[4:5], off
	global_load_b32 v10, v[2:3], off
.LBB600_4:
	s_or_b32 exec_lo, exec_lo, s2
	v_mbcnt_lo_u32_b32 v2, -1, 0
	s_waitcnt vmcnt(1)
	v_add_f32_e32 v5, 0, v8
	v_add_f32_e32 v11, 0, v7
	s_delay_alu instid0(VALU_DEP_3) | instskip(SKIP_2) | instid1(VALU_DEP_3)
	v_and_b32_e32 v3, 24, v2
	v_xor_b32_e32 v4, 4, v2
	v_xor_b32_e32 v13, 2, v2
	v_add_nc_u32_e32 v3, 8, v3
	s_delay_alu instid0(VALU_DEP_1) | instskip(NEXT) | instid1(VALU_DEP_1)
	v_cmp_lt_i32_e64 s1, v4, v3
	v_cndmask_b32_e64 v4, v2, v4, s1
	s_delay_alu instid0(VALU_DEP_4) | instskip(NEXT) | instid1(VALU_DEP_2)
	v_cmp_lt_i32_e64 s1, v13, v3
	v_lshlrev_b32_e32 v4, 2, v4
	s_delay_alu instid0(VALU_DEP_2)
	v_cndmask_b32_e64 v13, v2, v13, s1
	ds_bpermute_b32 v12, v4, v5
	ds_bpermute_b32 v4, v4, v11
	v_lshlrev_b32_e32 v13, 2, v13
	s_waitcnt lgkmcnt(1)
	v_add_f32_e32 v5, v5, v12
	s_waitcnt lgkmcnt(0)
	v_add_f32_e32 v11, v11, v4
	ds_bpermute_b32 v4, v13, v5
	ds_bpermute_b32 v12, v13, v11
	v_xor_b32_e32 v13, 1, v2
	s_delay_alu instid0(VALU_DEP_1) | instskip(NEXT) | instid1(VALU_DEP_1)
	v_cmp_lt_i32_e64 s1, v13, v3
	v_cndmask_b32_e64 v2, v2, v13, s1
	s_waitcnt lgkmcnt(1)
	s_delay_alu instid0(VALU_DEP_1)
	v_dual_add_f32 v4, v5, v4 :: v_dual_lshlrev_b32 v3, 2, v2
	s_waitcnt lgkmcnt(0)
	v_add_f32_e32 v2, v11, v12
	ds_bpermute_b32 v5, v3, v4
	ds_bpermute_b32 v3, v3, v2
	s_and_saveexec_b32 s1, s0
	s_cbranch_execz .LBB600_10
; %bb.5:
	v_lshlrev_b64 v[0:1], 1, v[0:1]
	s_delay_alu instid0(VALU_DEP_1) | instskip(NEXT) | instid1(VALU_DEP_1)
	v_add_co_u32 v0, s0, s8, v0
	v_add_co_ci_u32_e64 v1, s0, s9, v1, s0
	s_and_saveexec_b32 s0, vcc_lo
	s_cbranch_execz .LBB600_7
; %bb.6:
	s_waitcnt lgkmcnt(1)
	v_add_f32_e32 v4, v4, v5
	s_waitcnt vmcnt(0)
	s_delay_alu instid0(VALU_DEP_1)
	v_fma_mixlo_f16 v4, -v4, v9, v8
	global_store_b16 v[0:1], v4, off
.LBB600_7:
	s_or_b32 exec_lo, exec_lo, s0
	v_cmp_ne_u32_e64 s0, 1, v6
	s_delay_alu instid0(VALU_DEP_1)
	s_and_b32 exec_lo, exec_lo, s0
	s_cbranch_execz .LBB600_10
; %bb.8:
	s_and_b32 exec_lo, exec_lo, vcc_lo
	s_cbranch_execz .LBB600_10
; %bb.9:
	s_waitcnt lgkmcnt(0)
	v_add_f32_e32 v2, v2, v3
	s_lshl_b64 s[0:1], s[6:7], 1
	s_delay_alu instid0(SALU_CYCLE_1) | instskip(SKIP_1) | instid1(VALU_DEP_2)
	v_add_co_u32 v0, vcc_lo, v0, s0
	s_waitcnt vmcnt(0)
	v_fma_mixlo_f16 v2, -v2, v10, v7
	v_add_co_ci_u32_e32 v1, vcc_lo, s1, v1, vcc_lo
	global_store_b16 v[0:1], v2, off
.LBB600_10:
	s_nop 0
	s_sendmsg sendmsg(MSG_DEALLOC_VGPRS)
	s_endpgm
	.section	.rodata,"a",@progbits
	.p2align	6, 0x0
	.amdhsa_kernel _ZN12_GLOBAL__N_121softmax_warp_backwardIfN3c104HalfEfLi3ELb0ELb0ELi64EEEvPT0_PKT_S7_iiiPKb
		.amdhsa_group_segment_fixed_size 0
		.amdhsa_private_segment_fixed_size 0
		.amdhsa_kernarg_size 304
		.amdhsa_user_sgpr_count 15
		.amdhsa_user_sgpr_dispatch_ptr 0
		.amdhsa_user_sgpr_queue_ptr 0
		.amdhsa_user_sgpr_kernarg_segment_ptr 1
		.amdhsa_user_sgpr_dispatch_id 0
		.amdhsa_user_sgpr_private_segment_size 0
		.amdhsa_wavefront_size32 1
		.amdhsa_uses_dynamic_stack 0
		.amdhsa_enable_private_segment 0
		.amdhsa_system_sgpr_workgroup_id_x 1
		.amdhsa_system_sgpr_workgroup_id_y 0
		.amdhsa_system_sgpr_workgroup_id_z 0
		.amdhsa_system_sgpr_workgroup_info 0
		.amdhsa_system_vgpr_workitem_id 1
		.amdhsa_next_free_vgpr 14
		.amdhsa_next_free_sgpr 16
		.amdhsa_reserve_vcc 1
		.amdhsa_float_round_mode_32 0
		.amdhsa_float_round_mode_16_64 0
		.amdhsa_float_denorm_mode_32 3
		.amdhsa_float_denorm_mode_16_64 3
		.amdhsa_dx10_clamp 1
		.amdhsa_ieee_mode 1
		.amdhsa_fp16_overflow 0
		.amdhsa_workgroup_processor_mode 1
		.amdhsa_memory_ordered 1
		.amdhsa_forward_progress 0
		.amdhsa_shared_vgpr_count 0
		.amdhsa_exception_fp_ieee_invalid_op 0
		.amdhsa_exception_fp_denorm_src 0
		.amdhsa_exception_fp_ieee_div_zero 0
		.amdhsa_exception_fp_ieee_overflow 0
		.amdhsa_exception_fp_ieee_underflow 0
		.amdhsa_exception_fp_ieee_inexact 0
		.amdhsa_exception_int_div_zero 0
	.end_amdhsa_kernel
	.section	.text._ZN12_GLOBAL__N_121softmax_warp_backwardIfN3c104HalfEfLi3ELb0ELb0ELi64EEEvPT0_PKT_S7_iiiPKb,"axG",@progbits,_ZN12_GLOBAL__N_121softmax_warp_backwardIfN3c104HalfEfLi3ELb0ELb0ELi64EEEvPT0_PKT_S7_iiiPKb,comdat
.Lfunc_end600:
	.size	_ZN12_GLOBAL__N_121softmax_warp_backwardIfN3c104HalfEfLi3ELb0ELb0ELi64EEEvPT0_PKT_S7_iiiPKb, .Lfunc_end600-_ZN12_GLOBAL__N_121softmax_warp_backwardIfN3c104HalfEfLi3ELb0ELb0ELi64EEEvPT0_PKT_S7_iiiPKb
                                        ; -- End function
	.section	.AMDGPU.csdata,"",@progbits
; Kernel info:
; codeLenInByte = 668
; NumSgprs: 18
; NumVgprs: 14
; ScratchSize: 0
; MemoryBound: 0
; FloatMode: 240
; IeeeMode: 1
; LDSByteSize: 0 bytes/workgroup (compile time only)
; SGPRBlocks: 2
; VGPRBlocks: 1
; NumSGPRsForWavesPerEU: 18
; NumVGPRsForWavesPerEU: 14
; Occupancy: 16
; WaveLimiterHint : 0
; COMPUTE_PGM_RSRC2:SCRATCH_EN: 0
; COMPUTE_PGM_RSRC2:USER_SGPR: 15
; COMPUTE_PGM_RSRC2:TRAP_HANDLER: 0
; COMPUTE_PGM_RSRC2:TGID_X_EN: 1
; COMPUTE_PGM_RSRC2:TGID_Y_EN: 0
; COMPUTE_PGM_RSRC2:TGID_Z_EN: 0
; COMPUTE_PGM_RSRC2:TIDIG_COMP_CNT: 1
	.section	.text._ZN12_GLOBAL__N_121softmax_warp_backwardIfN3c104HalfEfLi3ELb0ELb0ELi32EEEvPT0_PKT_S7_iiiPKb,"axG",@progbits,_ZN12_GLOBAL__N_121softmax_warp_backwardIfN3c104HalfEfLi3ELb0ELb0ELi32EEEvPT0_PKT_S7_iiiPKb,comdat
	.globl	_ZN12_GLOBAL__N_121softmax_warp_backwardIfN3c104HalfEfLi3ELb0ELb0ELi32EEEvPT0_PKT_S7_iiiPKb ; -- Begin function _ZN12_GLOBAL__N_121softmax_warp_backwardIfN3c104HalfEfLi3ELb0ELb0ELi32EEEvPT0_PKT_S7_iiiPKb
	.p2align	8
	.type	_ZN12_GLOBAL__N_121softmax_warp_backwardIfN3c104HalfEfLi3ELb0ELb0ELi32EEEvPT0_PKT_S7_iiiPKb,@function
_ZN12_GLOBAL__N_121softmax_warp_backwardIfN3c104HalfEfLi3ELb0ELb0ELi32EEEvPT0_PKT_S7_iiiPKb: ; @_ZN12_GLOBAL__N_121softmax_warp_backwardIfN3c104HalfEfLi3ELb0ELb0ELi32EEEvPT0_PKT_S7_iiiPKb
; %bb.0:
	s_clause 0x1
	s_load_b32 s2, s[0:1], 0x3c
	s_load_b128 s[4:7], s[0:1], 0x18
	v_bfe_u32 v1, v0, 10, 10
	v_dual_mov_b32 v7, 0 :: v_dual_and_b32 v2, 7, v0
	s_load_b128 s[8:11], s[0:1], 0x0
	v_mov_b32_e32 v8, 0
	s_waitcnt lgkmcnt(0)
	s_lshr_b32 s2, s2, 16
	v_cmp_gt_i32_e32 vcc_lo, s6, v2
	s_mul_i32 s15, s15, s2
	s_load_b64 s[2:3], s[0:1], 0x10
	v_add_lshl_u32 v3, s15, v1, 1
	s_delay_alu instid0(VALU_DEP_1) | instskip(SKIP_1) | instid1(VALU_DEP_1)
	v_mad_u64_u32 v[0:1], null, v3, s5, v[2:3]
	v_sub_nc_u32_e32 v6, s4, v3
	v_cmp_lt_i32_e64 s0, 0, v6
	s_delay_alu instid0(VALU_DEP_3) | instskip(NEXT) | instid1(VALU_DEP_1)
	v_ashrrev_i32_e32 v1, 31, v0
	v_lshlrev_b64 v[9:10], 2, v[0:1]
	s_delay_alu instid0(VALU_DEP_1) | instskip(NEXT) | instid1(VALU_DEP_1)
	v_add_co_u32 v4, s1, s10, v9
	v_add_co_ci_u32_e64 v5, s1, s11, v10, s1
	s_waitcnt lgkmcnt(0)
	v_add_co_u32 v2, s1, s2, v9
	v_mov_b32_e32 v9, 0
	v_add_co_ci_u32_e64 v3, s1, s3, v10, s1
	s_and_b32 s2, vcc_lo, s0
	s_delay_alu instid0(SALU_CYCLE_1)
	s_and_saveexec_b32 s1, s2
	s_cbranch_execz .LBB601_2
; %bb.1:
	global_load_b32 v8, v[4:5], off
	global_load_b32 v9, v[2:3], off
.LBB601_2:
	s_or_b32 exec_lo, exec_lo, s1
	v_cmp_lt_i32_e64 s1, 1, v6
	v_mov_b32_e32 v10, 0
	s_mov_b32 s7, 0
	s_delay_alu instid0(VALU_DEP_2) | instskip(NEXT) | instid1(SALU_CYCLE_1)
	s_and_b32 s1, vcc_lo, s1
	s_and_saveexec_b32 s2, s1
	s_cbranch_execz .LBB601_4
; %bb.3:
	s_lshl_b64 s[4:5], s[6:7], 2
	s_delay_alu instid0(SALU_CYCLE_1) | instskip(NEXT) | instid1(VALU_DEP_1)
	v_add_co_u32 v4, s1, v4, s4
	v_add_co_ci_u32_e64 v5, s1, s5, v5, s1
	v_add_co_u32 v2, s1, v2, s4
	s_delay_alu instid0(VALU_DEP_1)
	v_add_co_ci_u32_e64 v3, s1, s5, v3, s1
	global_load_b32 v7, v[4:5], off
	global_load_b32 v10, v[2:3], off
.LBB601_4:
	s_or_b32 exec_lo, exec_lo, s2
	v_mbcnt_lo_u32_b32 v2, -1, 0
	s_waitcnt vmcnt(1)
	v_add_f32_e32 v5, 0, v8
	v_add_f32_e32 v11, 0, v7
	s_delay_alu instid0(VALU_DEP_3) | instskip(SKIP_2) | instid1(VALU_DEP_3)
	v_and_b32_e32 v3, 24, v2
	v_xor_b32_e32 v4, 4, v2
	v_xor_b32_e32 v13, 2, v2
	v_add_nc_u32_e32 v3, 8, v3
	s_delay_alu instid0(VALU_DEP_1) | instskip(NEXT) | instid1(VALU_DEP_1)
	v_cmp_lt_i32_e64 s1, v4, v3
	v_cndmask_b32_e64 v4, v2, v4, s1
	s_delay_alu instid0(VALU_DEP_4) | instskip(NEXT) | instid1(VALU_DEP_2)
	v_cmp_lt_i32_e64 s1, v13, v3
	v_lshlrev_b32_e32 v4, 2, v4
	s_delay_alu instid0(VALU_DEP_2)
	v_cndmask_b32_e64 v13, v2, v13, s1
	ds_bpermute_b32 v12, v4, v5
	ds_bpermute_b32 v4, v4, v11
	v_lshlrev_b32_e32 v13, 2, v13
	s_waitcnt lgkmcnt(1)
	v_add_f32_e32 v5, v5, v12
	s_waitcnt lgkmcnt(0)
	v_add_f32_e32 v11, v11, v4
	ds_bpermute_b32 v4, v13, v5
	ds_bpermute_b32 v12, v13, v11
	v_xor_b32_e32 v13, 1, v2
	s_delay_alu instid0(VALU_DEP_1) | instskip(NEXT) | instid1(VALU_DEP_1)
	v_cmp_lt_i32_e64 s1, v13, v3
	v_cndmask_b32_e64 v2, v2, v13, s1
	s_waitcnt lgkmcnt(1)
	s_delay_alu instid0(VALU_DEP_1)
	v_dual_add_f32 v4, v5, v4 :: v_dual_lshlrev_b32 v3, 2, v2
	s_waitcnt lgkmcnt(0)
	v_add_f32_e32 v2, v11, v12
	ds_bpermute_b32 v5, v3, v4
	ds_bpermute_b32 v3, v3, v2
	s_and_saveexec_b32 s1, s0
	s_cbranch_execz .LBB601_10
; %bb.5:
	v_lshlrev_b64 v[0:1], 1, v[0:1]
	s_delay_alu instid0(VALU_DEP_1) | instskip(NEXT) | instid1(VALU_DEP_1)
	v_add_co_u32 v0, s0, s8, v0
	v_add_co_ci_u32_e64 v1, s0, s9, v1, s0
	s_and_saveexec_b32 s0, vcc_lo
	s_cbranch_execz .LBB601_7
; %bb.6:
	s_waitcnt lgkmcnt(1)
	v_add_f32_e32 v4, v4, v5
	s_waitcnt vmcnt(0)
	s_delay_alu instid0(VALU_DEP_1)
	v_fma_mixlo_f16 v4, -v4, v9, v8
	global_store_b16 v[0:1], v4, off
.LBB601_7:
	s_or_b32 exec_lo, exec_lo, s0
	v_cmp_ne_u32_e64 s0, 1, v6
	s_delay_alu instid0(VALU_DEP_1)
	s_and_b32 exec_lo, exec_lo, s0
	s_cbranch_execz .LBB601_10
; %bb.8:
	s_and_b32 exec_lo, exec_lo, vcc_lo
	s_cbranch_execz .LBB601_10
; %bb.9:
	s_waitcnt lgkmcnt(0)
	v_add_f32_e32 v2, v2, v3
	s_lshl_b64 s[0:1], s[6:7], 1
	s_delay_alu instid0(SALU_CYCLE_1) | instskip(SKIP_1) | instid1(VALU_DEP_2)
	v_add_co_u32 v0, vcc_lo, v0, s0
	s_waitcnt vmcnt(0)
	v_fma_mixlo_f16 v2, -v2, v10, v7
	v_add_co_ci_u32_e32 v1, vcc_lo, s1, v1, vcc_lo
	global_store_b16 v[0:1], v2, off
.LBB601_10:
	s_nop 0
	s_sendmsg sendmsg(MSG_DEALLOC_VGPRS)
	s_endpgm
	.section	.rodata,"a",@progbits
	.p2align	6, 0x0
	.amdhsa_kernel _ZN12_GLOBAL__N_121softmax_warp_backwardIfN3c104HalfEfLi3ELb0ELb0ELi32EEEvPT0_PKT_S7_iiiPKb
		.amdhsa_group_segment_fixed_size 0
		.amdhsa_private_segment_fixed_size 0
		.amdhsa_kernarg_size 304
		.amdhsa_user_sgpr_count 15
		.amdhsa_user_sgpr_dispatch_ptr 0
		.amdhsa_user_sgpr_queue_ptr 0
		.amdhsa_user_sgpr_kernarg_segment_ptr 1
		.amdhsa_user_sgpr_dispatch_id 0
		.amdhsa_user_sgpr_private_segment_size 0
		.amdhsa_wavefront_size32 1
		.amdhsa_uses_dynamic_stack 0
		.amdhsa_enable_private_segment 0
		.amdhsa_system_sgpr_workgroup_id_x 1
		.amdhsa_system_sgpr_workgroup_id_y 0
		.amdhsa_system_sgpr_workgroup_id_z 0
		.amdhsa_system_sgpr_workgroup_info 0
		.amdhsa_system_vgpr_workitem_id 1
		.amdhsa_next_free_vgpr 14
		.amdhsa_next_free_sgpr 16
		.amdhsa_reserve_vcc 1
		.amdhsa_float_round_mode_32 0
		.amdhsa_float_round_mode_16_64 0
		.amdhsa_float_denorm_mode_32 3
		.amdhsa_float_denorm_mode_16_64 3
		.amdhsa_dx10_clamp 1
		.amdhsa_ieee_mode 1
		.amdhsa_fp16_overflow 0
		.amdhsa_workgroup_processor_mode 1
		.amdhsa_memory_ordered 1
		.amdhsa_forward_progress 0
		.amdhsa_shared_vgpr_count 0
		.amdhsa_exception_fp_ieee_invalid_op 0
		.amdhsa_exception_fp_denorm_src 0
		.amdhsa_exception_fp_ieee_div_zero 0
		.amdhsa_exception_fp_ieee_overflow 0
		.amdhsa_exception_fp_ieee_underflow 0
		.amdhsa_exception_fp_ieee_inexact 0
		.amdhsa_exception_int_div_zero 0
	.end_amdhsa_kernel
	.section	.text._ZN12_GLOBAL__N_121softmax_warp_backwardIfN3c104HalfEfLi3ELb0ELb0ELi32EEEvPT0_PKT_S7_iiiPKb,"axG",@progbits,_ZN12_GLOBAL__N_121softmax_warp_backwardIfN3c104HalfEfLi3ELb0ELb0ELi32EEEvPT0_PKT_S7_iiiPKb,comdat
.Lfunc_end601:
	.size	_ZN12_GLOBAL__N_121softmax_warp_backwardIfN3c104HalfEfLi3ELb0ELb0ELi32EEEvPT0_PKT_S7_iiiPKb, .Lfunc_end601-_ZN12_GLOBAL__N_121softmax_warp_backwardIfN3c104HalfEfLi3ELb0ELb0ELi32EEEvPT0_PKT_S7_iiiPKb
                                        ; -- End function
	.section	.AMDGPU.csdata,"",@progbits
; Kernel info:
; codeLenInByte = 668
; NumSgprs: 18
; NumVgprs: 14
; ScratchSize: 0
; MemoryBound: 0
; FloatMode: 240
; IeeeMode: 1
; LDSByteSize: 0 bytes/workgroup (compile time only)
; SGPRBlocks: 2
; VGPRBlocks: 1
; NumSGPRsForWavesPerEU: 18
; NumVGPRsForWavesPerEU: 14
; Occupancy: 16
; WaveLimiterHint : 0
; COMPUTE_PGM_RSRC2:SCRATCH_EN: 0
; COMPUTE_PGM_RSRC2:USER_SGPR: 15
; COMPUTE_PGM_RSRC2:TRAP_HANDLER: 0
; COMPUTE_PGM_RSRC2:TGID_X_EN: 1
; COMPUTE_PGM_RSRC2:TGID_Y_EN: 0
; COMPUTE_PGM_RSRC2:TGID_Z_EN: 0
; COMPUTE_PGM_RSRC2:TIDIG_COMP_CNT: 1
	.section	.text._ZN12_GLOBAL__N_121softmax_warp_backwardIfN3c104HalfEfLi4ELb0ELb0ELi64EEEvPT0_PKT_S7_iiiPKb,"axG",@progbits,_ZN12_GLOBAL__N_121softmax_warp_backwardIfN3c104HalfEfLi4ELb0ELb0ELi64EEEvPT0_PKT_S7_iiiPKb,comdat
	.globl	_ZN12_GLOBAL__N_121softmax_warp_backwardIfN3c104HalfEfLi4ELb0ELb0ELi64EEEvPT0_PKT_S7_iiiPKb ; -- Begin function _ZN12_GLOBAL__N_121softmax_warp_backwardIfN3c104HalfEfLi4ELb0ELb0ELi64EEEvPT0_PKT_S7_iiiPKb
	.p2align	8
	.type	_ZN12_GLOBAL__N_121softmax_warp_backwardIfN3c104HalfEfLi4ELb0ELb0ELi64EEEvPT0_PKT_S7_iiiPKb,@function
_ZN12_GLOBAL__N_121softmax_warp_backwardIfN3c104HalfEfLi4ELb0ELb0ELi64EEEvPT0_PKT_S7_iiiPKb: ; @_ZN12_GLOBAL__N_121softmax_warp_backwardIfN3c104HalfEfLi4ELb0ELb0ELi64EEEvPT0_PKT_S7_iiiPKb
; %bb.0:
	s_clause 0x1
	s_load_b32 s2, s[0:1], 0x3c
	s_load_b128 s[4:7], s[0:1], 0x18
	v_bfe_u32 v1, v0, 10, 10
	v_dual_mov_b32 v7, 0 :: v_dual_and_b32 v2, 15, v0
	s_load_b128 s[8:11], s[0:1], 0x0
	v_mov_b32_e32 v8, 0
	s_waitcnt lgkmcnt(0)
	s_lshr_b32 s2, s2, 16
	v_cmp_gt_i32_e32 vcc_lo, s6, v2
	s_mul_i32 s15, s15, s2
	s_load_b64 s[2:3], s[0:1], 0x10
	v_add_lshl_u32 v3, s15, v1, 1
	s_delay_alu instid0(VALU_DEP_1) | instskip(SKIP_1) | instid1(VALU_DEP_1)
	v_mad_u64_u32 v[0:1], null, v3, s5, v[2:3]
	v_sub_nc_u32_e32 v6, s4, v3
	v_cmp_lt_i32_e64 s0, 0, v6
	s_delay_alu instid0(VALU_DEP_3) | instskip(NEXT) | instid1(VALU_DEP_1)
	v_ashrrev_i32_e32 v1, 31, v0
	v_lshlrev_b64 v[9:10], 2, v[0:1]
	s_delay_alu instid0(VALU_DEP_1) | instskip(NEXT) | instid1(VALU_DEP_1)
	v_add_co_u32 v4, s1, s10, v9
	v_add_co_ci_u32_e64 v5, s1, s11, v10, s1
	s_waitcnt lgkmcnt(0)
	v_add_co_u32 v2, s1, s2, v9
	v_mov_b32_e32 v9, 0
	v_add_co_ci_u32_e64 v3, s1, s3, v10, s1
	s_and_b32 s2, vcc_lo, s0
	s_delay_alu instid0(SALU_CYCLE_1)
	s_and_saveexec_b32 s1, s2
	s_cbranch_execz .LBB602_2
; %bb.1:
	global_load_b32 v8, v[4:5], off
	global_load_b32 v9, v[2:3], off
.LBB602_2:
	s_or_b32 exec_lo, exec_lo, s1
	v_cmp_lt_i32_e64 s1, 1, v6
	v_mov_b32_e32 v10, 0
	s_mov_b32 s7, 0
	s_delay_alu instid0(VALU_DEP_2) | instskip(NEXT) | instid1(SALU_CYCLE_1)
	s_and_b32 s1, vcc_lo, s1
	s_and_saveexec_b32 s2, s1
	s_cbranch_execz .LBB602_4
; %bb.3:
	s_lshl_b64 s[4:5], s[6:7], 2
	s_delay_alu instid0(SALU_CYCLE_1) | instskip(NEXT) | instid1(VALU_DEP_1)
	v_add_co_u32 v4, s1, v4, s4
	v_add_co_ci_u32_e64 v5, s1, s5, v5, s1
	v_add_co_u32 v2, s1, v2, s4
	s_delay_alu instid0(VALU_DEP_1)
	v_add_co_ci_u32_e64 v3, s1, s5, v3, s1
	global_load_b32 v7, v[4:5], off
	global_load_b32 v10, v[2:3], off
.LBB602_4:
	s_or_b32 exec_lo, exec_lo, s2
	v_mbcnt_lo_u32_b32 v2, -1, 0
	s_waitcnt vmcnt(1)
	v_add_f32_e32 v11, 0, v7
	v_add_f32_e32 v5, 0, v8
	s_delay_alu instid0(VALU_DEP_3) | instskip(SKIP_2) | instid1(VALU_DEP_3)
	v_and_b32_e32 v3, 16, v2
	v_xor_b32_e32 v4, 8, v2
	v_xor_b32_e32 v13, 4, v2
	v_add_nc_u32_e32 v3, 16, v3
	s_delay_alu instid0(VALU_DEP_1) | instskip(NEXT) | instid1(VALU_DEP_1)
	v_cmp_lt_i32_e64 s1, v4, v3
	v_cndmask_b32_e64 v4, v2, v4, s1
	s_delay_alu instid0(VALU_DEP_4) | instskip(NEXT) | instid1(VALU_DEP_2)
	v_cmp_lt_i32_e64 s1, v13, v3
	v_lshlrev_b32_e32 v4, 2, v4
	s_delay_alu instid0(VALU_DEP_2)
	v_cndmask_b32_e64 v13, v2, v13, s1
	ds_bpermute_b32 v12, v4, v5
	ds_bpermute_b32 v4, v4, v11
	v_lshlrev_b32_e32 v13, 2, v13
	s_waitcnt lgkmcnt(1)
	v_add_f32_e32 v5, v5, v12
	s_waitcnt lgkmcnt(0)
	v_add_f32_e32 v4, v11, v4
	ds_bpermute_b32 v11, v13, v5
	ds_bpermute_b32 v12, v13, v4
	v_xor_b32_e32 v13, 2, v2
	s_delay_alu instid0(VALU_DEP_1) | instskip(NEXT) | instid1(VALU_DEP_1)
	v_cmp_lt_i32_e64 s1, v13, v3
	v_cndmask_b32_e64 v13, v2, v13, s1
	s_delay_alu instid0(VALU_DEP_1)
	v_lshlrev_b32_e32 v13, 2, v13
	s_waitcnt lgkmcnt(1)
	v_add_f32_e32 v5, v5, v11
	s_waitcnt lgkmcnt(0)
	v_add_f32_e32 v11, v4, v12
	ds_bpermute_b32 v4, v13, v5
	ds_bpermute_b32 v12, v13, v11
	v_xor_b32_e32 v13, 1, v2
	s_waitcnt lgkmcnt(1)
	v_add_f32_e32 v4, v5, v4
	s_delay_alu instid0(VALU_DEP_2) | instskip(NEXT) | instid1(VALU_DEP_1)
	v_cmp_lt_i32_e64 s1, v13, v3
	v_cndmask_b32_e64 v2, v2, v13, s1
	s_waitcnt lgkmcnt(0)
	s_delay_alu instid0(VALU_DEP_1)
	v_dual_add_f32 v2, v11, v12 :: v_dual_lshlrev_b32 v3, 2, v2
	ds_bpermute_b32 v5, v3, v4
	ds_bpermute_b32 v3, v3, v2
	s_and_saveexec_b32 s1, s0
	s_cbranch_execz .LBB602_10
; %bb.5:
	v_lshlrev_b64 v[0:1], 1, v[0:1]
	s_delay_alu instid0(VALU_DEP_1) | instskip(NEXT) | instid1(VALU_DEP_1)
	v_add_co_u32 v0, s0, s8, v0
	v_add_co_ci_u32_e64 v1, s0, s9, v1, s0
	s_and_saveexec_b32 s0, vcc_lo
	s_cbranch_execz .LBB602_7
; %bb.6:
	s_waitcnt lgkmcnt(1)
	v_add_f32_e32 v4, v4, v5
	s_waitcnt vmcnt(0)
	s_delay_alu instid0(VALU_DEP_1)
	v_fma_mixlo_f16 v4, -v4, v9, v8
	global_store_b16 v[0:1], v4, off
.LBB602_7:
	s_or_b32 exec_lo, exec_lo, s0
	v_cmp_ne_u32_e64 s0, 1, v6
	s_delay_alu instid0(VALU_DEP_1)
	s_and_b32 exec_lo, exec_lo, s0
	s_cbranch_execz .LBB602_10
; %bb.8:
	s_and_b32 exec_lo, exec_lo, vcc_lo
	s_cbranch_execz .LBB602_10
; %bb.9:
	s_waitcnt lgkmcnt(0)
	v_add_f32_e32 v2, v2, v3
	s_lshl_b64 s[0:1], s[6:7], 1
	s_delay_alu instid0(SALU_CYCLE_1) | instskip(SKIP_1) | instid1(VALU_DEP_2)
	v_add_co_u32 v0, vcc_lo, v0, s0
	s_waitcnt vmcnt(0)
	v_fma_mixlo_f16 v2, -v2, v10, v7
	v_add_co_ci_u32_e32 v1, vcc_lo, s1, v1, vcc_lo
	global_store_b16 v[0:1], v2, off
.LBB602_10:
	s_nop 0
	s_sendmsg sendmsg(MSG_DEALLOC_VGPRS)
	s_endpgm
	.section	.rodata,"a",@progbits
	.p2align	6, 0x0
	.amdhsa_kernel _ZN12_GLOBAL__N_121softmax_warp_backwardIfN3c104HalfEfLi4ELb0ELb0ELi64EEEvPT0_PKT_S7_iiiPKb
		.amdhsa_group_segment_fixed_size 0
		.amdhsa_private_segment_fixed_size 0
		.amdhsa_kernarg_size 304
		.amdhsa_user_sgpr_count 15
		.amdhsa_user_sgpr_dispatch_ptr 0
		.amdhsa_user_sgpr_queue_ptr 0
		.amdhsa_user_sgpr_kernarg_segment_ptr 1
		.amdhsa_user_sgpr_dispatch_id 0
		.amdhsa_user_sgpr_private_segment_size 0
		.amdhsa_wavefront_size32 1
		.amdhsa_uses_dynamic_stack 0
		.amdhsa_enable_private_segment 0
		.amdhsa_system_sgpr_workgroup_id_x 1
		.amdhsa_system_sgpr_workgroup_id_y 0
		.amdhsa_system_sgpr_workgroup_id_z 0
		.amdhsa_system_sgpr_workgroup_info 0
		.amdhsa_system_vgpr_workitem_id 1
		.amdhsa_next_free_vgpr 14
		.amdhsa_next_free_sgpr 16
		.amdhsa_reserve_vcc 1
		.amdhsa_float_round_mode_32 0
		.amdhsa_float_round_mode_16_64 0
		.amdhsa_float_denorm_mode_32 3
		.amdhsa_float_denorm_mode_16_64 3
		.amdhsa_dx10_clamp 1
		.amdhsa_ieee_mode 1
		.amdhsa_fp16_overflow 0
		.amdhsa_workgroup_processor_mode 1
		.amdhsa_memory_ordered 1
		.amdhsa_forward_progress 0
		.amdhsa_shared_vgpr_count 0
		.amdhsa_exception_fp_ieee_invalid_op 0
		.amdhsa_exception_fp_denorm_src 0
		.amdhsa_exception_fp_ieee_div_zero 0
		.amdhsa_exception_fp_ieee_overflow 0
		.amdhsa_exception_fp_ieee_underflow 0
		.amdhsa_exception_fp_ieee_inexact 0
		.amdhsa_exception_int_div_zero 0
	.end_amdhsa_kernel
	.section	.text._ZN12_GLOBAL__N_121softmax_warp_backwardIfN3c104HalfEfLi4ELb0ELb0ELi64EEEvPT0_PKT_S7_iiiPKb,"axG",@progbits,_ZN12_GLOBAL__N_121softmax_warp_backwardIfN3c104HalfEfLi4ELb0ELb0ELi64EEEvPT0_PKT_S7_iiiPKb,comdat
.Lfunc_end602:
	.size	_ZN12_GLOBAL__N_121softmax_warp_backwardIfN3c104HalfEfLi4ELb0ELb0ELi64EEEvPT0_PKT_S7_iiiPKb, .Lfunc_end602-_ZN12_GLOBAL__N_121softmax_warp_backwardIfN3c104HalfEfLi4ELb0ELb0ELi64EEEvPT0_PKT_S7_iiiPKb
                                        ; -- End function
	.section	.AMDGPU.csdata,"",@progbits
; Kernel info:
; codeLenInByte = 732
; NumSgprs: 18
; NumVgprs: 14
; ScratchSize: 0
; MemoryBound: 0
; FloatMode: 240
; IeeeMode: 1
; LDSByteSize: 0 bytes/workgroup (compile time only)
; SGPRBlocks: 2
; VGPRBlocks: 1
; NumSGPRsForWavesPerEU: 18
; NumVGPRsForWavesPerEU: 14
; Occupancy: 16
; WaveLimiterHint : 0
; COMPUTE_PGM_RSRC2:SCRATCH_EN: 0
; COMPUTE_PGM_RSRC2:USER_SGPR: 15
; COMPUTE_PGM_RSRC2:TRAP_HANDLER: 0
; COMPUTE_PGM_RSRC2:TGID_X_EN: 1
; COMPUTE_PGM_RSRC2:TGID_Y_EN: 0
; COMPUTE_PGM_RSRC2:TGID_Z_EN: 0
; COMPUTE_PGM_RSRC2:TIDIG_COMP_CNT: 1
	.section	.text._ZN12_GLOBAL__N_121softmax_warp_backwardIfN3c104HalfEfLi4ELb0ELb0ELi32EEEvPT0_PKT_S7_iiiPKb,"axG",@progbits,_ZN12_GLOBAL__N_121softmax_warp_backwardIfN3c104HalfEfLi4ELb0ELb0ELi32EEEvPT0_PKT_S7_iiiPKb,comdat
	.globl	_ZN12_GLOBAL__N_121softmax_warp_backwardIfN3c104HalfEfLi4ELb0ELb0ELi32EEEvPT0_PKT_S7_iiiPKb ; -- Begin function _ZN12_GLOBAL__N_121softmax_warp_backwardIfN3c104HalfEfLi4ELb0ELb0ELi32EEEvPT0_PKT_S7_iiiPKb
	.p2align	8
	.type	_ZN12_GLOBAL__N_121softmax_warp_backwardIfN3c104HalfEfLi4ELb0ELb0ELi32EEEvPT0_PKT_S7_iiiPKb,@function
_ZN12_GLOBAL__N_121softmax_warp_backwardIfN3c104HalfEfLi4ELb0ELb0ELi32EEEvPT0_PKT_S7_iiiPKb: ; @_ZN12_GLOBAL__N_121softmax_warp_backwardIfN3c104HalfEfLi4ELb0ELb0ELi32EEEvPT0_PKT_S7_iiiPKb
; %bb.0:
	s_clause 0x1
	s_load_b32 s2, s[0:1], 0x3c
	s_load_b128 s[4:7], s[0:1], 0x18
	v_bfe_u32 v1, v0, 10, 10
	v_dual_mov_b32 v7, 0 :: v_dual_and_b32 v2, 15, v0
	s_load_b128 s[8:11], s[0:1], 0x0
	v_mov_b32_e32 v8, 0
	s_waitcnt lgkmcnt(0)
	s_lshr_b32 s2, s2, 16
	v_cmp_gt_i32_e32 vcc_lo, s6, v2
	s_mul_i32 s15, s15, s2
	s_load_b64 s[2:3], s[0:1], 0x10
	v_add_lshl_u32 v3, s15, v1, 1
	s_delay_alu instid0(VALU_DEP_1) | instskip(SKIP_1) | instid1(VALU_DEP_1)
	v_mad_u64_u32 v[0:1], null, v3, s5, v[2:3]
	v_sub_nc_u32_e32 v6, s4, v3
	v_cmp_lt_i32_e64 s0, 0, v6
	s_delay_alu instid0(VALU_DEP_3) | instskip(NEXT) | instid1(VALU_DEP_1)
	v_ashrrev_i32_e32 v1, 31, v0
	v_lshlrev_b64 v[9:10], 2, v[0:1]
	s_delay_alu instid0(VALU_DEP_1) | instskip(NEXT) | instid1(VALU_DEP_1)
	v_add_co_u32 v4, s1, s10, v9
	v_add_co_ci_u32_e64 v5, s1, s11, v10, s1
	s_waitcnt lgkmcnt(0)
	v_add_co_u32 v2, s1, s2, v9
	v_mov_b32_e32 v9, 0
	v_add_co_ci_u32_e64 v3, s1, s3, v10, s1
	s_and_b32 s2, vcc_lo, s0
	s_delay_alu instid0(SALU_CYCLE_1)
	s_and_saveexec_b32 s1, s2
	s_cbranch_execz .LBB603_2
; %bb.1:
	global_load_b32 v8, v[4:5], off
	global_load_b32 v9, v[2:3], off
.LBB603_2:
	s_or_b32 exec_lo, exec_lo, s1
	v_cmp_lt_i32_e64 s1, 1, v6
	v_mov_b32_e32 v10, 0
	s_mov_b32 s7, 0
	s_delay_alu instid0(VALU_DEP_2) | instskip(NEXT) | instid1(SALU_CYCLE_1)
	s_and_b32 s1, vcc_lo, s1
	s_and_saveexec_b32 s2, s1
	s_cbranch_execz .LBB603_4
; %bb.3:
	s_lshl_b64 s[4:5], s[6:7], 2
	s_delay_alu instid0(SALU_CYCLE_1) | instskip(NEXT) | instid1(VALU_DEP_1)
	v_add_co_u32 v4, s1, v4, s4
	v_add_co_ci_u32_e64 v5, s1, s5, v5, s1
	v_add_co_u32 v2, s1, v2, s4
	s_delay_alu instid0(VALU_DEP_1)
	v_add_co_ci_u32_e64 v3, s1, s5, v3, s1
	global_load_b32 v7, v[4:5], off
	global_load_b32 v10, v[2:3], off
.LBB603_4:
	s_or_b32 exec_lo, exec_lo, s2
	v_mbcnt_lo_u32_b32 v2, -1, 0
	s_waitcnt vmcnt(1)
	v_add_f32_e32 v11, 0, v7
	v_add_f32_e32 v5, 0, v8
	s_delay_alu instid0(VALU_DEP_3) | instskip(SKIP_2) | instid1(VALU_DEP_3)
	v_and_b32_e32 v3, 16, v2
	v_xor_b32_e32 v4, 8, v2
	v_xor_b32_e32 v13, 4, v2
	v_add_nc_u32_e32 v3, 16, v3
	s_delay_alu instid0(VALU_DEP_1) | instskip(NEXT) | instid1(VALU_DEP_1)
	v_cmp_lt_i32_e64 s1, v4, v3
	v_cndmask_b32_e64 v4, v2, v4, s1
	s_delay_alu instid0(VALU_DEP_4) | instskip(NEXT) | instid1(VALU_DEP_2)
	v_cmp_lt_i32_e64 s1, v13, v3
	v_lshlrev_b32_e32 v4, 2, v4
	s_delay_alu instid0(VALU_DEP_2)
	v_cndmask_b32_e64 v13, v2, v13, s1
	ds_bpermute_b32 v12, v4, v5
	ds_bpermute_b32 v4, v4, v11
	v_lshlrev_b32_e32 v13, 2, v13
	s_waitcnt lgkmcnt(1)
	v_add_f32_e32 v5, v5, v12
	s_waitcnt lgkmcnt(0)
	v_add_f32_e32 v4, v11, v4
	ds_bpermute_b32 v11, v13, v5
	ds_bpermute_b32 v12, v13, v4
	v_xor_b32_e32 v13, 2, v2
	s_delay_alu instid0(VALU_DEP_1) | instskip(NEXT) | instid1(VALU_DEP_1)
	v_cmp_lt_i32_e64 s1, v13, v3
	v_cndmask_b32_e64 v13, v2, v13, s1
	s_delay_alu instid0(VALU_DEP_1)
	v_lshlrev_b32_e32 v13, 2, v13
	s_waitcnt lgkmcnt(1)
	v_add_f32_e32 v5, v5, v11
	s_waitcnt lgkmcnt(0)
	v_add_f32_e32 v11, v4, v12
	ds_bpermute_b32 v4, v13, v5
	ds_bpermute_b32 v12, v13, v11
	v_xor_b32_e32 v13, 1, v2
	s_waitcnt lgkmcnt(1)
	v_add_f32_e32 v4, v5, v4
	s_delay_alu instid0(VALU_DEP_2) | instskip(NEXT) | instid1(VALU_DEP_1)
	v_cmp_lt_i32_e64 s1, v13, v3
	v_cndmask_b32_e64 v2, v2, v13, s1
	s_waitcnt lgkmcnt(0)
	s_delay_alu instid0(VALU_DEP_1)
	v_dual_add_f32 v2, v11, v12 :: v_dual_lshlrev_b32 v3, 2, v2
	ds_bpermute_b32 v5, v3, v4
	ds_bpermute_b32 v3, v3, v2
	s_and_saveexec_b32 s1, s0
	s_cbranch_execz .LBB603_10
; %bb.5:
	v_lshlrev_b64 v[0:1], 1, v[0:1]
	s_delay_alu instid0(VALU_DEP_1) | instskip(NEXT) | instid1(VALU_DEP_1)
	v_add_co_u32 v0, s0, s8, v0
	v_add_co_ci_u32_e64 v1, s0, s9, v1, s0
	s_and_saveexec_b32 s0, vcc_lo
	s_cbranch_execz .LBB603_7
; %bb.6:
	s_waitcnt lgkmcnt(1)
	v_add_f32_e32 v4, v4, v5
	s_waitcnt vmcnt(0)
	s_delay_alu instid0(VALU_DEP_1)
	v_fma_mixlo_f16 v4, -v4, v9, v8
	global_store_b16 v[0:1], v4, off
.LBB603_7:
	s_or_b32 exec_lo, exec_lo, s0
	v_cmp_ne_u32_e64 s0, 1, v6
	s_delay_alu instid0(VALU_DEP_1)
	s_and_b32 exec_lo, exec_lo, s0
	s_cbranch_execz .LBB603_10
; %bb.8:
	s_and_b32 exec_lo, exec_lo, vcc_lo
	s_cbranch_execz .LBB603_10
; %bb.9:
	s_waitcnt lgkmcnt(0)
	v_add_f32_e32 v2, v2, v3
	s_lshl_b64 s[0:1], s[6:7], 1
	s_delay_alu instid0(SALU_CYCLE_1) | instskip(SKIP_1) | instid1(VALU_DEP_2)
	v_add_co_u32 v0, vcc_lo, v0, s0
	s_waitcnt vmcnt(0)
	v_fma_mixlo_f16 v2, -v2, v10, v7
	v_add_co_ci_u32_e32 v1, vcc_lo, s1, v1, vcc_lo
	global_store_b16 v[0:1], v2, off
.LBB603_10:
	s_nop 0
	s_sendmsg sendmsg(MSG_DEALLOC_VGPRS)
	s_endpgm
	.section	.rodata,"a",@progbits
	.p2align	6, 0x0
	.amdhsa_kernel _ZN12_GLOBAL__N_121softmax_warp_backwardIfN3c104HalfEfLi4ELb0ELb0ELi32EEEvPT0_PKT_S7_iiiPKb
		.amdhsa_group_segment_fixed_size 0
		.amdhsa_private_segment_fixed_size 0
		.amdhsa_kernarg_size 304
		.amdhsa_user_sgpr_count 15
		.amdhsa_user_sgpr_dispatch_ptr 0
		.amdhsa_user_sgpr_queue_ptr 0
		.amdhsa_user_sgpr_kernarg_segment_ptr 1
		.amdhsa_user_sgpr_dispatch_id 0
		.amdhsa_user_sgpr_private_segment_size 0
		.amdhsa_wavefront_size32 1
		.amdhsa_uses_dynamic_stack 0
		.amdhsa_enable_private_segment 0
		.amdhsa_system_sgpr_workgroup_id_x 1
		.amdhsa_system_sgpr_workgroup_id_y 0
		.amdhsa_system_sgpr_workgroup_id_z 0
		.amdhsa_system_sgpr_workgroup_info 0
		.amdhsa_system_vgpr_workitem_id 1
		.amdhsa_next_free_vgpr 14
		.amdhsa_next_free_sgpr 16
		.amdhsa_reserve_vcc 1
		.amdhsa_float_round_mode_32 0
		.amdhsa_float_round_mode_16_64 0
		.amdhsa_float_denorm_mode_32 3
		.amdhsa_float_denorm_mode_16_64 3
		.amdhsa_dx10_clamp 1
		.amdhsa_ieee_mode 1
		.amdhsa_fp16_overflow 0
		.amdhsa_workgroup_processor_mode 1
		.amdhsa_memory_ordered 1
		.amdhsa_forward_progress 0
		.amdhsa_shared_vgpr_count 0
		.amdhsa_exception_fp_ieee_invalid_op 0
		.amdhsa_exception_fp_denorm_src 0
		.amdhsa_exception_fp_ieee_div_zero 0
		.amdhsa_exception_fp_ieee_overflow 0
		.amdhsa_exception_fp_ieee_underflow 0
		.amdhsa_exception_fp_ieee_inexact 0
		.amdhsa_exception_int_div_zero 0
	.end_amdhsa_kernel
	.section	.text._ZN12_GLOBAL__N_121softmax_warp_backwardIfN3c104HalfEfLi4ELb0ELb0ELi32EEEvPT0_PKT_S7_iiiPKb,"axG",@progbits,_ZN12_GLOBAL__N_121softmax_warp_backwardIfN3c104HalfEfLi4ELb0ELb0ELi32EEEvPT0_PKT_S7_iiiPKb,comdat
.Lfunc_end603:
	.size	_ZN12_GLOBAL__N_121softmax_warp_backwardIfN3c104HalfEfLi4ELb0ELb0ELi32EEEvPT0_PKT_S7_iiiPKb, .Lfunc_end603-_ZN12_GLOBAL__N_121softmax_warp_backwardIfN3c104HalfEfLi4ELb0ELb0ELi32EEEvPT0_PKT_S7_iiiPKb
                                        ; -- End function
	.section	.AMDGPU.csdata,"",@progbits
; Kernel info:
; codeLenInByte = 732
; NumSgprs: 18
; NumVgprs: 14
; ScratchSize: 0
; MemoryBound: 0
; FloatMode: 240
; IeeeMode: 1
; LDSByteSize: 0 bytes/workgroup (compile time only)
; SGPRBlocks: 2
; VGPRBlocks: 1
; NumSGPRsForWavesPerEU: 18
; NumVGPRsForWavesPerEU: 14
; Occupancy: 16
; WaveLimiterHint : 0
; COMPUTE_PGM_RSRC2:SCRATCH_EN: 0
; COMPUTE_PGM_RSRC2:USER_SGPR: 15
; COMPUTE_PGM_RSRC2:TRAP_HANDLER: 0
; COMPUTE_PGM_RSRC2:TGID_X_EN: 1
; COMPUTE_PGM_RSRC2:TGID_Y_EN: 0
; COMPUTE_PGM_RSRC2:TGID_Z_EN: 0
; COMPUTE_PGM_RSRC2:TIDIG_COMP_CNT: 1
	.section	.text._ZN12_GLOBAL__N_121softmax_warp_backwardIfN3c104HalfEfLi5ELb0ELb0ELi64EEEvPT0_PKT_S7_iiiPKb,"axG",@progbits,_ZN12_GLOBAL__N_121softmax_warp_backwardIfN3c104HalfEfLi5ELb0ELb0ELi64EEEvPT0_PKT_S7_iiiPKb,comdat
	.globl	_ZN12_GLOBAL__N_121softmax_warp_backwardIfN3c104HalfEfLi5ELb0ELb0ELi64EEEvPT0_PKT_S7_iiiPKb ; -- Begin function _ZN12_GLOBAL__N_121softmax_warp_backwardIfN3c104HalfEfLi5ELb0ELb0ELi64EEEvPT0_PKT_S7_iiiPKb
	.p2align	8
	.type	_ZN12_GLOBAL__N_121softmax_warp_backwardIfN3c104HalfEfLi5ELb0ELb0ELi64EEEvPT0_PKT_S7_iiiPKb,@function
_ZN12_GLOBAL__N_121softmax_warp_backwardIfN3c104HalfEfLi5ELb0ELb0ELi64EEEvPT0_PKT_S7_iiiPKb: ; @_ZN12_GLOBAL__N_121softmax_warp_backwardIfN3c104HalfEfLi5ELb0ELb0ELi64EEEvPT0_PKT_S7_iiiPKb
; %bb.0:
	s_clause 0x1
	s_load_b32 s2, s[0:1], 0x3c
	s_load_b128 s[4:7], s[0:1], 0x18
	v_bfe_u32 v1, v0, 10, 10
	v_dual_mov_b32 v7, 0 :: v_dual_and_b32 v2, 31, v0
	s_load_b128 s[8:11], s[0:1], 0x0
	v_mov_b32_e32 v8, 0
	s_waitcnt lgkmcnt(0)
	s_lshr_b32 s2, s2, 16
	v_cmp_gt_i32_e32 vcc_lo, s6, v2
	s_mul_i32 s15, s15, s2
	s_load_b64 s[2:3], s[0:1], 0x10
	v_add_lshl_u32 v3, s15, v1, 1
	s_delay_alu instid0(VALU_DEP_1) | instskip(SKIP_1) | instid1(VALU_DEP_1)
	v_mad_u64_u32 v[0:1], null, v3, s5, v[2:3]
	v_sub_nc_u32_e32 v6, s4, v3
	v_cmp_lt_i32_e64 s0, 0, v6
	s_delay_alu instid0(VALU_DEP_3) | instskip(NEXT) | instid1(VALU_DEP_1)
	v_ashrrev_i32_e32 v1, 31, v0
	v_lshlrev_b64 v[9:10], 2, v[0:1]
	s_delay_alu instid0(VALU_DEP_1) | instskip(NEXT) | instid1(VALU_DEP_1)
	v_add_co_u32 v4, s1, s10, v9
	v_add_co_ci_u32_e64 v5, s1, s11, v10, s1
	s_waitcnt lgkmcnt(0)
	v_add_co_u32 v2, s1, s2, v9
	v_mov_b32_e32 v9, 0
	v_add_co_ci_u32_e64 v3, s1, s3, v10, s1
	s_and_b32 s2, vcc_lo, s0
	s_delay_alu instid0(SALU_CYCLE_1)
	s_and_saveexec_b32 s1, s2
	s_cbranch_execz .LBB604_2
; %bb.1:
	global_load_b32 v8, v[4:5], off
	global_load_b32 v9, v[2:3], off
.LBB604_2:
	s_or_b32 exec_lo, exec_lo, s1
	v_cmp_lt_i32_e64 s1, 1, v6
	v_mov_b32_e32 v10, 0
	s_mov_b32 s7, 0
	s_delay_alu instid0(VALU_DEP_2) | instskip(NEXT) | instid1(SALU_CYCLE_1)
	s_and_b32 s1, vcc_lo, s1
	s_and_saveexec_b32 s2, s1
	s_cbranch_execz .LBB604_4
; %bb.3:
	s_lshl_b64 s[4:5], s[6:7], 2
	s_delay_alu instid0(SALU_CYCLE_1) | instskip(NEXT) | instid1(VALU_DEP_1)
	v_add_co_u32 v4, s1, v4, s4
	v_add_co_ci_u32_e64 v5, s1, s5, v5, s1
	v_add_co_u32 v2, s1, v2, s4
	s_delay_alu instid0(VALU_DEP_1)
	v_add_co_ci_u32_e64 v3, s1, s5, v3, s1
	global_load_b32 v7, v[4:5], off
	global_load_b32 v10, v[2:3], off
.LBB604_4:
	s_or_b32 exec_lo, exec_lo, s2
	v_mbcnt_lo_u32_b32 v2, -1, 0
	s_delay_alu instid0(VALU_DEP_1) | instskip(SKIP_1) | instid1(VALU_DEP_2)
	v_xor_b32_e32 v3, 16, v2
	v_xor_b32_e32 v12, 8, v2
	v_cmp_gt_i32_e64 s1, 32, v3
	s_delay_alu instid0(VALU_DEP_1) | instskip(NEXT) | instid1(VALU_DEP_3)
	v_cndmask_b32_e64 v3, v2, v3, s1
	v_cmp_gt_i32_e64 s1, 32, v12
	s_waitcnt vmcnt(1)
	s_delay_alu instid0(VALU_DEP_2) | instskip(NEXT) | instid1(VALU_DEP_2)
	v_dual_add_f32 v4, 0, v8 :: v_dual_lshlrev_b32 v3, 2, v3
	v_cndmask_b32_e64 v12, v2, v12, s1
	v_add_f32_e32 v5, 0, v7
	ds_bpermute_b32 v11, v3, v4
	v_lshlrev_b32_e32 v12, 2, v12
	ds_bpermute_b32 v3, v3, v5
	s_waitcnt lgkmcnt(1)
	v_add_f32_e32 v4, v4, v11
	s_waitcnt lgkmcnt(0)
	v_add_f32_e32 v3, v5, v3
	ds_bpermute_b32 v5, v12, v4
	ds_bpermute_b32 v11, v12, v3
	v_xor_b32_e32 v12, 4, v2
	s_delay_alu instid0(VALU_DEP_1) | instskip(NEXT) | instid1(VALU_DEP_1)
	v_cmp_gt_i32_e64 s1, 32, v12
	v_cndmask_b32_e64 v12, v2, v12, s1
	s_delay_alu instid0(VALU_DEP_1)
	v_lshlrev_b32_e32 v12, 2, v12
	s_waitcnt lgkmcnt(0)
	v_dual_add_f32 v4, v4, v5 :: v_dual_add_f32 v3, v3, v11
	ds_bpermute_b32 v5, v12, v4
	ds_bpermute_b32 v11, v12, v3
	v_xor_b32_e32 v12, 2, v2
	s_delay_alu instid0(VALU_DEP_1) | instskip(NEXT) | instid1(VALU_DEP_1)
	v_cmp_gt_i32_e64 s1, 32, v12
	v_cndmask_b32_e64 v12, v2, v12, s1
	s_delay_alu instid0(VALU_DEP_1)
	v_lshlrev_b32_e32 v12, 2, v12
	s_waitcnt lgkmcnt(0)
	v_dual_add_f32 v4, v4, v5 :: v_dual_add_f32 v3, v3, v11
	ds_bpermute_b32 v5, v12, v4
	ds_bpermute_b32 v11, v12, v3
	v_xor_b32_e32 v12, 1, v2
	s_delay_alu instid0(VALU_DEP_1) | instskip(NEXT) | instid1(VALU_DEP_1)
	v_cmp_gt_i32_e64 s1, 32, v12
	v_cndmask_b32_e64 v2, v2, v12, s1
	s_delay_alu instid0(VALU_DEP_1)
	v_lshlrev_b32_e32 v12, 2, v2
	s_waitcnt lgkmcnt(1)
	v_add_f32_e32 v4, v4, v5
	s_waitcnt lgkmcnt(0)
	v_add_f32_e32 v2, v3, v11
	ds_bpermute_b32 v5, v12, v4
	ds_bpermute_b32 v3, v12, v2
	s_and_saveexec_b32 s1, s0
	s_cbranch_execz .LBB604_10
; %bb.5:
	v_lshlrev_b64 v[0:1], 1, v[0:1]
	s_delay_alu instid0(VALU_DEP_1) | instskip(NEXT) | instid1(VALU_DEP_1)
	v_add_co_u32 v0, s0, s8, v0
	v_add_co_ci_u32_e64 v1, s0, s9, v1, s0
	s_and_saveexec_b32 s0, vcc_lo
	s_cbranch_execz .LBB604_7
; %bb.6:
	s_waitcnt lgkmcnt(1)
	v_add_f32_e32 v4, v4, v5
	s_waitcnt vmcnt(0)
	s_delay_alu instid0(VALU_DEP_1)
	v_fma_mixlo_f16 v4, -v4, v9, v8
	global_store_b16 v[0:1], v4, off
.LBB604_7:
	s_or_b32 exec_lo, exec_lo, s0
	v_cmp_ne_u32_e64 s0, 1, v6
	s_delay_alu instid0(VALU_DEP_1)
	s_and_b32 exec_lo, exec_lo, s0
	s_cbranch_execz .LBB604_10
; %bb.8:
	s_and_b32 exec_lo, exec_lo, vcc_lo
	s_cbranch_execz .LBB604_10
; %bb.9:
	s_waitcnt lgkmcnt(0)
	v_add_f32_e32 v2, v2, v3
	s_lshl_b64 s[0:1], s[6:7], 1
	s_delay_alu instid0(SALU_CYCLE_1) | instskip(SKIP_1) | instid1(VALU_DEP_2)
	v_add_co_u32 v0, vcc_lo, v0, s0
	s_waitcnt vmcnt(0)
	v_fma_mixlo_f16 v2, -v2, v10, v7
	v_add_co_ci_u32_e32 v1, vcc_lo, s1, v1, vcc_lo
	global_store_b16 v[0:1], v2, off
.LBB604_10:
	s_nop 0
	s_sendmsg sendmsg(MSG_DEALLOC_VGPRS)
	s_endpgm
	.section	.rodata,"a",@progbits
	.p2align	6, 0x0
	.amdhsa_kernel _ZN12_GLOBAL__N_121softmax_warp_backwardIfN3c104HalfEfLi5ELb0ELb0ELi64EEEvPT0_PKT_S7_iiiPKb
		.amdhsa_group_segment_fixed_size 0
		.amdhsa_private_segment_fixed_size 0
		.amdhsa_kernarg_size 304
		.amdhsa_user_sgpr_count 15
		.amdhsa_user_sgpr_dispatch_ptr 0
		.amdhsa_user_sgpr_queue_ptr 0
		.amdhsa_user_sgpr_kernarg_segment_ptr 1
		.amdhsa_user_sgpr_dispatch_id 0
		.amdhsa_user_sgpr_private_segment_size 0
		.amdhsa_wavefront_size32 1
		.amdhsa_uses_dynamic_stack 0
		.amdhsa_enable_private_segment 0
		.amdhsa_system_sgpr_workgroup_id_x 1
		.amdhsa_system_sgpr_workgroup_id_y 0
		.amdhsa_system_sgpr_workgroup_id_z 0
		.amdhsa_system_sgpr_workgroup_info 0
		.amdhsa_system_vgpr_workitem_id 1
		.amdhsa_next_free_vgpr 13
		.amdhsa_next_free_sgpr 16
		.amdhsa_reserve_vcc 1
		.amdhsa_float_round_mode_32 0
		.amdhsa_float_round_mode_16_64 0
		.amdhsa_float_denorm_mode_32 3
		.amdhsa_float_denorm_mode_16_64 3
		.amdhsa_dx10_clamp 1
		.amdhsa_ieee_mode 1
		.amdhsa_fp16_overflow 0
		.amdhsa_workgroup_processor_mode 1
		.amdhsa_memory_ordered 1
		.amdhsa_forward_progress 0
		.amdhsa_shared_vgpr_count 0
		.amdhsa_exception_fp_ieee_invalid_op 0
		.amdhsa_exception_fp_denorm_src 0
		.amdhsa_exception_fp_ieee_div_zero 0
		.amdhsa_exception_fp_ieee_overflow 0
		.amdhsa_exception_fp_ieee_underflow 0
		.amdhsa_exception_fp_ieee_inexact 0
		.amdhsa_exception_int_div_zero 0
	.end_amdhsa_kernel
	.section	.text._ZN12_GLOBAL__N_121softmax_warp_backwardIfN3c104HalfEfLi5ELb0ELb0ELi64EEEvPT0_PKT_S7_iiiPKb,"axG",@progbits,_ZN12_GLOBAL__N_121softmax_warp_backwardIfN3c104HalfEfLi5ELb0ELb0ELi64EEEvPT0_PKT_S7_iiiPKb,comdat
.Lfunc_end604:
	.size	_ZN12_GLOBAL__N_121softmax_warp_backwardIfN3c104HalfEfLi5ELb0ELb0ELi64EEEvPT0_PKT_S7_iiiPKb, .Lfunc_end604-_ZN12_GLOBAL__N_121softmax_warp_backwardIfN3c104HalfEfLi5ELb0ELb0ELi64EEEvPT0_PKT_S7_iiiPKb
                                        ; -- End function
	.section	.AMDGPU.csdata,"",@progbits
; Kernel info:
; codeLenInByte = 776
; NumSgprs: 18
; NumVgprs: 13
; ScratchSize: 0
; MemoryBound: 0
; FloatMode: 240
; IeeeMode: 1
; LDSByteSize: 0 bytes/workgroup (compile time only)
; SGPRBlocks: 2
; VGPRBlocks: 1
; NumSGPRsForWavesPerEU: 18
; NumVGPRsForWavesPerEU: 13
; Occupancy: 16
; WaveLimiterHint : 0
; COMPUTE_PGM_RSRC2:SCRATCH_EN: 0
; COMPUTE_PGM_RSRC2:USER_SGPR: 15
; COMPUTE_PGM_RSRC2:TRAP_HANDLER: 0
; COMPUTE_PGM_RSRC2:TGID_X_EN: 1
; COMPUTE_PGM_RSRC2:TGID_Y_EN: 0
; COMPUTE_PGM_RSRC2:TGID_Z_EN: 0
; COMPUTE_PGM_RSRC2:TIDIG_COMP_CNT: 1
	.section	.text._ZN12_GLOBAL__N_121softmax_warp_backwardIfN3c104HalfEfLi5ELb0ELb0ELi32EEEvPT0_PKT_S7_iiiPKb,"axG",@progbits,_ZN12_GLOBAL__N_121softmax_warp_backwardIfN3c104HalfEfLi5ELb0ELb0ELi32EEEvPT0_PKT_S7_iiiPKb,comdat
	.globl	_ZN12_GLOBAL__N_121softmax_warp_backwardIfN3c104HalfEfLi5ELb0ELb0ELi32EEEvPT0_PKT_S7_iiiPKb ; -- Begin function _ZN12_GLOBAL__N_121softmax_warp_backwardIfN3c104HalfEfLi5ELb0ELb0ELi32EEEvPT0_PKT_S7_iiiPKb
	.p2align	8
	.type	_ZN12_GLOBAL__N_121softmax_warp_backwardIfN3c104HalfEfLi5ELb0ELb0ELi32EEEvPT0_PKT_S7_iiiPKb,@function
_ZN12_GLOBAL__N_121softmax_warp_backwardIfN3c104HalfEfLi5ELb0ELb0ELi32EEEvPT0_PKT_S7_iiiPKb: ; @_ZN12_GLOBAL__N_121softmax_warp_backwardIfN3c104HalfEfLi5ELb0ELb0ELi32EEEvPT0_PKT_S7_iiiPKb
; %bb.0:
	s_clause 0x1
	s_load_b32 s2, s[0:1], 0x3c
	s_load_b128 s[4:7], s[0:1], 0x18
	v_bfe_u32 v1, v0, 10, 10
	v_dual_mov_b32 v7, 0 :: v_dual_and_b32 v2, 31, v0
	s_load_b128 s[8:11], s[0:1], 0x0
	v_mov_b32_e32 v8, 0
	s_waitcnt lgkmcnt(0)
	s_lshr_b32 s2, s2, 16
	v_cmp_gt_i32_e32 vcc_lo, s6, v2
	s_mul_i32 s15, s15, s2
	s_load_b64 s[2:3], s[0:1], 0x10
	v_add_lshl_u32 v3, s15, v1, 1
	s_delay_alu instid0(VALU_DEP_1) | instskip(SKIP_1) | instid1(VALU_DEP_1)
	v_mad_u64_u32 v[0:1], null, v3, s5, v[2:3]
	v_sub_nc_u32_e32 v6, s4, v3
	v_cmp_lt_i32_e64 s0, 0, v6
	s_delay_alu instid0(VALU_DEP_3) | instskip(NEXT) | instid1(VALU_DEP_1)
	v_ashrrev_i32_e32 v1, 31, v0
	v_lshlrev_b64 v[9:10], 2, v[0:1]
	s_delay_alu instid0(VALU_DEP_1) | instskip(NEXT) | instid1(VALU_DEP_1)
	v_add_co_u32 v4, s1, s10, v9
	v_add_co_ci_u32_e64 v5, s1, s11, v10, s1
	s_waitcnt lgkmcnt(0)
	v_add_co_u32 v2, s1, s2, v9
	v_mov_b32_e32 v9, 0
	v_add_co_ci_u32_e64 v3, s1, s3, v10, s1
	s_and_b32 s2, vcc_lo, s0
	s_delay_alu instid0(SALU_CYCLE_1)
	s_and_saveexec_b32 s1, s2
	s_cbranch_execz .LBB605_2
; %bb.1:
	global_load_b32 v8, v[4:5], off
	global_load_b32 v9, v[2:3], off
.LBB605_2:
	s_or_b32 exec_lo, exec_lo, s1
	v_cmp_lt_i32_e64 s1, 1, v6
	v_mov_b32_e32 v10, 0
	s_mov_b32 s7, 0
	s_delay_alu instid0(VALU_DEP_2) | instskip(NEXT) | instid1(SALU_CYCLE_1)
	s_and_b32 s1, vcc_lo, s1
	s_and_saveexec_b32 s2, s1
	s_cbranch_execz .LBB605_4
; %bb.3:
	s_lshl_b64 s[4:5], s[6:7], 2
	s_delay_alu instid0(SALU_CYCLE_1) | instskip(NEXT) | instid1(VALU_DEP_1)
	v_add_co_u32 v4, s1, v4, s4
	v_add_co_ci_u32_e64 v5, s1, s5, v5, s1
	v_add_co_u32 v2, s1, v2, s4
	s_delay_alu instid0(VALU_DEP_1)
	v_add_co_ci_u32_e64 v3, s1, s5, v3, s1
	global_load_b32 v7, v[4:5], off
	global_load_b32 v10, v[2:3], off
.LBB605_4:
	s_or_b32 exec_lo, exec_lo, s2
	v_mbcnt_lo_u32_b32 v2, -1, 0
	s_delay_alu instid0(VALU_DEP_1) | instskip(SKIP_1) | instid1(VALU_DEP_2)
	v_xor_b32_e32 v3, 16, v2
	v_xor_b32_e32 v12, 8, v2
	v_cmp_gt_i32_e64 s1, 32, v3
	s_delay_alu instid0(VALU_DEP_1) | instskip(NEXT) | instid1(VALU_DEP_3)
	v_cndmask_b32_e64 v3, v2, v3, s1
	v_cmp_gt_i32_e64 s1, 32, v12
	s_waitcnt vmcnt(1)
	s_delay_alu instid0(VALU_DEP_2) | instskip(NEXT) | instid1(VALU_DEP_2)
	v_dual_add_f32 v4, 0, v8 :: v_dual_lshlrev_b32 v3, 2, v3
	v_cndmask_b32_e64 v12, v2, v12, s1
	v_add_f32_e32 v5, 0, v7
	ds_bpermute_b32 v11, v3, v4
	v_lshlrev_b32_e32 v12, 2, v12
	ds_bpermute_b32 v3, v3, v5
	s_waitcnt lgkmcnt(1)
	v_add_f32_e32 v4, v4, v11
	s_waitcnt lgkmcnt(0)
	v_add_f32_e32 v3, v5, v3
	ds_bpermute_b32 v5, v12, v4
	ds_bpermute_b32 v11, v12, v3
	v_xor_b32_e32 v12, 4, v2
	s_delay_alu instid0(VALU_DEP_1) | instskip(NEXT) | instid1(VALU_DEP_1)
	v_cmp_gt_i32_e64 s1, 32, v12
	v_cndmask_b32_e64 v12, v2, v12, s1
	s_delay_alu instid0(VALU_DEP_1)
	v_lshlrev_b32_e32 v12, 2, v12
	s_waitcnt lgkmcnt(0)
	v_dual_add_f32 v4, v4, v5 :: v_dual_add_f32 v3, v3, v11
	ds_bpermute_b32 v5, v12, v4
	ds_bpermute_b32 v11, v12, v3
	v_xor_b32_e32 v12, 2, v2
	s_delay_alu instid0(VALU_DEP_1) | instskip(NEXT) | instid1(VALU_DEP_1)
	v_cmp_gt_i32_e64 s1, 32, v12
	v_cndmask_b32_e64 v12, v2, v12, s1
	s_delay_alu instid0(VALU_DEP_1)
	v_lshlrev_b32_e32 v12, 2, v12
	s_waitcnt lgkmcnt(0)
	v_dual_add_f32 v4, v4, v5 :: v_dual_add_f32 v3, v3, v11
	ds_bpermute_b32 v5, v12, v4
	ds_bpermute_b32 v11, v12, v3
	v_xor_b32_e32 v12, 1, v2
	s_delay_alu instid0(VALU_DEP_1) | instskip(NEXT) | instid1(VALU_DEP_1)
	v_cmp_gt_i32_e64 s1, 32, v12
	v_cndmask_b32_e64 v2, v2, v12, s1
	s_delay_alu instid0(VALU_DEP_1)
	v_lshlrev_b32_e32 v12, 2, v2
	s_waitcnt lgkmcnt(1)
	v_add_f32_e32 v4, v4, v5
	s_waitcnt lgkmcnt(0)
	v_add_f32_e32 v2, v3, v11
	ds_bpermute_b32 v5, v12, v4
	ds_bpermute_b32 v3, v12, v2
	s_and_saveexec_b32 s1, s0
	s_cbranch_execz .LBB605_10
; %bb.5:
	v_lshlrev_b64 v[0:1], 1, v[0:1]
	s_delay_alu instid0(VALU_DEP_1) | instskip(NEXT) | instid1(VALU_DEP_1)
	v_add_co_u32 v0, s0, s8, v0
	v_add_co_ci_u32_e64 v1, s0, s9, v1, s0
	s_and_saveexec_b32 s0, vcc_lo
	s_cbranch_execz .LBB605_7
; %bb.6:
	s_waitcnt lgkmcnt(1)
	v_add_f32_e32 v4, v4, v5
	s_waitcnt vmcnt(0)
	s_delay_alu instid0(VALU_DEP_1)
	v_fma_mixlo_f16 v4, -v4, v9, v8
	global_store_b16 v[0:1], v4, off
.LBB605_7:
	s_or_b32 exec_lo, exec_lo, s0
	v_cmp_ne_u32_e64 s0, 1, v6
	s_delay_alu instid0(VALU_DEP_1)
	s_and_b32 exec_lo, exec_lo, s0
	s_cbranch_execz .LBB605_10
; %bb.8:
	s_and_b32 exec_lo, exec_lo, vcc_lo
	s_cbranch_execz .LBB605_10
; %bb.9:
	s_waitcnt lgkmcnt(0)
	v_add_f32_e32 v2, v2, v3
	s_lshl_b64 s[0:1], s[6:7], 1
	s_delay_alu instid0(SALU_CYCLE_1) | instskip(SKIP_1) | instid1(VALU_DEP_2)
	v_add_co_u32 v0, vcc_lo, v0, s0
	s_waitcnt vmcnt(0)
	v_fma_mixlo_f16 v2, -v2, v10, v7
	v_add_co_ci_u32_e32 v1, vcc_lo, s1, v1, vcc_lo
	global_store_b16 v[0:1], v2, off
.LBB605_10:
	s_nop 0
	s_sendmsg sendmsg(MSG_DEALLOC_VGPRS)
	s_endpgm
	.section	.rodata,"a",@progbits
	.p2align	6, 0x0
	.amdhsa_kernel _ZN12_GLOBAL__N_121softmax_warp_backwardIfN3c104HalfEfLi5ELb0ELb0ELi32EEEvPT0_PKT_S7_iiiPKb
		.amdhsa_group_segment_fixed_size 0
		.amdhsa_private_segment_fixed_size 0
		.amdhsa_kernarg_size 304
		.amdhsa_user_sgpr_count 15
		.amdhsa_user_sgpr_dispatch_ptr 0
		.amdhsa_user_sgpr_queue_ptr 0
		.amdhsa_user_sgpr_kernarg_segment_ptr 1
		.amdhsa_user_sgpr_dispatch_id 0
		.amdhsa_user_sgpr_private_segment_size 0
		.amdhsa_wavefront_size32 1
		.amdhsa_uses_dynamic_stack 0
		.amdhsa_enable_private_segment 0
		.amdhsa_system_sgpr_workgroup_id_x 1
		.amdhsa_system_sgpr_workgroup_id_y 0
		.amdhsa_system_sgpr_workgroup_id_z 0
		.amdhsa_system_sgpr_workgroup_info 0
		.amdhsa_system_vgpr_workitem_id 1
		.amdhsa_next_free_vgpr 13
		.amdhsa_next_free_sgpr 16
		.amdhsa_reserve_vcc 1
		.amdhsa_float_round_mode_32 0
		.amdhsa_float_round_mode_16_64 0
		.amdhsa_float_denorm_mode_32 3
		.amdhsa_float_denorm_mode_16_64 3
		.amdhsa_dx10_clamp 1
		.amdhsa_ieee_mode 1
		.amdhsa_fp16_overflow 0
		.amdhsa_workgroup_processor_mode 1
		.amdhsa_memory_ordered 1
		.amdhsa_forward_progress 0
		.amdhsa_shared_vgpr_count 0
		.amdhsa_exception_fp_ieee_invalid_op 0
		.amdhsa_exception_fp_denorm_src 0
		.amdhsa_exception_fp_ieee_div_zero 0
		.amdhsa_exception_fp_ieee_overflow 0
		.amdhsa_exception_fp_ieee_underflow 0
		.amdhsa_exception_fp_ieee_inexact 0
		.amdhsa_exception_int_div_zero 0
	.end_amdhsa_kernel
	.section	.text._ZN12_GLOBAL__N_121softmax_warp_backwardIfN3c104HalfEfLi5ELb0ELb0ELi32EEEvPT0_PKT_S7_iiiPKb,"axG",@progbits,_ZN12_GLOBAL__N_121softmax_warp_backwardIfN3c104HalfEfLi5ELb0ELb0ELi32EEEvPT0_PKT_S7_iiiPKb,comdat
.Lfunc_end605:
	.size	_ZN12_GLOBAL__N_121softmax_warp_backwardIfN3c104HalfEfLi5ELb0ELb0ELi32EEEvPT0_PKT_S7_iiiPKb, .Lfunc_end605-_ZN12_GLOBAL__N_121softmax_warp_backwardIfN3c104HalfEfLi5ELb0ELb0ELi32EEEvPT0_PKT_S7_iiiPKb
                                        ; -- End function
	.section	.AMDGPU.csdata,"",@progbits
; Kernel info:
; codeLenInByte = 776
; NumSgprs: 18
; NumVgprs: 13
; ScratchSize: 0
; MemoryBound: 0
; FloatMode: 240
; IeeeMode: 1
; LDSByteSize: 0 bytes/workgroup (compile time only)
; SGPRBlocks: 2
; VGPRBlocks: 1
; NumSGPRsForWavesPerEU: 18
; NumVGPRsForWavesPerEU: 13
; Occupancy: 16
; WaveLimiterHint : 0
; COMPUTE_PGM_RSRC2:SCRATCH_EN: 0
; COMPUTE_PGM_RSRC2:USER_SGPR: 15
; COMPUTE_PGM_RSRC2:TRAP_HANDLER: 0
; COMPUTE_PGM_RSRC2:TGID_X_EN: 1
; COMPUTE_PGM_RSRC2:TGID_Y_EN: 0
; COMPUTE_PGM_RSRC2:TGID_Z_EN: 0
; COMPUTE_PGM_RSRC2:TIDIG_COMP_CNT: 1
	.section	.text._ZN12_GLOBAL__N_121softmax_warp_backwardIfN3c104HalfEfLi6ELb0ELb0ELi64EEEvPT0_PKT_S7_iiiPKb,"axG",@progbits,_ZN12_GLOBAL__N_121softmax_warp_backwardIfN3c104HalfEfLi6ELb0ELb0ELi64EEEvPT0_PKT_S7_iiiPKb,comdat
	.globl	_ZN12_GLOBAL__N_121softmax_warp_backwardIfN3c104HalfEfLi6ELb0ELb0ELi64EEEvPT0_PKT_S7_iiiPKb ; -- Begin function _ZN12_GLOBAL__N_121softmax_warp_backwardIfN3c104HalfEfLi6ELb0ELb0ELi64EEEvPT0_PKT_S7_iiiPKb
	.p2align	8
	.type	_ZN12_GLOBAL__N_121softmax_warp_backwardIfN3c104HalfEfLi6ELb0ELb0ELi64EEEvPT0_PKT_S7_iiiPKb,@function
_ZN12_GLOBAL__N_121softmax_warp_backwardIfN3c104HalfEfLi6ELb0ELb0ELi64EEEvPT0_PKT_S7_iiiPKb: ; @_ZN12_GLOBAL__N_121softmax_warp_backwardIfN3c104HalfEfLi6ELb0ELb0ELi64EEEvPT0_PKT_S7_iiiPKb
; %bb.0:
	s_clause 0x1
	s_load_b32 s2, s[0:1], 0x3c
	s_load_b128 s[4:7], s[0:1], 0x18
	v_bfe_u32 v1, v0, 10, 10
	v_dual_mov_b32 v7, 0 :: v_dual_and_b32 v2, 63, v0
	s_load_b128 s[8:11], s[0:1], 0x0
	v_mov_b32_e32 v8, 0
	s_waitcnt lgkmcnt(0)
	s_lshr_b32 s2, s2, 16
	v_cmp_gt_i32_e32 vcc_lo, s6, v2
	s_mul_i32 s15, s15, s2
	s_load_b64 s[2:3], s[0:1], 0x10
	v_add_lshl_u32 v3, s15, v1, 1
	s_delay_alu instid0(VALU_DEP_1) | instskip(SKIP_1) | instid1(VALU_DEP_1)
	v_mad_u64_u32 v[0:1], null, v3, s5, v[2:3]
	v_sub_nc_u32_e32 v6, s4, v3
	v_cmp_lt_i32_e64 s0, 0, v6
	s_delay_alu instid0(VALU_DEP_3) | instskip(NEXT) | instid1(VALU_DEP_1)
	v_ashrrev_i32_e32 v1, 31, v0
	v_lshlrev_b64 v[9:10], 2, v[0:1]
	s_delay_alu instid0(VALU_DEP_1) | instskip(NEXT) | instid1(VALU_DEP_1)
	v_add_co_u32 v4, s1, s10, v9
	v_add_co_ci_u32_e64 v5, s1, s11, v10, s1
	s_waitcnt lgkmcnt(0)
	v_add_co_u32 v2, s1, s2, v9
	v_mov_b32_e32 v9, 0
	v_add_co_ci_u32_e64 v3, s1, s3, v10, s1
	s_and_b32 s2, vcc_lo, s0
	s_delay_alu instid0(SALU_CYCLE_1)
	s_and_saveexec_b32 s1, s2
	s_cbranch_execz .LBB606_2
; %bb.1:
	global_load_b32 v8, v[4:5], off
	global_load_b32 v9, v[2:3], off
.LBB606_2:
	s_or_b32 exec_lo, exec_lo, s1
	v_cmp_lt_i32_e64 s1, 1, v6
	v_mov_b32_e32 v10, 0
	s_mov_b32 s7, 0
	s_delay_alu instid0(VALU_DEP_2) | instskip(NEXT) | instid1(SALU_CYCLE_1)
	s_and_b32 s1, vcc_lo, s1
	s_and_saveexec_b32 s2, s1
	s_cbranch_execz .LBB606_4
; %bb.3:
	s_lshl_b64 s[4:5], s[6:7], 2
	s_delay_alu instid0(SALU_CYCLE_1) | instskip(NEXT) | instid1(VALU_DEP_1)
	v_add_co_u32 v4, s1, v4, s4
	v_add_co_ci_u32_e64 v5, s1, s5, v5, s1
	v_add_co_u32 v2, s1, v2, s4
	s_delay_alu instid0(VALU_DEP_1)
	v_add_co_ci_u32_e64 v3, s1, s5, v3, s1
	global_load_b32 v7, v[4:5], off
	global_load_b32 v10, v[2:3], off
.LBB606_4:
	s_or_b32 exec_lo, exec_lo, s2
	v_mbcnt_lo_u32_b32 v2, -1, 0
	s_delay_alu instid0(VALU_DEP_1) | instskip(SKIP_1) | instid1(VALU_DEP_2)
	v_or_b32_e32 v3, 32, v2
	v_xor_b32_e32 v12, 16, v2
	v_cmp_gt_i32_e64 s1, 64, v3
	s_delay_alu instid0(VALU_DEP_1) | instskip(NEXT) | instid1(VALU_DEP_3)
	v_cndmask_b32_e64 v3, v2, v3, s1
	v_cmp_gt_i32_e64 s1, 64, v12
	s_waitcnt vmcnt(1)
	s_delay_alu instid0(VALU_DEP_2) | instskip(NEXT) | instid1(VALU_DEP_2)
	v_dual_add_f32 v4, 0, v8 :: v_dual_lshlrev_b32 v3, 2, v3
	v_cndmask_b32_e64 v12, v2, v12, s1
	v_add_f32_e32 v5, 0, v7
	ds_bpermute_b32 v11, v3, v4
	v_lshlrev_b32_e32 v12, 2, v12
	ds_bpermute_b32 v3, v3, v5
	s_waitcnt lgkmcnt(1)
	v_add_f32_e32 v4, v4, v11
	s_waitcnt lgkmcnt(0)
	v_add_f32_e32 v3, v5, v3
	ds_bpermute_b32 v5, v12, v4
	ds_bpermute_b32 v11, v12, v3
	v_xor_b32_e32 v12, 8, v2
	s_delay_alu instid0(VALU_DEP_1) | instskip(NEXT) | instid1(VALU_DEP_1)
	v_cmp_gt_i32_e64 s1, 64, v12
	v_cndmask_b32_e64 v12, v2, v12, s1
	s_delay_alu instid0(VALU_DEP_1)
	v_lshlrev_b32_e32 v12, 2, v12
	s_waitcnt lgkmcnt(0)
	v_dual_add_f32 v4, v4, v5 :: v_dual_add_f32 v3, v3, v11
	ds_bpermute_b32 v5, v12, v4
	ds_bpermute_b32 v11, v12, v3
	v_xor_b32_e32 v12, 4, v2
	s_delay_alu instid0(VALU_DEP_1) | instskip(NEXT) | instid1(VALU_DEP_1)
	v_cmp_gt_i32_e64 s1, 64, v12
	v_cndmask_b32_e64 v12, v2, v12, s1
	s_waitcnt lgkmcnt(0)
	s_delay_alu instid0(VALU_DEP_1)
	v_dual_add_f32 v3, v3, v11 :: v_dual_lshlrev_b32 v12, 2, v12
	ds_bpermute_b32 v11, v12, v3
	s_waitcnt lgkmcnt(0)
	v_dual_add_f32 v4, v4, v5 :: v_dual_add_f32 v3, v3, v11
	ds_bpermute_b32 v5, v12, v4
	v_xor_b32_e32 v12, 2, v2
	s_delay_alu instid0(VALU_DEP_1) | instskip(NEXT) | instid1(VALU_DEP_1)
	v_cmp_gt_i32_e64 s1, 64, v12
	v_cndmask_b32_e64 v12, v2, v12, s1
	s_delay_alu instid0(VALU_DEP_1)
	v_lshlrev_b32_e32 v12, 2, v12
	s_waitcnt lgkmcnt(0)
	v_add_f32_e32 v4, v4, v5
	ds_bpermute_b32 v11, v12, v3
	ds_bpermute_b32 v5, v12, v4
	v_xor_b32_e32 v12, 1, v2
	s_delay_alu instid0(VALU_DEP_1) | instskip(NEXT) | instid1(VALU_DEP_1)
	v_cmp_gt_i32_e64 s1, 64, v12
	v_cndmask_b32_e64 v2, v2, v12, s1
	s_delay_alu instid0(VALU_DEP_1)
	v_lshlrev_b32_e32 v12, 2, v2
	s_waitcnt lgkmcnt(1)
	v_add_f32_e32 v2, v3, v11
	s_waitcnt lgkmcnt(0)
	v_add_f32_e32 v4, v4, v5
	ds_bpermute_b32 v3, v12, v2
	ds_bpermute_b32 v5, v12, v4
	s_and_saveexec_b32 s1, s0
	s_cbranch_execz .LBB606_10
; %bb.5:
	v_lshlrev_b64 v[0:1], 1, v[0:1]
	s_delay_alu instid0(VALU_DEP_1) | instskip(NEXT) | instid1(VALU_DEP_1)
	v_add_co_u32 v0, s0, s8, v0
	v_add_co_ci_u32_e64 v1, s0, s9, v1, s0
	s_and_saveexec_b32 s0, vcc_lo
	s_cbranch_execz .LBB606_7
; %bb.6:
	s_waitcnt lgkmcnt(0)
	v_add_f32_e32 v4, v4, v5
	s_waitcnt vmcnt(0)
	s_delay_alu instid0(VALU_DEP_1)
	v_fma_mixlo_f16 v4, -v4, v9, v8
	global_store_b16 v[0:1], v4, off
.LBB606_7:
	s_or_b32 exec_lo, exec_lo, s0
	v_cmp_ne_u32_e64 s0, 1, v6
	s_delay_alu instid0(VALU_DEP_1)
	s_and_b32 exec_lo, exec_lo, s0
	s_cbranch_execz .LBB606_10
; %bb.8:
	s_and_b32 exec_lo, exec_lo, vcc_lo
	s_cbranch_execz .LBB606_10
; %bb.9:
	s_waitcnt lgkmcnt(1)
	v_add_f32_e32 v2, v2, v3
	s_lshl_b64 s[0:1], s[6:7], 1
	s_delay_alu instid0(SALU_CYCLE_1) | instskip(SKIP_1) | instid1(VALU_DEP_2)
	v_add_co_u32 v0, vcc_lo, v0, s0
	s_waitcnt vmcnt(0)
	v_fma_mixlo_f16 v2, -v2, v10, v7
	v_add_co_ci_u32_e32 v1, vcc_lo, s1, v1, vcc_lo
	global_store_b16 v[0:1], v2, off
.LBB606_10:
	s_nop 0
	s_sendmsg sendmsg(MSG_DEALLOC_VGPRS)
	s_endpgm
	.section	.rodata,"a",@progbits
	.p2align	6, 0x0
	.amdhsa_kernel _ZN12_GLOBAL__N_121softmax_warp_backwardIfN3c104HalfEfLi6ELb0ELb0ELi64EEEvPT0_PKT_S7_iiiPKb
		.amdhsa_group_segment_fixed_size 0
		.amdhsa_private_segment_fixed_size 0
		.amdhsa_kernarg_size 304
		.amdhsa_user_sgpr_count 15
		.amdhsa_user_sgpr_dispatch_ptr 0
		.amdhsa_user_sgpr_queue_ptr 0
		.amdhsa_user_sgpr_kernarg_segment_ptr 1
		.amdhsa_user_sgpr_dispatch_id 0
		.amdhsa_user_sgpr_private_segment_size 0
		.amdhsa_wavefront_size32 1
		.amdhsa_uses_dynamic_stack 0
		.amdhsa_enable_private_segment 0
		.amdhsa_system_sgpr_workgroup_id_x 1
		.amdhsa_system_sgpr_workgroup_id_y 0
		.amdhsa_system_sgpr_workgroup_id_z 0
		.amdhsa_system_sgpr_workgroup_info 0
		.amdhsa_system_vgpr_workitem_id 1
		.amdhsa_next_free_vgpr 13
		.amdhsa_next_free_sgpr 16
		.amdhsa_reserve_vcc 1
		.amdhsa_float_round_mode_32 0
		.amdhsa_float_round_mode_16_64 0
		.amdhsa_float_denorm_mode_32 3
		.amdhsa_float_denorm_mode_16_64 3
		.amdhsa_dx10_clamp 1
		.amdhsa_ieee_mode 1
		.amdhsa_fp16_overflow 0
		.amdhsa_workgroup_processor_mode 1
		.amdhsa_memory_ordered 1
		.amdhsa_forward_progress 0
		.amdhsa_shared_vgpr_count 0
		.amdhsa_exception_fp_ieee_invalid_op 0
		.amdhsa_exception_fp_denorm_src 0
		.amdhsa_exception_fp_ieee_div_zero 0
		.amdhsa_exception_fp_ieee_overflow 0
		.amdhsa_exception_fp_ieee_underflow 0
		.amdhsa_exception_fp_ieee_inexact 0
		.amdhsa_exception_int_div_zero 0
	.end_amdhsa_kernel
	.section	.text._ZN12_GLOBAL__N_121softmax_warp_backwardIfN3c104HalfEfLi6ELb0ELb0ELi64EEEvPT0_PKT_S7_iiiPKb,"axG",@progbits,_ZN12_GLOBAL__N_121softmax_warp_backwardIfN3c104HalfEfLi6ELb0ELb0ELi64EEEvPT0_PKT_S7_iiiPKb,comdat
.Lfunc_end606:
	.size	_ZN12_GLOBAL__N_121softmax_warp_backwardIfN3c104HalfEfLi6ELb0ELb0ELi64EEEvPT0_PKT_S7_iiiPKb, .Lfunc_end606-_ZN12_GLOBAL__N_121softmax_warp_backwardIfN3c104HalfEfLi6ELb0ELb0ELi64EEEvPT0_PKT_S7_iiiPKb
                                        ; -- End function
	.section	.AMDGPU.csdata,"",@progbits
; Kernel info:
; codeLenInByte = 840
; NumSgprs: 18
; NumVgprs: 13
; ScratchSize: 0
; MemoryBound: 0
; FloatMode: 240
; IeeeMode: 1
; LDSByteSize: 0 bytes/workgroup (compile time only)
; SGPRBlocks: 2
; VGPRBlocks: 1
; NumSGPRsForWavesPerEU: 18
; NumVGPRsForWavesPerEU: 13
; Occupancy: 16
; WaveLimiterHint : 0
; COMPUTE_PGM_RSRC2:SCRATCH_EN: 0
; COMPUTE_PGM_RSRC2:USER_SGPR: 15
; COMPUTE_PGM_RSRC2:TRAP_HANDLER: 0
; COMPUTE_PGM_RSRC2:TGID_X_EN: 1
; COMPUTE_PGM_RSRC2:TGID_Y_EN: 0
; COMPUTE_PGM_RSRC2:TGID_Z_EN: 0
; COMPUTE_PGM_RSRC2:TIDIG_COMP_CNT: 1
	.section	.text._ZN12_GLOBAL__N_121softmax_warp_backwardIfN3c104HalfEfLi6ELb0ELb0ELi32EEEvPT0_PKT_S7_iiiPKb,"axG",@progbits,_ZN12_GLOBAL__N_121softmax_warp_backwardIfN3c104HalfEfLi6ELb0ELb0ELi32EEEvPT0_PKT_S7_iiiPKb,comdat
	.globl	_ZN12_GLOBAL__N_121softmax_warp_backwardIfN3c104HalfEfLi6ELb0ELb0ELi32EEEvPT0_PKT_S7_iiiPKb ; -- Begin function _ZN12_GLOBAL__N_121softmax_warp_backwardIfN3c104HalfEfLi6ELb0ELb0ELi32EEEvPT0_PKT_S7_iiiPKb
	.p2align	8
	.type	_ZN12_GLOBAL__N_121softmax_warp_backwardIfN3c104HalfEfLi6ELb0ELb0ELi32EEEvPT0_PKT_S7_iiiPKb,@function
_ZN12_GLOBAL__N_121softmax_warp_backwardIfN3c104HalfEfLi6ELb0ELb0ELi32EEEvPT0_PKT_S7_iiiPKb: ; @_ZN12_GLOBAL__N_121softmax_warp_backwardIfN3c104HalfEfLi6ELb0ELb0ELi32EEEvPT0_PKT_S7_iiiPKb
; %bb.0:
	s_clause 0x1
	s_load_b32 s2, s[0:1], 0x3c
	s_load_b128 s[4:7], s[0:1], 0x18
	v_bfe_u32 v1, v0, 10, 10
	v_dual_mov_b32 v9, 0 :: v_dual_and_b32 v6, 31, v0
	s_load_b128 s[8:11], s[0:1], 0x0
	v_mov_b32_e32 v8, 0
	v_mov_b32_e32 v10, 0
	s_waitcnt lgkmcnt(0)
	s_lshr_b32 s2, s2, 16
	v_cmp_gt_i32_e32 vcc_lo, s6, v6
	s_mul_i32 s15, s15, s2
	s_load_b64 s[2:3], s[0:1], 0x10
	v_add_lshl_u32 v2, s15, v1, 1
	s_delay_alu instid0(VALU_DEP_1) | instskip(SKIP_1) | instid1(VALU_DEP_1)
	v_mad_u64_u32 v[0:1], null, v2, s5, v[6:7]
	v_sub_nc_u32_e32 v7, s4, v2
	v_cmp_lt_i32_e64 s1, 0, v7
	s_delay_alu instid0(VALU_DEP_3) | instskip(NEXT) | instid1(VALU_DEP_1)
	v_ashrrev_i32_e32 v1, 31, v0
	v_lshlrev_b64 v[2:3], 2, v[0:1]
	s_delay_alu instid0(VALU_DEP_1) | instskip(NEXT) | instid1(VALU_DEP_1)
	v_add_co_u32 v4, s0, s10, v2
	v_add_co_ci_u32_e64 v5, s0, s11, v3, s0
	s_waitcnt lgkmcnt(0)
	v_add_co_u32 v2, s0, s2, v2
	s_delay_alu instid0(VALU_DEP_1) | instskip(SKIP_1) | instid1(SALU_CYCLE_1)
	v_add_co_ci_u32_e64 v3, s0, s3, v3, s0
	s_and_b32 s2, s1, vcc_lo
	s_and_saveexec_b32 s0, s2
	s_cbranch_execz .LBB607_2
; %bb.1:
	global_load_b32 v9, v[4:5], off
	global_load_b32 v10, v[2:3], off
.LBB607_2:
	s_or_b32 exec_lo, exec_lo, s0
	v_or_b32_e32 v6, 32, v6
	v_mov_b32_e32 v11, 0
	s_delay_alu instid0(VALU_DEP_2) | instskip(NEXT) | instid1(VALU_DEP_1)
	v_cmp_gt_i32_e64 s0, s6, v6
	s_and_b32 s3, s1, s0
	s_delay_alu instid0(SALU_CYCLE_1)
	s_and_saveexec_b32 s2, s3
	s_cbranch_execz .LBB607_4
; %bb.3:
	global_load_b32 v8, v[4:5], off offset:128
	global_load_b32 v11, v[2:3], off offset:128
.LBB607_4:
	s_or_b32 exec_lo, exec_lo, s2
	v_cmp_lt_i32_e64 s2, 1, v7
	v_dual_mov_b32 v6, 0 :: v_dual_mov_b32 v13, 0
	v_mov_b32_e32 v12, 0
	s_mov_b32 s7, 0
	s_delay_alu instid0(VALU_DEP_3) | instskip(NEXT) | instid1(SALU_CYCLE_1)
	s_and_b32 s3, s2, vcc_lo
	s_and_saveexec_b32 s4, s3
	s_cbranch_execz .LBB607_6
; %bb.5:
	s_lshl_b64 s[10:11], s[6:7], 2
	s_delay_alu instid0(SALU_CYCLE_1) | instskip(NEXT) | instid1(VALU_DEP_1)
	v_add_co_u32 v12, s3, v4, s10
	v_add_co_ci_u32_e64 v13, s3, s11, v5, s3
	v_add_co_u32 v14, s3, v2, s10
	s_delay_alu instid0(VALU_DEP_1)
	v_add_co_ci_u32_e64 v15, s3, s11, v3, s3
	global_load_b32 v12, v[12:13], off
	global_load_b32 v13, v[14:15], off
.LBB607_6:
	s_or_b32 exec_lo, exec_lo, s4
	v_mov_b32_e32 v14, 0
	s_and_b32 s2, s2, s0
	s_delay_alu instid0(SALU_CYCLE_1)
	s_and_saveexec_b32 s3, s2
	s_cbranch_execz .LBB607_8
; %bb.7:
	s_lshl_b64 s[4:5], s[6:7], 2
	s_delay_alu instid0(SALU_CYCLE_1) | instskip(NEXT) | instid1(VALU_DEP_1)
	v_add_co_u32 v4, s2, v4, s4
	v_add_co_ci_u32_e64 v5, s2, s5, v5, s2
	v_add_co_u32 v2, s2, v2, s4
	s_delay_alu instid0(VALU_DEP_1)
	v_add_co_ci_u32_e64 v3, s2, s5, v3, s2
	global_load_b32 v6, v[4:5], off offset:128
	global_load_b32 v14, v[2:3], off offset:128
.LBB607_8:
	s_or_b32 exec_lo, exec_lo, s3
	v_mbcnt_lo_u32_b32 v2, -1, 0
	s_waitcnt vmcnt(1)
	v_dual_add_f32 v4, 0, v9 :: v_dual_add_f32 v5, 0, v12
	s_delay_alu instid0(VALU_DEP_2) | instskip(SKIP_1) | instid1(VALU_DEP_2)
	v_xor_b32_e32 v3, 16, v2
	v_xor_b32_e32 v16, 8, v2
	v_cmp_gt_i32_e64 s2, 32, v3
	s_delay_alu instid0(VALU_DEP_1) | instskip(NEXT) | instid1(VALU_DEP_3)
	v_cndmask_b32_e64 v3, v2, v3, s2
	v_cmp_gt_i32_e64 s2, 32, v16
	s_delay_alu instid0(VALU_DEP_2) | instskip(NEXT) | instid1(VALU_DEP_2)
	v_dual_add_f32 v4, v4, v8 :: v_dual_lshlrev_b32 v3, 2, v3
	v_cndmask_b32_e64 v16, v2, v16, s2
	v_add_f32_e32 v5, v5, v6
	ds_bpermute_b32 v15, v3, v4
	v_lshlrev_b32_e32 v16, 2, v16
	ds_bpermute_b32 v3, v3, v5
	s_waitcnt lgkmcnt(1)
	v_add_f32_e32 v4, v4, v15
	s_waitcnt lgkmcnt(0)
	v_add_f32_e32 v3, v5, v3
	ds_bpermute_b32 v5, v16, v4
	ds_bpermute_b32 v15, v16, v3
	v_xor_b32_e32 v16, 4, v2
	s_delay_alu instid0(VALU_DEP_1) | instskip(NEXT) | instid1(VALU_DEP_1)
	v_cmp_gt_i32_e64 s2, 32, v16
	v_cndmask_b32_e64 v16, v2, v16, s2
	s_delay_alu instid0(VALU_DEP_1)
	v_lshlrev_b32_e32 v16, 2, v16
	s_waitcnt lgkmcnt(0)
	v_dual_add_f32 v4, v4, v5 :: v_dual_add_f32 v3, v3, v15
	ds_bpermute_b32 v5, v16, v4
	ds_bpermute_b32 v15, v16, v3
	v_xor_b32_e32 v16, 2, v2
	s_delay_alu instid0(VALU_DEP_1) | instskip(NEXT) | instid1(VALU_DEP_1)
	v_cmp_gt_i32_e64 s2, 32, v16
	v_cndmask_b32_e64 v16, v2, v16, s2
	s_delay_alu instid0(VALU_DEP_1)
	v_lshlrev_b32_e32 v16, 2, v16
	s_waitcnt lgkmcnt(0)
	v_dual_add_f32 v4, v4, v5 :: v_dual_add_f32 v3, v3, v15
	ds_bpermute_b32 v5, v16, v4
	ds_bpermute_b32 v15, v16, v3
	v_xor_b32_e32 v16, 1, v2
	s_delay_alu instid0(VALU_DEP_1) | instskip(NEXT) | instid1(VALU_DEP_1)
	v_cmp_gt_i32_e64 s2, 32, v16
	v_cndmask_b32_e64 v2, v2, v16, s2
	s_delay_alu instid0(VALU_DEP_1)
	v_lshlrev_b32_e32 v16, 2, v2
	s_waitcnt lgkmcnt(1)
	v_add_f32_e32 v4, v4, v5
	s_waitcnt lgkmcnt(0)
	v_add_f32_e32 v2, v3, v15
	ds_bpermute_b32 v5, v16, v4
	ds_bpermute_b32 v3, v16, v2
	s_and_saveexec_b32 s2, s1
	s_cbranch_execz .LBB607_12
; %bb.9:
	v_lshlrev_b64 v[0:1], 1, v[0:1]
	s_waitcnt lgkmcnt(1)
	v_add_f32_e32 v4, v4, v5
	s_delay_alu instid0(VALU_DEP_2) | instskip(NEXT) | instid1(VALU_DEP_1)
	v_add_co_u32 v0, s1, s8, v0
	v_add_co_ci_u32_e64 v1, s1, s9, v1, s1
	s_and_saveexec_b32 s1, vcc_lo
	s_cbranch_execnz .LBB607_13
; %bb.10:
	s_or_b32 exec_lo, exec_lo, s1
	s_and_saveexec_b32 s1, s0
	s_cbranch_execnz .LBB607_14
.LBB607_11:
	s_or_b32 exec_lo, exec_lo, s1
	v_cmp_ne_u32_e64 s1, 1, v7
	s_delay_alu instid0(VALU_DEP_1)
	s_and_b32 exec_lo, exec_lo, s1
	s_cbranch_execnz .LBB607_15
.LBB607_12:
	s_nop 0
	s_sendmsg sendmsg(MSG_DEALLOC_VGPRS)
	s_endpgm
.LBB607_13:
	s_waitcnt vmcnt(0)
	v_fma_mixlo_f16 v5, -v4, v10, v9
	global_store_b16 v[0:1], v5, off
	s_or_b32 exec_lo, exec_lo, s1
	s_and_saveexec_b32 s1, s0
	s_cbranch_execz .LBB607_11
.LBB607_14:
	s_waitcnt vmcnt(0)
	v_fma_mixlo_f16 v4, -v4, v11, v8
	global_store_b16 v[0:1], v4, off offset:64
	s_or_b32 exec_lo, exec_lo, s1
	v_cmp_ne_u32_e64 s1, 1, v7
	s_delay_alu instid0(VALU_DEP_1)
	s_and_b32 exec_lo, exec_lo, s1
	s_cbranch_execz .LBB607_12
.LBB607_15:
	s_waitcnt lgkmcnt(0)
	v_add_f32_e32 v2, v2, v3
	s_and_saveexec_b32 s1, vcc_lo
	s_cbranch_execz .LBB607_17
; %bb.16:
	s_lshl_b64 s[2:3], s[6:7], 1
	s_waitcnt vmcnt(0)
	v_fma_mixlo_f16 v5, -v2, v13, v12
	v_add_co_u32 v3, vcc_lo, v0, s2
	v_add_co_ci_u32_e32 v4, vcc_lo, s3, v1, vcc_lo
	global_store_b16 v[3:4], v5, off
.LBB607_17:
	s_or_b32 exec_lo, exec_lo, s1
	s_delay_alu instid0(SALU_CYCLE_1)
	s_and_b32 exec_lo, exec_lo, s0
	s_cbranch_execz .LBB607_12
; %bb.18:
	s_ashr_i32 s7, s6, 31
	s_waitcnt vmcnt(0)
	v_fma_mixlo_f16 v2, -v2, v14, v6
	s_lshl_b64 s[0:1], s[6:7], 1
	s_delay_alu instid0(SALU_CYCLE_1)
	v_add_co_u32 v0, vcc_lo, v0, s0
	v_add_co_ci_u32_e32 v1, vcc_lo, s1, v1, vcc_lo
	global_store_b16 v[0:1], v2, off offset:64
	s_nop 0
	s_sendmsg sendmsg(MSG_DEALLOC_VGPRS)
	s_endpgm
	.section	.rodata,"a",@progbits
	.p2align	6, 0x0
	.amdhsa_kernel _ZN12_GLOBAL__N_121softmax_warp_backwardIfN3c104HalfEfLi6ELb0ELb0ELi32EEEvPT0_PKT_S7_iiiPKb
		.amdhsa_group_segment_fixed_size 0
		.amdhsa_private_segment_fixed_size 0
		.amdhsa_kernarg_size 304
		.amdhsa_user_sgpr_count 15
		.amdhsa_user_sgpr_dispatch_ptr 0
		.amdhsa_user_sgpr_queue_ptr 0
		.amdhsa_user_sgpr_kernarg_segment_ptr 1
		.amdhsa_user_sgpr_dispatch_id 0
		.amdhsa_user_sgpr_private_segment_size 0
		.amdhsa_wavefront_size32 1
		.amdhsa_uses_dynamic_stack 0
		.amdhsa_enable_private_segment 0
		.amdhsa_system_sgpr_workgroup_id_x 1
		.amdhsa_system_sgpr_workgroup_id_y 0
		.amdhsa_system_sgpr_workgroup_id_z 0
		.amdhsa_system_sgpr_workgroup_info 0
		.amdhsa_system_vgpr_workitem_id 1
		.amdhsa_next_free_vgpr 17
		.amdhsa_next_free_sgpr 16
		.amdhsa_reserve_vcc 1
		.amdhsa_float_round_mode_32 0
		.amdhsa_float_round_mode_16_64 0
		.amdhsa_float_denorm_mode_32 3
		.amdhsa_float_denorm_mode_16_64 3
		.amdhsa_dx10_clamp 1
		.amdhsa_ieee_mode 1
		.amdhsa_fp16_overflow 0
		.amdhsa_workgroup_processor_mode 1
		.amdhsa_memory_ordered 1
		.amdhsa_forward_progress 0
		.amdhsa_shared_vgpr_count 0
		.amdhsa_exception_fp_ieee_invalid_op 0
		.amdhsa_exception_fp_denorm_src 0
		.amdhsa_exception_fp_ieee_div_zero 0
		.amdhsa_exception_fp_ieee_overflow 0
		.amdhsa_exception_fp_ieee_underflow 0
		.amdhsa_exception_fp_ieee_inexact 0
		.amdhsa_exception_int_div_zero 0
	.end_amdhsa_kernel
	.section	.text._ZN12_GLOBAL__N_121softmax_warp_backwardIfN3c104HalfEfLi6ELb0ELb0ELi32EEEvPT0_PKT_S7_iiiPKb,"axG",@progbits,_ZN12_GLOBAL__N_121softmax_warp_backwardIfN3c104HalfEfLi6ELb0ELb0ELi32EEEvPT0_PKT_S7_iiiPKb,comdat
.Lfunc_end607:
	.size	_ZN12_GLOBAL__N_121softmax_warp_backwardIfN3c104HalfEfLi6ELb0ELb0ELi32EEEvPT0_PKT_S7_iiiPKb, .Lfunc_end607-_ZN12_GLOBAL__N_121softmax_warp_backwardIfN3c104HalfEfLi6ELb0ELb0ELi32EEEvPT0_PKT_S7_iiiPKb
                                        ; -- End function
	.section	.AMDGPU.csdata,"",@progbits
; Kernel info:
; codeLenInByte = 1064
; NumSgprs: 18
; NumVgprs: 17
; ScratchSize: 0
; MemoryBound: 0
; FloatMode: 240
; IeeeMode: 1
; LDSByteSize: 0 bytes/workgroup (compile time only)
; SGPRBlocks: 2
; VGPRBlocks: 2
; NumSGPRsForWavesPerEU: 18
; NumVGPRsForWavesPerEU: 17
; Occupancy: 16
; WaveLimiterHint : 0
; COMPUTE_PGM_RSRC2:SCRATCH_EN: 0
; COMPUTE_PGM_RSRC2:USER_SGPR: 15
; COMPUTE_PGM_RSRC2:TRAP_HANDLER: 0
; COMPUTE_PGM_RSRC2:TGID_X_EN: 1
; COMPUTE_PGM_RSRC2:TGID_Y_EN: 0
; COMPUTE_PGM_RSRC2:TGID_Z_EN: 0
; COMPUTE_PGM_RSRC2:TIDIG_COMP_CNT: 1
	.section	.text._ZN12_GLOBAL__N_121softmax_warp_backwardIfN3c104HalfEfLi7ELb0ELb0ELi64EEEvPT0_PKT_S7_iiiPKb,"axG",@progbits,_ZN12_GLOBAL__N_121softmax_warp_backwardIfN3c104HalfEfLi7ELb0ELb0ELi64EEEvPT0_PKT_S7_iiiPKb,comdat
	.globl	_ZN12_GLOBAL__N_121softmax_warp_backwardIfN3c104HalfEfLi7ELb0ELb0ELi64EEEvPT0_PKT_S7_iiiPKb ; -- Begin function _ZN12_GLOBAL__N_121softmax_warp_backwardIfN3c104HalfEfLi7ELb0ELb0ELi64EEEvPT0_PKT_S7_iiiPKb
	.p2align	8
	.type	_ZN12_GLOBAL__N_121softmax_warp_backwardIfN3c104HalfEfLi7ELb0ELb0ELi64EEEvPT0_PKT_S7_iiiPKb,@function
_ZN12_GLOBAL__N_121softmax_warp_backwardIfN3c104HalfEfLi7ELb0ELb0ELi64EEEvPT0_PKT_S7_iiiPKb: ; @_ZN12_GLOBAL__N_121softmax_warp_backwardIfN3c104HalfEfLi7ELb0ELb0ELi64EEEvPT0_PKT_S7_iiiPKb
; %bb.0:
	s_clause 0x1
	s_load_b32 s2, s[0:1], 0x3c
	s_load_b128 s[4:7], s[0:1], 0x18
	v_bfe_u32 v1, v0, 10, 10
	v_dual_mov_b32 v9, 0 :: v_dual_and_b32 v6, 63, v0
	s_load_b128 s[8:11], s[0:1], 0x0
	v_mov_b32_e32 v8, 0
	v_mov_b32_e32 v10, 0
	s_waitcnt lgkmcnt(0)
	s_lshr_b32 s2, s2, 16
	v_cmp_gt_i32_e32 vcc_lo, s6, v6
	s_mul_i32 s15, s15, s2
	s_load_b64 s[2:3], s[0:1], 0x10
	v_add_lshl_u32 v2, s15, v1, 1
	s_delay_alu instid0(VALU_DEP_1) | instskip(SKIP_1) | instid1(VALU_DEP_1)
	v_mad_u64_u32 v[0:1], null, v2, s5, v[6:7]
	v_sub_nc_u32_e32 v7, s4, v2
	v_cmp_lt_i32_e64 s1, 0, v7
	s_delay_alu instid0(VALU_DEP_3) | instskip(NEXT) | instid1(VALU_DEP_1)
	v_ashrrev_i32_e32 v1, 31, v0
	v_lshlrev_b64 v[2:3], 2, v[0:1]
	s_delay_alu instid0(VALU_DEP_1) | instskip(NEXT) | instid1(VALU_DEP_1)
	v_add_co_u32 v4, s0, s10, v2
	v_add_co_ci_u32_e64 v5, s0, s11, v3, s0
	s_waitcnt lgkmcnt(0)
	v_add_co_u32 v2, s0, s2, v2
	s_delay_alu instid0(VALU_DEP_1) | instskip(SKIP_1) | instid1(SALU_CYCLE_1)
	v_add_co_ci_u32_e64 v3, s0, s3, v3, s0
	s_and_b32 s2, s1, vcc_lo
	s_and_saveexec_b32 s0, s2
	s_cbranch_execz .LBB608_2
; %bb.1:
	global_load_b32 v9, v[4:5], off
	global_load_b32 v10, v[2:3], off
.LBB608_2:
	s_or_b32 exec_lo, exec_lo, s0
	v_or_b32_e32 v6, 64, v6
	v_mov_b32_e32 v11, 0
	s_delay_alu instid0(VALU_DEP_2) | instskip(NEXT) | instid1(VALU_DEP_1)
	v_cmp_gt_i32_e64 s0, s6, v6
	s_and_b32 s3, s1, s0
	s_delay_alu instid0(SALU_CYCLE_1)
	s_and_saveexec_b32 s2, s3
	s_cbranch_execz .LBB608_4
; %bb.3:
	global_load_b32 v8, v[4:5], off offset:256
	global_load_b32 v11, v[2:3], off offset:256
.LBB608_4:
	s_or_b32 exec_lo, exec_lo, s2
	v_cmp_lt_i32_e64 s2, 1, v7
	v_dual_mov_b32 v6, 0 :: v_dual_mov_b32 v13, 0
	v_mov_b32_e32 v12, 0
	s_mov_b32 s7, 0
	s_delay_alu instid0(VALU_DEP_3) | instskip(NEXT) | instid1(SALU_CYCLE_1)
	s_and_b32 s3, s2, vcc_lo
	s_and_saveexec_b32 s4, s3
	s_cbranch_execz .LBB608_6
; %bb.5:
	s_lshl_b64 s[10:11], s[6:7], 2
	s_delay_alu instid0(SALU_CYCLE_1) | instskip(NEXT) | instid1(VALU_DEP_1)
	v_add_co_u32 v12, s3, v4, s10
	v_add_co_ci_u32_e64 v13, s3, s11, v5, s3
	v_add_co_u32 v14, s3, v2, s10
	s_delay_alu instid0(VALU_DEP_1)
	v_add_co_ci_u32_e64 v15, s3, s11, v3, s3
	global_load_b32 v12, v[12:13], off
	global_load_b32 v13, v[14:15], off
.LBB608_6:
	s_or_b32 exec_lo, exec_lo, s4
	v_mov_b32_e32 v14, 0
	s_and_b32 s2, s2, s0
	s_delay_alu instid0(SALU_CYCLE_1)
	s_and_saveexec_b32 s3, s2
	s_cbranch_execz .LBB608_8
; %bb.7:
	s_lshl_b64 s[4:5], s[6:7], 2
	s_delay_alu instid0(SALU_CYCLE_1) | instskip(NEXT) | instid1(VALU_DEP_1)
	v_add_co_u32 v4, s2, v4, s4
	v_add_co_ci_u32_e64 v5, s2, s5, v5, s2
	v_add_co_u32 v2, s2, v2, s4
	s_delay_alu instid0(VALU_DEP_1)
	v_add_co_ci_u32_e64 v3, s2, s5, v3, s2
	global_load_b32 v6, v[4:5], off offset:256
	global_load_b32 v14, v[2:3], off offset:256
.LBB608_8:
	s_or_b32 exec_lo, exec_lo, s3
	v_mbcnt_lo_u32_b32 v2, -1, 0
	s_waitcnt vmcnt(1)
	v_dual_add_f32 v4, 0, v9 :: v_dual_add_f32 v5, 0, v12
	s_delay_alu instid0(VALU_DEP_2) | instskip(SKIP_1) | instid1(VALU_DEP_2)
	v_or_b32_e32 v3, 32, v2
	v_xor_b32_e32 v16, 16, v2
	v_cmp_gt_i32_e64 s2, 64, v3
	s_delay_alu instid0(VALU_DEP_1) | instskip(NEXT) | instid1(VALU_DEP_3)
	v_cndmask_b32_e64 v3, v2, v3, s2
	v_cmp_gt_i32_e64 s2, 64, v16
	s_delay_alu instid0(VALU_DEP_2) | instskip(NEXT) | instid1(VALU_DEP_2)
	v_dual_add_f32 v4, v4, v8 :: v_dual_lshlrev_b32 v3, 2, v3
	v_cndmask_b32_e64 v16, v2, v16, s2
	v_add_f32_e32 v5, v5, v6
	ds_bpermute_b32 v15, v3, v4
	v_lshlrev_b32_e32 v16, 2, v16
	ds_bpermute_b32 v3, v3, v5
	s_waitcnt lgkmcnt(1)
	v_add_f32_e32 v4, v4, v15
	s_waitcnt lgkmcnt(0)
	v_add_f32_e32 v3, v5, v3
	ds_bpermute_b32 v5, v16, v4
	ds_bpermute_b32 v15, v16, v3
	v_xor_b32_e32 v16, 8, v2
	s_delay_alu instid0(VALU_DEP_1) | instskip(NEXT) | instid1(VALU_DEP_1)
	v_cmp_gt_i32_e64 s2, 64, v16
	v_cndmask_b32_e64 v16, v2, v16, s2
	s_delay_alu instid0(VALU_DEP_1)
	v_lshlrev_b32_e32 v16, 2, v16
	s_waitcnt lgkmcnt(0)
	v_dual_add_f32 v4, v4, v5 :: v_dual_add_f32 v3, v3, v15
	ds_bpermute_b32 v5, v16, v4
	ds_bpermute_b32 v15, v16, v3
	v_xor_b32_e32 v16, 4, v2
	s_delay_alu instid0(VALU_DEP_1) | instskip(NEXT) | instid1(VALU_DEP_1)
	v_cmp_gt_i32_e64 s2, 64, v16
	v_cndmask_b32_e64 v16, v2, v16, s2
	s_waitcnt lgkmcnt(0)
	s_delay_alu instid0(VALU_DEP_1)
	v_dual_add_f32 v3, v3, v15 :: v_dual_lshlrev_b32 v16, 2, v16
	ds_bpermute_b32 v15, v16, v3
	s_waitcnt lgkmcnt(0)
	v_dual_add_f32 v4, v4, v5 :: v_dual_add_f32 v3, v3, v15
	ds_bpermute_b32 v5, v16, v4
	v_xor_b32_e32 v16, 2, v2
	s_delay_alu instid0(VALU_DEP_1) | instskip(NEXT) | instid1(VALU_DEP_1)
	v_cmp_gt_i32_e64 s2, 64, v16
	v_cndmask_b32_e64 v16, v2, v16, s2
	s_delay_alu instid0(VALU_DEP_1)
	v_lshlrev_b32_e32 v16, 2, v16
	s_waitcnt lgkmcnt(0)
	v_add_f32_e32 v4, v4, v5
	ds_bpermute_b32 v15, v16, v3
	ds_bpermute_b32 v5, v16, v4
	v_xor_b32_e32 v16, 1, v2
	s_delay_alu instid0(VALU_DEP_1) | instskip(NEXT) | instid1(VALU_DEP_1)
	v_cmp_gt_i32_e64 s2, 64, v16
	v_cndmask_b32_e64 v2, v2, v16, s2
	s_delay_alu instid0(VALU_DEP_1)
	v_lshlrev_b32_e32 v16, 2, v2
	s_waitcnt lgkmcnt(1)
	v_add_f32_e32 v2, v3, v15
	s_waitcnt lgkmcnt(0)
	v_add_f32_e32 v4, v4, v5
	ds_bpermute_b32 v3, v16, v2
	ds_bpermute_b32 v5, v16, v4
	s_and_saveexec_b32 s2, s1
	s_cbranch_execz .LBB608_12
; %bb.9:
	v_lshlrev_b64 v[0:1], 1, v[0:1]
	s_waitcnt lgkmcnt(0)
	v_add_f32_e32 v4, v4, v5
	s_delay_alu instid0(VALU_DEP_2) | instskip(NEXT) | instid1(VALU_DEP_1)
	v_add_co_u32 v0, s1, s8, v0
	v_add_co_ci_u32_e64 v1, s1, s9, v1, s1
	s_and_saveexec_b32 s1, vcc_lo
	s_cbranch_execnz .LBB608_13
; %bb.10:
	s_or_b32 exec_lo, exec_lo, s1
	s_and_saveexec_b32 s1, s0
	s_cbranch_execnz .LBB608_14
.LBB608_11:
	s_or_b32 exec_lo, exec_lo, s1
	v_cmp_ne_u32_e64 s1, 1, v7
	s_delay_alu instid0(VALU_DEP_1)
	s_and_b32 exec_lo, exec_lo, s1
	s_cbranch_execnz .LBB608_15
.LBB608_12:
	s_nop 0
	s_sendmsg sendmsg(MSG_DEALLOC_VGPRS)
	s_endpgm
.LBB608_13:
	s_waitcnt vmcnt(0)
	v_fma_mixlo_f16 v5, -v4, v10, v9
	global_store_b16 v[0:1], v5, off
	s_or_b32 exec_lo, exec_lo, s1
	s_and_saveexec_b32 s1, s0
	s_cbranch_execz .LBB608_11
.LBB608_14:
	s_waitcnt vmcnt(0)
	v_fma_mixlo_f16 v4, -v4, v11, v8
	global_store_b16 v[0:1], v4, off offset:128
	s_or_b32 exec_lo, exec_lo, s1
	v_cmp_ne_u32_e64 s1, 1, v7
	s_delay_alu instid0(VALU_DEP_1)
	s_and_b32 exec_lo, exec_lo, s1
	s_cbranch_execz .LBB608_12
.LBB608_15:
	v_add_f32_e32 v2, v2, v3
	s_and_saveexec_b32 s1, vcc_lo
	s_cbranch_execz .LBB608_17
; %bb.16:
	s_lshl_b64 s[2:3], s[6:7], 1
	s_waitcnt vmcnt(0)
	v_fma_mixlo_f16 v5, -v2, v13, v12
	v_add_co_u32 v3, vcc_lo, v0, s2
	v_add_co_ci_u32_e32 v4, vcc_lo, s3, v1, vcc_lo
	global_store_b16 v[3:4], v5, off
.LBB608_17:
	s_or_b32 exec_lo, exec_lo, s1
	s_delay_alu instid0(SALU_CYCLE_1)
	s_and_b32 exec_lo, exec_lo, s0
	s_cbranch_execz .LBB608_12
; %bb.18:
	s_ashr_i32 s7, s6, 31
	s_waitcnt vmcnt(0)
	v_fma_mixlo_f16 v2, -v2, v14, v6
	s_lshl_b64 s[0:1], s[6:7], 1
	s_delay_alu instid0(SALU_CYCLE_1)
	v_add_co_u32 v0, vcc_lo, v0, s0
	v_add_co_ci_u32_e32 v1, vcc_lo, s1, v1, vcc_lo
	global_store_b16 v[0:1], v2, off offset:128
	s_nop 0
	s_sendmsg sendmsg(MSG_DEALLOC_VGPRS)
	s_endpgm
	.section	.rodata,"a",@progbits
	.p2align	6, 0x0
	.amdhsa_kernel _ZN12_GLOBAL__N_121softmax_warp_backwardIfN3c104HalfEfLi7ELb0ELb0ELi64EEEvPT0_PKT_S7_iiiPKb
		.amdhsa_group_segment_fixed_size 0
		.amdhsa_private_segment_fixed_size 0
		.amdhsa_kernarg_size 304
		.amdhsa_user_sgpr_count 15
		.amdhsa_user_sgpr_dispatch_ptr 0
		.amdhsa_user_sgpr_queue_ptr 0
		.amdhsa_user_sgpr_kernarg_segment_ptr 1
		.amdhsa_user_sgpr_dispatch_id 0
		.amdhsa_user_sgpr_private_segment_size 0
		.amdhsa_wavefront_size32 1
		.amdhsa_uses_dynamic_stack 0
		.amdhsa_enable_private_segment 0
		.amdhsa_system_sgpr_workgroup_id_x 1
		.amdhsa_system_sgpr_workgroup_id_y 0
		.amdhsa_system_sgpr_workgroup_id_z 0
		.amdhsa_system_sgpr_workgroup_info 0
		.amdhsa_system_vgpr_workitem_id 1
		.amdhsa_next_free_vgpr 17
		.amdhsa_next_free_sgpr 16
		.amdhsa_reserve_vcc 1
		.amdhsa_float_round_mode_32 0
		.amdhsa_float_round_mode_16_64 0
		.amdhsa_float_denorm_mode_32 3
		.amdhsa_float_denorm_mode_16_64 3
		.amdhsa_dx10_clamp 1
		.amdhsa_ieee_mode 1
		.amdhsa_fp16_overflow 0
		.amdhsa_workgroup_processor_mode 1
		.amdhsa_memory_ordered 1
		.amdhsa_forward_progress 0
		.amdhsa_shared_vgpr_count 0
		.amdhsa_exception_fp_ieee_invalid_op 0
		.amdhsa_exception_fp_denorm_src 0
		.amdhsa_exception_fp_ieee_div_zero 0
		.amdhsa_exception_fp_ieee_overflow 0
		.amdhsa_exception_fp_ieee_underflow 0
		.amdhsa_exception_fp_ieee_inexact 0
		.amdhsa_exception_int_div_zero 0
	.end_amdhsa_kernel
	.section	.text._ZN12_GLOBAL__N_121softmax_warp_backwardIfN3c104HalfEfLi7ELb0ELb0ELi64EEEvPT0_PKT_S7_iiiPKb,"axG",@progbits,_ZN12_GLOBAL__N_121softmax_warp_backwardIfN3c104HalfEfLi7ELb0ELb0ELi64EEEvPT0_PKT_S7_iiiPKb,comdat
.Lfunc_end608:
	.size	_ZN12_GLOBAL__N_121softmax_warp_backwardIfN3c104HalfEfLi7ELb0ELb0ELi64EEEvPT0_PKT_S7_iiiPKb, .Lfunc_end608-_ZN12_GLOBAL__N_121softmax_warp_backwardIfN3c104HalfEfLi7ELb0ELb0ELi64EEEvPT0_PKT_S7_iiiPKb
                                        ; -- End function
	.section	.AMDGPU.csdata,"",@progbits
; Kernel info:
; codeLenInByte = 1124
; NumSgprs: 18
; NumVgprs: 17
; ScratchSize: 0
; MemoryBound: 0
; FloatMode: 240
; IeeeMode: 1
; LDSByteSize: 0 bytes/workgroup (compile time only)
; SGPRBlocks: 2
; VGPRBlocks: 2
; NumSGPRsForWavesPerEU: 18
; NumVGPRsForWavesPerEU: 17
; Occupancy: 16
; WaveLimiterHint : 0
; COMPUTE_PGM_RSRC2:SCRATCH_EN: 0
; COMPUTE_PGM_RSRC2:USER_SGPR: 15
; COMPUTE_PGM_RSRC2:TRAP_HANDLER: 0
; COMPUTE_PGM_RSRC2:TGID_X_EN: 1
; COMPUTE_PGM_RSRC2:TGID_Y_EN: 0
; COMPUTE_PGM_RSRC2:TGID_Z_EN: 0
; COMPUTE_PGM_RSRC2:TIDIG_COMP_CNT: 1
	.section	.text._ZN12_GLOBAL__N_121softmax_warp_backwardIfN3c104HalfEfLi7ELb0ELb0ELi32EEEvPT0_PKT_S7_iiiPKb,"axG",@progbits,_ZN12_GLOBAL__N_121softmax_warp_backwardIfN3c104HalfEfLi7ELb0ELb0ELi32EEEvPT0_PKT_S7_iiiPKb,comdat
	.globl	_ZN12_GLOBAL__N_121softmax_warp_backwardIfN3c104HalfEfLi7ELb0ELb0ELi32EEEvPT0_PKT_S7_iiiPKb ; -- Begin function _ZN12_GLOBAL__N_121softmax_warp_backwardIfN3c104HalfEfLi7ELb0ELb0ELi32EEEvPT0_PKT_S7_iiiPKb
	.p2align	8
	.type	_ZN12_GLOBAL__N_121softmax_warp_backwardIfN3c104HalfEfLi7ELb0ELb0ELi32EEEvPT0_PKT_S7_iiiPKb,@function
_ZN12_GLOBAL__N_121softmax_warp_backwardIfN3c104HalfEfLi7ELb0ELb0ELi32EEEvPT0_PKT_S7_iiiPKb: ; @_ZN12_GLOBAL__N_121softmax_warp_backwardIfN3c104HalfEfLi7ELb0ELb0ELi32EEEvPT0_PKT_S7_iiiPKb
; %bb.0:
	s_clause 0x1
	s_load_b32 s2, s[0:1], 0x3c
	s_load_b128 s[4:7], s[0:1], 0x18
	v_bfe_u32 v1, v0, 10, 10
	v_dual_mov_b32 v9, 0 :: v_dual_and_b32 v6, 31, v0
	s_clause 0x1
	s_load_b128 s[8:11], s[0:1], 0x0
	s_load_b64 s[12:13], s[0:1], 0x10
	v_mov_b32_e32 v8, 0
	v_mov_b32_e32 v10, 0
	s_waitcnt lgkmcnt(0)
	s_lshr_b32 s2, s2, 16
	v_cmp_gt_i32_e32 vcc_lo, s6, v6
	s_mul_i32 s15, s15, s2
	s_delay_alu instid0(SALU_CYCLE_1) | instskip(NEXT) | instid1(VALU_DEP_1)
	v_add_lshl_u32 v2, s15, v1, 1
	v_mad_u64_u32 v[0:1], null, v2, s5, v[6:7]
	v_sub_nc_u32_e32 v7, s4, v2
	s_delay_alu instid0(VALU_DEP_1) | instskip(NEXT) | instid1(VALU_DEP_3)
	v_cmp_lt_i32_e64 s3, 0, v7
	v_ashrrev_i32_e32 v1, 31, v0
	s_delay_alu instid0(VALU_DEP_2) | instskip(NEXT) | instid1(VALU_DEP_1)
	s_and_b32 s1, s3, vcc_lo
	v_lshlrev_b64 v[2:3], 2, v[0:1]
	s_delay_alu instid0(VALU_DEP_1) | instskip(NEXT) | instid1(VALU_DEP_1)
	v_add_co_u32 v4, s0, s10, v2
	v_add_co_ci_u32_e64 v5, s0, s11, v3, s0
	v_add_co_u32 v2, s0, s12, v2
	s_delay_alu instid0(VALU_DEP_1)
	v_add_co_ci_u32_e64 v3, s0, s13, v3, s0
	s_and_saveexec_b32 s0, s1
	s_cbranch_execz .LBB609_2
; %bb.1:
	global_load_b32 v9, v[4:5], off
	global_load_b32 v10, v[2:3], off
.LBB609_2:
	s_or_b32 exec_lo, exec_lo, s0
	v_or_b32_e32 v11, 32, v6
	v_mov_b32_e32 v12, 0
	s_delay_alu instid0(VALU_DEP_2) | instskip(NEXT) | instid1(VALU_DEP_1)
	v_cmp_gt_i32_e64 s0, s6, v11
	s_and_b32 s2, s3, s0
	s_delay_alu instid0(SALU_CYCLE_1)
	s_and_saveexec_b32 s1, s2
	s_cbranch_execz .LBB609_4
; %bb.3:
	global_load_b32 v8, v[4:5], off offset:128
	global_load_b32 v12, v[2:3], off offset:128
.LBB609_4:
	s_or_b32 exec_lo, exec_lo, s1
	v_or_b32_e32 v11, 64, v6
	v_dual_mov_b32 v13, 0 :: v_dual_mov_b32 v14, 0
	s_delay_alu instid0(VALU_DEP_2) | instskip(SKIP_1) | instid1(VALU_DEP_2)
	v_cmp_gt_i32_e64 s1, s6, v11
	v_mov_b32_e32 v11, 0
	s_and_b32 s4, s3, s1
	s_delay_alu instid0(SALU_CYCLE_1)
	s_and_saveexec_b32 s2, s4
	s_cbranch_execz .LBB609_6
; %bb.5:
	global_load_b32 v13, v[4:5], off offset:256
	global_load_b32 v14, v[2:3], off offset:256
.LBB609_6:
	s_or_b32 exec_lo, exec_lo, s2
	v_or_b32_e32 v6, 0x60, v6
	v_mov_b32_e32 v15, 0
	s_delay_alu instid0(VALU_DEP_2) | instskip(NEXT) | instid1(VALU_DEP_1)
	v_cmp_gt_i32_e64 s2, s6, v6
	s_and_b32 s5, s3, s2
	s_delay_alu instid0(SALU_CYCLE_1)
	s_and_saveexec_b32 s4, s5
	s_cbranch_execz .LBB609_8
; %bb.7:
	global_load_b32 v11, v[4:5], off offset:384
	global_load_b32 v15, v[2:3], off offset:384
.LBB609_8:
	s_or_b32 exec_lo, exec_lo, s4
	v_cmp_lt_i32_e64 s4, 1, v7
	v_dual_mov_b32 v6, 0 :: v_dual_mov_b32 v17, 0
	v_mov_b32_e32 v16, 0
	s_mov_b32 s7, 0
	s_delay_alu instid0(VALU_DEP_3) | instskip(NEXT) | instid1(SALU_CYCLE_1)
	s_and_b32 s5, s4, vcc_lo
	s_and_saveexec_b32 s10, s5
	s_cbranch_execz .LBB609_10
; %bb.9:
	s_lshl_b64 s[12:13], s[6:7], 2
	s_delay_alu instid0(SALU_CYCLE_1) | instskip(NEXT) | instid1(VALU_DEP_1)
	v_add_co_u32 v16, s5, v4, s12
	v_add_co_ci_u32_e64 v17, s5, s13, v5, s5
	v_add_co_u32 v18, s5, v2, s12
	s_delay_alu instid0(VALU_DEP_1)
	v_add_co_ci_u32_e64 v19, s5, s13, v3, s5
	global_load_b32 v16, v[16:17], off
	global_load_b32 v17, v[18:19], off
.LBB609_10:
	s_or_b32 exec_lo, exec_lo, s10
	v_mov_b32_e32 v18, 0
	s_and_b32 s5, s4, s0
	s_delay_alu instid0(SALU_CYCLE_1)
	s_and_saveexec_b32 s10, s5
	s_cbranch_execz .LBB609_12
; %bb.11:
	s_lshl_b64 s[12:13], s[6:7], 2
	s_delay_alu instid0(SALU_CYCLE_1) | instskip(NEXT) | instid1(VALU_DEP_1)
	v_add_co_u32 v18, s5, v4, s12
	v_add_co_ci_u32_e64 v19, s5, s13, v5, s5
	v_add_co_u32 v20, s5, v2, s12
	s_delay_alu instid0(VALU_DEP_1)
	v_add_co_ci_u32_e64 v21, s5, s13, v3, s5
	global_load_b32 v6, v[18:19], off offset:128
	global_load_b32 v18, v[20:21], off offset:128
.LBB609_12:
	s_or_b32 exec_lo, exec_lo, s10
	v_dual_mov_b32 v19, 0 :: v_dual_mov_b32 v20, 0
	v_mov_b32_e32 v21, 0
	s_and_b32 s5, s4, s1
	s_delay_alu instid0(SALU_CYCLE_1)
	s_and_saveexec_b32 s10, s5
	s_cbranch_execz .LBB609_14
; %bb.13:
	s_lshl_b64 s[12:13], s[6:7], 2
	s_delay_alu instid0(SALU_CYCLE_1) | instskip(NEXT) | instid1(VALU_DEP_1)
	v_add_co_u32 v20, s5, v4, s12
	v_add_co_ci_u32_e64 v21, s5, s13, v5, s5
	v_add_co_u32 v22, s5, v2, s12
	s_delay_alu instid0(VALU_DEP_1)
	v_add_co_ci_u32_e64 v23, s5, s13, v3, s5
	global_load_b32 v20, v[20:21], off offset:256
	global_load_b32 v21, v[22:23], off offset:256
.LBB609_14:
	s_or_b32 exec_lo, exec_lo, s10
	v_mov_b32_e32 v22, 0
	s_and_b32 s4, s4, s2
	s_delay_alu instid0(SALU_CYCLE_1)
	s_and_saveexec_b32 s5, s4
	s_cbranch_execz .LBB609_16
; %bb.15:
	s_lshl_b64 s[10:11], s[6:7], 2
	s_delay_alu instid0(SALU_CYCLE_1) | instskip(NEXT) | instid1(VALU_DEP_1)
	v_add_co_u32 v4, s4, v4, s10
	v_add_co_ci_u32_e64 v5, s4, s11, v5, s4
	v_add_co_u32 v2, s4, v2, s10
	s_delay_alu instid0(VALU_DEP_1)
	v_add_co_ci_u32_e64 v3, s4, s11, v3, s4
	global_load_b32 v19, v[4:5], off offset:384
	global_load_b32 v22, v[2:3], off offset:384
.LBB609_16:
	s_or_b32 exec_lo, exec_lo, s5
	v_mbcnt_lo_u32_b32 v3, -1, 0
	s_waitcnt vmcnt(1)
	v_add_f32_e32 v2, 0, v9
	s_delay_alu instid0(VALU_DEP_2) | instskip(NEXT) | instid1(VALU_DEP_2)
	v_xor_b32_e32 v5, 16, v3
	v_add_f32_e32 v2, v2, v8
	v_xor_b32_e32 v24, 8, v3
	s_delay_alu instid0(VALU_DEP_3) | instskip(NEXT) | instid1(VALU_DEP_3)
	v_cmp_gt_i32_e64 s4, 32, v5
	v_add_f32_e32 v2, v2, v13
	s_delay_alu instid0(VALU_DEP_2) | instskip(SKIP_1) | instid1(VALU_DEP_3)
	v_cndmask_b32_e64 v5, v3, v5, s4
	v_add_f32_e32 v4, 0, v16
	v_add_f32_e32 v2, v2, v11
	v_cmp_gt_i32_e64 s4, 32, v24
	s_delay_alu instid0(VALU_DEP_3) | instskip(NEXT) | instid1(VALU_DEP_2)
	v_dual_add_f32 v4, v4, v6 :: v_dual_lshlrev_b32 v5, 2, v5
	v_cndmask_b32_e64 v24, v3, v24, s4
	ds_bpermute_b32 v23, v5, v2
	v_add_f32_e32 v4, v4, v20
	v_lshlrev_b32_e32 v24, 2, v24
	s_delay_alu instid0(VALU_DEP_2)
	v_add_f32_e32 v4, v4, v19
	ds_bpermute_b32 v5, v5, v4
	s_waitcnt lgkmcnt(1)
	v_add_f32_e32 v2, v2, v23
	s_waitcnt lgkmcnt(0)
	v_add_f32_e32 v4, v4, v5
	ds_bpermute_b32 v5, v24, v2
	ds_bpermute_b32 v23, v24, v4
	v_xor_b32_e32 v24, 4, v3
	s_delay_alu instid0(VALU_DEP_1) | instskip(NEXT) | instid1(VALU_DEP_1)
	v_cmp_gt_i32_e64 s4, 32, v24
	v_cndmask_b32_e64 v24, v3, v24, s4
	s_delay_alu instid0(VALU_DEP_1)
	v_lshlrev_b32_e32 v24, 2, v24
	s_waitcnt lgkmcnt(1)
	v_add_f32_e32 v2, v2, v5
	s_waitcnt lgkmcnt(0)
	v_add_f32_e32 v4, v4, v23
	ds_bpermute_b32 v5, v24, v2
	ds_bpermute_b32 v23, v24, v4
	v_xor_b32_e32 v24, 2, v3
	s_delay_alu instid0(VALU_DEP_1) | instskip(NEXT) | instid1(VALU_DEP_1)
	v_cmp_gt_i32_e64 s4, 32, v24
	v_cndmask_b32_e64 v24, v3, v24, s4
	s_delay_alu instid0(VALU_DEP_1)
	v_lshlrev_b32_e32 v24, 2, v24
	s_waitcnt lgkmcnt(0)
	v_dual_add_f32 v2, v2, v5 :: v_dual_add_f32 v5, v4, v23
	ds_bpermute_b32 v4, v24, v2
	ds_bpermute_b32 v23, v24, v5
	v_xor_b32_e32 v24, 1, v3
	s_delay_alu instid0(VALU_DEP_1) | instskip(NEXT) | instid1(VALU_DEP_1)
	v_cmp_gt_i32_e64 s4, 32, v24
	v_cndmask_b32_e64 v3, v3, v24, s4
	s_waitcnt lgkmcnt(1)
	s_delay_alu instid0(VALU_DEP_1)
	v_dual_add_f32 v4, v2, v4 :: v_dual_lshlrev_b32 v3, 2, v3
	s_waitcnt lgkmcnt(0)
	v_add_f32_e32 v2, v5, v23
	ds_bpermute_b32 v5, v3, v4
	ds_bpermute_b32 v3, v3, v2
	s_and_saveexec_b32 s4, s3
	s_cbranch_execz .LBB609_22
; %bb.17:
	v_lshlrev_b64 v[0:1], 1, v[0:1]
	s_waitcnt lgkmcnt(1)
	v_add_f32_e32 v4, v4, v5
	s_delay_alu instid0(VALU_DEP_2) | instskip(NEXT) | instid1(VALU_DEP_1)
	v_add_co_u32 v0, s3, s8, v0
	v_add_co_ci_u32_e64 v1, s3, s9, v1, s3
	s_and_saveexec_b32 s3, vcc_lo
	s_cbranch_execnz .LBB609_23
; %bb.18:
	s_or_b32 exec_lo, exec_lo, s3
	s_and_saveexec_b32 s3, s0
	s_cbranch_execnz .LBB609_24
.LBB609_19:
	s_or_b32 exec_lo, exec_lo, s3
	s_and_saveexec_b32 s3, s1
	s_cbranch_execnz .LBB609_25
.LBB609_20:
	s_or_b32 exec_lo, exec_lo, s3
	s_and_saveexec_b32 s3, s2
	s_cbranch_execnz .LBB609_26
.LBB609_21:
	s_or_b32 exec_lo, exec_lo, s3
	v_cmp_ne_u32_e64 s3, 1, v7
	s_delay_alu instid0(VALU_DEP_1)
	s_and_b32 exec_lo, exec_lo, s3
	s_cbranch_execnz .LBB609_27
.LBB609_22:
	s_nop 0
	s_sendmsg sendmsg(MSG_DEALLOC_VGPRS)
	s_endpgm
.LBB609_23:
	s_waitcnt vmcnt(0)
	v_fma_mixlo_f16 v5, -v4, v10, v9
	global_store_b16 v[0:1], v5, off
	s_or_b32 exec_lo, exec_lo, s3
	s_and_saveexec_b32 s3, s0
	s_cbranch_execz .LBB609_19
.LBB609_24:
	s_waitcnt vmcnt(0)
	v_fma_mixlo_f16 v5, -v4, v12, v8
	global_store_b16 v[0:1], v5, off offset:64
	s_or_b32 exec_lo, exec_lo, s3
	s_and_saveexec_b32 s3, s1
	s_cbranch_execz .LBB609_20
.LBB609_25:
	s_waitcnt vmcnt(0)
	v_fma_mixlo_f16 v5, -v4, v14, v13
	global_store_b16 v[0:1], v5, off offset:128
	s_or_b32 exec_lo, exec_lo, s3
	s_and_saveexec_b32 s3, s2
	s_cbranch_execz .LBB609_21
.LBB609_26:
	s_waitcnt vmcnt(0)
	v_fma_mixlo_f16 v4, -v4, v15, v11
	global_store_b16 v[0:1], v4, off offset:192
	s_or_b32 exec_lo, exec_lo, s3
	v_cmp_ne_u32_e64 s3, 1, v7
	s_delay_alu instid0(VALU_DEP_1)
	s_and_b32 exec_lo, exec_lo, s3
	s_cbranch_execz .LBB609_22
.LBB609_27:
	s_ashr_i32 s7, s6, 31
	s_waitcnt lgkmcnt(0)
	v_add_f32_e32 v2, v2, v3
	s_lshl_b64 s[4:5], s[6:7], 1
	s_delay_alu instid0(SALU_CYCLE_1) | instskip(NEXT) | instid1(VALU_DEP_1)
	v_add_co_u32 v0, s3, v0, s4
	v_add_co_ci_u32_e64 v1, s3, s5, v1, s3
	s_and_saveexec_b32 s3, vcc_lo
	s_cbranch_execnz .LBB609_31
; %bb.28:
	s_or_b32 exec_lo, exec_lo, s3
	s_and_saveexec_b32 s3, s0
	s_cbranch_execnz .LBB609_32
.LBB609_29:
	s_or_b32 exec_lo, exec_lo, s3
	s_and_saveexec_b32 s0, s1
	s_cbranch_execnz .LBB609_33
.LBB609_30:
	s_or_b32 exec_lo, exec_lo, s0
	s_delay_alu instid0(SALU_CYCLE_1)
	s_and_b32 exec_lo, exec_lo, s2
	s_cbranch_execz .LBB609_22
	s_branch .LBB609_34
.LBB609_31:
	s_waitcnt vmcnt(0)
	v_fma_mixlo_f16 v3, -v2, v17, v16
	global_store_b16 v[0:1], v3, off
	s_or_b32 exec_lo, exec_lo, s3
	s_and_saveexec_b32 s3, s0
	s_cbranch_execz .LBB609_29
.LBB609_32:
	s_waitcnt vmcnt(0)
	v_fma_mixlo_f16 v3, -v2, v18, v6
	global_store_b16 v[0:1], v3, off offset:64
	s_or_b32 exec_lo, exec_lo, s3
	s_and_saveexec_b32 s0, s1
	s_cbranch_execz .LBB609_30
.LBB609_33:
	s_waitcnt vmcnt(0)
	v_fma_mixlo_f16 v3, -v2, v21, v20
	global_store_b16 v[0:1], v3, off offset:128
	s_or_b32 exec_lo, exec_lo, s0
	s_delay_alu instid0(SALU_CYCLE_1)
	s_and_b32 exec_lo, exec_lo, s2
	s_cbranch_execz .LBB609_22
.LBB609_34:
	s_waitcnt vmcnt(0)
	v_fma_mixlo_f16 v2, -v2, v22, v19
	global_store_b16 v[0:1], v2, off offset:192
	s_nop 0
	s_sendmsg sendmsg(MSG_DEALLOC_VGPRS)
	s_endpgm
	.section	.rodata,"a",@progbits
	.p2align	6, 0x0
	.amdhsa_kernel _ZN12_GLOBAL__N_121softmax_warp_backwardIfN3c104HalfEfLi7ELb0ELb0ELi32EEEvPT0_PKT_S7_iiiPKb
		.amdhsa_group_segment_fixed_size 0
		.amdhsa_private_segment_fixed_size 0
		.amdhsa_kernarg_size 304
		.amdhsa_user_sgpr_count 15
		.amdhsa_user_sgpr_dispatch_ptr 0
		.amdhsa_user_sgpr_queue_ptr 0
		.amdhsa_user_sgpr_kernarg_segment_ptr 1
		.amdhsa_user_sgpr_dispatch_id 0
		.amdhsa_user_sgpr_private_segment_size 0
		.amdhsa_wavefront_size32 1
		.amdhsa_uses_dynamic_stack 0
		.amdhsa_enable_private_segment 0
		.amdhsa_system_sgpr_workgroup_id_x 1
		.amdhsa_system_sgpr_workgroup_id_y 0
		.amdhsa_system_sgpr_workgroup_id_z 0
		.amdhsa_system_sgpr_workgroup_info 0
		.amdhsa_system_vgpr_workitem_id 1
		.amdhsa_next_free_vgpr 25
		.amdhsa_next_free_sgpr 16
		.amdhsa_reserve_vcc 1
		.amdhsa_float_round_mode_32 0
		.amdhsa_float_round_mode_16_64 0
		.amdhsa_float_denorm_mode_32 3
		.amdhsa_float_denorm_mode_16_64 3
		.amdhsa_dx10_clamp 1
		.amdhsa_ieee_mode 1
		.amdhsa_fp16_overflow 0
		.amdhsa_workgroup_processor_mode 1
		.amdhsa_memory_ordered 1
		.amdhsa_forward_progress 0
		.amdhsa_shared_vgpr_count 0
		.amdhsa_exception_fp_ieee_invalid_op 0
		.amdhsa_exception_fp_denorm_src 0
		.amdhsa_exception_fp_ieee_div_zero 0
		.amdhsa_exception_fp_ieee_overflow 0
		.amdhsa_exception_fp_ieee_underflow 0
		.amdhsa_exception_fp_ieee_inexact 0
		.amdhsa_exception_int_div_zero 0
	.end_amdhsa_kernel
	.section	.text._ZN12_GLOBAL__N_121softmax_warp_backwardIfN3c104HalfEfLi7ELb0ELb0ELi32EEEvPT0_PKT_S7_iiiPKb,"axG",@progbits,_ZN12_GLOBAL__N_121softmax_warp_backwardIfN3c104HalfEfLi7ELb0ELb0ELi32EEEvPT0_PKT_S7_iiiPKb,comdat
.Lfunc_end609:
	.size	_ZN12_GLOBAL__N_121softmax_warp_backwardIfN3c104HalfEfLi7ELb0ELb0ELi32EEEvPT0_PKT_S7_iiiPKb, .Lfunc_end609-_ZN12_GLOBAL__N_121softmax_warp_backwardIfN3c104HalfEfLi7ELb0ELb0ELi32EEEvPT0_PKT_S7_iiiPKb
                                        ; -- End function
	.section	.AMDGPU.csdata,"",@progbits
; Kernel info:
; codeLenInByte = 1580
; NumSgprs: 18
; NumVgprs: 25
; ScratchSize: 0
; MemoryBound: 0
; FloatMode: 240
; IeeeMode: 1
; LDSByteSize: 0 bytes/workgroup (compile time only)
; SGPRBlocks: 2
; VGPRBlocks: 3
; NumSGPRsForWavesPerEU: 18
; NumVGPRsForWavesPerEU: 25
; Occupancy: 16
; WaveLimiterHint : 0
; COMPUTE_PGM_RSRC2:SCRATCH_EN: 0
; COMPUTE_PGM_RSRC2:USER_SGPR: 15
; COMPUTE_PGM_RSRC2:TRAP_HANDLER: 0
; COMPUTE_PGM_RSRC2:TGID_X_EN: 1
; COMPUTE_PGM_RSRC2:TGID_Y_EN: 0
; COMPUTE_PGM_RSRC2:TGID_Z_EN: 0
; COMPUTE_PGM_RSRC2:TIDIG_COMP_CNT: 1
	.section	.text._ZN12_GLOBAL__N_121softmax_warp_backwardIfN3c104HalfEfLi8ELb0ELb0ELi64EEEvPT0_PKT_S7_iiiPKb,"axG",@progbits,_ZN12_GLOBAL__N_121softmax_warp_backwardIfN3c104HalfEfLi8ELb0ELb0ELi64EEEvPT0_PKT_S7_iiiPKb,comdat
	.globl	_ZN12_GLOBAL__N_121softmax_warp_backwardIfN3c104HalfEfLi8ELb0ELb0ELi64EEEvPT0_PKT_S7_iiiPKb ; -- Begin function _ZN12_GLOBAL__N_121softmax_warp_backwardIfN3c104HalfEfLi8ELb0ELb0ELi64EEEvPT0_PKT_S7_iiiPKb
	.p2align	8
	.type	_ZN12_GLOBAL__N_121softmax_warp_backwardIfN3c104HalfEfLi8ELb0ELb0ELi64EEEvPT0_PKT_S7_iiiPKb,@function
_ZN12_GLOBAL__N_121softmax_warp_backwardIfN3c104HalfEfLi8ELb0ELb0ELi64EEEvPT0_PKT_S7_iiiPKb: ; @_ZN12_GLOBAL__N_121softmax_warp_backwardIfN3c104HalfEfLi8ELb0ELb0ELi64EEEvPT0_PKT_S7_iiiPKb
; %bb.0:
	s_clause 0x1
	s_load_b32 s2, s[0:1], 0x3c
	s_load_b128 s[8:11], s[0:1], 0x18
	v_bfe_u32 v1, v0, 10, 10
	s_clause 0x1
	s_load_b128 s[4:7], s[0:1], 0x0
	s_load_b64 s[12:13], s[0:1], 0x10
	v_mov_b32_e32 v8, 0
	v_dual_mov_b32 v10, 0 :: v_dual_mov_b32 v7, 0
	s_waitcnt lgkmcnt(0)
	s_lshr_b32 s2, s2, 16
	s_delay_alu instid0(SALU_CYCLE_1) | instskip(SKIP_1) | instid1(VALU_DEP_1)
	v_mad_u64_u32 v[3:4], null, s15, s2, v[1:2]
	v_and_b32_e32 v2, 63, v0
	v_cmp_gt_i32_e32 vcc_lo, s10, v2
	s_delay_alu instid0(VALU_DEP_3) | instskip(SKIP_1) | instid1(VALU_DEP_1)
	v_mad_u64_u32 v[0:1], null, v3, s9, v[2:3]
	v_sub_nc_u32_e32 v9, s8, v3
	v_cmp_lt_i32_e64 s3, 0, v9
	s_delay_alu instid0(VALU_DEP_3) | instskip(NEXT) | instid1(VALU_DEP_2)
	v_ashrrev_i32_e32 v1, 31, v0
	s_and_b32 s1, s3, vcc_lo
	s_delay_alu instid0(VALU_DEP_1) | instskip(NEXT) | instid1(VALU_DEP_1)
	v_lshlrev_b64 v[5:6], 2, v[0:1]
	v_add_co_u32 v3, s0, s6, v5
	s_delay_alu instid0(VALU_DEP_1) | instskip(SKIP_1) | instid1(VALU_DEP_1)
	v_add_co_ci_u32_e64 v4, s0, s7, v6, s0
	v_add_co_u32 v5, s0, s12, v5
	v_add_co_ci_u32_e64 v6, s0, s13, v6, s0
	s_and_saveexec_b32 s0, s1
	s_cbranch_execz .LBB610_2
; %bb.1:
	global_load_b32 v8, v[3:4], off
	global_load_b32 v10, v[5:6], off
.LBB610_2:
	s_or_b32 exec_lo, exec_lo, s0
	v_or_b32_e32 v11, 64, v2
	v_mov_b32_e32 v12, 0
	s_delay_alu instid0(VALU_DEP_2) | instskip(NEXT) | instid1(VALU_DEP_1)
	v_cmp_gt_i32_e64 s0, s10, v11
	s_and_b32 s2, s3, s0
	s_delay_alu instid0(SALU_CYCLE_1)
	s_and_saveexec_b32 s1, s2
	s_cbranch_execz .LBB610_4
; %bb.3:
	global_load_b32 v7, v[3:4], off offset:256
	global_load_b32 v12, v[5:6], off offset:256
.LBB610_4:
	s_or_b32 exec_lo, exec_lo, s1
	v_or_b32_e32 v11, 0x80, v2
	v_dual_mov_b32 v13, 0 :: v_dual_mov_b32 v14, 0
	s_delay_alu instid0(VALU_DEP_2) | instskip(SKIP_1) | instid1(VALU_DEP_2)
	v_cmp_gt_i32_e64 s1, s10, v11
	v_mov_b32_e32 v11, 0
	s_and_b32 s6, s3, s1
	s_delay_alu instid0(SALU_CYCLE_1)
	s_and_saveexec_b32 s2, s6
	s_cbranch_execz .LBB610_6
; %bb.5:
	global_load_b32 v13, v[3:4], off offset:512
	global_load_b32 v14, v[5:6], off offset:512
.LBB610_6:
	s_or_b32 exec_lo, exec_lo, s2
	v_or_b32_e32 v2, 0xc0, v2
	s_delay_alu instid0(VALU_DEP_1) | instskip(SKIP_1) | instid1(VALU_DEP_2)
	v_cmp_gt_i32_e64 s2, s10, v2
	v_mov_b32_e32 v2, 0
	s_and_b32 s6, s3, s2
	s_delay_alu instid0(SALU_CYCLE_1)
	s_and_saveexec_b32 s3, s6
	s_cbranch_execz .LBB610_8
; %bb.7:
	global_load_b32 v11, v[3:4], off offset:768
	global_load_b32 v2, v[5:6], off offset:768
.LBB610_8:
	s_or_b32 exec_lo, exec_lo, s3
	v_mbcnt_lo_u32_b32 v4, -1, 0
	s_mov_b32 s6, exec_lo
	s_delay_alu instid0(VALU_DEP_1) | instskip(SKIP_1) | instid1(VALU_DEP_2)
	v_or_b32_e32 v5, 32, v4
	v_xor_b32_e32 v6, 16, v4
	v_cmp_gt_i32_e64 s3, 64, v5
	s_delay_alu instid0(VALU_DEP_1) | instskip(NEXT) | instid1(VALU_DEP_3)
	v_cndmask_b32_e64 v5, v4, v5, s3
	v_cmp_gt_i32_e64 s3, 64, v6
	s_delay_alu instid0(VALU_DEP_2) | instskip(NEXT) | instid1(VALU_DEP_2)
	v_lshlrev_b32_e32 v5, 2, v5
	v_cndmask_b32_e64 v6, v4, v6, s3
	s_waitcnt vmcnt(1)
	s_delay_alu instid0(VALU_DEP_1) | instskip(NEXT) | instid1(VALU_DEP_1)
	v_dual_add_f32 v3, 0, v8 :: v_dual_lshlrev_b32 v6, 2, v6
	v_add_f32_e32 v3, v3, v7
	s_delay_alu instid0(VALU_DEP_1) | instskip(NEXT) | instid1(VALU_DEP_1)
	v_add_f32_e32 v3, v3, v13
	v_add_f32_e32 v3, v3, v11
	ds_bpermute_b32 v5, v5, v3
	s_waitcnt lgkmcnt(0)
	v_add_f32_e32 v3, v3, v5
	ds_bpermute_b32 v5, v6, v3
	v_xor_b32_e32 v6, 8, v4
	s_delay_alu instid0(VALU_DEP_1) | instskip(NEXT) | instid1(VALU_DEP_1)
	v_cmp_gt_i32_e64 s3, 64, v6
	v_cndmask_b32_e64 v6, v4, v6, s3
	s_waitcnt lgkmcnt(0)
	s_delay_alu instid0(VALU_DEP_1) | instskip(SKIP_2) | instid1(VALU_DEP_1)
	v_dual_add_f32 v3, v3, v5 :: v_dual_lshlrev_b32 v6, 2, v6
	ds_bpermute_b32 v5, v6, v3
	v_xor_b32_e32 v6, 4, v4
	v_cmp_gt_i32_e64 s3, 64, v6
	s_delay_alu instid0(VALU_DEP_1) | instskip(SKIP_1) | instid1(VALU_DEP_1)
	v_cndmask_b32_e64 v6, v4, v6, s3
	s_waitcnt lgkmcnt(0)
	v_dual_add_f32 v3, v3, v5 :: v_dual_lshlrev_b32 v6, 2, v6
	ds_bpermute_b32 v5, v6, v3
	v_xor_b32_e32 v6, 2, v4
	s_delay_alu instid0(VALU_DEP_1) | instskip(NEXT) | instid1(VALU_DEP_1)
	v_cmp_gt_i32_e64 s3, 64, v6
	v_cndmask_b32_e64 v6, v4, v6, s3
	s_waitcnt lgkmcnt(0)
	s_delay_alu instid0(VALU_DEP_1) | instskip(SKIP_2) | instid1(VALU_DEP_1)
	v_dual_add_f32 v3, v3, v5 :: v_dual_lshlrev_b32 v6, 2, v6
	ds_bpermute_b32 v5, v6, v3
	v_xor_b32_e32 v6, 1, v4
	v_cmp_gt_i32_e64 s3, 64, v6
	s_delay_alu instid0(VALU_DEP_1) | instskip(SKIP_1) | instid1(VALU_DEP_1)
	v_cndmask_b32_e64 v4, v4, v6, s3
	s_waitcnt lgkmcnt(0)
	v_dual_add_f32 v3, v3, v5 :: v_dual_lshlrev_b32 v4, 2, v4
	ds_bpermute_b32 v4, v4, v3
	v_cmpx_lt_i32_e32 0, v9
	s_cbranch_execz .LBB610_14
; %bb.9:
	v_lshlrev_b64 v[0:1], 1, v[0:1]
	s_waitcnt lgkmcnt(0)
	v_add_f32_e32 v3, v3, v4
	s_delay_alu instid0(VALU_DEP_2) | instskip(NEXT) | instid1(VALU_DEP_1)
	v_add_co_u32 v0, s3, s4, v0
	v_add_co_ci_u32_e64 v1, s3, s5, v1, s3
	s_and_saveexec_b32 s3, vcc_lo
	s_cbranch_execnz .LBB610_15
; %bb.10:
	s_or_b32 exec_lo, exec_lo, s3
	s_and_saveexec_b32 s3, s0
	s_cbranch_execnz .LBB610_16
.LBB610_11:
	s_or_b32 exec_lo, exec_lo, s3
	s_and_saveexec_b32 s0, s1
	s_cbranch_execnz .LBB610_17
.LBB610_12:
	s_or_b32 exec_lo, exec_lo, s0
	s_delay_alu instid0(SALU_CYCLE_1)
	s_and_b32 exec_lo, exec_lo, s2
	s_cbranch_execz .LBB610_14
.LBB610_13:
	s_waitcnt vmcnt(0)
	v_fma_mixlo_f16 v2, -v3, v2, v11
	global_store_b16 v[0:1], v2, off offset:384
.LBB610_14:
	s_nop 0
	s_sendmsg sendmsg(MSG_DEALLOC_VGPRS)
	s_endpgm
.LBB610_15:
	s_waitcnt vmcnt(0)
	v_fma_mixlo_f16 v4, -v3, v10, v8
	global_store_b16 v[0:1], v4, off
	s_or_b32 exec_lo, exec_lo, s3
	s_and_saveexec_b32 s3, s0
	s_cbranch_execz .LBB610_11
.LBB610_16:
	s_waitcnt vmcnt(0)
	v_fma_mixlo_f16 v4, -v3, v12, v7
	global_store_b16 v[0:1], v4, off offset:128
	s_or_b32 exec_lo, exec_lo, s3
	s_and_saveexec_b32 s0, s1
	s_cbranch_execz .LBB610_12
.LBB610_17:
	s_waitcnt vmcnt(0)
	v_fma_mixlo_f16 v4, -v3, v14, v13
	global_store_b16 v[0:1], v4, off offset:256
	s_or_b32 exec_lo, exec_lo, s0
	s_delay_alu instid0(SALU_CYCLE_1)
	s_and_b32 exec_lo, exec_lo, s2
	s_cbranch_execnz .LBB610_13
	s_branch .LBB610_14
	.section	.rodata,"a",@progbits
	.p2align	6, 0x0
	.amdhsa_kernel _ZN12_GLOBAL__N_121softmax_warp_backwardIfN3c104HalfEfLi8ELb0ELb0ELi64EEEvPT0_PKT_S7_iiiPKb
		.amdhsa_group_segment_fixed_size 0
		.amdhsa_private_segment_fixed_size 0
		.amdhsa_kernarg_size 304
		.amdhsa_user_sgpr_count 15
		.amdhsa_user_sgpr_dispatch_ptr 0
		.amdhsa_user_sgpr_queue_ptr 0
		.amdhsa_user_sgpr_kernarg_segment_ptr 1
		.amdhsa_user_sgpr_dispatch_id 0
		.amdhsa_user_sgpr_private_segment_size 0
		.amdhsa_wavefront_size32 1
		.amdhsa_uses_dynamic_stack 0
		.amdhsa_enable_private_segment 0
		.amdhsa_system_sgpr_workgroup_id_x 1
		.amdhsa_system_sgpr_workgroup_id_y 0
		.amdhsa_system_sgpr_workgroup_id_z 0
		.amdhsa_system_sgpr_workgroup_info 0
		.amdhsa_system_vgpr_workitem_id 1
		.amdhsa_next_free_vgpr 15
		.amdhsa_next_free_sgpr 16
		.amdhsa_reserve_vcc 1
		.amdhsa_float_round_mode_32 0
		.amdhsa_float_round_mode_16_64 0
		.amdhsa_float_denorm_mode_32 3
		.amdhsa_float_denorm_mode_16_64 3
		.amdhsa_dx10_clamp 1
		.amdhsa_ieee_mode 1
		.amdhsa_fp16_overflow 0
		.amdhsa_workgroup_processor_mode 1
		.amdhsa_memory_ordered 1
		.amdhsa_forward_progress 0
		.amdhsa_shared_vgpr_count 0
		.amdhsa_exception_fp_ieee_invalid_op 0
		.amdhsa_exception_fp_denorm_src 0
		.amdhsa_exception_fp_ieee_div_zero 0
		.amdhsa_exception_fp_ieee_overflow 0
		.amdhsa_exception_fp_ieee_underflow 0
		.amdhsa_exception_fp_ieee_inexact 0
		.amdhsa_exception_int_div_zero 0
	.end_amdhsa_kernel
	.section	.text._ZN12_GLOBAL__N_121softmax_warp_backwardIfN3c104HalfEfLi8ELb0ELb0ELi64EEEvPT0_PKT_S7_iiiPKb,"axG",@progbits,_ZN12_GLOBAL__N_121softmax_warp_backwardIfN3c104HalfEfLi8ELb0ELb0ELi64EEEvPT0_PKT_S7_iiiPKb,comdat
.Lfunc_end610:
	.size	_ZN12_GLOBAL__N_121softmax_warp_backwardIfN3c104HalfEfLi8ELb0ELb0ELi64EEEvPT0_PKT_S7_iiiPKb, .Lfunc_end610-_ZN12_GLOBAL__N_121softmax_warp_backwardIfN3c104HalfEfLi8ELb0ELb0ELi64EEEvPT0_PKT_S7_iiiPKb
                                        ; -- End function
	.section	.AMDGPU.csdata,"",@progbits
; Kernel info:
; codeLenInByte = 920
; NumSgprs: 18
; NumVgprs: 15
; ScratchSize: 0
; MemoryBound: 0
; FloatMode: 240
; IeeeMode: 1
; LDSByteSize: 0 bytes/workgroup (compile time only)
; SGPRBlocks: 2
; VGPRBlocks: 1
; NumSGPRsForWavesPerEU: 18
; NumVGPRsForWavesPerEU: 15
; Occupancy: 16
; WaveLimiterHint : 0
; COMPUTE_PGM_RSRC2:SCRATCH_EN: 0
; COMPUTE_PGM_RSRC2:USER_SGPR: 15
; COMPUTE_PGM_RSRC2:TRAP_HANDLER: 0
; COMPUTE_PGM_RSRC2:TGID_X_EN: 1
; COMPUTE_PGM_RSRC2:TGID_Y_EN: 0
; COMPUTE_PGM_RSRC2:TGID_Z_EN: 0
; COMPUTE_PGM_RSRC2:TIDIG_COMP_CNT: 1
	.section	.text._ZN12_GLOBAL__N_121softmax_warp_backwardIfN3c104HalfEfLi8ELb0ELb0ELi32EEEvPT0_PKT_S7_iiiPKb,"axG",@progbits,_ZN12_GLOBAL__N_121softmax_warp_backwardIfN3c104HalfEfLi8ELb0ELb0ELi32EEEvPT0_PKT_S7_iiiPKb,comdat
	.globl	_ZN12_GLOBAL__N_121softmax_warp_backwardIfN3c104HalfEfLi8ELb0ELb0ELi32EEEvPT0_PKT_S7_iiiPKb ; -- Begin function _ZN12_GLOBAL__N_121softmax_warp_backwardIfN3c104HalfEfLi8ELb0ELb0ELi32EEEvPT0_PKT_S7_iiiPKb
	.p2align	8
	.type	_ZN12_GLOBAL__N_121softmax_warp_backwardIfN3c104HalfEfLi8ELb0ELb0ELi32EEEvPT0_PKT_S7_iiiPKb,@function
_ZN12_GLOBAL__N_121softmax_warp_backwardIfN3c104HalfEfLi8ELb0ELb0ELi32EEEvPT0_PKT_S7_iiiPKb: ; @_ZN12_GLOBAL__N_121softmax_warp_backwardIfN3c104HalfEfLi8ELb0ELb0ELi32EEEvPT0_PKT_S7_iiiPKb
; %bb.0:
	s_clause 0x1
	s_load_b32 s2, s[0:1], 0x3c
	s_load_b128 s[4:7], s[0:1], 0x18
	v_bfe_u32 v1, v0, 10, 10
	s_load_b128 s[8:11], s[0:1], 0x0
	v_mov_b32_e32 v8, 0
	v_dual_mov_b32 v10, 0 :: v_dual_mov_b32 v7, 0
	s_waitcnt lgkmcnt(0)
	s_lshr_b32 s2, s2, 16
	s_delay_alu instid0(SALU_CYCLE_1) | instskip(SKIP_2) | instid1(VALU_DEP_1)
	v_mad_u64_u32 v[3:4], null, s15, s2, v[1:2]
	s_load_b64 s[2:3], s[0:1], 0x10
	v_and_b32_e32 v2, 31, v0
	v_cmp_gt_i32_e32 vcc_lo, s6, v2
	s_delay_alu instid0(VALU_DEP_3) | instskip(SKIP_1) | instid1(VALU_DEP_1)
	v_mad_u64_u32 v[0:1], null, v3, s5, v[2:3]
	v_sub_nc_u32_e32 v9, s4, v3
	v_cmp_lt_i32_e64 s7, 0, v9
	s_delay_alu instid0(VALU_DEP_3) | instskip(NEXT) | instid1(VALU_DEP_2)
	v_ashrrev_i32_e32 v1, 31, v0
	s_and_b32 s1, s7, vcc_lo
	s_delay_alu instid0(VALU_DEP_1) | instskip(NEXT) | instid1(VALU_DEP_1)
	v_lshlrev_b64 v[5:6], 2, v[0:1]
	v_add_co_u32 v3, s0, s10, v5
	s_delay_alu instid0(VALU_DEP_1) | instskip(SKIP_2) | instid1(VALU_DEP_1)
	v_add_co_ci_u32_e64 v4, s0, s11, v6, s0
	s_waitcnt lgkmcnt(0)
	v_add_co_u32 v5, s0, s2, v5
	v_add_co_ci_u32_e64 v6, s0, s3, v6, s0
	s_and_saveexec_b32 s0, s1
	s_cbranch_execz .LBB611_2
; %bb.1:
	global_load_b32 v8, v[3:4], off
	global_load_b32 v10, v[5:6], off
.LBB611_2:
	s_or_b32 exec_lo, exec_lo, s0
	v_or_b32_e32 v11, 32, v2
	v_mov_b32_e32 v12, 0
	s_delay_alu instid0(VALU_DEP_2) | instskip(NEXT) | instid1(VALU_DEP_1)
	v_cmp_gt_i32_e64 s0, s6, v11
	s_and_b32 s2, s7, s0
	s_delay_alu instid0(SALU_CYCLE_1)
	s_and_saveexec_b32 s1, s2
	s_cbranch_execz .LBB611_4
; %bb.3:
	global_load_b32 v7, v[3:4], off offset:128
	global_load_b32 v12, v[5:6], off offset:128
.LBB611_4:
	s_or_b32 exec_lo, exec_lo, s1
	v_or_b32_e32 v11, 64, v2
	v_dual_mov_b32 v13, 0 :: v_dual_mov_b32 v14, 0
	s_delay_alu instid0(VALU_DEP_2) | instskip(SKIP_1) | instid1(VALU_DEP_2)
	v_cmp_gt_i32_e64 s1, s6, v11
	v_mov_b32_e32 v11, 0
	s_and_b32 s3, s7, s1
	s_delay_alu instid0(SALU_CYCLE_1)
	s_and_saveexec_b32 s2, s3
	s_cbranch_execz .LBB611_6
; %bb.5:
	global_load_b32 v13, v[3:4], off offset:256
	global_load_b32 v14, v[5:6], off offset:256
.LBB611_6:
	s_or_b32 exec_lo, exec_lo, s2
	v_or_b32_e32 v15, 0x60, v2
	v_mov_b32_e32 v16, 0
	s_delay_alu instid0(VALU_DEP_2) | instskip(NEXT) | instid1(VALU_DEP_1)
	v_cmp_gt_i32_e64 s2, s6, v15
	s_and_b32 s4, s7, s2
	s_delay_alu instid0(SALU_CYCLE_1)
	s_and_saveexec_b32 s3, s4
	s_cbranch_execz .LBB611_8
; %bb.7:
	global_load_b32 v11, v[3:4], off offset:384
	global_load_b32 v16, v[5:6], off offset:384
.LBB611_8:
	s_or_b32 exec_lo, exec_lo, s3
	v_or_b32_e32 v15, 0x80, v2
	v_dual_mov_b32 v17, 0 :: v_dual_mov_b32 v18, 0
	s_delay_alu instid0(VALU_DEP_2) | instskip(SKIP_1) | instid1(VALU_DEP_2)
	v_cmp_gt_i32_e64 s3, s6, v15
	v_mov_b32_e32 v15, 0
	s_and_b32 s5, s7, s3
	s_delay_alu instid0(SALU_CYCLE_1)
	s_and_saveexec_b32 s4, s5
	s_cbranch_execz .LBB611_10
; %bb.9:
	global_load_b32 v17, v[3:4], off offset:512
	global_load_b32 v18, v[5:6], off offset:512
.LBB611_10:
	;; [unrolled: 27-line block ×3, first 2 shown]
	s_or_b32 exec_lo, exec_lo, s10
	v_or_b32_e32 v2, 0xe0, v2
	s_delay_alu instid0(VALU_DEP_1) | instskip(SKIP_1) | instid1(VALU_DEP_2)
	v_cmp_gt_i32_e64 s6, s6, v2
	v_mov_b32_e32 v2, 0
	s_and_b32 s10, s7, s6
	s_delay_alu instid0(SALU_CYCLE_1)
	s_and_saveexec_b32 s7, s10
	s_cbranch_execz .LBB611_16
; %bb.15:
	global_load_b32 v19, v[3:4], off offset:896
	global_load_b32 v2, v[5:6], off offset:896
.LBB611_16:
	s_or_b32 exec_lo, exec_lo, s7
	v_mbcnt_lo_u32_b32 v4, -1, 0
	s_mov_b32 s10, exec_lo
	s_delay_alu instid0(VALU_DEP_1) | instskip(SKIP_1) | instid1(VALU_DEP_2)
	v_xor_b32_e32 v5, 16, v4
	v_xor_b32_e32 v6, 8, v4
	v_cmp_gt_i32_e64 s7, 32, v5
	s_delay_alu instid0(VALU_DEP_1) | instskip(NEXT) | instid1(VALU_DEP_3)
	v_cndmask_b32_e64 v5, v4, v5, s7
	v_cmp_gt_i32_e64 s7, 32, v6
	s_delay_alu instid0(VALU_DEP_2) | instskip(NEXT) | instid1(VALU_DEP_2)
	v_lshlrev_b32_e32 v5, 2, v5
	v_cndmask_b32_e64 v6, v4, v6, s7
	s_waitcnt vmcnt(1)
	s_delay_alu instid0(VALU_DEP_1) | instskip(NEXT) | instid1(VALU_DEP_1)
	v_dual_add_f32 v3, 0, v8 :: v_dual_lshlrev_b32 v6, 2, v6
	v_add_f32_e32 v3, v3, v7
	s_delay_alu instid0(VALU_DEP_1) | instskip(NEXT) | instid1(VALU_DEP_1)
	v_add_f32_e32 v3, v3, v13
	v_add_f32_e32 v3, v3, v11
	s_delay_alu instid0(VALU_DEP_1) | instskip(NEXT) | instid1(VALU_DEP_1)
	v_add_f32_e32 v3, v3, v17
	v_add_f32_e32 v3, v3, v15
	s_delay_alu instid0(VALU_DEP_1) | instskip(NEXT) | instid1(VALU_DEP_1)
	v_add_f32_e32 v3, v3, v21
	v_add_f32_e32 v3, v3, v19
	ds_bpermute_b32 v5, v5, v3
	s_waitcnt lgkmcnt(0)
	v_add_f32_e32 v3, v3, v5
	ds_bpermute_b32 v5, v6, v3
	v_xor_b32_e32 v6, 4, v4
	s_delay_alu instid0(VALU_DEP_1) | instskip(NEXT) | instid1(VALU_DEP_1)
	v_cmp_gt_i32_e64 s7, 32, v6
	v_cndmask_b32_e64 v6, v4, v6, s7
	s_waitcnt lgkmcnt(0)
	s_delay_alu instid0(VALU_DEP_1) | instskip(SKIP_2) | instid1(VALU_DEP_1)
	v_dual_add_f32 v3, v3, v5 :: v_dual_lshlrev_b32 v6, 2, v6
	ds_bpermute_b32 v5, v6, v3
	v_xor_b32_e32 v6, 2, v4
	v_cmp_gt_i32_e64 s7, 32, v6
	s_delay_alu instid0(VALU_DEP_1) | instskip(SKIP_1) | instid1(VALU_DEP_1)
	v_cndmask_b32_e64 v6, v4, v6, s7
	s_waitcnt lgkmcnt(0)
	v_dual_add_f32 v3, v3, v5 :: v_dual_lshlrev_b32 v6, 2, v6
	ds_bpermute_b32 v5, v6, v3
	v_xor_b32_e32 v6, 1, v4
	s_delay_alu instid0(VALU_DEP_1) | instskip(NEXT) | instid1(VALU_DEP_1)
	v_cmp_gt_i32_e64 s7, 32, v6
	v_cndmask_b32_e64 v4, v4, v6, s7
	s_waitcnt lgkmcnt(0)
	s_delay_alu instid0(VALU_DEP_1)
	v_dual_add_f32 v3, v3, v5 :: v_dual_lshlrev_b32 v4, 2, v4
	ds_bpermute_b32 v4, v4, v3
	v_cmpx_lt_i32_e32 0, v9
	s_cbranch_execz .LBB611_26
; %bb.17:
	v_lshlrev_b64 v[0:1], 1, v[0:1]
	s_waitcnt lgkmcnt(0)
	v_add_f32_e32 v3, v3, v4
	s_delay_alu instid0(VALU_DEP_2) | instskip(NEXT) | instid1(VALU_DEP_1)
	v_add_co_u32 v0, s7, s8, v0
	v_add_co_ci_u32_e64 v1, s7, s9, v1, s7
	s_and_saveexec_b32 s7, vcc_lo
	s_cbranch_execnz .LBB611_27
; %bb.18:
	s_or_b32 exec_lo, exec_lo, s7
	s_and_saveexec_b32 s7, s0
	s_cbranch_execnz .LBB611_28
.LBB611_19:
	s_or_b32 exec_lo, exec_lo, s7
	s_and_saveexec_b32 s0, s1
	s_cbranch_execnz .LBB611_29
.LBB611_20:
	s_or_b32 exec_lo, exec_lo, s0
	s_and_saveexec_b32 s0, s2
	s_cbranch_execnz .LBB611_30
.LBB611_21:
	s_or_b32 exec_lo, exec_lo, s0
	s_and_saveexec_b32 s0, s3
	s_cbranch_execnz .LBB611_31
.LBB611_22:
	s_or_b32 exec_lo, exec_lo, s0
	s_and_saveexec_b32 s0, s4
	s_cbranch_execnz .LBB611_32
.LBB611_23:
	s_or_b32 exec_lo, exec_lo, s0
	s_and_saveexec_b32 s0, s5
	s_cbranch_execnz .LBB611_33
.LBB611_24:
	s_or_b32 exec_lo, exec_lo, s0
	s_delay_alu instid0(SALU_CYCLE_1)
	s_and_b32 exec_lo, exec_lo, s6
	s_cbranch_execz .LBB611_26
.LBB611_25:
	s_waitcnt vmcnt(0)
	v_fma_mixlo_f16 v2, -v3, v2, v19
	global_store_b16 v[0:1], v2, off offset:448
.LBB611_26:
	s_nop 0
	s_sendmsg sendmsg(MSG_DEALLOC_VGPRS)
	s_endpgm
.LBB611_27:
	s_waitcnt vmcnt(0)
	v_fma_mixlo_f16 v4, -v3, v10, v8
	global_store_b16 v[0:1], v4, off
	s_or_b32 exec_lo, exec_lo, s7
	s_and_saveexec_b32 s7, s0
	s_cbranch_execz .LBB611_19
.LBB611_28:
	s_waitcnt vmcnt(0)
	v_fma_mixlo_f16 v4, -v3, v12, v7
	global_store_b16 v[0:1], v4, off offset:64
	s_or_b32 exec_lo, exec_lo, s7
	s_and_saveexec_b32 s0, s1
	s_cbranch_execz .LBB611_20
.LBB611_29:
	s_waitcnt vmcnt(0)
	v_fma_mixlo_f16 v4, -v3, v14, v13
	global_store_b16 v[0:1], v4, off offset:128
	s_or_b32 exec_lo, exec_lo, s0
	s_and_saveexec_b32 s0, s2
	s_cbranch_execz .LBB611_21
.LBB611_30:
	s_waitcnt vmcnt(0)
	v_fma_mixlo_f16 v4, -v3, v16, v11
	global_store_b16 v[0:1], v4, off offset:192
	s_or_b32 exec_lo, exec_lo, s0
	s_and_saveexec_b32 s0, s3
	s_cbranch_execz .LBB611_22
.LBB611_31:
	s_waitcnt vmcnt(0)
	v_fma_mixlo_f16 v4, -v3, v18, v17
	global_store_b16 v[0:1], v4, off offset:256
	s_or_b32 exec_lo, exec_lo, s0
	s_and_saveexec_b32 s0, s4
	s_cbranch_execz .LBB611_23
.LBB611_32:
	s_waitcnt vmcnt(0)
	v_fma_mixlo_f16 v4, -v3, v20, v15
	global_store_b16 v[0:1], v4, off offset:320
	s_or_b32 exec_lo, exec_lo, s0
	s_and_saveexec_b32 s0, s5
	s_cbranch_execz .LBB611_24
.LBB611_33:
	s_waitcnt vmcnt(0)
	v_fma_mixlo_f16 v4, -v3, v22, v21
	global_store_b16 v[0:1], v4, off offset:384
	s_or_b32 exec_lo, exec_lo, s0
	s_delay_alu instid0(SALU_CYCLE_1)
	s_and_b32 exec_lo, exec_lo, s6
	s_cbranch_execnz .LBB611_25
	s_branch .LBB611_26
	.section	.rodata,"a",@progbits
	.p2align	6, 0x0
	.amdhsa_kernel _ZN12_GLOBAL__N_121softmax_warp_backwardIfN3c104HalfEfLi8ELb0ELb0ELi32EEEvPT0_PKT_S7_iiiPKb
		.amdhsa_group_segment_fixed_size 0
		.amdhsa_private_segment_fixed_size 0
		.amdhsa_kernarg_size 304
		.amdhsa_user_sgpr_count 15
		.amdhsa_user_sgpr_dispatch_ptr 0
		.amdhsa_user_sgpr_queue_ptr 0
		.amdhsa_user_sgpr_kernarg_segment_ptr 1
		.amdhsa_user_sgpr_dispatch_id 0
		.amdhsa_user_sgpr_private_segment_size 0
		.amdhsa_wavefront_size32 1
		.amdhsa_uses_dynamic_stack 0
		.amdhsa_enable_private_segment 0
		.amdhsa_system_sgpr_workgroup_id_x 1
		.amdhsa_system_sgpr_workgroup_id_y 0
		.amdhsa_system_sgpr_workgroup_id_z 0
		.amdhsa_system_sgpr_workgroup_info 0
		.amdhsa_system_vgpr_workitem_id 1
		.amdhsa_next_free_vgpr 23
		.amdhsa_next_free_sgpr 16
		.amdhsa_reserve_vcc 1
		.amdhsa_float_round_mode_32 0
		.amdhsa_float_round_mode_16_64 0
		.amdhsa_float_denorm_mode_32 3
		.amdhsa_float_denorm_mode_16_64 3
		.amdhsa_dx10_clamp 1
		.amdhsa_ieee_mode 1
		.amdhsa_fp16_overflow 0
		.amdhsa_workgroup_processor_mode 1
		.amdhsa_memory_ordered 1
		.amdhsa_forward_progress 0
		.amdhsa_shared_vgpr_count 0
		.amdhsa_exception_fp_ieee_invalid_op 0
		.amdhsa_exception_fp_denorm_src 0
		.amdhsa_exception_fp_ieee_div_zero 0
		.amdhsa_exception_fp_ieee_overflow 0
		.amdhsa_exception_fp_ieee_underflow 0
		.amdhsa_exception_fp_ieee_inexact 0
		.amdhsa_exception_int_div_zero 0
	.end_amdhsa_kernel
	.section	.text._ZN12_GLOBAL__N_121softmax_warp_backwardIfN3c104HalfEfLi8ELb0ELb0ELi32EEEvPT0_PKT_S7_iiiPKb,"axG",@progbits,_ZN12_GLOBAL__N_121softmax_warp_backwardIfN3c104HalfEfLi8ELb0ELb0ELi32EEEvPT0_PKT_S7_iiiPKb,comdat
.Lfunc_end611:
	.size	_ZN12_GLOBAL__N_121softmax_warp_backwardIfN3c104HalfEfLi8ELb0ELb0ELi32EEEvPT0_PKT_S7_iiiPKb, .Lfunc_end611-_ZN12_GLOBAL__N_121softmax_warp_backwardIfN3c104HalfEfLi8ELb0ELb0ELi32EEEvPT0_PKT_S7_iiiPKb
                                        ; -- End function
	.section	.AMDGPU.csdata,"",@progbits
; Kernel info:
; codeLenInByte = 1328
; NumSgprs: 18
; NumVgprs: 23
; ScratchSize: 0
; MemoryBound: 0
; FloatMode: 240
; IeeeMode: 1
; LDSByteSize: 0 bytes/workgroup (compile time only)
; SGPRBlocks: 2
; VGPRBlocks: 2
; NumSGPRsForWavesPerEU: 18
; NumVGPRsForWavesPerEU: 23
; Occupancy: 16
; WaveLimiterHint : 0
; COMPUTE_PGM_RSRC2:SCRATCH_EN: 0
; COMPUTE_PGM_RSRC2:USER_SGPR: 15
; COMPUTE_PGM_RSRC2:TRAP_HANDLER: 0
; COMPUTE_PGM_RSRC2:TGID_X_EN: 1
; COMPUTE_PGM_RSRC2:TGID_Y_EN: 0
; COMPUTE_PGM_RSRC2:TGID_Z_EN: 0
; COMPUTE_PGM_RSRC2:TIDIG_COMP_CNT: 1
	.section	.text._ZN12_GLOBAL__N_121softmax_warp_backwardIfN3c104HalfEfLi9ELb0ELb0ELi64EEEvPT0_PKT_S7_iiiPKb,"axG",@progbits,_ZN12_GLOBAL__N_121softmax_warp_backwardIfN3c104HalfEfLi9ELb0ELb0ELi64EEEvPT0_PKT_S7_iiiPKb,comdat
	.globl	_ZN12_GLOBAL__N_121softmax_warp_backwardIfN3c104HalfEfLi9ELb0ELb0ELi64EEEvPT0_PKT_S7_iiiPKb ; -- Begin function _ZN12_GLOBAL__N_121softmax_warp_backwardIfN3c104HalfEfLi9ELb0ELb0ELi64EEEvPT0_PKT_S7_iiiPKb
	.p2align	8
	.type	_ZN12_GLOBAL__N_121softmax_warp_backwardIfN3c104HalfEfLi9ELb0ELb0ELi64EEEvPT0_PKT_S7_iiiPKb,@function
_ZN12_GLOBAL__N_121softmax_warp_backwardIfN3c104HalfEfLi9ELb0ELb0ELi64EEEvPT0_PKT_S7_iiiPKb: ; @_ZN12_GLOBAL__N_121softmax_warp_backwardIfN3c104HalfEfLi9ELb0ELb0ELi64EEEvPT0_PKT_S7_iiiPKb
; %bb.0:
	s_clause 0x1
	s_load_b32 s2, s[0:1], 0x3c
	s_load_b128 s[4:7], s[0:1], 0x18
	v_bfe_u32 v1, v0, 10, 10
	s_load_b128 s[8:11], s[0:1], 0x0
	v_mov_b32_e32 v8, 0
	v_dual_mov_b32 v10, 0 :: v_dual_mov_b32 v7, 0
	s_waitcnt lgkmcnt(0)
	s_lshr_b32 s2, s2, 16
	s_delay_alu instid0(SALU_CYCLE_1) | instskip(SKIP_2) | instid1(VALU_DEP_1)
	v_mad_u64_u32 v[3:4], null, s15, s2, v[1:2]
	s_load_b64 s[2:3], s[0:1], 0x10
	v_and_b32_e32 v2, 63, v0
	v_cmp_gt_i32_e32 vcc_lo, s6, v2
	s_delay_alu instid0(VALU_DEP_3) | instskip(SKIP_1) | instid1(VALU_DEP_1)
	v_mad_u64_u32 v[0:1], null, v3, s5, v[2:3]
	v_sub_nc_u32_e32 v9, s4, v3
	v_cmp_lt_i32_e64 s7, 0, v9
	s_delay_alu instid0(VALU_DEP_3) | instskip(NEXT) | instid1(VALU_DEP_2)
	v_ashrrev_i32_e32 v1, 31, v0
	s_and_b32 s1, s7, vcc_lo
	s_delay_alu instid0(VALU_DEP_1) | instskip(NEXT) | instid1(VALU_DEP_1)
	v_lshlrev_b64 v[5:6], 2, v[0:1]
	v_add_co_u32 v3, s0, s10, v5
	s_delay_alu instid0(VALU_DEP_1) | instskip(SKIP_2) | instid1(VALU_DEP_1)
	v_add_co_ci_u32_e64 v4, s0, s11, v6, s0
	s_waitcnt lgkmcnt(0)
	v_add_co_u32 v5, s0, s2, v5
	v_add_co_ci_u32_e64 v6, s0, s3, v6, s0
	s_and_saveexec_b32 s0, s1
	s_cbranch_execz .LBB612_2
; %bb.1:
	global_load_b32 v8, v[3:4], off
	global_load_b32 v10, v[5:6], off
.LBB612_2:
	s_or_b32 exec_lo, exec_lo, s0
	v_or_b32_e32 v11, 64, v2
	v_mov_b32_e32 v12, 0
	s_delay_alu instid0(VALU_DEP_2) | instskip(NEXT) | instid1(VALU_DEP_1)
	v_cmp_gt_i32_e64 s0, s6, v11
	s_and_b32 s2, s7, s0
	s_delay_alu instid0(SALU_CYCLE_1)
	s_and_saveexec_b32 s1, s2
	s_cbranch_execz .LBB612_4
; %bb.3:
	global_load_b32 v7, v[3:4], off offset:256
	global_load_b32 v12, v[5:6], off offset:256
.LBB612_4:
	s_or_b32 exec_lo, exec_lo, s1
	v_or_b32_e32 v11, 0x80, v2
	v_dual_mov_b32 v13, 0 :: v_dual_mov_b32 v14, 0
	s_delay_alu instid0(VALU_DEP_2) | instskip(SKIP_1) | instid1(VALU_DEP_2)
	v_cmp_gt_i32_e64 s1, s6, v11
	v_mov_b32_e32 v11, 0
	s_and_b32 s3, s7, s1
	s_delay_alu instid0(SALU_CYCLE_1)
	s_and_saveexec_b32 s2, s3
	s_cbranch_execz .LBB612_6
; %bb.5:
	global_load_b32 v13, v[3:4], off offset:512
	global_load_b32 v14, v[5:6], off offset:512
.LBB612_6:
	s_or_b32 exec_lo, exec_lo, s2
	v_or_b32_e32 v15, 0xc0, v2
	v_mov_b32_e32 v16, 0
	s_delay_alu instid0(VALU_DEP_2) | instskip(NEXT) | instid1(VALU_DEP_1)
	v_cmp_gt_i32_e64 s2, s6, v15
	s_and_b32 s4, s7, s2
	s_delay_alu instid0(SALU_CYCLE_1)
	s_and_saveexec_b32 s3, s4
	s_cbranch_execz .LBB612_8
; %bb.7:
	global_load_b32 v11, v[3:4], off offset:768
	global_load_b32 v16, v[5:6], off offset:768
.LBB612_8:
	s_or_b32 exec_lo, exec_lo, s3
	v_or_b32_e32 v15, 0x100, v2
	v_dual_mov_b32 v17, 0 :: v_dual_mov_b32 v18, 0
	s_delay_alu instid0(VALU_DEP_2) | instskip(SKIP_1) | instid1(VALU_DEP_2)
	v_cmp_gt_i32_e64 s3, s6, v15
	v_mov_b32_e32 v15, 0
	s_and_b32 s5, s7, s3
	s_delay_alu instid0(SALU_CYCLE_1)
	s_and_saveexec_b32 s4, s5
	s_cbranch_execz .LBB612_10
; %bb.9:
	global_load_b32 v17, v[3:4], off offset:1024
	global_load_b32 v18, v[5:6], off offset:1024
.LBB612_10:
	;; [unrolled: 27-line block ×3, first 2 shown]
	s_or_b32 exec_lo, exec_lo, s10
	v_or_b32_e32 v2, 0x1c0, v2
	s_delay_alu instid0(VALU_DEP_1) | instskip(SKIP_1) | instid1(VALU_DEP_2)
	v_cmp_gt_i32_e64 s6, s6, v2
	v_mov_b32_e32 v2, 0
	s_and_b32 s10, s7, s6
	s_delay_alu instid0(SALU_CYCLE_1)
	s_and_saveexec_b32 s7, s10
	s_cbranch_execz .LBB612_16
; %bb.15:
	global_load_b32 v19, v[3:4], off offset:1792
	global_load_b32 v2, v[5:6], off offset:1792
.LBB612_16:
	s_or_b32 exec_lo, exec_lo, s7
	v_mbcnt_lo_u32_b32 v4, -1, 0
	s_mov_b32 s10, exec_lo
	s_delay_alu instid0(VALU_DEP_1) | instskip(SKIP_1) | instid1(VALU_DEP_2)
	v_or_b32_e32 v5, 32, v4
	v_xor_b32_e32 v6, 16, v4
	v_cmp_gt_i32_e64 s7, 64, v5
	s_delay_alu instid0(VALU_DEP_1) | instskip(NEXT) | instid1(VALU_DEP_3)
	v_cndmask_b32_e64 v5, v4, v5, s7
	v_cmp_gt_i32_e64 s7, 64, v6
	s_delay_alu instid0(VALU_DEP_2) | instskip(NEXT) | instid1(VALU_DEP_2)
	v_lshlrev_b32_e32 v5, 2, v5
	v_cndmask_b32_e64 v6, v4, v6, s7
	s_waitcnt vmcnt(1)
	s_delay_alu instid0(VALU_DEP_1) | instskip(NEXT) | instid1(VALU_DEP_1)
	v_dual_add_f32 v3, 0, v8 :: v_dual_lshlrev_b32 v6, 2, v6
	v_add_f32_e32 v3, v3, v7
	s_delay_alu instid0(VALU_DEP_1) | instskip(NEXT) | instid1(VALU_DEP_1)
	v_add_f32_e32 v3, v3, v13
	v_add_f32_e32 v3, v3, v11
	s_delay_alu instid0(VALU_DEP_1) | instskip(NEXT) | instid1(VALU_DEP_1)
	v_add_f32_e32 v3, v3, v17
	;; [unrolled: 3-line block ×3, first 2 shown]
	v_add_f32_e32 v3, v3, v19
	ds_bpermute_b32 v5, v5, v3
	s_waitcnt lgkmcnt(0)
	v_add_f32_e32 v3, v3, v5
	ds_bpermute_b32 v5, v6, v3
	v_xor_b32_e32 v6, 8, v4
	s_delay_alu instid0(VALU_DEP_1) | instskip(NEXT) | instid1(VALU_DEP_1)
	v_cmp_gt_i32_e64 s7, 64, v6
	v_cndmask_b32_e64 v6, v4, v6, s7
	s_waitcnt lgkmcnt(0)
	s_delay_alu instid0(VALU_DEP_1) | instskip(SKIP_2) | instid1(VALU_DEP_1)
	v_dual_add_f32 v3, v3, v5 :: v_dual_lshlrev_b32 v6, 2, v6
	ds_bpermute_b32 v5, v6, v3
	v_xor_b32_e32 v6, 4, v4
	v_cmp_gt_i32_e64 s7, 64, v6
	s_delay_alu instid0(VALU_DEP_1) | instskip(SKIP_1) | instid1(VALU_DEP_1)
	v_cndmask_b32_e64 v6, v4, v6, s7
	s_waitcnt lgkmcnt(0)
	v_dual_add_f32 v3, v3, v5 :: v_dual_lshlrev_b32 v6, 2, v6
	ds_bpermute_b32 v5, v6, v3
	v_xor_b32_e32 v6, 2, v4
	s_delay_alu instid0(VALU_DEP_1) | instskip(NEXT) | instid1(VALU_DEP_1)
	v_cmp_gt_i32_e64 s7, 64, v6
	v_cndmask_b32_e64 v6, v4, v6, s7
	s_waitcnt lgkmcnt(0)
	s_delay_alu instid0(VALU_DEP_1) | instskip(SKIP_2) | instid1(VALU_DEP_1)
	v_dual_add_f32 v3, v3, v5 :: v_dual_lshlrev_b32 v6, 2, v6
	ds_bpermute_b32 v5, v6, v3
	v_xor_b32_e32 v6, 1, v4
	v_cmp_gt_i32_e64 s7, 64, v6
	s_delay_alu instid0(VALU_DEP_1) | instskip(SKIP_1) | instid1(VALU_DEP_1)
	v_cndmask_b32_e64 v4, v4, v6, s7
	s_waitcnt lgkmcnt(0)
	v_dual_add_f32 v3, v3, v5 :: v_dual_lshlrev_b32 v4, 2, v4
	ds_bpermute_b32 v4, v4, v3
	v_cmpx_lt_i32_e32 0, v9
	s_cbranch_execz .LBB612_26
; %bb.17:
	v_lshlrev_b64 v[0:1], 1, v[0:1]
	s_waitcnt lgkmcnt(0)
	v_add_f32_e32 v3, v3, v4
	s_delay_alu instid0(VALU_DEP_2) | instskip(NEXT) | instid1(VALU_DEP_1)
	v_add_co_u32 v0, s7, s8, v0
	v_add_co_ci_u32_e64 v1, s7, s9, v1, s7
	s_and_saveexec_b32 s7, vcc_lo
	s_cbranch_execnz .LBB612_27
; %bb.18:
	s_or_b32 exec_lo, exec_lo, s7
	s_and_saveexec_b32 s7, s0
	s_cbranch_execnz .LBB612_28
.LBB612_19:
	s_or_b32 exec_lo, exec_lo, s7
	s_and_saveexec_b32 s0, s1
	s_cbranch_execnz .LBB612_29
.LBB612_20:
	s_or_b32 exec_lo, exec_lo, s0
	s_and_saveexec_b32 s0, s2
	s_cbranch_execnz .LBB612_30
.LBB612_21:
	s_or_b32 exec_lo, exec_lo, s0
	s_and_saveexec_b32 s0, s3
	s_cbranch_execnz .LBB612_31
.LBB612_22:
	s_or_b32 exec_lo, exec_lo, s0
	s_and_saveexec_b32 s0, s4
	s_cbranch_execnz .LBB612_32
.LBB612_23:
	s_or_b32 exec_lo, exec_lo, s0
	s_and_saveexec_b32 s0, s5
	s_cbranch_execnz .LBB612_33
.LBB612_24:
	s_or_b32 exec_lo, exec_lo, s0
	s_delay_alu instid0(SALU_CYCLE_1)
	s_and_b32 exec_lo, exec_lo, s6
	s_cbranch_execz .LBB612_26
.LBB612_25:
	s_waitcnt vmcnt(0)
	v_fma_mixlo_f16 v2, -v3, v2, v19
	global_store_b16 v[0:1], v2, off offset:896
.LBB612_26:
	s_nop 0
	s_sendmsg sendmsg(MSG_DEALLOC_VGPRS)
	s_endpgm
.LBB612_27:
	s_waitcnt vmcnt(0)
	v_fma_mixlo_f16 v4, -v3, v10, v8
	global_store_b16 v[0:1], v4, off
	s_or_b32 exec_lo, exec_lo, s7
	s_and_saveexec_b32 s7, s0
	s_cbranch_execz .LBB612_19
.LBB612_28:
	s_waitcnt vmcnt(0)
	v_fma_mixlo_f16 v4, -v3, v12, v7
	global_store_b16 v[0:1], v4, off offset:128
	s_or_b32 exec_lo, exec_lo, s7
	s_and_saveexec_b32 s0, s1
	s_cbranch_execz .LBB612_20
.LBB612_29:
	s_waitcnt vmcnt(0)
	v_fma_mixlo_f16 v4, -v3, v14, v13
	global_store_b16 v[0:1], v4, off offset:256
	s_or_b32 exec_lo, exec_lo, s0
	s_and_saveexec_b32 s0, s2
	s_cbranch_execz .LBB612_21
.LBB612_30:
	s_waitcnt vmcnt(0)
	v_fma_mixlo_f16 v4, -v3, v16, v11
	global_store_b16 v[0:1], v4, off offset:384
	s_or_b32 exec_lo, exec_lo, s0
	s_and_saveexec_b32 s0, s3
	s_cbranch_execz .LBB612_22
.LBB612_31:
	s_waitcnt vmcnt(0)
	v_fma_mixlo_f16 v4, -v3, v18, v17
	global_store_b16 v[0:1], v4, off offset:512
	s_or_b32 exec_lo, exec_lo, s0
	s_and_saveexec_b32 s0, s4
	s_cbranch_execz .LBB612_23
.LBB612_32:
	s_waitcnt vmcnt(0)
	v_fma_mixlo_f16 v4, -v3, v20, v15
	global_store_b16 v[0:1], v4, off offset:640
	s_or_b32 exec_lo, exec_lo, s0
	s_and_saveexec_b32 s0, s5
	s_cbranch_execz .LBB612_24
.LBB612_33:
	s_waitcnt vmcnt(0)
	v_fma_mixlo_f16 v4, -v3, v22, v21
	global_store_b16 v[0:1], v4, off offset:768
	s_or_b32 exec_lo, exec_lo, s0
	s_delay_alu instid0(SALU_CYCLE_1)
	s_and_b32 exec_lo, exec_lo, s6
	s_cbranch_execnz .LBB612_25
	s_branch .LBB612_26
	.section	.rodata,"a",@progbits
	.p2align	6, 0x0
	.amdhsa_kernel _ZN12_GLOBAL__N_121softmax_warp_backwardIfN3c104HalfEfLi9ELb0ELb0ELi64EEEvPT0_PKT_S7_iiiPKb
		.amdhsa_group_segment_fixed_size 0
		.amdhsa_private_segment_fixed_size 0
		.amdhsa_kernarg_size 304
		.amdhsa_user_sgpr_count 15
		.amdhsa_user_sgpr_dispatch_ptr 0
		.amdhsa_user_sgpr_queue_ptr 0
		.amdhsa_user_sgpr_kernarg_segment_ptr 1
		.amdhsa_user_sgpr_dispatch_id 0
		.amdhsa_user_sgpr_private_segment_size 0
		.amdhsa_wavefront_size32 1
		.amdhsa_uses_dynamic_stack 0
		.amdhsa_enable_private_segment 0
		.amdhsa_system_sgpr_workgroup_id_x 1
		.amdhsa_system_sgpr_workgroup_id_y 0
		.amdhsa_system_sgpr_workgroup_id_z 0
		.amdhsa_system_sgpr_workgroup_info 0
		.amdhsa_system_vgpr_workitem_id 1
		.amdhsa_next_free_vgpr 23
		.amdhsa_next_free_sgpr 16
		.amdhsa_reserve_vcc 1
		.amdhsa_float_round_mode_32 0
		.amdhsa_float_round_mode_16_64 0
		.amdhsa_float_denorm_mode_32 3
		.amdhsa_float_denorm_mode_16_64 3
		.amdhsa_dx10_clamp 1
		.amdhsa_ieee_mode 1
		.amdhsa_fp16_overflow 0
		.amdhsa_workgroup_processor_mode 1
		.amdhsa_memory_ordered 1
		.amdhsa_forward_progress 0
		.amdhsa_shared_vgpr_count 0
		.amdhsa_exception_fp_ieee_invalid_op 0
		.amdhsa_exception_fp_denorm_src 0
		.amdhsa_exception_fp_ieee_div_zero 0
		.amdhsa_exception_fp_ieee_overflow 0
		.amdhsa_exception_fp_ieee_underflow 0
		.amdhsa_exception_fp_ieee_inexact 0
		.amdhsa_exception_int_div_zero 0
	.end_amdhsa_kernel
	.section	.text._ZN12_GLOBAL__N_121softmax_warp_backwardIfN3c104HalfEfLi9ELb0ELb0ELi64EEEvPT0_PKT_S7_iiiPKb,"axG",@progbits,_ZN12_GLOBAL__N_121softmax_warp_backwardIfN3c104HalfEfLi9ELb0ELb0ELi64EEEvPT0_PKT_S7_iiiPKb,comdat
.Lfunc_end612:
	.size	_ZN12_GLOBAL__N_121softmax_warp_backwardIfN3c104HalfEfLi9ELb0ELb0ELi64EEEvPT0_PKT_S7_iiiPKb, .Lfunc_end612-_ZN12_GLOBAL__N_121softmax_warp_backwardIfN3c104HalfEfLi9ELb0ELb0ELi64EEEvPT0_PKT_S7_iiiPKb
                                        ; -- End function
	.section	.AMDGPU.csdata,"",@progbits
; Kernel info:
; codeLenInByte = 1376
; NumSgprs: 18
; NumVgprs: 23
; ScratchSize: 0
; MemoryBound: 0
; FloatMode: 240
; IeeeMode: 1
; LDSByteSize: 0 bytes/workgroup (compile time only)
; SGPRBlocks: 2
; VGPRBlocks: 2
; NumSGPRsForWavesPerEU: 18
; NumVGPRsForWavesPerEU: 23
; Occupancy: 16
; WaveLimiterHint : 0
; COMPUTE_PGM_RSRC2:SCRATCH_EN: 0
; COMPUTE_PGM_RSRC2:USER_SGPR: 15
; COMPUTE_PGM_RSRC2:TRAP_HANDLER: 0
; COMPUTE_PGM_RSRC2:TGID_X_EN: 1
; COMPUTE_PGM_RSRC2:TGID_Y_EN: 0
; COMPUTE_PGM_RSRC2:TGID_Z_EN: 0
; COMPUTE_PGM_RSRC2:TIDIG_COMP_CNT: 1
	.section	.text._ZN12_GLOBAL__N_121softmax_warp_backwardIfN3c104HalfEfLi9ELb0ELb0ELi32EEEvPT0_PKT_S7_iiiPKb,"axG",@progbits,_ZN12_GLOBAL__N_121softmax_warp_backwardIfN3c104HalfEfLi9ELb0ELb0ELi32EEEvPT0_PKT_S7_iiiPKb,comdat
	.globl	_ZN12_GLOBAL__N_121softmax_warp_backwardIfN3c104HalfEfLi9ELb0ELb0ELi32EEEvPT0_PKT_S7_iiiPKb ; -- Begin function _ZN12_GLOBAL__N_121softmax_warp_backwardIfN3c104HalfEfLi9ELb0ELb0ELi32EEEvPT0_PKT_S7_iiiPKb
	.p2align	8
	.type	_ZN12_GLOBAL__N_121softmax_warp_backwardIfN3c104HalfEfLi9ELb0ELb0ELi32EEEvPT0_PKT_S7_iiiPKb,@function
_ZN12_GLOBAL__N_121softmax_warp_backwardIfN3c104HalfEfLi9ELb0ELb0ELi32EEEvPT0_PKT_S7_iiiPKb: ; @_ZN12_GLOBAL__N_121softmax_warp_backwardIfN3c104HalfEfLi9ELb0ELb0ELi32EEEvPT0_PKT_S7_iiiPKb
; %bb.0:
	s_clause 0x1
	s_load_b32 s2, s[0:1], 0x3c
	s_load_b128 s[20:23], s[0:1], 0x18
	v_bfe_u32 v1, v0, 10, 10
	s_load_b128 s[16:19], s[0:1], 0x0
	v_mov_b32_e32 v8, 0
	v_dual_mov_b32 v10, 0 :: v_dual_mov_b32 v7, 0
	s_waitcnt lgkmcnt(0)
	s_lshr_b32 s2, s2, 16
	s_delay_alu instid0(SALU_CYCLE_1) | instskip(SKIP_2) | instid1(VALU_DEP_1)
	v_mad_u64_u32 v[3:4], null, s15, s2, v[1:2]
	s_load_b64 s[2:3], s[0:1], 0x10
	v_and_b32_e32 v2, 31, v0
	v_cmp_gt_i32_e32 vcc_lo, s22, v2
	s_delay_alu instid0(VALU_DEP_3) | instskip(SKIP_1) | instid1(VALU_DEP_1)
	v_mad_u64_u32 v[0:1], null, v3, s21, v[2:3]
	v_sub_nc_u32_e32 v9, s20, v3
	v_cmp_lt_i32_e64 s7, 0, v9
	s_delay_alu instid0(VALU_DEP_3) | instskip(NEXT) | instid1(VALU_DEP_2)
	v_ashrrev_i32_e32 v1, 31, v0
	s_and_b32 s1, s7, vcc_lo
	s_delay_alu instid0(VALU_DEP_1) | instskip(NEXT) | instid1(VALU_DEP_1)
	v_lshlrev_b64 v[5:6], 2, v[0:1]
	v_add_co_u32 v3, s0, s18, v5
	s_delay_alu instid0(VALU_DEP_1) | instskip(SKIP_2) | instid1(VALU_DEP_1)
	v_add_co_ci_u32_e64 v4, s0, s19, v6, s0
	s_waitcnt lgkmcnt(0)
	v_add_co_u32 v5, s0, s2, v5
	v_add_co_ci_u32_e64 v6, s0, s3, v6, s0
	s_and_saveexec_b32 s0, s1
	s_cbranch_execz .LBB613_2
; %bb.1:
	global_load_b32 v8, v[3:4], off
	global_load_b32 v10, v[5:6], off
.LBB613_2:
	s_or_b32 exec_lo, exec_lo, s0
	v_or_b32_e32 v11, 32, v2
	v_mov_b32_e32 v12, 0
	s_delay_alu instid0(VALU_DEP_2) | instskip(NEXT) | instid1(VALU_DEP_1)
	v_cmp_gt_i32_e64 s0, s22, v11
	s_and_b32 s2, s7, s0
	s_delay_alu instid0(SALU_CYCLE_1)
	s_and_saveexec_b32 s1, s2
	s_cbranch_execz .LBB613_4
; %bb.3:
	global_load_b32 v7, v[3:4], off offset:128
	global_load_b32 v12, v[5:6], off offset:128
.LBB613_4:
	s_or_b32 exec_lo, exec_lo, s1
	v_or_b32_e32 v11, 64, v2
	v_dual_mov_b32 v13, 0 :: v_dual_mov_b32 v14, 0
	s_delay_alu instid0(VALU_DEP_2) | instskip(SKIP_1) | instid1(VALU_DEP_2)
	v_cmp_gt_i32_e64 s1, s22, v11
	v_mov_b32_e32 v11, 0
	s_and_b32 s3, s7, s1
	s_delay_alu instid0(SALU_CYCLE_1)
	s_and_saveexec_b32 s2, s3
	s_cbranch_execz .LBB613_6
; %bb.5:
	global_load_b32 v13, v[3:4], off offset:256
	global_load_b32 v14, v[5:6], off offset:256
.LBB613_6:
	s_or_b32 exec_lo, exec_lo, s2
	v_or_b32_e32 v15, 0x60, v2
	v_mov_b32_e32 v16, 0
	s_delay_alu instid0(VALU_DEP_2) | instskip(NEXT) | instid1(VALU_DEP_1)
	v_cmp_gt_i32_e64 s2, s22, v15
	s_and_b32 s4, s7, s2
	s_delay_alu instid0(SALU_CYCLE_1)
	s_and_saveexec_b32 s3, s4
	s_cbranch_execz .LBB613_8
; %bb.7:
	global_load_b32 v11, v[3:4], off offset:384
	global_load_b32 v16, v[5:6], off offset:384
.LBB613_8:
	s_or_b32 exec_lo, exec_lo, s3
	v_or_b32_e32 v15, 0x80, v2
	v_dual_mov_b32 v17, 0 :: v_dual_mov_b32 v18, 0
	s_delay_alu instid0(VALU_DEP_2) | instskip(SKIP_1) | instid1(VALU_DEP_2)
	v_cmp_gt_i32_e64 s3, s22, v15
	v_mov_b32_e32 v15, 0
	s_and_b32 s5, s7, s3
	s_delay_alu instid0(SALU_CYCLE_1)
	s_and_saveexec_b32 s4, s5
	s_cbranch_execz .LBB613_10
; %bb.9:
	global_load_b32 v17, v[3:4], off offset:512
	global_load_b32 v18, v[5:6], off offset:512
.LBB613_10:
	;; [unrolled: 27-line block ×7, first 2 shown]
	s_or_b32 exec_lo, exec_lo, s15
	v_or_b32_e32 v2, 0x1e0, v2
	s_delay_alu instid0(VALU_DEP_1) | instskip(SKIP_1) | instid1(VALU_DEP_2)
	v_cmp_gt_i32_e64 s15, s22, v2
	v_mov_b32_e32 v2, 0
	s_and_b32 s18, s7, s15
	s_delay_alu instid0(SALU_CYCLE_1)
	s_and_saveexec_b32 s7, s18
	s_cbranch_execz .LBB613_32
; %bb.31:
	global_load_b32 v35, v[3:4], off offset:1920
	global_load_b32 v2, v[5:6], off offset:1920
.LBB613_32:
	s_or_b32 exec_lo, exec_lo, s7
	v_mbcnt_lo_u32_b32 v4, -1, 0
	s_mov_b32 s18, exec_lo
	s_delay_alu instid0(VALU_DEP_1) | instskip(SKIP_1) | instid1(VALU_DEP_2)
	v_xor_b32_e32 v5, 16, v4
	v_xor_b32_e32 v6, 8, v4
	v_cmp_gt_i32_e64 s7, 32, v5
	s_delay_alu instid0(VALU_DEP_1) | instskip(NEXT) | instid1(VALU_DEP_3)
	v_cndmask_b32_e64 v5, v4, v5, s7
	v_cmp_gt_i32_e64 s7, 32, v6
	s_delay_alu instid0(VALU_DEP_2) | instskip(NEXT) | instid1(VALU_DEP_2)
	v_lshlrev_b32_e32 v5, 2, v5
	v_cndmask_b32_e64 v6, v4, v6, s7
	s_waitcnt vmcnt(1)
	s_delay_alu instid0(VALU_DEP_1) | instskip(NEXT) | instid1(VALU_DEP_1)
	v_dual_add_f32 v3, 0, v8 :: v_dual_lshlrev_b32 v6, 2, v6
	v_add_f32_e32 v3, v3, v7
	s_delay_alu instid0(VALU_DEP_1) | instskip(NEXT) | instid1(VALU_DEP_1)
	v_add_f32_e32 v3, v3, v13
	v_add_f32_e32 v3, v3, v11
	s_delay_alu instid0(VALU_DEP_1) | instskip(NEXT) | instid1(VALU_DEP_1)
	v_add_f32_e32 v3, v3, v17
	;; [unrolled: 3-line block ×7, first 2 shown]
	v_add_f32_e32 v3, v3, v35
	ds_bpermute_b32 v5, v5, v3
	s_waitcnt lgkmcnt(0)
	v_add_f32_e32 v3, v3, v5
	ds_bpermute_b32 v5, v6, v3
	v_xor_b32_e32 v6, 4, v4
	s_delay_alu instid0(VALU_DEP_1) | instskip(NEXT) | instid1(VALU_DEP_1)
	v_cmp_gt_i32_e64 s7, 32, v6
	v_cndmask_b32_e64 v6, v4, v6, s7
	s_waitcnt lgkmcnt(0)
	s_delay_alu instid0(VALU_DEP_1) | instskip(SKIP_2) | instid1(VALU_DEP_1)
	v_dual_add_f32 v3, v3, v5 :: v_dual_lshlrev_b32 v6, 2, v6
	ds_bpermute_b32 v5, v6, v3
	v_xor_b32_e32 v6, 2, v4
	v_cmp_gt_i32_e64 s7, 32, v6
	s_delay_alu instid0(VALU_DEP_1) | instskip(SKIP_1) | instid1(VALU_DEP_1)
	v_cndmask_b32_e64 v6, v4, v6, s7
	s_waitcnt lgkmcnt(0)
	v_dual_add_f32 v3, v3, v5 :: v_dual_lshlrev_b32 v6, 2, v6
	ds_bpermute_b32 v5, v6, v3
	v_xor_b32_e32 v6, 1, v4
	s_delay_alu instid0(VALU_DEP_1) | instskip(NEXT) | instid1(VALU_DEP_1)
	v_cmp_gt_i32_e64 s7, 32, v6
	v_cndmask_b32_e64 v4, v4, v6, s7
	s_waitcnt lgkmcnt(0)
	s_delay_alu instid0(VALU_DEP_1)
	v_dual_add_f32 v3, v3, v5 :: v_dual_lshlrev_b32 v4, 2, v4
	ds_bpermute_b32 v4, v4, v3
	v_cmpx_lt_i32_e32 0, v9
	s_cbranch_execz .LBB613_50
; %bb.33:
	v_lshlrev_b64 v[0:1], 1, v[0:1]
	s_waitcnt lgkmcnt(0)
	v_add_f32_e32 v3, v3, v4
	s_delay_alu instid0(VALU_DEP_2) | instskip(NEXT) | instid1(VALU_DEP_1)
	v_add_co_u32 v0, s7, s16, v0
	v_add_co_ci_u32_e64 v1, s7, s17, v1, s7
	s_and_saveexec_b32 s7, vcc_lo
	s_cbranch_execnz .LBB613_51
; %bb.34:
	s_or_b32 exec_lo, exec_lo, s7
	s_and_saveexec_b32 s7, s0
	s_cbranch_execnz .LBB613_52
.LBB613_35:
	s_or_b32 exec_lo, exec_lo, s7
	s_and_saveexec_b32 s0, s1
	s_cbranch_execnz .LBB613_53
.LBB613_36:
	s_or_b32 exec_lo, exec_lo, s0
	s_and_saveexec_b32 s0, s2
	s_cbranch_execnz .LBB613_54
.LBB613_37:
	s_or_b32 exec_lo, exec_lo, s0
	s_and_saveexec_b32 s0, s3
	s_cbranch_execnz .LBB613_55
.LBB613_38:
	s_or_b32 exec_lo, exec_lo, s0
	s_and_saveexec_b32 s0, s4
	s_cbranch_execnz .LBB613_56
.LBB613_39:
	s_or_b32 exec_lo, exec_lo, s0
	s_and_saveexec_b32 s0, s5
	s_cbranch_execnz .LBB613_57
.LBB613_40:
	s_or_b32 exec_lo, exec_lo, s0
	s_and_saveexec_b32 s0, s6
	s_cbranch_execnz .LBB613_58
.LBB613_41:
	s_or_b32 exec_lo, exec_lo, s0
	s_and_saveexec_b32 s0, s8
	s_cbranch_execnz .LBB613_59
.LBB613_42:
	s_or_b32 exec_lo, exec_lo, s0
	s_and_saveexec_b32 s0, s9
	s_cbranch_execnz .LBB613_60
.LBB613_43:
	s_or_b32 exec_lo, exec_lo, s0
	s_and_saveexec_b32 s0, s10
	s_cbranch_execnz .LBB613_61
.LBB613_44:
	s_or_b32 exec_lo, exec_lo, s0
	s_and_saveexec_b32 s0, s11
	s_cbranch_execnz .LBB613_62
.LBB613_45:
	s_or_b32 exec_lo, exec_lo, s0
	s_and_saveexec_b32 s0, s12
	s_cbranch_execnz .LBB613_63
.LBB613_46:
	s_or_b32 exec_lo, exec_lo, s0
	s_and_saveexec_b32 s0, s13
	s_cbranch_execnz .LBB613_64
.LBB613_47:
	s_or_b32 exec_lo, exec_lo, s0
	s_and_saveexec_b32 s0, s14
	s_cbranch_execnz .LBB613_65
.LBB613_48:
	s_or_b32 exec_lo, exec_lo, s0
	s_delay_alu instid0(SALU_CYCLE_1)
	s_and_b32 exec_lo, exec_lo, s15
	s_cbranch_execz .LBB613_50
.LBB613_49:
	s_waitcnt vmcnt(0)
	v_fma_mixlo_f16 v2, -v3, v2, v35
	global_store_b16 v[0:1], v2, off offset:960
.LBB613_50:
	s_nop 0
	s_sendmsg sendmsg(MSG_DEALLOC_VGPRS)
	s_endpgm
.LBB613_51:
	s_waitcnt vmcnt(0)
	v_fma_mixlo_f16 v4, -v3, v10, v8
	global_store_b16 v[0:1], v4, off
	s_or_b32 exec_lo, exec_lo, s7
	s_and_saveexec_b32 s7, s0
	s_cbranch_execz .LBB613_35
.LBB613_52:
	s_waitcnt vmcnt(0)
	v_fma_mixlo_f16 v4, -v3, v12, v7
	global_store_b16 v[0:1], v4, off offset:64
	s_or_b32 exec_lo, exec_lo, s7
	s_and_saveexec_b32 s0, s1
	s_cbranch_execz .LBB613_36
.LBB613_53:
	s_waitcnt vmcnt(0)
	v_fma_mixlo_f16 v4, -v3, v14, v13
	global_store_b16 v[0:1], v4, off offset:128
	s_or_b32 exec_lo, exec_lo, s0
	s_and_saveexec_b32 s0, s2
	s_cbranch_execz .LBB613_37
.LBB613_54:
	s_waitcnt vmcnt(0)
	v_fma_mixlo_f16 v4, -v3, v16, v11
	global_store_b16 v[0:1], v4, off offset:192
	s_or_b32 exec_lo, exec_lo, s0
	s_and_saveexec_b32 s0, s3
	s_cbranch_execz .LBB613_38
.LBB613_55:
	s_waitcnt vmcnt(0)
	v_fma_mixlo_f16 v4, -v3, v18, v17
	global_store_b16 v[0:1], v4, off offset:256
	s_or_b32 exec_lo, exec_lo, s0
	s_and_saveexec_b32 s0, s4
	s_cbranch_execz .LBB613_39
.LBB613_56:
	s_waitcnt vmcnt(0)
	v_fma_mixlo_f16 v4, -v3, v20, v15
	global_store_b16 v[0:1], v4, off offset:320
	s_or_b32 exec_lo, exec_lo, s0
	s_and_saveexec_b32 s0, s5
	s_cbranch_execz .LBB613_40
.LBB613_57:
	s_waitcnt vmcnt(0)
	v_fma_mixlo_f16 v4, -v3, v22, v21
	global_store_b16 v[0:1], v4, off offset:384
	s_or_b32 exec_lo, exec_lo, s0
	s_and_saveexec_b32 s0, s6
	s_cbranch_execz .LBB613_41
.LBB613_58:
	s_waitcnt vmcnt(0)
	v_fma_mixlo_f16 v4, -v3, v24, v19
	global_store_b16 v[0:1], v4, off offset:448
	s_or_b32 exec_lo, exec_lo, s0
	s_and_saveexec_b32 s0, s8
	s_cbranch_execz .LBB613_42
.LBB613_59:
	s_waitcnt vmcnt(0)
	v_fma_mixlo_f16 v4, -v3, v26, v25
	global_store_b16 v[0:1], v4, off offset:512
	s_or_b32 exec_lo, exec_lo, s0
	s_and_saveexec_b32 s0, s9
	s_cbranch_execz .LBB613_43
.LBB613_60:
	s_waitcnt vmcnt(0)
	v_fma_mixlo_f16 v4, -v3, v28, v23
	global_store_b16 v[0:1], v4, off offset:576
	s_or_b32 exec_lo, exec_lo, s0
	s_and_saveexec_b32 s0, s10
	s_cbranch_execz .LBB613_44
.LBB613_61:
	s_waitcnt vmcnt(0)
	v_fma_mixlo_f16 v4, -v3, v30, v29
	global_store_b16 v[0:1], v4, off offset:640
	s_or_b32 exec_lo, exec_lo, s0
	s_and_saveexec_b32 s0, s11
	s_cbranch_execz .LBB613_45
.LBB613_62:
	s_waitcnt vmcnt(0)
	v_fma_mixlo_f16 v4, -v3, v32, v27
	global_store_b16 v[0:1], v4, off offset:704
	s_or_b32 exec_lo, exec_lo, s0
	s_and_saveexec_b32 s0, s12
	s_cbranch_execz .LBB613_46
.LBB613_63:
	s_waitcnt vmcnt(0)
	v_fma_mixlo_f16 v4, -v3, v34, v33
	global_store_b16 v[0:1], v4, off offset:768
	s_or_b32 exec_lo, exec_lo, s0
	s_and_saveexec_b32 s0, s13
	s_cbranch_execz .LBB613_47
.LBB613_64:
	s_waitcnt vmcnt(0)
	v_fma_mixlo_f16 v4, -v3, v36, v31
	global_store_b16 v[0:1], v4, off offset:832
	s_or_b32 exec_lo, exec_lo, s0
	s_and_saveexec_b32 s0, s14
	s_cbranch_execz .LBB613_48
.LBB613_65:
	s_waitcnt vmcnt(0)
	v_fma_mixlo_f16 v4, -v3, v38, v37
	global_store_b16 v[0:1], v4, off offset:896
	s_or_b32 exec_lo, exec_lo, s0
	s_delay_alu instid0(SALU_CYCLE_1)
	s_and_b32 exec_lo, exec_lo, s15
	s_cbranch_execnz .LBB613_49
	s_branch .LBB613_50
	.section	.rodata,"a",@progbits
	.p2align	6, 0x0
	.amdhsa_kernel _ZN12_GLOBAL__N_121softmax_warp_backwardIfN3c104HalfEfLi9ELb0ELb0ELi32EEEvPT0_PKT_S7_iiiPKb
		.amdhsa_group_segment_fixed_size 0
		.amdhsa_private_segment_fixed_size 0
		.amdhsa_kernarg_size 304
		.amdhsa_user_sgpr_count 15
		.amdhsa_user_sgpr_dispatch_ptr 0
		.amdhsa_user_sgpr_queue_ptr 0
		.amdhsa_user_sgpr_kernarg_segment_ptr 1
		.amdhsa_user_sgpr_dispatch_id 0
		.amdhsa_user_sgpr_private_segment_size 0
		.amdhsa_wavefront_size32 1
		.amdhsa_uses_dynamic_stack 0
		.amdhsa_enable_private_segment 0
		.amdhsa_system_sgpr_workgroup_id_x 1
		.amdhsa_system_sgpr_workgroup_id_y 0
		.amdhsa_system_sgpr_workgroup_id_z 0
		.amdhsa_system_sgpr_workgroup_info 0
		.amdhsa_system_vgpr_workitem_id 1
		.amdhsa_next_free_vgpr 39
		.amdhsa_next_free_sgpr 24
		.amdhsa_reserve_vcc 1
		.amdhsa_float_round_mode_32 0
		.amdhsa_float_round_mode_16_64 0
		.amdhsa_float_denorm_mode_32 3
		.amdhsa_float_denorm_mode_16_64 3
		.amdhsa_dx10_clamp 1
		.amdhsa_ieee_mode 1
		.amdhsa_fp16_overflow 0
		.amdhsa_workgroup_processor_mode 1
		.amdhsa_memory_ordered 1
		.amdhsa_forward_progress 0
		.amdhsa_shared_vgpr_count 0
		.amdhsa_exception_fp_ieee_invalid_op 0
		.amdhsa_exception_fp_denorm_src 0
		.amdhsa_exception_fp_ieee_div_zero 0
		.amdhsa_exception_fp_ieee_overflow 0
		.amdhsa_exception_fp_ieee_underflow 0
		.amdhsa_exception_fp_ieee_inexact 0
		.amdhsa_exception_int_div_zero 0
	.end_amdhsa_kernel
	.section	.text._ZN12_GLOBAL__N_121softmax_warp_backwardIfN3c104HalfEfLi9ELb0ELb0ELi32EEEvPT0_PKT_S7_iiiPKb,"axG",@progbits,_ZN12_GLOBAL__N_121softmax_warp_backwardIfN3c104HalfEfLi9ELb0ELb0ELi32EEEvPT0_PKT_S7_iiiPKb,comdat
.Lfunc_end613:
	.size	_ZN12_GLOBAL__N_121softmax_warp_backwardIfN3c104HalfEfLi9ELb0ELb0ELi32EEEvPT0_PKT_S7_iiiPKb, .Lfunc_end613-_ZN12_GLOBAL__N_121softmax_warp_backwardIfN3c104HalfEfLi9ELb0ELb0ELi32EEEvPT0_PKT_S7_iiiPKb
                                        ; -- End function
	.section	.AMDGPU.csdata,"",@progbits
; Kernel info:
; codeLenInByte = 2240
; NumSgprs: 26
; NumVgprs: 39
; ScratchSize: 0
; MemoryBound: 0
; FloatMode: 240
; IeeeMode: 1
; LDSByteSize: 0 bytes/workgroup (compile time only)
; SGPRBlocks: 3
; VGPRBlocks: 4
; NumSGPRsForWavesPerEU: 26
; NumVGPRsForWavesPerEU: 39
; Occupancy: 16
; WaveLimiterHint : 0
; COMPUTE_PGM_RSRC2:SCRATCH_EN: 0
; COMPUTE_PGM_RSRC2:USER_SGPR: 15
; COMPUTE_PGM_RSRC2:TRAP_HANDLER: 0
; COMPUTE_PGM_RSRC2:TGID_X_EN: 1
; COMPUTE_PGM_RSRC2:TGID_Y_EN: 0
; COMPUTE_PGM_RSRC2:TGID_Z_EN: 0
; COMPUTE_PGM_RSRC2:TIDIG_COMP_CNT: 1
	.section	.text._ZN12_GLOBAL__N_121softmax_warp_backwardIfN3c104HalfEfLi10ELb0ELb0ELi64EEEvPT0_PKT_S7_iiiPKb,"axG",@progbits,_ZN12_GLOBAL__N_121softmax_warp_backwardIfN3c104HalfEfLi10ELb0ELb0ELi64EEEvPT0_PKT_S7_iiiPKb,comdat
	.globl	_ZN12_GLOBAL__N_121softmax_warp_backwardIfN3c104HalfEfLi10ELb0ELb0ELi64EEEvPT0_PKT_S7_iiiPKb ; -- Begin function _ZN12_GLOBAL__N_121softmax_warp_backwardIfN3c104HalfEfLi10ELb0ELb0ELi64EEEvPT0_PKT_S7_iiiPKb
	.p2align	8
	.type	_ZN12_GLOBAL__N_121softmax_warp_backwardIfN3c104HalfEfLi10ELb0ELb0ELi64EEEvPT0_PKT_S7_iiiPKb,@function
_ZN12_GLOBAL__N_121softmax_warp_backwardIfN3c104HalfEfLi10ELb0ELb0ELi64EEEvPT0_PKT_S7_iiiPKb: ; @_ZN12_GLOBAL__N_121softmax_warp_backwardIfN3c104HalfEfLi10ELb0ELb0ELi64EEEvPT0_PKT_S7_iiiPKb
; %bb.0:
	s_clause 0x1
	s_load_b32 s2, s[0:1], 0x3c
	s_load_b128 s[20:23], s[0:1], 0x18
	v_bfe_u32 v1, v0, 10, 10
	v_dual_mov_b32 v8, 0 :: v_dual_and_b32 v23, 0x3ff, v0
	s_load_b128 s[16:19], s[0:1], 0x0
	v_mov_b32_e32 v10, 0
	s_delay_alu instid0(VALU_DEP_2) | instskip(SKIP_2) | instid1(SALU_CYCLE_1)
	v_and_b32_e32 v6, 63, v23
	s_waitcnt lgkmcnt(0)
	s_lshr_b32 s2, s2, 16
	v_mad_u64_u32 v[2:3], null, s15, s2, v[1:2]
	s_load_b64 s[2:3], s[0:1], 0x10
	s_delay_alu instid0(VALU_DEP_1) | instskip(SKIP_3) | instid1(VALU_DEP_2)
	v_mad_u64_u32 v[0:1], null, v2, s21, v[6:7]
	v_mov_b32_e32 v7, 0
	v_sub_nc_u32_e32 v9, s20, v2
	v_cmp_gt_i32_e32 vcc_lo, s22, v6
	v_cmp_lt_i32_e64 s8, 0, v9
	v_ashrrev_i32_e32 v1, 31, v0
	s_delay_alu instid0(VALU_DEP_2) | instskip(NEXT) | instid1(VALU_DEP_1)
	s_and_b32 s1, s8, vcc_lo
	v_lshlrev_b64 v[4:5], 2, v[0:1]
	s_delay_alu instid0(VALU_DEP_1) | instskip(NEXT) | instid1(VALU_DEP_1)
	v_add_co_u32 v2, s0, s18, v4
	v_add_co_ci_u32_e64 v3, s0, s19, v5, s0
	s_waitcnt lgkmcnt(0)
	v_add_co_u32 v4, s0, s2, v4
	s_delay_alu instid0(VALU_DEP_1)
	v_add_co_ci_u32_e64 v5, s0, s3, v5, s0
	s_and_saveexec_b32 s0, s1
	s_cbranch_execz .LBB614_2
; %bb.1:
	global_load_b32 v8, v[2:3], off
	global_load_b32 v10, v[4:5], off
.LBB614_2:
	s_or_b32 exec_lo, exec_lo, s0
	v_or_b32_e32 v11, 64, v6
	v_mov_b32_e32 v12, 0
	s_delay_alu instid0(VALU_DEP_2) | instskip(NEXT) | instid1(VALU_DEP_1)
	v_cmp_gt_i32_e64 s0, s22, v11
	s_and_b32 s2, s8, s0
	s_delay_alu instid0(SALU_CYCLE_1)
	s_and_saveexec_b32 s1, s2
	s_cbranch_execz .LBB614_4
; %bb.3:
	global_load_b32 v7, v[2:3], off offset:256
	global_load_b32 v12, v[4:5], off offset:256
.LBB614_4:
	s_or_b32 exec_lo, exec_lo, s1
	v_or_b32_e32 v11, 0x80, v6
	v_dual_mov_b32 v13, 0 :: v_dual_mov_b32 v14, 0
	s_delay_alu instid0(VALU_DEP_2) | instskip(SKIP_1) | instid1(VALU_DEP_2)
	v_cmp_gt_i32_e64 s1, s22, v11
	v_mov_b32_e32 v11, 0
	s_and_b32 s3, s8, s1
	s_delay_alu instid0(SALU_CYCLE_1)
	s_and_saveexec_b32 s2, s3
	s_cbranch_execz .LBB614_6
; %bb.5:
	global_load_b32 v13, v[2:3], off offset:512
	global_load_b32 v14, v[4:5], off offset:512
.LBB614_6:
	s_or_b32 exec_lo, exec_lo, s2
	v_or_b32_e32 v15, 0xc0, v6
	v_mov_b32_e32 v16, 0
	s_delay_alu instid0(VALU_DEP_2) | instskip(NEXT) | instid1(VALU_DEP_1)
	v_cmp_gt_i32_e64 s2, s22, v15
	s_and_b32 s4, s8, s2
	s_delay_alu instid0(SALU_CYCLE_1)
	s_and_saveexec_b32 s3, s4
	s_cbranch_execz .LBB614_8
; %bb.7:
	global_load_b32 v11, v[2:3], off offset:768
	global_load_b32 v16, v[4:5], off offset:768
.LBB614_8:
	s_or_b32 exec_lo, exec_lo, s3
	v_or_b32_e32 v15, 0x100, v6
	v_dual_mov_b32 v17, 0 :: v_dual_mov_b32 v18, 0
	s_delay_alu instid0(VALU_DEP_2) | instskip(SKIP_1) | instid1(VALU_DEP_2)
	v_cmp_gt_i32_e64 s3, s22, v15
	v_mov_b32_e32 v15, 0
	s_and_b32 s5, s8, s3
	s_delay_alu instid0(SALU_CYCLE_1)
	s_and_saveexec_b32 s4, s5
	s_cbranch_execz .LBB614_10
; %bb.9:
	global_load_b32 v17, v[2:3], off offset:1024
	global_load_b32 v18, v[4:5], off offset:1024
.LBB614_10:
	;; [unrolled: 27-line block ×6, first 2 shown]
	s_or_b32 exec_lo, exec_lo, s13
	v_or_b32_e32 v36, 0x340, v6
	s_delay_alu instid0(VALU_DEP_1) | instskip(SKIP_1) | instid1(VALU_DEP_2)
	v_cmp_gt_i32_e64 s13, s22, v36
	v_mov_b32_e32 v36, 0
	s_and_b32 s15, s8, s13
	s_delay_alu instid0(SALU_CYCLE_1)
	s_and_saveexec_b32 s14, s15
	s_cbranch_execz .LBB614_28
; %bb.27:
	global_load_b32 v32, v[2:3], off offset:3328
	global_load_b32 v36, v[4:5], off offset:3328
.LBB614_28:
	s_or_b32 exec_lo, exec_lo, s14
	v_or_b32_e32 v6, 0x380, v6
	v_dual_mov_b32 v38, 0 :: v_dual_mov_b32 v37, 0
	s_delay_alu instid0(VALU_DEP_2) | instskip(SKIP_1) | instid1(VALU_DEP_2)
	v_cmp_gt_i32_e64 s14, s22, v6
	v_mov_b32_e32 v6, 0
	s_and_b32 s18, s8, s14
	s_delay_alu instid0(SALU_CYCLE_1)
	s_and_saveexec_b32 s15, s18
	s_cbranch_execz .LBB614_30
; %bb.29:
	global_load_b32 v37, v[2:3], off offset:3584
	global_load_b32 v38, v[4:5], off offset:3584
.LBB614_30:
	s_or_b32 exec_lo, exec_lo, s15
	v_or_b32_e32 v23, 0x3c0, v23
	s_delay_alu instid0(VALU_DEP_1) | instskip(SKIP_1) | instid1(VALU_DEP_2)
	v_cmp_gt_i32_e64 s15, s22, v23
	v_mov_b32_e32 v23, 0
	s_and_b32 s18, s8, s15
	s_delay_alu instid0(SALU_CYCLE_1)
	s_and_saveexec_b32 s8, s18
	s_cbranch_execz .LBB614_32
; %bb.31:
	global_load_b32 v6, v[2:3], off offset:3840
	global_load_b32 v23, v[4:5], off offset:3840
.LBB614_32:
	s_or_b32 exec_lo, exec_lo, s8
	v_mbcnt_lo_u32_b32 v3, -1, 0
	s_mov_b32 s18, exec_lo
	s_delay_alu instid0(VALU_DEP_1) | instskip(SKIP_1) | instid1(VALU_DEP_2)
	v_or_b32_e32 v4, 32, v3
	v_xor_b32_e32 v5, 16, v3
	v_cmp_gt_i32_e64 s8, 64, v4
	s_delay_alu instid0(VALU_DEP_1) | instskip(NEXT) | instid1(VALU_DEP_3)
	v_cndmask_b32_e64 v4, v3, v4, s8
	v_cmp_gt_i32_e64 s8, 64, v5
	s_delay_alu instid0(VALU_DEP_2) | instskip(NEXT) | instid1(VALU_DEP_2)
	v_lshlrev_b32_e32 v4, 2, v4
	v_cndmask_b32_e64 v5, v3, v5, s8
	s_waitcnt vmcnt(1)
	s_delay_alu instid0(VALU_DEP_1) | instskip(NEXT) | instid1(VALU_DEP_1)
	v_dual_add_f32 v2, 0, v8 :: v_dual_lshlrev_b32 v5, 2, v5
	v_add_f32_e32 v2, v2, v7
	s_delay_alu instid0(VALU_DEP_1) | instskip(NEXT) | instid1(VALU_DEP_1)
	v_add_f32_e32 v2, v2, v13
	v_add_f32_e32 v2, v2, v11
	s_delay_alu instid0(VALU_DEP_1) | instskip(NEXT) | instid1(VALU_DEP_1)
	v_add_f32_e32 v2, v2, v17
	;; [unrolled: 3-line block ×7, first 2 shown]
	v_add_f32_e32 v2, v2, v6
	ds_bpermute_b32 v4, v4, v2
	s_waitcnt lgkmcnt(0)
	v_add_f32_e32 v2, v2, v4
	ds_bpermute_b32 v4, v5, v2
	v_xor_b32_e32 v5, 8, v3
	s_delay_alu instid0(VALU_DEP_1) | instskip(NEXT) | instid1(VALU_DEP_1)
	v_cmp_gt_i32_e64 s8, 64, v5
	v_cndmask_b32_e64 v5, v3, v5, s8
	s_waitcnt lgkmcnt(0)
	s_delay_alu instid0(VALU_DEP_1) | instskip(SKIP_2) | instid1(VALU_DEP_1)
	v_dual_add_f32 v2, v2, v4 :: v_dual_lshlrev_b32 v5, 2, v5
	ds_bpermute_b32 v4, v5, v2
	v_xor_b32_e32 v5, 4, v3
	v_cmp_gt_i32_e64 s8, 64, v5
	s_delay_alu instid0(VALU_DEP_1) | instskip(SKIP_1) | instid1(VALU_DEP_1)
	v_cndmask_b32_e64 v5, v3, v5, s8
	s_waitcnt lgkmcnt(0)
	v_dual_add_f32 v2, v2, v4 :: v_dual_lshlrev_b32 v5, 2, v5
	ds_bpermute_b32 v4, v5, v2
	v_xor_b32_e32 v5, 2, v3
	s_delay_alu instid0(VALU_DEP_1) | instskip(NEXT) | instid1(VALU_DEP_1)
	v_cmp_gt_i32_e64 s8, 64, v5
	v_cndmask_b32_e64 v5, v3, v5, s8
	s_waitcnt lgkmcnt(0)
	s_delay_alu instid0(VALU_DEP_1) | instskip(SKIP_2) | instid1(VALU_DEP_1)
	v_dual_add_f32 v2, v2, v4 :: v_dual_lshlrev_b32 v5, 2, v5
	ds_bpermute_b32 v4, v5, v2
	v_xor_b32_e32 v5, 1, v3
	v_cmp_gt_i32_e64 s8, 64, v5
	s_delay_alu instid0(VALU_DEP_1) | instskip(SKIP_1) | instid1(VALU_DEP_1)
	v_cndmask_b32_e64 v3, v3, v5, s8
	s_waitcnt lgkmcnt(0)
	v_dual_add_f32 v2, v2, v4 :: v_dual_lshlrev_b32 v3, 2, v3
	ds_bpermute_b32 v3, v3, v2
	v_cmpx_lt_i32_e32 0, v9
	s_cbranch_execz .LBB614_50
; %bb.33:
	v_lshlrev_b64 v[0:1], 1, v[0:1]
	s_waitcnt lgkmcnt(0)
	v_add_f32_e32 v2, v2, v3
	s_delay_alu instid0(VALU_DEP_2) | instskip(NEXT) | instid1(VALU_DEP_1)
	v_add_co_u32 v0, s8, s16, v0
	v_add_co_ci_u32_e64 v1, s8, s17, v1, s8
	s_and_saveexec_b32 s8, vcc_lo
	s_cbranch_execnz .LBB614_51
; %bb.34:
	s_or_b32 exec_lo, exec_lo, s8
	s_and_saveexec_b32 s8, s0
	s_cbranch_execnz .LBB614_52
.LBB614_35:
	s_or_b32 exec_lo, exec_lo, s8
	s_and_saveexec_b32 s0, s1
	s_cbranch_execnz .LBB614_53
.LBB614_36:
	s_or_b32 exec_lo, exec_lo, s0
	s_and_saveexec_b32 s0, s2
	s_cbranch_execnz .LBB614_54
.LBB614_37:
	s_or_b32 exec_lo, exec_lo, s0
	s_and_saveexec_b32 s0, s3
	s_cbranch_execnz .LBB614_55
.LBB614_38:
	s_or_b32 exec_lo, exec_lo, s0
	s_and_saveexec_b32 s0, s4
	s_cbranch_execnz .LBB614_56
.LBB614_39:
	s_or_b32 exec_lo, exec_lo, s0
	s_and_saveexec_b32 s0, s5
	s_cbranch_execnz .LBB614_57
.LBB614_40:
	s_or_b32 exec_lo, exec_lo, s0
	s_and_saveexec_b32 s0, s6
	s_cbranch_execnz .LBB614_58
.LBB614_41:
	s_or_b32 exec_lo, exec_lo, s0
	s_and_saveexec_b32 s0, s7
	s_cbranch_execnz .LBB614_59
.LBB614_42:
	s_or_b32 exec_lo, exec_lo, s0
	s_and_saveexec_b32 s0, s9
	s_cbranch_execnz .LBB614_60
.LBB614_43:
	s_or_b32 exec_lo, exec_lo, s0
	s_and_saveexec_b32 s0, s10
	s_cbranch_execnz .LBB614_61
.LBB614_44:
	s_or_b32 exec_lo, exec_lo, s0
	s_and_saveexec_b32 s0, s11
	s_cbranch_execnz .LBB614_62
.LBB614_45:
	s_or_b32 exec_lo, exec_lo, s0
	s_and_saveexec_b32 s0, s12
	s_cbranch_execnz .LBB614_63
.LBB614_46:
	s_or_b32 exec_lo, exec_lo, s0
	s_and_saveexec_b32 s0, s13
	s_cbranch_execnz .LBB614_64
.LBB614_47:
	s_or_b32 exec_lo, exec_lo, s0
	s_and_saveexec_b32 s0, s14
	s_cbranch_execnz .LBB614_65
.LBB614_48:
	s_or_b32 exec_lo, exec_lo, s0
	s_delay_alu instid0(SALU_CYCLE_1)
	s_and_b32 exec_lo, exec_lo, s15
	s_cbranch_execz .LBB614_50
.LBB614_49:
	s_waitcnt vmcnt(0)
	v_fma_mixlo_f16 v2, -v2, v23, v6
	global_store_b16 v[0:1], v2, off offset:1920
.LBB614_50:
	s_nop 0
	s_sendmsg sendmsg(MSG_DEALLOC_VGPRS)
	s_endpgm
.LBB614_51:
	s_waitcnt vmcnt(0)
	v_fma_mixlo_f16 v3, -v2, v10, v8
	global_store_b16 v[0:1], v3, off
	s_or_b32 exec_lo, exec_lo, s8
	s_and_saveexec_b32 s8, s0
	s_cbranch_execz .LBB614_35
.LBB614_52:
	s_waitcnt vmcnt(0)
	v_fma_mixlo_f16 v3, -v2, v12, v7
	global_store_b16 v[0:1], v3, off offset:128
	s_or_b32 exec_lo, exec_lo, s8
	s_and_saveexec_b32 s0, s1
	s_cbranch_execz .LBB614_36
.LBB614_53:
	s_waitcnt vmcnt(0)
	v_fma_mixlo_f16 v3, -v2, v14, v13
	global_store_b16 v[0:1], v3, off offset:256
	s_or_b32 exec_lo, exec_lo, s0
	s_and_saveexec_b32 s0, s2
	s_cbranch_execz .LBB614_37
.LBB614_54:
	s_waitcnt vmcnt(0)
	v_fma_mixlo_f16 v3, -v2, v16, v11
	global_store_b16 v[0:1], v3, off offset:384
	s_or_b32 exec_lo, exec_lo, s0
	s_and_saveexec_b32 s0, s3
	s_cbranch_execz .LBB614_38
.LBB614_55:
	s_waitcnt vmcnt(0)
	v_fma_mixlo_f16 v3, -v2, v18, v17
	global_store_b16 v[0:1], v3, off offset:512
	s_or_b32 exec_lo, exec_lo, s0
	s_and_saveexec_b32 s0, s4
	s_cbranch_execz .LBB614_39
.LBB614_56:
	s_waitcnt vmcnt(0)
	v_fma_mixlo_f16 v3, -v2, v20, v15
	global_store_b16 v[0:1], v3, off offset:640
	s_or_b32 exec_lo, exec_lo, s0
	s_and_saveexec_b32 s0, s5
	s_cbranch_execz .LBB614_40
.LBB614_57:
	s_waitcnt vmcnt(0)
	v_fma_mixlo_f16 v3, -v2, v22, v21
	global_store_b16 v[0:1], v3, off offset:768
	s_or_b32 exec_lo, exec_lo, s0
	s_and_saveexec_b32 s0, s6
	s_cbranch_execz .LBB614_41
.LBB614_58:
	s_waitcnt vmcnt(0)
	v_fma_mixlo_f16 v3, -v2, v25, v19
	global_store_b16 v[0:1], v3, off offset:896
	s_or_b32 exec_lo, exec_lo, s0
	s_and_saveexec_b32 s0, s7
	s_cbranch_execz .LBB614_42
.LBB614_59:
	s_waitcnt vmcnt(0)
	v_fma_mixlo_f16 v3, -v2, v27, v26
	global_store_b16 v[0:1], v3, off offset:1024
	s_or_b32 exec_lo, exec_lo, s0
	s_and_saveexec_b32 s0, s9
	s_cbranch_execz .LBB614_43
.LBB614_60:
	s_waitcnt vmcnt(0)
	v_fma_mixlo_f16 v3, -v2, v29, v24
	global_store_b16 v[0:1], v3, off offset:1152
	s_or_b32 exec_lo, exec_lo, s0
	s_and_saveexec_b32 s0, s10
	s_cbranch_execz .LBB614_44
.LBB614_61:
	s_waitcnt vmcnt(0)
	v_fma_mixlo_f16 v3, -v2, v31, v30
	global_store_b16 v[0:1], v3, off offset:1280
	s_or_b32 exec_lo, exec_lo, s0
	s_and_saveexec_b32 s0, s11
	s_cbranch_execz .LBB614_45
.LBB614_62:
	s_waitcnt vmcnt(0)
	v_fma_mixlo_f16 v3, -v2, v33, v28
	global_store_b16 v[0:1], v3, off offset:1408
	s_or_b32 exec_lo, exec_lo, s0
	s_and_saveexec_b32 s0, s12
	s_cbranch_execz .LBB614_46
.LBB614_63:
	s_waitcnt vmcnt(0)
	v_fma_mixlo_f16 v3, -v2, v35, v34
	global_store_b16 v[0:1], v3, off offset:1536
	s_or_b32 exec_lo, exec_lo, s0
	s_and_saveexec_b32 s0, s13
	s_cbranch_execz .LBB614_47
.LBB614_64:
	s_waitcnt vmcnt(0)
	v_fma_mixlo_f16 v3, -v2, v36, v32
	global_store_b16 v[0:1], v3, off offset:1664
	s_or_b32 exec_lo, exec_lo, s0
	s_and_saveexec_b32 s0, s14
	s_cbranch_execz .LBB614_48
.LBB614_65:
	s_waitcnt vmcnt(0)
	v_fma_mixlo_f16 v3, -v2, v38, v37
	global_store_b16 v[0:1], v3, off offset:1792
	s_or_b32 exec_lo, exec_lo, s0
	s_delay_alu instid0(SALU_CYCLE_1)
	s_and_b32 exec_lo, exec_lo, s15
	s_cbranch_execnz .LBB614_49
	s_branch .LBB614_50
	.section	.rodata,"a",@progbits
	.p2align	6, 0x0
	.amdhsa_kernel _ZN12_GLOBAL__N_121softmax_warp_backwardIfN3c104HalfEfLi10ELb0ELb0ELi64EEEvPT0_PKT_S7_iiiPKb
		.amdhsa_group_segment_fixed_size 0
		.amdhsa_private_segment_fixed_size 0
		.amdhsa_kernarg_size 304
		.amdhsa_user_sgpr_count 15
		.amdhsa_user_sgpr_dispatch_ptr 0
		.amdhsa_user_sgpr_queue_ptr 0
		.amdhsa_user_sgpr_kernarg_segment_ptr 1
		.amdhsa_user_sgpr_dispatch_id 0
		.amdhsa_user_sgpr_private_segment_size 0
		.amdhsa_wavefront_size32 1
		.amdhsa_uses_dynamic_stack 0
		.amdhsa_enable_private_segment 0
		.amdhsa_system_sgpr_workgroup_id_x 1
		.amdhsa_system_sgpr_workgroup_id_y 0
		.amdhsa_system_sgpr_workgroup_id_z 0
		.amdhsa_system_sgpr_workgroup_info 0
		.amdhsa_system_vgpr_workitem_id 1
		.amdhsa_next_free_vgpr 39
		.amdhsa_next_free_sgpr 24
		.amdhsa_reserve_vcc 1
		.amdhsa_float_round_mode_32 0
		.amdhsa_float_round_mode_16_64 0
		.amdhsa_float_denorm_mode_32 3
		.amdhsa_float_denorm_mode_16_64 3
		.amdhsa_dx10_clamp 1
		.amdhsa_ieee_mode 1
		.amdhsa_fp16_overflow 0
		.amdhsa_workgroup_processor_mode 1
		.amdhsa_memory_ordered 1
		.amdhsa_forward_progress 0
		.amdhsa_shared_vgpr_count 0
		.amdhsa_exception_fp_ieee_invalid_op 0
		.amdhsa_exception_fp_denorm_src 0
		.amdhsa_exception_fp_ieee_div_zero 0
		.amdhsa_exception_fp_ieee_overflow 0
		.amdhsa_exception_fp_ieee_underflow 0
		.amdhsa_exception_fp_ieee_inexact 0
		.amdhsa_exception_int_div_zero 0
	.end_amdhsa_kernel
	.section	.text._ZN12_GLOBAL__N_121softmax_warp_backwardIfN3c104HalfEfLi10ELb0ELb0ELi64EEEvPT0_PKT_S7_iiiPKb,"axG",@progbits,_ZN12_GLOBAL__N_121softmax_warp_backwardIfN3c104HalfEfLi10ELb0ELb0ELi64EEEvPT0_PKT_S7_iiiPKb,comdat
.Lfunc_end614:
	.size	_ZN12_GLOBAL__N_121softmax_warp_backwardIfN3c104HalfEfLi10ELb0ELb0ELi64EEEvPT0_PKT_S7_iiiPKb, .Lfunc_end614-_ZN12_GLOBAL__N_121softmax_warp_backwardIfN3c104HalfEfLi10ELb0ELb0ELi64EEEvPT0_PKT_S7_iiiPKb
                                        ; -- End function
	.section	.AMDGPU.csdata,"",@progbits
; Kernel info:
; codeLenInByte = 2296
; NumSgprs: 26
; NumVgprs: 39
; ScratchSize: 0
; MemoryBound: 0
; FloatMode: 240
; IeeeMode: 1
; LDSByteSize: 0 bytes/workgroup (compile time only)
; SGPRBlocks: 3
; VGPRBlocks: 4
; NumSGPRsForWavesPerEU: 26
; NumVGPRsForWavesPerEU: 39
; Occupancy: 16
; WaveLimiterHint : 0
; COMPUTE_PGM_RSRC2:SCRATCH_EN: 0
; COMPUTE_PGM_RSRC2:USER_SGPR: 15
; COMPUTE_PGM_RSRC2:TRAP_HANDLER: 0
; COMPUTE_PGM_RSRC2:TGID_X_EN: 1
; COMPUTE_PGM_RSRC2:TGID_Y_EN: 0
; COMPUTE_PGM_RSRC2:TGID_Z_EN: 0
; COMPUTE_PGM_RSRC2:TIDIG_COMP_CNT: 1
	.section	.text._ZN12_GLOBAL__N_121softmax_warp_backwardIfN3c104HalfEfLi10ELb0ELb0ELi32EEEvPT0_PKT_S7_iiiPKb,"axG",@progbits,_ZN12_GLOBAL__N_121softmax_warp_backwardIfN3c104HalfEfLi10ELb0ELb0ELi32EEEvPT0_PKT_S7_iiiPKb,comdat
	.globl	_ZN12_GLOBAL__N_121softmax_warp_backwardIfN3c104HalfEfLi10ELb0ELb0ELi32EEEvPT0_PKT_S7_iiiPKb ; -- Begin function _ZN12_GLOBAL__N_121softmax_warp_backwardIfN3c104HalfEfLi10ELb0ELb0ELi32EEEvPT0_PKT_S7_iiiPKb
	.p2align	8
	.type	_ZN12_GLOBAL__N_121softmax_warp_backwardIfN3c104HalfEfLi10ELb0ELb0ELi32EEEvPT0_PKT_S7_iiiPKb,@function
_ZN12_GLOBAL__N_121softmax_warp_backwardIfN3c104HalfEfLi10ELb0ELb0ELi32EEEvPT0_PKT_S7_iiiPKb: ; @_ZN12_GLOBAL__N_121softmax_warp_backwardIfN3c104HalfEfLi10ELb0ELb0ELi32EEEvPT0_PKT_S7_iiiPKb
; %bb.0:
	s_clause 0x1
	s_load_b32 s2, s[0:1], 0x3c
	s_load_b128 s[40:43], s[0:1], 0x18
	v_bfe_u32 v1, v0, 10, 10
	v_dual_mov_b32 v8, 0 :: v_dual_and_b32 v25, 0x3ff, v0
	s_load_b128 s[36:39], s[0:1], 0x0
	v_mov_b32_e32 v10, 0
	s_delay_alu instid0(VALU_DEP_2) | instskip(SKIP_2) | instid1(SALU_CYCLE_1)
	v_and_b32_e32 v6, 31, v25
	s_waitcnt lgkmcnt(0)
	s_lshr_b32 s2, s2, 16
	v_mad_u64_u32 v[2:3], null, s15, s2, v[1:2]
	s_load_b64 s[2:3], s[0:1], 0x10
	s_delay_alu instid0(VALU_DEP_1) | instskip(SKIP_3) | instid1(VALU_DEP_2)
	v_mad_u64_u32 v[0:1], null, v2, s41, v[6:7]
	v_mov_b32_e32 v7, 0
	v_sub_nc_u32_e32 v9, s40, v2
	v_cmp_gt_i32_e32 vcc_lo, s42, v6
	v_cmp_lt_i32_e64 s9, 0, v9
	v_ashrrev_i32_e32 v1, 31, v0
	s_delay_alu instid0(VALU_DEP_2) | instskip(NEXT) | instid1(VALU_DEP_1)
	s_and_b32 s1, s9, vcc_lo
	v_lshlrev_b64 v[4:5], 2, v[0:1]
	s_delay_alu instid0(VALU_DEP_1) | instskip(NEXT) | instid1(VALU_DEP_1)
	v_add_co_u32 v2, s0, s38, v4
	v_add_co_ci_u32_e64 v3, s0, s39, v5, s0
	s_waitcnt lgkmcnt(0)
	v_add_co_u32 v4, s0, s2, v4
	s_delay_alu instid0(VALU_DEP_1)
	v_add_co_ci_u32_e64 v5, s0, s3, v5, s0
	s_and_saveexec_b32 s0, s1
	s_cbranch_execz .LBB615_2
; %bb.1:
	global_load_b32 v8, v[2:3], off
	global_load_b32 v10, v[4:5], off
.LBB615_2:
	s_or_b32 exec_lo, exec_lo, s0
	v_or_b32_e32 v11, 32, v6
	v_mov_b32_e32 v12, 0
	s_delay_alu instid0(VALU_DEP_2) | instskip(NEXT) | instid1(VALU_DEP_1)
	v_cmp_gt_i32_e64 s0, s42, v11
	s_and_b32 s2, s9, s0
	s_delay_alu instid0(SALU_CYCLE_1)
	s_and_saveexec_b32 s1, s2
	s_cbranch_execz .LBB615_4
; %bb.3:
	global_load_b32 v7, v[2:3], off offset:128
	global_load_b32 v12, v[4:5], off offset:128
.LBB615_4:
	s_or_b32 exec_lo, exec_lo, s1
	v_or_b32_e32 v11, 64, v6
	v_dual_mov_b32 v13, 0 :: v_dual_mov_b32 v14, 0
	s_delay_alu instid0(VALU_DEP_2) | instskip(SKIP_1) | instid1(VALU_DEP_2)
	v_cmp_gt_i32_e64 s1, s42, v11
	v_mov_b32_e32 v11, 0
	s_and_b32 s3, s9, s1
	s_delay_alu instid0(SALU_CYCLE_1)
	s_and_saveexec_b32 s2, s3
	s_cbranch_execz .LBB615_6
; %bb.5:
	global_load_b32 v13, v[2:3], off offset:256
	global_load_b32 v14, v[4:5], off offset:256
.LBB615_6:
	s_or_b32 exec_lo, exec_lo, s2
	v_or_b32_e32 v15, 0x60, v6
	v_mov_b32_e32 v16, 0
	s_delay_alu instid0(VALU_DEP_2) | instskip(NEXT) | instid1(VALU_DEP_1)
	v_cmp_gt_i32_e64 s2, s42, v15
	s_and_b32 s4, s9, s2
	s_delay_alu instid0(SALU_CYCLE_1)
	s_and_saveexec_b32 s3, s4
	s_cbranch_execz .LBB615_8
; %bb.7:
	global_load_b32 v11, v[2:3], off offset:384
	global_load_b32 v16, v[4:5], off offset:384
.LBB615_8:
	s_or_b32 exec_lo, exec_lo, s3
	v_or_b32_e32 v15, 0x80, v6
	v_dual_mov_b32 v17, 0 :: v_dual_mov_b32 v18, 0
	s_delay_alu instid0(VALU_DEP_2) | instskip(SKIP_1) | instid1(VALU_DEP_2)
	v_cmp_gt_i32_e64 s3, s42, v15
	v_mov_b32_e32 v15, 0
	s_and_b32 s5, s9, s3
	s_delay_alu instid0(SALU_CYCLE_1)
	s_and_saveexec_b32 s4, s5
	s_cbranch_execz .LBB615_10
; %bb.9:
	global_load_b32 v17, v[2:3], off offset:512
	global_load_b32 v18, v[4:5], off offset:512
.LBB615_10:
	;; [unrolled: 27-line block ×14, first 2 shown]
	s_or_b32 exec_lo, exec_lo, s29
	v_or_b32_e32 v68, 0x3a0, v6
	s_delay_alu instid0(VALU_DEP_1) | instskip(SKIP_1) | instid1(VALU_DEP_2)
	v_cmp_gt_i32_e64 s29, s42, v68
	v_mov_b32_e32 v68, 0
	s_and_b32 s31, s9, s29
	s_delay_alu instid0(SALU_CYCLE_1)
	s_and_saveexec_b32 s30, s31
	s_cbranch_execz .LBB615_60
; %bb.59:
	global_load_b32 v64, v[2:3], off offset:3712
	global_load_b32 v68, v[4:5], off offset:3712
.LBB615_60:
	s_or_b32 exec_lo, exec_lo, s30
	v_or_b32_e32 v6, 0x3c0, v6
	v_dual_mov_b32 v70, 0 :: v_dual_mov_b32 v69, 0
	s_delay_alu instid0(VALU_DEP_2) | instskip(SKIP_1) | instid1(VALU_DEP_2)
	v_cmp_gt_i32_e64 s30, s42, v6
	v_mov_b32_e32 v6, 0
	s_and_b32 s33, s9, s30
	s_delay_alu instid0(SALU_CYCLE_1)
	s_and_saveexec_b32 s31, s33
	s_cbranch_execz .LBB615_62
; %bb.61:
	global_load_b32 v69, v[2:3], off offset:3840
	global_load_b32 v70, v[4:5], off offset:3840
.LBB615_62:
	s_or_b32 exec_lo, exec_lo, s31
	v_or_b32_e32 v25, 0x3e0, v25
	s_delay_alu instid0(VALU_DEP_1) | instskip(SKIP_1) | instid1(VALU_DEP_2)
	v_cmp_gt_i32_e64 s31, s42, v25
	v_mov_b32_e32 v25, 0
	s_and_b32 s33, s9, s31
	s_delay_alu instid0(SALU_CYCLE_1)
	s_and_saveexec_b32 s9, s33
	s_cbranch_execz .LBB615_64
; %bb.63:
	global_load_b32 v6, v[2:3], off offset:3968
	global_load_b32 v25, v[4:5], off offset:3968
.LBB615_64:
	s_or_b32 exec_lo, exec_lo, s9
	v_mbcnt_lo_u32_b32 v3, -1, 0
	s_mov_b32 s33, exec_lo
	s_delay_alu instid0(VALU_DEP_1) | instskip(SKIP_1) | instid1(VALU_DEP_2)
	v_xor_b32_e32 v4, 16, v3
	v_xor_b32_e32 v5, 8, v3
	v_cmp_gt_i32_e64 s9, 32, v4
	s_delay_alu instid0(VALU_DEP_1) | instskip(NEXT) | instid1(VALU_DEP_3)
	v_cndmask_b32_e64 v4, v3, v4, s9
	v_cmp_gt_i32_e64 s9, 32, v5
	s_delay_alu instid0(VALU_DEP_2) | instskip(NEXT) | instid1(VALU_DEP_2)
	v_lshlrev_b32_e32 v4, 2, v4
	v_cndmask_b32_e64 v5, v3, v5, s9
	s_waitcnt vmcnt(1)
	s_delay_alu instid0(VALU_DEP_1) | instskip(NEXT) | instid1(VALU_DEP_1)
	v_dual_add_f32 v2, 0, v8 :: v_dual_lshlrev_b32 v5, 2, v5
	v_add_f32_e32 v2, v2, v7
	s_delay_alu instid0(VALU_DEP_1) | instskip(NEXT) | instid1(VALU_DEP_1)
	v_add_f32_e32 v2, v2, v13
	v_add_f32_e32 v2, v2, v11
	s_delay_alu instid0(VALU_DEP_1) | instskip(NEXT) | instid1(VALU_DEP_1)
	v_add_f32_e32 v2, v2, v17
	;; [unrolled: 3-line block ×15, first 2 shown]
	v_add_f32_e32 v2, v2, v6
	ds_bpermute_b32 v4, v4, v2
	s_waitcnt lgkmcnt(0)
	v_add_f32_e32 v2, v2, v4
	ds_bpermute_b32 v4, v5, v2
	v_xor_b32_e32 v5, 4, v3
	s_delay_alu instid0(VALU_DEP_1) | instskip(NEXT) | instid1(VALU_DEP_1)
	v_cmp_gt_i32_e64 s9, 32, v5
	v_cndmask_b32_e64 v5, v3, v5, s9
	s_waitcnt lgkmcnt(0)
	s_delay_alu instid0(VALU_DEP_1) | instskip(SKIP_2) | instid1(VALU_DEP_1)
	v_dual_add_f32 v2, v2, v4 :: v_dual_lshlrev_b32 v5, 2, v5
	ds_bpermute_b32 v4, v5, v2
	v_xor_b32_e32 v5, 2, v3
	v_cmp_gt_i32_e64 s9, 32, v5
	s_delay_alu instid0(VALU_DEP_1) | instskip(SKIP_1) | instid1(VALU_DEP_1)
	v_cndmask_b32_e64 v5, v3, v5, s9
	s_waitcnt lgkmcnt(0)
	v_dual_add_f32 v2, v2, v4 :: v_dual_lshlrev_b32 v5, 2, v5
	ds_bpermute_b32 v4, v5, v2
	v_xor_b32_e32 v5, 1, v3
	s_delay_alu instid0(VALU_DEP_1) | instskip(NEXT) | instid1(VALU_DEP_1)
	v_cmp_gt_i32_e64 s9, 32, v5
	v_cndmask_b32_e64 v3, v3, v5, s9
	s_waitcnt lgkmcnt(0)
	s_delay_alu instid0(VALU_DEP_1)
	v_dual_add_f32 v2, v2, v4 :: v_dual_lshlrev_b32 v3, 2, v3
	ds_bpermute_b32 v3, v3, v2
	v_cmpx_lt_i32_e32 0, v9
	s_cbranch_execz .LBB615_98
; %bb.65:
	v_lshlrev_b64 v[0:1], 1, v[0:1]
	s_waitcnt lgkmcnt(0)
	v_add_f32_e32 v2, v2, v3
	s_delay_alu instid0(VALU_DEP_2) | instskip(NEXT) | instid1(VALU_DEP_1)
	v_add_co_u32 v0, s9, s36, v0
	v_add_co_ci_u32_e64 v1, s9, s37, v1, s9
	s_and_saveexec_b32 s9, vcc_lo
	s_cbranch_execnz .LBB615_99
; %bb.66:
	s_or_b32 exec_lo, exec_lo, s9
	s_and_saveexec_b32 s9, s0
	s_cbranch_execnz .LBB615_100
.LBB615_67:
	s_or_b32 exec_lo, exec_lo, s9
	s_and_saveexec_b32 s0, s1
	s_cbranch_execnz .LBB615_101
.LBB615_68:
	s_or_b32 exec_lo, exec_lo, s0
	s_and_saveexec_b32 s0, s2
	s_cbranch_execnz .LBB615_102
.LBB615_69:
	s_or_b32 exec_lo, exec_lo, s0
	s_and_saveexec_b32 s0, s3
	s_cbranch_execnz .LBB615_103
.LBB615_70:
	s_or_b32 exec_lo, exec_lo, s0
	s_and_saveexec_b32 s0, s4
	s_cbranch_execnz .LBB615_104
.LBB615_71:
	s_or_b32 exec_lo, exec_lo, s0
	s_and_saveexec_b32 s0, s5
	s_cbranch_execnz .LBB615_105
.LBB615_72:
	s_or_b32 exec_lo, exec_lo, s0
	s_and_saveexec_b32 s0, s6
	s_cbranch_execnz .LBB615_106
.LBB615_73:
	s_or_b32 exec_lo, exec_lo, s0
	s_and_saveexec_b32 s0, s7
	s_cbranch_execnz .LBB615_107
.LBB615_74:
	s_or_b32 exec_lo, exec_lo, s0
	s_and_saveexec_b32 s0, s8
	s_cbranch_execnz .LBB615_108
.LBB615_75:
	s_or_b32 exec_lo, exec_lo, s0
	s_and_saveexec_b32 s0, s10
	s_cbranch_execnz .LBB615_109
.LBB615_76:
	s_or_b32 exec_lo, exec_lo, s0
	s_and_saveexec_b32 s0, s11
	s_cbranch_execnz .LBB615_110
.LBB615_77:
	s_or_b32 exec_lo, exec_lo, s0
	s_and_saveexec_b32 s0, s12
	s_cbranch_execnz .LBB615_111
.LBB615_78:
	s_or_b32 exec_lo, exec_lo, s0
	s_and_saveexec_b32 s0, s13
	s_cbranch_execnz .LBB615_112
.LBB615_79:
	s_or_b32 exec_lo, exec_lo, s0
	s_and_saveexec_b32 s0, s14
	s_cbranch_execnz .LBB615_113
.LBB615_80:
	s_or_b32 exec_lo, exec_lo, s0
	s_and_saveexec_b32 s0, s15
	s_cbranch_execnz .LBB615_114
.LBB615_81:
	s_or_b32 exec_lo, exec_lo, s0
	s_and_saveexec_b32 s0, s16
	s_cbranch_execnz .LBB615_115
.LBB615_82:
	s_or_b32 exec_lo, exec_lo, s0
	s_and_saveexec_b32 s0, s17
	s_cbranch_execnz .LBB615_116
.LBB615_83:
	s_or_b32 exec_lo, exec_lo, s0
	s_and_saveexec_b32 s0, s18
	s_cbranch_execnz .LBB615_117
.LBB615_84:
	s_or_b32 exec_lo, exec_lo, s0
	s_and_saveexec_b32 s0, s19
	s_cbranch_execnz .LBB615_118
.LBB615_85:
	s_or_b32 exec_lo, exec_lo, s0
	s_and_saveexec_b32 s0, s20
	s_cbranch_execnz .LBB615_119
.LBB615_86:
	s_or_b32 exec_lo, exec_lo, s0
	s_and_saveexec_b32 s0, s21
	s_cbranch_execnz .LBB615_120
.LBB615_87:
	s_or_b32 exec_lo, exec_lo, s0
	s_and_saveexec_b32 s0, s22
	s_cbranch_execnz .LBB615_121
.LBB615_88:
	s_or_b32 exec_lo, exec_lo, s0
	s_and_saveexec_b32 s0, s23
	s_cbranch_execnz .LBB615_122
.LBB615_89:
	s_or_b32 exec_lo, exec_lo, s0
	s_and_saveexec_b32 s0, s24
	s_cbranch_execnz .LBB615_123
.LBB615_90:
	s_or_b32 exec_lo, exec_lo, s0
	s_and_saveexec_b32 s0, s25
	s_cbranch_execnz .LBB615_124
.LBB615_91:
	s_or_b32 exec_lo, exec_lo, s0
	s_and_saveexec_b32 s0, s26
	s_cbranch_execnz .LBB615_125
.LBB615_92:
	s_or_b32 exec_lo, exec_lo, s0
	s_and_saveexec_b32 s0, s27
	s_cbranch_execnz .LBB615_126
.LBB615_93:
	s_or_b32 exec_lo, exec_lo, s0
	s_and_saveexec_b32 s0, s28
	s_cbranch_execnz .LBB615_127
.LBB615_94:
	s_or_b32 exec_lo, exec_lo, s0
	s_and_saveexec_b32 s0, s29
	s_cbranch_execnz .LBB615_128
.LBB615_95:
	s_or_b32 exec_lo, exec_lo, s0
	s_and_saveexec_b32 s0, s30
	s_cbranch_execnz .LBB615_129
.LBB615_96:
	s_or_b32 exec_lo, exec_lo, s0
	s_delay_alu instid0(SALU_CYCLE_1)
	s_and_b32 exec_lo, exec_lo, s31
	s_cbranch_execz .LBB615_98
.LBB615_97:
	s_waitcnt vmcnt(0)
	v_fma_mixlo_f16 v2, -v2, v25, v6
	global_store_b16 v[0:1], v2, off offset:1984
.LBB615_98:
	s_nop 0
	s_sendmsg sendmsg(MSG_DEALLOC_VGPRS)
	s_endpgm
.LBB615_99:
	s_waitcnt vmcnt(0)
	v_fma_mixlo_f16 v3, -v2, v10, v8
	global_store_b16 v[0:1], v3, off
	s_or_b32 exec_lo, exec_lo, s9
	s_and_saveexec_b32 s9, s0
	s_cbranch_execz .LBB615_67
.LBB615_100:
	s_waitcnt vmcnt(0)
	v_fma_mixlo_f16 v3, -v2, v12, v7
	global_store_b16 v[0:1], v3, off offset:64
	s_or_b32 exec_lo, exec_lo, s9
	s_and_saveexec_b32 s0, s1
	s_cbranch_execz .LBB615_68
.LBB615_101:
	s_waitcnt vmcnt(0)
	v_fma_mixlo_f16 v3, -v2, v14, v13
	global_store_b16 v[0:1], v3, off offset:128
	s_or_b32 exec_lo, exec_lo, s0
	s_and_saveexec_b32 s0, s2
	s_cbranch_execz .LBB615_69
.LBB615_102:
	s_waitcnt vmcnt(0)
	v_fma_mixlo_f16 v3, -v2, v16, v11
	global_store_b16 v[0:1], v3, off offset:192
	s_or_b32 exec_lo, exec_lo, s0
	s_and_saveexec_b32 s0, s3
	s_cbranch_execz .LBB615_70
.LBB615_103:
	s_waitcnt vmcnt(0)
	v_fma_mixlo_f16 v3, -v2, v18, v17
	global_store_b16 v[0:1], v3, off offset:256
	s_or_b32 exec_lo, exec_lo, s0
	s_and_saveexec_b32 s0, s4
	s_cbranch_execz .LBB615_71
.LBB615_104:
	s_waitcnt vmcnt(0)
	v_fma_mixlo_f16 v3, -v2, v20, v15
	global_store_b16 v[0:1], v3, off offset:320
	s_or_b32 exec_lo, exec_lo, s0
	s_and_saveexec_b32 s0, s5
	s_cbranch_execz .LBB615_72
.LBB615_105:
	s_waitcnt vmcnt(0)
	v_fma_mixlo_f16 v3, -v2, v22, v21
	global_store_b16 v[0:1], v3, off offset:384
	s_or_b32 exec_lo, exec_lo, s0
	s_and_saveexec_b32 s0, s6
	s_cbranch_execz .LBB615_73
.LBB615_106:
	s_waitcnt vmcnt(0)
	v_fma_mixlo_f16 v3, -v2, v24, v19
	global_store_b16 v[0:1], v3, off offset:448
	s_or_b32 exec_lo, exec_lo, s0
	s_and_saveexec_b32 s0, s7
	s_cbranch_execz .LBB615_74
.LBB615_107:
	s_waitcnt vmcnt(0)
	v_fma_mixlo_f16 v3, -v2, v27, v26
	global_store_b16 v[0:1], v3, off offset:512
	s_or_b32 exec_lo, exec_lo, s0
	s_and_saveexec_b32 s0, s8
	s_cbranch_execz .LBB615_75
.LBB615_108:
	s_waitcnt vmcnt(0)
	v_fma_mixlo_f16 v3, -v2, v29, v23
	global_store_b16 v[0:1], v3, off offset:576
	s_or_b32 exec_lo, exec_lo, s0
	s_and_saveexec_b32 s0, s10
	s_cbranch_execz .LBB615_76
.LBB615_109:
	s_waitcnt vmcnt(0)
	v_fma_mixlo_f16 v3, -v2, v31, v30
	global_store_b16 v[0:1], v3, off offset:640
	s_or_b32 exec_lo, exec_lo, s0
	s_and_saveexec_b32 s0, s11
	s_cbranch_execz .LBB615_77
.LBB615_110:
	s_waitcnt vmcnt(0)
	v_fma_mixlo_f16 v3, -v2, v33, v28
	global_store_b16 v[0:1], v3, off offset:704
	s_or_b32 exec_lo, exec_lo, s0
	s_and_saveexec_b32 s0, s12
	s_cbranch_execz .LBB615_78
.LBB615_111:
	s_waitcnt vmcnt(0)
	v_fma_mixlo_f16 v3, -v2, v35, v34
	global_store_b16 v[0:1], v3, off offset:768
	s_or_b32 exec_lo, exec_lo, s0
	s_and_saveexec_b32 s0, s13
	s_cbranch_execz .LBB615_79
.LBB615_112:
	s_waitcnt vmcnt(0)
	v_fma_mixlo_f16 v3, -v2, v37, v32
	global_store_b16 v[0:1], v3, off offset:832
	s_or_b32 exec_lo, exec_lo, s0
	s_and_saveexec_b32 s0, s14
	s_cbranch_execz .LBB615_80
.LBB615_113:
	s_waitcnt vmcnt(0)
	v_fma_mixlo_f16 v3, -v2, v39, v38
	global_store_b16 v[0:1], v3, off offset:896
	s_or_b32 exec_lo, exec_lo, s0
	s_and_saveexec_b32 s0, s15
	s_cbranch_execz .LBB615_81
.LBB615_114:
	s_waitcnt vmcnt(0)
	v_fma_mixlo_f16 v3, -v2, v41, v36
	global_store_b16 v[0:1], v3, off offset:960
	s_or_b32 exec_lo, exec_lo, s0
	s_and_saveexec_b32 s0, s16
	s_cbranch_execz .LBB615_82
.LBB615_115:
	s_waitcnt vmcnt(0)
	v_fma_mixlo_f16 v3, -v2, v43, v42
	global_store_b16 v[0:1], v3, off offset:1024
	s_or_b32 exec_lo, exec_lo, s0
	s_and_saveexec_b32 s0, s17
	s_cbranch_execz .LBB615_83
.LBB615_116:
	s_waitcnt vmcnt(0)
	v_fma_mixlo_f16 v3, -v2, v45, v40
	global_store_b16 v[0:1], v3, off offset:1088
	s_or_b32 exec_lo, exec_lo, s0
	s_and_saveexec_b32 s0, s18
	s_cbranch_execz .LBB615_84
.LBB615_117:
	s_waitcnt vmcnt(0)
	v_fma_mixlo_f16 v3, -v2, v47, v46
	global_store_b16 v[0:1], v3, off offset:1152
	s_or_b32 exec_lo, exec_lo, s0
	s_and_saveexec_b32 s0, s19
	s_cbranch_execz .LBB615_85
.LBB615_118:
	s_waitcnt vmcnt(0)
	v_fma_mixlo_f16 v3, -v2, v49, v44
	global_store_b16 v[0:1], v3, off offset:1216
	s_or_b32 exec_lo, exec_lo, s0
	s_and_saveexec_b32 s0, s20
	s_cbranch_execz .LBB615_86
.LBB615_119:
	s_waitcnt vmcnt(0)
	v_fma_mixlo_f16 v3, -v2, v51, v50
	global_store_b16 v[0:1], v3, off offset:1280
	s_or_b32 exec_lo, exec_lo, s0
	s_and_saveexec_b32 s0, s21
	s_cbranch_execz .LBB615_87
.LBB615_120:
	s_waitcnt vmcnt(0)
	v_fma_mixlo_f16 v3, -v2, v53, v48
	global_store_b16 v[0:1], v3, off offset:1344
	s_or_b32 exec_lo, exec_lo, s0
	s_and_saveexec_b32 s0, s22
	s_cbranch_execz .LBB615_88
.LBB615_121:
	s_waitcnt vmcnt(0)
	v_fma_mixlo_f16 v3, -v2, v55, v54
	global_store_b16 v[0:1], v3, off offset:1408
	s_or_b32 exec_lo, exec_lo, s0
	s_and_saveexec_b32 s0, s23
	s_cbranch_execz .LBB615_89
.LBB615_122:
	s_waitcnt vmcnt(0)
	v_fma_mixlo_f16 v3, -v2, v57, v52
	global_store_b16 v[0:1], v3, off offset:1472
	s_or_b32 exec_lo, exec_lo, s0
	s_and_saveexec_b32 s0, s24
	s_cbranch_execz .LBB615_90
.LBB615_123:
	s_waitcnt vmcnt(0)
	v_fma_mixlo_f16 v3, -v2, v59, v58
	global_store_b16 v[0:1], v3, off offset:1536
	s_or_b32 exec_lo, exec_lo, s0
	s_and_saveexec_b32 s0, s25
	s_cbranch_execz .LBB615_91
.LBB615_124:
	s_waitcnt vmcnt(0)
	v_fma_mixlo_f16 v3, -v2, v61, v56
	global_store_b16 v[0:1], v3, off offset:1600
	s_or_b32 exec_lo, exec_lo, s0
	s_and_saveexec_b32 s0, s26
	s_cbranch_execz .LBB615_92
.LBB615_125:
	s_waitcnt vmcnt(0)
	v_fma_mixlo_f16 v3, -v2, v63, v62
	global_store_b16 v[0:1], v3, off offset:1664
	s_or_b32 exec_lo, exec_lo, s0
	s_and_saveexec_b32 s0, s27
	s_cbranch_execz .LBB615_93
.LBB615_126:
	s_waitcnt vmcnt(0)
	v_fma_mixlo_f16 v3, -v2, v65, v60
	global_store_b16 v[0:1], v3, off offset:1728
	s_or_b32 exec_lo, exec_lo, s0
	s_and_saveexec_b32 s0, s28
	s_cbranch_execz .LBB615_94
.LBB615_127:
	s_waitcnt vmcnt(0)
	v_fma_mixlo_f16 v3, -v2, v67, v66
	global_store_b16 v[0:1], v3, off offset:1792
	s_or_b32 exec_lo, exec_lo, s0
	s_and_saveexec_b32 s0, s29
	s_cbranch_execz .LBB615_95
.LBB615_128:
	s_waitcnt vmcnt(0)
	v_fma_mixlo_f16 v3, -v2, v68, v64
	global_store_b16 v[0:1], v3, off offset:1856
	s_or_b32 exec_lo, exec_lo, s0
	s_and_saveexec_b32 s0, s30
	s_cbranch_execz .LBB615_96
.LBB615_129:
	s_waitcnt vmcnt(0)
	v_fma_mixlo_f16 v3, -v2, v70, v69
	global_store_b16 v[0:1], v3, off offset:1920
	s_or_b32 exec_lo, exec_lo, s0
	s_delay_alu instid0(SALU_CYCLE_1)
	s_and_b32 exec_lo, exec_lo, s31
	s_cbranch_execnz .LBB615_97
	s_branch .LBB615_98
	.section	.rodata,"a",@progbits
	.p2align	6, 0x0
	.amdhsa_kernel _ZN12_GLOBAL__N_121softmax_warp_backwardIfN3c104HalfEfLi10ELb0ELb0ELi32EEEvPT0_PKT_S7_iiiPKb
		.amdhsa_group_segment_fixed_size 0
		.amdhsa_private_segment_fixed_size 0
		.amdhsa_kernarg_size 304
		.amdhsa_user_sgpr_count 15
		.amdhsa_user_sgpr_dispatch_ptr 0
		.amdhsa_user_sgpr_queue_ptr 0
		.amdhsa_user_sgpr_kernarg_segment_ptr 1
		.amdhsa_user_sgpr_dispatch_id 0
		.amdhsa_user_sgpr_private_segment_size 0
		.amdhsa_wavefront_size32 1
		.amdhsa_uses_dynamic_stack 0
		.amdhsa_enable_private_segment 0
		.amdhsa_system_sgpr_workgroup_id_x 1
		.amdhsa_system_sgpr_workgroup_id_y 0
		.amdhsa_system_sgpr_workgroup_id_z 0
		.amdhsa_system_sgpr_workgroup_info 0
		.amdhsa_system_vgpr_workitem_id 1
		.amdhsa_next_free_vgpr 71
		.amdhsa_next_free_sgpr 44
		.amdhsa_reserve_vcc 1
		.amdhsa_float_round_mode_32 0
		.amdhsa_float_round_mode_16_64 0
		.amdhsa_float_denorm_mode_32 3
		.amdhsa_float_denorm_mode_16_64 3
		.amdhsa_dx10_clamp 1
		.amdhsa_ieee_mode 1
		.amdhsa_fp16_overflow 0
		.amdhsa_workgroup_processor_mode 1
		.amdhsa_memory_ordered 1
		.amdhsa_forward_progress 0
		.amdhsa_shared_vgpr_count 0
		.amdhsa_exception_fp_ieee_invalid_op 0
		.amdhsa_exception_fp_denorm_src 0
		.amdhsa_exception_fp_ieee_div_zero 0
		.amdhsa_exception_fp_ieee_overflow 0
		.amdhsa_exception_fp_ieee_underflow 0
		.amdhsa_exception_fp_ieee_inexact 0
		.amdhsa_exception_int_div_zero 0
	.end_amdhsa_kernel
	.section	.text._ZN12_GLOBAL__N_121softmax_warp_backwardIfN3c104HalfEfLi10ELb0ELb0ELi32EEEvPT0_PKT_S7_iiiPKb,"axG",@progbits,_ZN12_GLOBAL__N_121softmax_warp_backwardIfN3c104HalfEfLi10ELb0ELb0ELi32EEEvPT0_PKT_S7_iiiPKb,comdat
.Lfunc_end615:
	.size	_ZN12_GLOBAL__N_121softmax_warp_backwardIfN3c104HalfEfLi10ELb0ELb0ELi32EEEvPT0_PKT_S7_iiiPKb, .Lfunc_end615-_ZN12_GLOBAL__N_121softmax_warp_backwardIfN3c104HalfEfLi10ELb0ELb0ELi32EEEvPT0_PKT_S7_iiiPKb
                                        ; -- End function
	.section	.AMDGPU.csdata,"",@progbits
; Kernel info:
; codeLenInByte = 4072
; NumSgprs: 46
; NumVgprs: 71
; ScratchSize: 0
; MemoryBound: 0
; FloatMode: 240
; IeeeMode: 1
; LDSByteSize: 0 bytes/workgroup (compile time only)
; SGPRBlocks: 5
; VGPRBlocks: 8
; NumSGPRsForWavesPerEU: 46
; NumVGPRsForWavesPerEU: 71
; Occupancy: 16
; WaveLimiterHint : 0
; COMPUTE_PGM_RSRC2:SCRATCH_EN: 0
; COMPUTE_PGM_RSRC2:USER_SGPR: 15
; COMPUTE_PGM_RSRC2:TRAP_HANDLER: 0
; COMPUTE_PGM_RSRC2:TGID_X_EN: 1
; COMPUTE_PGM_RSRC2:TGID_Y_EN: 0
; COMPUTE_PGM_RSRC2:TGID_Z_EN: 0
; COMPUTE_PGM_RSRC2:TIDIG_COMP_CNT: 1
	.section	.text._ZN2at6native12_GLOBAL__N_124cunn_SoftMaxBackwardSmemILi4EN3c104HalfEffNS1_23SoftMaxBackwardEpilogueEEEvPT0_PKT2_SA_l,"axG",@progbits,_ZN2at6native12_GLOBAL__N_124cunn_SoftMaxBackwardSmemILi4EN3c104HalfEffNS1_23SoftMaxBackwardEpilogueEEEvPT0_PKT2_SA_l,comdat
	.globl	_ZN2at6native12_GLOBAL__N_124cunn_SoftMaxBackwardSmemILi4EN3c104HalfEffNS1_23SoftMaxBackwardEpilogueEEEvPT0_PKT2_SA_l ; -- Begin function _ZN2at6native12_GLOBAL__N_124cunn_SoftMaxBackwardSmemILi4EN3c104HalfEffNS1_23SoftMaxBackwardEpilogueEEEvPT0_PKT2_SA_l
	.p2align	8
	.type	_ZN2at6native12_GLOBAL__N_124cunn_SoftMaxBackwardSmemILi4EN3c104HalfEffNS1_23SoftMaxBackwardEpilogueEEEvPT0_PKT2_SA_l,@function
_ZN2at6native12_GLOBAL__N_124cunn_SoftMaxBackwardSmemILi4EN3c104HalfEffNS1_23SoftMaxBackwardEpilogueEEEvPT0_PKT2_SA_l: ; @_ZN2at6native12_GLOBAL__N_124cunn_SoftMaxBackwardSmemILi4EN3c104HalfEffNS1_23SoftMaxBackwardEpilogueEEEvPT0_PKT2_SA_l
; %bb.0:
	s_load_b256 s[4:11], s[0:1], 0x0
	v_dual_mov_b32 v2, 0 :: v_dual_lshlrev_b32 v1, 2, v0
	v_lshl_add_u32 v5, v0, 4, 0
	s_waitcnt lgkmcnt(0)
	s_delay_alu instid0(VALU_DEP_2)
	v_cmp_gt_i64_e32 vcc_lo, s[10:11], v[1:2]
	s_mul_i32 s2, s15, s11
	s_mul_hi_u32 s3, s15, s10
	s_mul_i32 s12, s15, s10
	s_add_i32 s13, s3, s2
	s_and_saveexec_b32 s3, vcc_lo
	s_cbranch_execz .LBB616_4
; %bb.1:
	s_load_b32 s2, s[0:1], 0x2c
	s_lshl_b64 s[14:15], s[12:13], 2
	v_lshl_add_u32 v6, v0, 4, 0
	s_add_u32 s8, s8, s14
	s_addc_u32 s9, s9, s15
	v_dual_mov_b32 v2, 0 :: v_dual_mov_b32 v3, v0
	s_mov_b32 s15, 0
	s_waitcnt lgkmcnt(0)
	s_and_b32 s14, s2, 0xffff
	s_delay_alu instid0(SALU_CYCLE_1)
	v_add_lshl_u32 v1, v0, s14, 2
	s_lshl_b32 s16, s14, 2
	s_lshl_b32 s17, s14, 4
	.p2align	6
.LBB616_2:                              ; =>This Inner Loop Header: Depth=1
	v_ashrrev_i32_e32 v4, 31, v3
	s_delay_alu instid0(VALU_DEP_1) | instskip(SKIP_1) | instid1(VALU_DEP_2)
	v_lshlrev_b64 v[7:8], 4, v[3:4]
	v_add_nc_u32_e32 v3, s14, v3
	v_add_co_u32 v7, s2, s8, v7
	s_delay_alu instid0(VALU_DEP_1)
	v_add_co_ci_u32_e64 v8, s2, s9, v8, s2
	global_load_b128 v[7:10], v[7:8], off
	s_waitcnt vmcnt(0)
	v_add_f32_e32 v2, v2, v7
	ds_store_b128 v6, v[7:10]
	v_add_nc_u32_e32 v6, s17, v6
	v_add_f32_e32 v4, v2, v8
	v_ashrrev_i32_e32 v2, 31, v1
	s_delay_alu instid0(VALU_DEP_2) | instskip(NEXT) | instid1(VALU_DEP_2)
	v_add_f32_e32 v4, v4, v9
	v_cmp_le_i64_e64 s2, s[10:11], v[1:2]
	s_delay_alu instid0(VALU_DEP_2) | instskip(NEXT) | instid1(VALU_DEP_2)
	v_dual_add_f32 v2, v4, v10 :: v_dual_add_nc_u32 v1, s16, v1
	s_or_b32 s15, s2, s15
	s_delay_alu instid0(SALU_CYCLE_1)
	s_and_not1_b32 exec_lo, exec_lo, s15
	s_cbranch_execnz .LBB616_2
; %bb.3:
	s_or_b32 exec_lo, exec_lo, s15
.LBB616_4:
	s_delay_alu instid0(SALU_CYCLE_1)
	s_or_b32 exec_lo, exec_lo, s3
	v_mbcnt_lo_u32_b32 v6, -1, 0
	s_lshl_b32 s3, s10, 2
	s_mov_b32 s8, exec_lo
	s_add_i32 s3, s3, 0
	s_waitcnt lgkmcnt(0)
	v_cmp_gt_u32_e64 s2, 16, v6
	s_barrier
	buffer_gl0_inv
	v_cndmask_b32_e64 v1, 0, 1, s2
	v_cmp_gt_u32_e64 s2, 24, v6
	s_delay_alu instid0(VALU_DEP_2) | instskip(NEXT) | instid1(VALU_DEP_2)
	v_lshlrev_b32_e32 v1, 4, v1
	v_cndmask_b32_e64 v3, 0, 1, s2
	v_cmp_gt_u32_e64 s2, 28, v6
	s_delay_alu instid0(VALU_DEP_3) | instskip(NEXT) | instid1(VALU_DEP_3)
	v_add_lshl_u32 v1, v1, v6, 2
	v_lshlrev_b32_e32 v3, 3, v3
	ds_bpermute_b32 v4, v1, v2
	v_add_lshl_u32 v3, v3, v6, 2
	s_waitcnt lgkmcnt(0)
	v_add_f32_e32 v4, v2, v4
	v_cndmask_b32_e64 v2, 0, 1, s2
	v_cmp_gt_u32_e64 s2, 30, v6
	ds_bpermute_b32 v7, v3, v4
	s_waitcnt lgkmcnt(0)
	v_dual_add_f32 v7, v4, v7 :: v_dual_lshlrev_b32 v2, 2, v2
	s_delay_alu instid0(VALU_DEP_1) | instskip(SKIP_4) | instid1(VALU_DEP_1)
	v_add_lshl_u32 v2, v2, v6, 2
	v_cndmask_b32_e64 v4, 0, 1, s2
	v_cmp_ne_u32_e64 s2, 31, v6
	ds_bpermute_b32 v8, v2, v7
	v_lshlrev_b32_e32 v4, 1, v4
	v_add_lshl_u32 v4, v4, v6, 2
	v_add_co_ci_u32_e64 v6, s2, 0, v6, s2
	s_waitcnt lgkmcnt(0)
	s_delay_alu instid0(VALU_DEP_1)
	v_dual_add_f32 v7, v7, v8 :: v_dual_lshlrev_b32 v6, 2, v6
	ds_bpermute_b32 v8, v4, v7
	s_waitcnt lgkmcnt(0)
	v_add_f32_e32 v8, v7, v8
	v_and_b32_e32 v7, 31, v0
	ds_bpermute_b32 v9, v6, v8
	v_cmpx_eq_u32_e32 0, v7
	s_cbranch_execz .LBB616_6
; %bb.5:
	v_lshrrev_b32_e32 v10, 3, v0
	s_waitcnt lgkmcnt(0)
	v_add_f32_e32 v8, v8, v9
	s_delay_alu instid0(VALU_DEP_2)
	v_add_nc_u32_e32 v10, s3, v10
	ds_store_b32 v10, v8
.LBB616_6:
	s_or_b32 exec_lo, exec_lo, s8
	s_waitcnt lgkmcnt(0)
	s_barrier
	buffer_gl0_inv
	s_load_b32 s1, s[0:1], 0x2c
	v_mov_b32_e32 v8, 0
	s_mov_b32 s2, exec_lo
	s_waitcnt lgkmcnt(0)
	s_bfe_u32 s0, s1, 0xb0005
	s_delay_alu instid0(SALU_CYCLE_1)
	v_cmpx_gt_u32_e64 s0, v0
	s_cbranch_execz .LBB616_8
; %bb.7:
	v_lshl_add_u32 v7, v7, 2, s3
	ds_load_b32 v8, v7
.LBB616_8:
	s_or_b32 exec_lo, exec_lo, s2
	s_delay_alu instid0(SALU_CYCLE_1)
	s_mov_b32 s2, exec_lo
	v_cmpx_gt_u32_e32 32, v0
	s_cbranch_execz .LBB616_10
; %bb.9:
	s_waitcnt lgkmcnt(0)
	ds_bpermute_b32 v1, v1, v8
	s_waitcnt lgkmcnt(0)
	v_add_f32_e32 v1, v8, v1
	ds_bpermute_b32 v3, v3, v1
	s_waitcnt lgkmcnt(0)
	v_add_f32_e32 v1, v1, v3
	;; [unrolled: 3-line block ×5, first 2 shown]
.LBB616_10:
	s_or_b32 exec_lo, exec_lo, s2
	s_delay_alu instid0(SALU_CYCLE_1)
	s_mov_b32 s2, exec_lo
	v_cmpx_eq_u32_e32 0, v0
	s_cbranch_execz .LBB616_12
; %bb.11:
	v_mov_b32_e32 v1, s3
	s_waitcnt lgkmcnt(0)
	ds_store_b32 v1, v8
.LBB616_12:
	s_or_b32 exec_lo, exec_lo, s2
	s_waitcnt lgkmcnt(0)
	s_barrier
	buffer_gl0_inv
	s_and_saveexec_b32 s0, vcc_lo
	s_cbranch_execz .LBB616_15
; %bb.13:
	v_mov_b32_e32 v1, s3
	s_lshl_b64 s[2:3], s[12:13], 1
	s_and_b32 s1, s1, 0xffff
	s_add_u32 s2, s4, s2
	s_addc_u32 s3, s5, s3
	ds_load_b32 v4, v1
	s_lshl_b64 s[4:5], s[12:13], 2
	v_add_lshl_u32 v2, v0, s1, 2
	s_add_u32 s4, s6, s4
	s_addc_u32 s5, s7, s5
	s_lshl_b32 s6, s1, 2
	s_mov_b32 s7, 0
	s_lshl_b32 s8, s1, 4
	s_set_inst_prefetch_distance 0x1
	.p2align	6
.LBB616_14:                             ; =>This Inner Loop Header: Depth=1
	v_ashrrev_i32_e32 v1, 31, v0
	ds_load_b128 v[10:13], v5
	v_ashrrev_i32_e32 v3, 31, v2
	v_add_nc_u32_e32 v5, s8, v5
	v_lshlrev_b64 v[6:7], 4, v[0:1]
	v_lshlrev_b64 v[14:15], 3, v[0:1]
	v_add_nc_u32_e32 v0, s1, v0
	s_delay_alu instid0(VALU_DEP_3) | instskip(NEXT) | instid1(VALU_DEP_4)
	v_add_co_u32 v6, vcc_lo, s4, v6
	v_add_co_ci_u32_e32 v7, vcc_lo, s5, v7, vcc_lo
	v_cmp_le_i64_e32 vcc_lo, s[10:11], v[2:3]
	v_add_co_u32 v14, s0, s2, v14
	global_load_b128 v[6:9], v[6:7], off
	v_add_co_ci_u32_e64 v15, s0, s3, v15, s0
	v_add_nc_u32_e32 v2, s6, v2
	s_or_b32 s7, vcc_lo, s7
	s_waitcnt vmcnt(0) lgkmcnt(0)
	v_fma_mixlo_f16 v16, -v4, v6, v10
	v_fma_mixlo_f16 v17, -v4, v8, v12
	s_delay_alu instid0(VALU_DEP_2) | instskip(NEXT) | instid1(VALU_DEP_2)
	v_fma_mixhi_f16 v16, -v4, v7, v11
	v_fma_mixhi_f16 v17, -v4, v9, v13
	global_store_b64 v[14:15], v[16:17], off
	s_and_not1_b32 exec_lo, exec_lo, s7
	s_cbranch_execnz .LBB616_14
.LBB616_15:
	s_set_inst_prefetch_distance 0x2
	s_nop 0
	s_sendmsg sendmsg(MSG_DEALLOC_VGPRS)
	s_endpgm
	.section	.rodata,"a",@progbits
	.p2align	6, 0x0
	.amdhsa_kernel _ZN2at6native12_GLOBAL__N_124cunn_SoftMaxBackwardSmemILi4EN3c104HalfEffNS1_23SoftMaxBackwardEpilogueEEEvPT0_PKT2_SA_l
		.amdhsa_group_segment_fixed_size 0
		.amdhsa_private_segment_fixed_size 0
		.amdhsa_kernarg_size 288
		.amdhsa_user_sgpr_count 15
		.amdhsa_user_sgpr_dispatch_ptr 0
		.amdhsa_user_sgpr_queue_ptr 0
		.amdhsa_user_sgpr_kernarg_segment_ptr 1
		.amdhsa_user_sgpr_dispatch_id 0
		.amdhsa_user_sgpr_private_segment_size 0
		.amdhsa_wavefront_size32 1
		.amdhsa_uses_dynamic_stack 0
		.amdhsa_enable_private_segment 0
		.amdhsa_system_sgpr_workgroup_id_x 1
		.amdhsa_system_sgpr_workgroup_id_y 0
		.amdhsa_system_sgpr_workgroup_id_z 0
		.amdhsa_system_sgpr_workgroup_info 0
		.amdhsa_system_vgpr_workitem_id 0
		.amdhsa_next_free_vgpr 18
		.amdhsa_next_free_sgpr 18
		.amdhsa_reserve_vcc 1
		.amdhsa_float_round_mode_32 0
		.amdhsa_float_round_mode_16_64 0
		.amdhsa_float_denorm_mode_32 3
		.amdhsa_float_denorm_mode_16_64 3
		.amdhsa_dx10_clamp 1
		.amdhsa_ieee_mode 1
		.amdhsa_fp16_overflow 0
		.amdhsa_workgroup_processor_mode 1
		.amdhsa_memory_ordered 1
		.amdhsa_forward_progress 0
		.amdhsa_shared_vgpr_count 0
		.amdhsa_exception_fp_ieee_invalid_op 0
		.amdhsa_exception_fp_denorm_src 0
		.amdhsa_exception_fp_ieee_div_zero 0
		.amdhsa_exception_fp_ieee_overflow 0
		.amdhsa_exception_fp_ieee_underflow 0
		.amdhsa_exception_fp_ieee_inexact 0
		.amdhsa_exception_int_div_zero 0
	.end_amdhsa_kernel
	.section	.text._ZN2at6native12_GLOBAL__N_124cunn_SoftMaxBackwardSmemILi4EN3c104HalfEffNS1_23SoftMaxBackwardEpilogueEEEvPT0_PKT2_SA_l,"axG",@progbits,_ZN2at6native12_GLOBAL__N_124cunn_SoftMaxBackwardSmemILi4EN3c104HalfEffNS1_23SoftMaxBackwardEpilogueEEEvPT0_PKT2_SA_l,comdat
.Lfunc_end616:
	.size	_ZN2at6native12_GLOBAL__N_124cunn_SoftMaxBackwardSmemILi4EN3c104HalfEffNS1_23SoftMaxBackwardEpilogueEEEvPT0_PKT2_SA_l, .Lfunc_end616-_ZN2at6native12_GLOBAL__N_124cunn_SoftMaxBackwardSmemILi4EN3c104HalfEffNS1_23SoftMaxBackwardEpilogueEEEvPT0_PKT2_SA_l
                                        ; -- End function
	.section	.AMDGPU.csdata,"",@progbits
; Kernel info:
; codeLenInByte = 1040
; NumSgprs: 20
; NumVgprs: 18
; ScratchSize: 0
; MemoryBound: 0
; FloatMode: 240
; IeeeMode: 1
; LDSByteSize: 0 bytes/workgroup (compile time only)
; SGPRBlocks: 2
; VGPRBlocks: 2
; NumSGPRsForWavesPerEU: 20
; NumVGPRsForWavesPerEU: 18
; Occupancy: 16
; WaveLimiterHint : 0
; COMPUTE_PGM_RSRC2:SCRATCH_EN: 0
; COMPUTE_PGM_RSRC2:USER_SGPR: 15
; COMPUTE_PGM_RSRC2:TRAP_HANDLER: 0
; COMPUTE_PGM_RSRC2:TGID_X_EN: 1
; COMPUTE_PGM_RSRC2:TGID_Y_EN: 0
; COMPUTE_PGM_RSRC2:TGID_Z_EN: 0
; COMPUTE_PGM_RSRC2:TIDIG_COMP_CNT: 0
	.section	.text._ZN2at6native12_GLOBAL__N_120cunn_SoftMaxBackwardILi4EN3c104HalfEffNS1_23SoftMaxBackwardEpilogueEEEvPT0_PKT2_SA_l,"axG",@progbits,_ZN2at6native12_GLOBAL__N_120cunn_SoftMaxBackwardILi4EN3c104HalfEffNS1_23SoftMaxBackwardEpilogueEEEvPT0_PKT2_SA_l,comdat
	.globl	_ZN2at6native12_GLOBAL__N_120cunn_SoftMaxBackwardILi4EN3c104HalfEffNS1_23SoftMaxBackwardEpilogueEEEvPT0_PKT2_SA_l ; -- Begin function _ZN2at6native12_GLOBAL__N_120cunn_SoftMaxBackwardILi4EN3c104HalfEffNS1_23SoftMaxBackwardEpilogueEEEvPT0_PKT2_SA_l
	.p2align	8
	.type	_ZN2at6native12_GLOBAL__N_120cunn_SoftMaxBackwardILi4EN3c104HalfEffNS1_23SoftMaxBackwardEpilogueEEEvPT0_PKT2_SA_l,@function
_ZN2at6native12_GLOBAL__N_120cunn_SoftMaxBackwardILi4EN3c104HalfEffNS1_23SoftMaxBackwardEpilogueEEEvPT0_PKT2_SA_l: ; @_ZN2at6native12_GLOBAL__N_120cunn_SoftMaxBackwardILi4EN3c104HalfEffNS1_23SoftMaxBackwardEpilogueEEEvPT0_PKT2_SA_l
; %bb.0:
	s_load_b256 s[4:11], s[0:1], 0x0
	s_mov_b32 s27, 0
	s_waitcnt lgkmcnt(0)
	s_mul_i32 s2, s15, s11
	s_mul_hi_u32 s3, s15, s10
	s_mul_i32 s18, s15, s10
	s_add_i32 s19, s3, s2
	v_cmp_lt_i64_e64 s14, 0x7ffffffe, s[10:11]
	s_lshl_b64 s[22:23], s[18:19], 2
	s_delay_alu instid0(SALU_CYCLE_1) | instskip(SKIP_2) | instid1(SALU_CYCLE_1)
	s_add_u32 s12, s8, s22
	s_addc_u32 s13, s9, s23
	s_bfe_u32 s26, s12, 0x20002
	s_cmp_lg_u32 s26, 0
	s_cselect_b32 s28, -1, 0
	s_and_b32 vcc_lo, exec_lo, s14
	s_cbranch_vccz .LBB617_16
; %bb.1:
	v_mov_b32_e32 v1, 0
	s_and_b32 vcc_lo, exec_lo, s28
	s_cbranch_vccz .LBB617_39
; %bb.2:
	s_lshl_b32 s2, s26, 2
	s_delay_alu instid0(VALU_DEP_1)
	v_mov_b32_e32 v8, v1
	s_sub_u32 s20, s12, s2
	s_mov_b32 s24, 0
	s_subb_u32 s21, s13, 0
	s_mov_b32 s2, exec_lo
	v_cmpx_le_u64_e64 s[26:27], v[0:1]
	s_cbranch_execz .LBB617_4
; %bb.3:
	v_lshlrev_b32_e32 v2, 2, v0
	global_load_b32 v2, v2, s[20:21]
	s_waitcnt vmcnt(0)
	v_add_f32_e32 v8, 0, v2
.LBB617_4:
	s_or_b32 exec_lo, exec_lo, s2
	s_load_b32 s16, s[0:1], 0x2c
	s_add_u32 s17, s26, s10
	s_addc_u32 s25, 0, s11
	s_add_u32 s2, s0, 32
	s_addc_u32 s3, s1, 0
	s_waitcnt lgkmcnt(0)
	s_and_b32 s29, s16, 0xffff
	s_delay_alu instid0(SALU_CYCLE_1) | instskip(SKIP_2) | instid1(SALU_CYCLE_1)
	s_sub_u32 s16, s17, s29
	s_subb_u32 s17, s25, 0
	s_lshl_b32 s25, s29, 2
	s_add_u32 s20, s20, s25
	s_addc_u32 s21, s21, 0
	s_and_b32 vcc_lo, exec_lo, s24
	s_cbranch_vccz .LBB617_6
.LBB617_5:
	v_mov_b32_e32 v8, 0
	s_add_u32 s2, s0, 32
	s_addc_u32 s3, s1, 0
	s_mov_b64 s[16:17], s[10:11]
	s_mov_b64 s[20:21], s[12:13]
.LBB617_6:
	s_load_b32 s24, s[2:3], 0x0
	v_mov_b32_e32 v2, 0
	s_mov_b32 s25, s17
	s_waitcnt lgkmcnt(0)
	s_cmp_lt_u32 s15, s24
	s_cselect_b32 s24, 12, 18
	s_delay_alu instid0(SALU_CYCLE_1)
	s_add_u32 s2, s2, s24
	s_addc_u32 s3, s3, 0
	s_mov_b32 s24, 0
	global_load_u16 v2, v2, s[2:3]
	s_waitcnt vmcnt(0)
	v_readfirstlane_b32 s2, v2
	v_and_b32_e32 v9, 0xffff, v2
	s_delay_alu instid0(VALU_DEP_2) | instskip(NEXT) | instid1(SALU_CYCLE_1)
	s_and_b32 s2, 0xffff, s2
	s_lshl_b32 s3, s2, 2
	s_cmp_lg_u64 s[24:25], 0
	s_cbranch_scc0 .LBB617_40
; %bb.7:
	v_cvt_f32_u32_e32 v2, s3
	s_sub_u32 s29, 0, s3
	s_subb_u32 s30, 0, 0
	s_delay_alu instid0(VALU_DEP_1) | instskip(NEXT) | instid1(VALU_DEP_1)
	v_fmamk_f32 v2, 0, 0x4f800000, v2
	v_rcp_f32_e32 v2, v2
	s_waitcnt_depctr 0xfff
	v_mul_f32_e32 v2, 0x5f7ffffc, v2
	s_delay_alu instid0(VALU_DEP_1) | instskip(NEXT) | instid1(VALU_DEP_1)
	v_mul_f32_e32 v3, 0x2f800000, v2
	v_trunc_f32_e32 v3, v3
	s_delay_alu instid0(VALU_DEP_1) | instskip(SKIP_1) | instid1(VALU_DEP_2)
	v_fmamk_f32 v2, v3, 0xcf800000, v2
	v_cvt_u32_f32_e32 v3, v3
	v_cvt_u32_f32_e32 v2, v2
	s_delay_alu instid0(VALU_DEP_2) | instskip(NEXT) | instid1(VALU_DEP_2)
	v_readfirstlane_b32 s2, v3
	v_readfirstlane_b32 s25, v2
	s_delay_alu instid0(VALU_DEP_2) | instskip(NEXT) | instid1(VALU_DEP_1)
	s_mul_i32 s31, s29, s2
	s_mul_hi_u32 s34, s29, s25
	s_mul_i32 s33, s30, s25
	s_add_i32 s31, s34, s31
	s_mul_i32 s35, s29, s25
	s_add_i32 s31, s31, s33
	s_mul_hi_u32 s34, s25, s35
	s_mul_hi_u32 s36, s2, s35
	s_mul_i32 s33, s2, s35
	s_mul_hi_u32 s35, s25, s31
	s_mul_i32 s25, s25, s31
	s_mul_hi_u32 s37, s2, s31
	s_add_u32 s25, s34, s25
	s_addc_u32 s34, 0, s35
	s_add_u32 s25, s25, s33
	s_mul_i32 s31, s2, s31
	s_addc_u32 s25, s34, s36
	s_addc_u32 s33, s37, 0
	s_add_u32 s25, s25, s31
	s_addc_u32 s31, 0, s33
	v_add_co_u32 v2, s25, v2, s25
	s_delay_alu instid0(VALU_DEP_1) | instskip(SKIP_1) | instid1(VALU_DEP_1)
	s_cmp_lg_u32 s25, 0
	s_addc_u32 s2, s2, s31
	v_readfirstlane_b32 s25, v2
	s_mul_i32 s31, s29, s2
	s_delay_alu instid0(VALU_DEP_1)
	s_mul_hi_u32 s33, s29, s25
	s_mul_i32 s30, s30, s25
	s_add_i32 s31, s33, s31
	s_mul_i32 s29, s29, s25
	s_add_i32 s31, s31, s30
	s_mul_hi_u32 s33, s2, s29
	s_mul_i32 s34, s2, s29
	s_mul_hi_u32 s29, s25, s29
	s_mul_hi_u32 s35, s25, s31
	s_mul_i32 s25, s25, s31
	s_mul_hi_u32 s30, s2, s31
	s_add_u32 s25, s29, s25
	s_addc_u32 s29, 0, s35
	s_add_u32 s25, s25, s34
	s_mul_i32 s31, s2, s31
	s_addc_u32 s25, s29, s33
	s_addc_u32 s29, s30, 0
	s_add_u32 s25, s25, s31
	s_addc_u32 s29, 0, s29
	v_add_co_u32 v2, s25, v2, s25
	s_delay_alu instid0(VALU_DEP_1) | instskip(SKIP_1) | instid1(VALU_DEP_1)
	s_cmp_lg_u32 s25, 0
	s_addc_u32 s2, s2, s29
	v_readfirstlane_b32 s25, v2
	s_mul_i32 s30, s16, s2
	s_mul_hi_u32 s29, s16, s2
	s_mul_hi_u32 s31, s17, s2
	s_mul_i32 s2, s17, s2
	s_mul_hi_u32 s33, s16, s25
	s_mul_hi_u32 s34, s17, s25
	s_mul_i32 s25, s17, s25
	s_add_u32 s30, s33, s30
	s_addc_u32 s29, 0, s29
	s_add_u32 s25, s30, s25
	s_addc_u32 s25, s29, s34
	s_addc_u32 s29, s31, 0
	s_add_u32 s2, s25, s2
	s_addc_u32 s25, 0, s29
	s_mul_hi_u32 s29, s3, s2
	s_mul_i32 s2, s3, s2
	s_mul_i32 s25, s3, s25
	v_sub_co_u32 v2, s2, s16, s2
	s_add_i32 s29, s29, s25
	s_cmp_lg_u32 s2, 0
	s_delay_alu instid0(VALU_DEP_1) | instskip(SKIP_2) | instid1(VALU_DEP_1)
	v_sub_co_u32 v3, s2, v2, s3
	s_subb_u32 s25, s17, s29
	s_cmp_lg_u32 s2, 0
	v_cmp_le_u32_e32 vcc_lo, s3, v3
	v_sub_co_u32 v4, s2, v3, s3
	s_subb_u32 s29, s25, 0
	s_cmp_lg_u32 s2, 0
	v_cndmask_b32_e64 v5, 0, -1, vcc_lo
	s_subb_u32 s2, s29, 0
	s_cmp_eq_u32 s29, 0
	v_mov_b32_e32 v7, s2
	s_cselect_b32 vcc_lo, -1, 0
	s_cmp_eq_u32 s25, 0
	v_cndmask_b32_e32 v5, -1, v5, vcc_lo
	v_cmp_le_u32_e32 vcc_lo, s3, v2
	s_cselect_b32 s2, -1, 0
	v_cndmask_b32_e64 v6, 0, -1, vcc_lo
	s_delay_alu instid0(VALU_DEP_3) | instskip(NEXT) | instid1(VALU_DEP_2)
	v_cmp_ne_u32_e32 vcc_lo, 0, v5
	v_cndmask_b32_e64 v5, -1, v6, s2
	v_cndmask_b32_e32 v6, s29, v7, vcc_lo
	v_cndmask_b32_e32 v4, v3, v4, vcc_lo
	s_delay_alu instid0(VALU_DEP_3) | instskip(NEXT) | instid1(VALU_DEP_2)
	v_cmp_ne_u32_e32 vcc_lo, 0, v5
	v_cndmask_b32_e32 v2, v2, v4, vcc_lo
	s_delay_alu instid0(VALU_DEP_4)
	v_cndmask_b32_e32 v3, s25, v6, vcc_lo
	s_and_not1_b32 vcc_lo, exec_lo, s24
	s_cbranch_vccnz .LBB617_9
.LBB617_8:
	v_cvt_f32_u32_e32 v2, s3
	s_sub_i32 s2, 0, s3
	s_delay_alu instid0(VALU_DEP_1) | instskip(SKIP_2) | instid1(VALU_DEP_1)
	v_rcp_iflag_f32_e32 v2, v2
	s_waitcnt_depctr 0xfff
	v_mul_f32_e32 v2, 0x4f7ffffe, v2
	v_cvt_u32_f32_e32 v2, v2
	s_delay_alu instid0(VALU_DEP_1) | instskip(NEXT) | instid1(VALU_DEP_1)
	v_mul_lo_u32 v3, s2, v2
	v_mul_hi_u32 v3, v2, v3
	s_delay_alu instid0(VALU_DEP_1) | instskip(NEXT) | instid1(VALU_DEP_1)
	v_add_nc_u32_e32 v2, v2, v3
	v_mul_hi_u32 v2, s16, v2
	s_delay_alu instid0(VALU_DEP_1) | instskip(NEXT) | instid1(VALU_DEP_1)
	v_mul_lo_u32 v2, v2, s3
	v_sub_nc_u32_e32 v2, s16, v2
	s_delay_alu instid0(VALU_DEP_1) | instskip(SKIP_1) | instid1(VALU_DEP_2)
	v_subrev_nc_u32_e32 v3, s3, v2
	v_cmp_le_u32_e32 vcc_lo, s3, v2
	v_cndmask_b32_e32 v2, v2, v3, vcc_lo
	s_delay_alu instid0(VALU_DEP_1) | instskip(SKIP_1) | instid1(VALU_DEP_2)
	v_subrev_nc_u32_e32 v3, s3, v2
	v_cmp_le_u32_e32 vcc_lo, s3, v2
	v_dual_cndmask_b32 v2, v2, v3 :: v_dual_mov_b32 v3, 0
.LBB617_9:
	v_dual_mov_b32 v7, v1 :: v_dual_lshlrev_b32 v4, 4, v0
	s_delay_alu instid0(VALU_DEP_2) | instskip(NEXT) | instid1(VALU_DEP_3)
	v_sub_co_u32 v2, vcc_lo, s16, v2
	v_sub_co_ci_u32_e32 v3, vcc_lo, s17, v3, vcc_lo
	s_delay_alu instid0(VALU_DEP_3) | instskip(NEXT) | instid1(VALU_DEP_1)
	v_add_co_u32 v4, s2, v4, s20
	v_add_co_ci_u32_e64 v5, null, 0, s21, s2
	v_lshlrev_b32_e32 v10, 4, v9
	s_delay_alu instid0(VALU_DEP_3) | instskip(NEXT) | instid1(VALU_DEP_3)
	v_add_co_u32 v4, vcc_lo, v4, 8
	v_add_co_ci_u32_e32 v5, vcc_lo, 0, v5, vcc_lo
	v_mov_b32_e32 v6, v0
	s_mov_b32 s3, 0
	.p2align	6
.LBB617_10:                             ; =>This Inner Loop Header: Depth=1
	global_load_b128 v[11:14], v[4:5], off offset:-8
	v_add_co_u32 v6, vcc_lo, v6, v9
	v_add_co_ci_u32_e32 v7, vcc_lo, 0, v7, vcc_lo
	v_add_co_u32 v4, s2, v4, v10
	s_delay_alu instid0(VALU_DEP_1) | instskip(NEXT) | instid1(VALU_DEP_3)
	v_add_co_ci_u32_e64 v5, s2, 0, v5, s2
	v_lshlrev_b64 v[15:16], 2, v[6:7]
	s_delay_alu instid0(VALU_DEP_1) | instskip(SKIP_3) | instid1(VALU_DEP_1)
	v_cmp_ge_i64_e32 vcc_lo, v[15:16], v[2:3]
	s_or_b32 s3, vcc_lo, s3
	s_waitcnt vmcnt(0)
	v_add_f32_e32 v1, v8, v11
	v_add_f32_e32 v1, v1, v12
	s_delay_alu instid0(VALU_DEP_1) | instskip(NEXT) | instid1(VALU_DEP_1)
	v_add_f32_e32 v1, v1, v13
	v_add_f32_e32 v8, v1, v14
	s_and_not1_b32 exec_lo, exec_lo, s3
	s_cbranch_execnz .LBB617_10
; %bb.11:
	s_or_b32 exec_lo, exec_lo, s3
	v_add_co_u32 v1, vcc_lo, v2, v0
	v_add_co_ci_u32_e32 v2, vcc_lo, 0, v3, vcc_lo
	s_mov_b32 s2, exec_lo
	s_delay_alu instid0(VALU_DEP_1)
	v_cmpx_gt_i64_e64 s[16:17], v[1:2]
	s_cbranch_execz .LBB617_15
; %bb.12:
	s_mov_b32 s3, 0
.LBB617_13:                             ; =>This Inner Loop Header: Depth=1
	v_lshlrev_b64 v[3:4], 2, v[1:2]
	s_delay_alu instid0(VALU_DEP_1) | instskip(NEXT) | instid1(VALU_DEP_2)
	v_add_co_u32 v3, vcc_lo, s20, v3
	v_add_co_ci_u32_e32 v4, vcc_lo, s21, v4, vcc_lo
	v_add_co_u32 v1, vcc_lo, v1, v9
	v_add_co_ci_u32_e32 v2, vcc_lo, 0, v2, vcc_lo
	global_load_b32 v3, v[3:4], off
	v_cmp_le_i64_e32 vcc_lo, s[16:17], v[1:2]
	s_or_b32 s3, vcc_lo, s3
	s_waitcnt vmcnt(0)
	v_add_f32_e32 v8, v8, v3
	s_and_not1_b32 exec_lo, exec_lo, s3
	s_cbranch_execnz .LBB617_13
; %bb.14:
	s_or_b32 exec_lo, exec_lo, s3
.LBB617_15:
	s_delay_alu instid0(SALU_CYCLE_1)
	s_or_b32 exec_lo, exec_lo, s2
	s_branch .LBB617_31
.LBB617_16:
                                        ; implicit-def: $vgpr8
	s_cbranch_execz .LBB617_31
; %bb.17:
	s_and_b32 vcc_lo, exec_lo, s28
	s_cbranch_vccz .LBB617_41
; %bb.18:
	s_lshl_b64 s[2:3], s[26:27], 2
	v_cmp_le_u32_e32 vcc_lo, s26, v0
	s_sub_u32 s20, s12, s2
	s_subb_u32 s21, s13, s3
	s_add_i32 s3, s26, s10
	v_mov_b32_e32 v8, 0
	v_cmp_gt_i32_e64 s2, s3, v0
	s_delay_alu instid0(VALU_DEP_1) | instskip(NEXT) | instid1(SALU_CYCLE_1)
	s_and_b32 s16, vcc_lo, s2
	s_and_saveexec_b32 s2, s16
	s_cbranch_execz .LBB617_20
; %bb.19:
	v_lshlrev_b32_e32 v1, 2, v0
	global_load_b32 v1, v1, s[20:21]
	s_waitcnt vmcnt(0)
	v_add_f32_e32 v8, 0, v1
.LBB617_20:
	s_or_b32 exec_lo, exec_lo, s2
	s_load_b32 s2, s[0:1], 0x2c
	s_add_u32 s16, s0, 32
	s_addc_u32 s17, s1, 0
	s_waitcnt lgkmcnt(0)
	s_and_b32 s2, s2, 0xffff
	s_delay_alu instid0(SALU_CYCLE_1) | instskip(SKIP_1) | instid1(SALU_CYCLE_1)
	v_sub_nc_u32_e64 v1, s3, s2 clamp
	s_lshl_b32 s2, s2, 2
	s_add_u32 s2, s20, s2
	s_addc_u32 s3, s21, 0
	s_delay_alu instid0(VALU_DEP_1)
	v_readfirstlane_b32 s24, v1
	s_branch .LBB617_22
.LBB617_21:
	v_mov_b32_e32 v8, 0
	s_add_u32 s16, s0, 32
	s_addc_u32 s17, s1, 0
	s_mov_b32 s24, s10
	s_mov_b64 s[2:3], s[12:13]
.LBB617_22:
	s_load_b32 s20, s[16:17], 0x0
	v_mov_b32_e32 v1, 0
	s_waitcnt lgkmcnt(0)
	s_cmp_lt_u32 s15, s20
	s_cselect_b32 s20, 12, 18
	s_delay_alu instid0(SALU_CYCLE_1) | instskip(SKIP_4) | instid1(VALU_DEP_1)
	s_add_u32 s16, s16, s20
	s_addc_u32 s17, s17, 0
	global_load_u16 v3, v1, s[16:17]
	s_waitcnt vmcnt(0)
	v_readfirstlane_b32 s16, v3
	s_lshl_b32 s16, s16, 2
	s_delay_alu instid0(SALU_CYCLE_1) | instskip(SKIP_1) | instid1(VALU_DEP_1)
	v_cvt_f32_u32_e32 v1, s16
	s_sub_i32 s20, 0, s16
	v_rcp_iflag_f32_e32 v1, v1
	s_waitcnt_depctr 0xfff
	v_mul_f32_e32 v1, 0x4f7ffffe, v1
	s_delay_alu instid0(VALU_DEP_1) | instskip(NEXT) | instid1(VALU_DEP_1)
	v_cvt_u32_f32_e32 v1, v1
	v_readfirstlane_b32 s17, v1
	v_lshlrev_b32_e32 v1, 2, v0
	s_delay_alu instid0(VALU_DEP_2) | instskip(NEXT) | instid1(SALU_CYCLE_1)
	s_mul_i32 s20, s20, s17
	s_mul_hi_u32 s20, s17, s20
	s_delay_alu instid0(SALU_CYCLE_1) | instskip(NEXT) | instid1(SALU_CYCLE_1)
	s_add_i32 s17, s17, s20
	s_mul_hi_u32 s17, s24, s17
	s_delay_alu instid0(SALU_CYCLE_1) | instskip(NEXT) | instid1(SALU_CYCLE_1)
	s_mul_i32 s17, s17, s16
	s_sub_i32 s17, s24, s17
	s_delay_alu instid0(SALU_CYCLE_1) | instskip(SKIP_2) | instid1(SALU_CYCLE_1)
	s_sub_i32 s20, s17, s16
	s_cmp_ge_u32 s17, s16
	s_cselect_b32 s17, s20, s17
	s_sub_i32 s20, s17, s16
	s_cmp_ge_u32 s17, s16
	s_cselect_b32 s16, s20, s17
	s_mov_b32 s20, 0
	s_sub_i32 s16, s24, s16
	s_mov_b32 s17, exec_lo
	v_cmpx_gt_i32_e64 s16, v1
	s_cbranch_execz .LBB617_26
; %bb.23:
	v_mov_b32_e32 v1, v0
	.p2align	6
.LBB617_24:                             ; =>This Inner Loop Header: Depth=1
	s_delay_alu instid0(VALU_DEP_1) | instskip(NEXT) | instid1(VALU_DEP_1)
	v_ashrrev_i32_e32 v2, 31, v1
	v_lshlrev_b64 v[4:5], 4, v[1:2]
	v_add_nc_u32_e32 v1, v1, v3
	s_delay_alu instid0(VALU_DEP_2) | instskip(NEXT) | instid1(VALU_DEP_3)
	v_add_co_u32 v4, vcc_lo, s2, v4
	v_add_co_ci_u32_e32 v5, vcc_lo, s3, v5, vcc_lo
	global_load_b128 v[4:7], v[4:5], off
	s_waitcnt vmcnt(0)
	v_add_f32_e32 v2, v8, v4
	v_lshlrev_b32_e32 v4, 2, v1
	s_delay_alu instid0(VALU_DEP_2) | instskip(NEXT) | instid1(VALU_DEP_2)
	v_add_f32_e32 v2, v2, v5
	v_cmp_le_i32_e32 vcc_lo, s16, v4
	s_delay_alu instid0(VALU_DEP_2) | instskip(SKIP_1) | instid1(VALU_DEP_1)
	v_add_f32_e32 v2, v2, v6
	s_or_b32 s20, vcc_lo, s20
	v_add_f32_e32 v8, v2, v7
	s_and_not1_b32 exec_lo, exec_lo, s20
	s_cbranch_execnz .LBB617_24
; %bb.25:
	s_or_b32 exec_lo, exec_lo, s20
.LBB617_26:
	s_delay_alu instid0(SALU_CYCLE_1) | instskip(SKIP_2) | instid1(VALU_DEP_1)
	s_or_b32 exec_lo, exec_lo, s17
	v_add_nc_u32_e32 v1, s16, v0
	s_mov_b32 s16, exec_lo
	v_cmpx_gt_i32_e64 s24, v1
	s_cbranch_execz .LBB617_30
; %bb.27:
	s_mov_b32 s17, 0
.LBB617_28:                             ; =>This Inner Loop Header: Depth=1
	v_ashrrev_i32_e32 v2, 31, v1
	s_delay_alu instid0(VALU_DEP_1) | instskip(NEXT) | instid1(VALU_DEP_1)
	v_lshlrev_b64 v[4:5], 2, v[1:2]
	v_add_co_u32 v4, vcc_lo, s2, v4
	s_delay_alu instid0(VALU_DEP_2) | instskip(SKIP_3) | instid1(VALU_DEP_1)
	v_add_co_ci_u32_e32 v5, vcc_lo, s3, v5, vcc_lo
	global_load_b32 v2, v[4:5], off
	s_waitcnt vmcnt(0)
	v_dual_add_f32 v8, v8, v2 :: v_dual_add_nc_u32 v1, v1, v3
	v_cmp_le_i32_e32 vcc_lo, s24, v1
	s_or_b32 s17, vcc_lo, s17
	s_delay_alu instid0(SALU_CYCLE_1)
	s_and_not1_b32 exec_lo, exec_lo, s17
	s_cbranch_execnz .LBB617_28
; %bb.29:
	s_or_b32 exec_lo, exec_lo, s17
.LBB617_30:
	s_delay_alu instid0(SALU_CYCLE_1)
	s_or_b32 exec_lo, exec_lo, s16
.LBB617_31:
	v_lshl_add_u32 v1, v0, 2, 0
	s_barrier
	buffer_gl0_inv
	s_add_u32 s2, s0, 32
	ds_store_b32 v1, v8
	s_waitcnt lgkmcnt(0)
	s_barrier
	buffer_gl0_inv
	s_load_b32 s16, s[0:1], 0x2c
	s_addc_u32 s3, s1, 0
	s_waitcnt lgkmcnt(0)
	s_bfe_u32 s0, s16, 0xb0005
	s_delay_alu instid0(SALU_CYCLE_1) | instskip(NEXT) | instid1(SALU_CYCLE_1)
	s_min_u32 s1, s0, 32
	v_cmp_gt_u32_e32 vcc_lo, s1, v0
	s_and_saveexec_b32 s1, vcc_lo
	s_cbranch_execz .LBB617_33
; %bb.32:
	v_mad_u32_u24 v10, 0x7c, v0, v1
	ds_load_2addr_b32 v[2:3], v10 offset1:1
	ds_load_2addr_b32 v[4:5], v10 offset0:2 offset1:3
	ds_load_2addr_b32 v[6:7], v10 offset0:4 offset1:5
	;; [unrolled: 1-line block ×3, first 2 shown]
	s_waitcnt lgkmcnt(3)
	v_add_f32_e32 v2, 0, v2
	s_delay_alu instid0(VALU_DEP_1) | instskip(SKIP_1) | instid1(VALU_DEP_1)
	v_add_f32_e32 v2, v2, v3
	s_waitcnt lgkmcnt(2)
	v_add_f32_e32 v2, v2, v4
	s_delay_alu instid0(VALU_DEP_1) | instskip(SKIP_1) | instid1(VALU_DEP_1)
	v_add_f32_e32 v2, v2, v5
	s_waitcnt lgkmcnt(1)
	v_add_f32_e32 v4, v2, v6
	ds_load_2addr_b32 v[2:3], v10 offset0:8 offset1:9
	v_add_f32_e32 v4, v4, v7
	s_waitcnt lgkmcnt(1)
	s_delay_alu instid0(VALU_DEP_1)
	v_add_f32_e32 v6, v4, v8
	ds_load_2addr_b32 v[4:5], v10 offset0:10 offset1:11
	v_add_f32_e32 v11, v6, v9
	ds_load_2addr_b32 v[6:7], v10 offset0:12 offset1:13
	ds_load_2addr_b32 v[8:9], v10 offset0:14 offset1:15
	s_waitcnt lgkmcnt(3)
	v_add_f32_e32 v2, v11, v2
	s_delay_alu instid0(VALU_DEP_1) | instskip(SKIP_1) | instid1(VALU_DEP_1)
	v_add_f32_e32 v2, v2, v3
	s_waitcnt lgkmcnt(2)
	v_add_f32_e32 v2, v2, v4
	s_delay_alu instid0(VALU_DEP_1) | instskip(SKIP_1) | instid1(VALU_DEP_1)
	v_add_f32_e32 v2, v2, v5
	s_waitcnt lgkmcnt(1)
	v_add_f32_e32 v4, v2, v6
	ds_load_2addr_b32 v[2:3], v10 offset0:16 offset1:17
	v_add_f32_e32 v4, v4, v7
	s_waitcnt lgkmcnt(1)
	s_delay_alu instid0(VALU_DEP_1)
	v_add_f32_e32 v6, v4, v8
	ds_load_2addr_b32 v[4:5], v10 offset0:18 offset1:19
	v_add_f32_e32 v11, v6, v9
	ds_load_2addr_b32 v[6:7], v10 offset0:20 offset1:21
	ds_load_2addr_b32 v[8:9], v10 offset0:22 offset1:23
	;; [unrolled: 19-line block ×3, first 2 shown]
	s_waitcnt lgkmcnt(3)
	v_add_f32_e32 v2, v11, v2
	s_delay_alu instid0(VALU_DEP_1) | instskip(SKIP_1) | instid1(VALU_DEP_1)
	v_add_f32_e32 v2, v2, v3
	s_waitcnt lgkmcnt(2)
	v_add_f32_e32 v2, v2, v4
	s_delay_alu instid0(VALU_DEP_1) | instskip(SKIP_1) | instid1(VALU_DEP_1)
	v_add_f32_e32 v2, v2, v5
	;; [unrolled: 4-line block ×3, first 2 shown]
	s_waitcnt lgkmcnt(0)
	v_add_f32_e32 v2, v2, v8
	s_delay_alu instid0(VALU_DEP_1)
	v_add_f32_e32 v2, v2, v9
	ds_store_b32 v1, v2
.LBB617_33:
	s_or_b32 exec_lo, exec_lo, s1
	s_and_b32 s16, s16, 0xffff
	s_mov_b32 s1, exec_lo
	s_waitcnt lgkmcnt(0)
	s_barrier
	buffer_gl0_inv
	v_cmpx_eq_u32_e32 0, v0
	s_cbranch_execz .LBB617_46
; %bb.34:
	v_mov_b32_e32 v1, 0
	s_cmp_lt_u32 s16, 32
	s_cbranch_scc1 .LBB617_45
; %bb.35:
	v_mov_b32_e32 v1, 0
	s_add_i32 s17, s0, -1
	s_delay_alu instid0(SALU_CYCLE_1)
	s_cmp_lt_u32 s17, 7
	s_cbranch_scc1 .LBB617_42
; %bb.36:
	s_and_b32 s17, s0, 0x7f8
	s_mov_b32 s20, 0
	s_mov_b32 s21, 0
	.p2align	6
.LBB617_37:                             ; =>This Inner Loop Header: Depth=1
	s_delay_alu instid0(SALU_CYCLE_1)
	v_mov_b32_e32 v8, s21
	s_add_i32 s20, s20, 8
	s_add_i32 s21, s21, 32
	s_cmp_eq_u32 s17, s20
	ds_load_2addr_b32 v[2:3], v8 offset1:1
	ds_load_2addr_b32 v[4:5], v8 offset0:2 offset1:3
	ds_load_2addr_b32 v[6:7], v8 offset0:4 offset1:5
	;; [unrolled: 1-line block ×3, first 2 shown]
	s_waitcnt lgkmcnt(3)
	v_add_f32_e32 v1, v1, v2
	s_delay_alu instid0(VALU_DEP_1) | instskip(SKIP_1) | instid1(VALU_DEP_1)
	v_add_f32_e32 v1, v1, v3
	s_waitcnt lgkmcnt(2)
	v_add_f32_e32 v1, v1, v4
	s_delay_alu instid0(VALU_DEP_1) | instskip(SKIP_1) | instid1(VALU_DEP_1)
	v_add_f32_e32 v1, v1, v5
	;; [unrolled: 4-line block ×3, first 2 shown]
	s_waitcnt lgkmcnt(0)
	v_add_f32_e32 v1, v1, v8
	s_delay_alu instid0(VALU_DEP_1)
	v_add_f32_e32 v1, v1, v9
	s_cbranch_scc0 .LBB617_37
; %bb.38:
	s_and_b32 s0, s0, 7
	s_delay_alu instid0(SALU_CYCLE_1)
	s_cmp_eq_u32 s0, 0
	s_cbranch_scc0 .LBB617_43
	s_branch .LBB617_45
.LBB617_39:
                                        ; implicit-def: $sgpr20_sgpr21
                                        ; implicit-def: $sgpr16_sgpr17
                                        ; implicit-def: $vgpr8
                                        ; implicit-def: $sgpr2_sgpr3
	s_cbranch_execnz .LBB617_5
	s_branch .LBB617_6
.LBB617_40:
                                        ; implicit-def: $vgpr2_vgpr3
	s_branch .LBB617_8
.LBB617_41:
                                        ; implicit-def: $sgpr2_sgpr3
                                        ; implicit-def: $sgpr24
                                        ; implicit-def: $vgpr8
                                        ; implicit-def: $sgpr16_sgpr17
	s_cbranch_execnz .LBB617_21
	s_branch .LBB617_22
.LBB617_42:
	s_mov_b32 s17, 0
	s_and_b32 s0, s0, 7
	s_delay_alu instid0(SALU_CYCLE_1)
	s_cmp_eq_u32 s0, 0
	s_cbranch_scc1 .LBB617_45
.LBB617_43:
	s_lshl_b32 s17, s17, 2
	s_delay_alu instid0(SALU_CYCLE_1)
	s_add_i32 s17, s17, 0
.LBB617_44:                             ; =>This Inner Loop Header: Depth=1
	s_delay_alu instid0(SALU_CYCLE_1)
	v_mov_b32_e32 v2, s17
	s_add_i32 s0, s0, -1
	s_add_i32 s17, s17, 4
	s_cmp_lg_u32 s0, 0
	ds_load_b32 v2, v2
	s_waitcnt lgkmcnt(0)
	v_add_f32_e32 v1, v1, v2
	s_cbranch_scc1 .LBB617_44
.LBB617_45:
	v_mov_b32_e32 v2, 0
	ds_store_b32 v2, v1
.LBB617_46:
	s_or_b32 exec_lo, exec_lo, s1
	v_mov_b32_e32 v1, 0
	s_waitcnt lgkmcnt(0)
	s_barrier
	buffer_gl0_inv
	s_lshl_b64 s[28:29], s[18:19], 1
	ds_load_b32 v10, v1
	s_add_u32 s18, s4, s28
	s_addc_u32 s19, s5, s29
	s_add_u32 s20, s6, s22
	s_mov_b32 s25, 0
	s_addc_u32 s21, s7, s23
	s_bfe_u32 s24, s18, 0x30001
	s_bfe_u32 s0, s20, 0x20002
	s_mov_b32 s1, s25
	s_delay_alu instid0(SALU_CYCLE_1) | instskip(SKIP_3) | instid1(SALU_CYCLE_1)
	s_cmp_eq_u64 s[24:25], s[0:1]
	s_cselect_b32 s0, -1, 0
	s_cmp_eq_u64 s[24:25], s[26:27]
	s_cselect_b32 s1, -1, 0
	s_and_b32 s0, s0, s1
	s_delay_alu instid0(SALU_CYCLE_1)
	s_and_not1_b32 vcc_lo, exec_lo, s0
	s_mov_b32 s0, -1
	s_cbranch_vccz .LBB617_65
; %bb.47:
	s_and_b32 vcc_lo, exec_lo, s14
	s_cbranch_vccz .LBB617_56
; %bb.48:
	s_lshl_b32 s1, s16, 2
	s_mov_b32 s33, 0
	v_cvt_f32_u32_e32 v1, s1
	s_sub_i32 s17, 0, s1
	s_delay_alu instid0(VALU_DEP_1) | instskip(SKIP_2) | instid1(VALU_DEP_1)
	v_rcp_iflag_f32_e32 v1, v1
	s_waitcnt_depctr 0xfff
	v_mul_f32_e32 v1, 0x4f7ffffe, v1
	v_cvt_u32_f32_e32 v1, v1
	s_delay_alu instid0(VALU_DEP_1) | instskip(SKIP_1) | instid1(VALU_DEP_2)
	v_readfirstlane_b32 s0, v1
	v_mov_b32_e32 v1, 0
	s_mul_i32 s17, s17, s0
	s_delay_alu instid0(VALU_DEP_1) | instskip(SKIP_1) | instid1(SALU_CYCLE_1)
	v_dual_mov_b32 v3, v1 :: v_dual_mov_b32 v2, v0
	s_mul_hi_u32 s17, s0, s17
	s_add_i32 s0, s0, s17
	s_delay_alu instid0(SALU_CYCLE_1) | instskip(NEXT) | instid1(SALU_CYCLE_1)
	s_mul_hi_u32 s0, s10, s0
	s_mul_i32 s0, s0, s1
	s_delay_alu instid0(SALU_CYCLE_1) | instskip(NEXT) | instid1(SALU_CYCLE_1)
	s_sub_i32 s0, s10, s0
	s_sub_i32 s17, s0, s1
	s_cmp_ge_u32 s0, s1
	s_cselect_b32 s0, s17, s0
	s_delay_alu instid0(SALU_CYCLE_1)
	s_sub_i32 s17, s0, s1
	s_cmp_ge_u32 s0, s1
	s_cselect_b32 s0, s17, s0
	s_bfe_i64 s[26:27], s[10:11], 0x200000
	s_mov_b32 s17, exec_lo
	s_sub_u32 s30, s26, s0
	s_subb_u32 s31, s27, 0
	s_delay_alu instid0(SALU_CYCLE_1)
	v_cmpx_gt_i64_e64 s[30:31], v[0:1]
	s_cbranch_execz .LBB617_52
; %bb.49:
	s_lshl_b32 s38, s16, 1
	s_lshl_b32 s39, s16, 4
	s_add_u32 s0, s22, s1
	s_addc_u32 s34, s23, 0
	s_add_u32 s40, s6, s0
	s_addc_u32 s41, s7, s34
	s_lshl_b32 s42, s16, 3
	s_mul_i32 s37, s16, 12
	s_add_u32 s35, s22, s42
	s_addc_u32 s36, s23, 0
	s_add_u32 s43, s6, s35
	s_addc_u32 s44, s7, s36
	;; [unrolled: 2-line block ×5, first 2 shown]
	s_add_u32 s49, s8, s35
	v_lshlrev_b64 v[2:3], 1, v[0:1]
	s_addc_u32 s50, s9, s36
	s_add_u32 s51, s8, s37
	s_addc_u32 s52, s9, s52
	s_add_u32 s0, s4, s28
	s_addc_u32 s34, s5, s29
	v_add_co_u32 v6, vcc_lo, s0, v2
	v_lshlrev_b64 v[4:5], 2, v[0:1]
	v_add_co_ci_u32_e32 v7, vcc_lo, s34, v3, vcc_lo
	v_dual_mov_b32 v3, v1 :: v_dual_mov_b32 v2, v0
	s_mul_i32 s53, s16, 6
	s_mov_b64 s[34:35], s[12:13]
	s_mov_b64 s[36:37], s[20:21]
.LBB617_50:                             ; =>This Inner Loop Header: Depth=1
	s_delay_alu instid0(SALU_CYCLE_1)
	v_add_co_u32 v8, vcc_lo, s36, v4
	v_add_co_ci_u32_e32 v9, vcc_lo, s37, v5, vcc_lo
	v_add_co_u32 v11, vcc_lo, s34, v4
	v_add_co_ci_u32_e32 v12, vcc_lo, s35, v5, vcc_lo
	;; [unrolled: 2-line block ×8, first 2 shown]
	global_load_b32 v1, v[8:9], off
	global_load_b32 v25, v[11:12], off
	;; [unrolled: 1-line block ×8, first 2 shown]
	v_add_co_u32 v8, vcc_lo, v6, s38
	v_add_co_ci_u32_e32 v9, vcc_lo, 0, v7, vcc_lo
	v_add_co_u32 v11, vcc_lo, v6, s1
	v_add_co_ci_u32_e32 v12, vcc_lo, 0, v7, vcc_lo
	v_add_co_u32 v13, vcc_lo, v6, s53
	s_add_u32 s36, s36, s39
	s_addc_u32 s37, s37, 0
	v_add_co_ci_u32_e32 v14, vcc_lo, 0, v7, vcc_lo
	s_add_u32 s40, s40, s39
	v_add_co_u32 v2, vcc_lo, v2, s1
	s_addc_u32 s41, s41, 0
	s_add_u32 s43, s43, s39
	v_add_co_ci_u32_e32 v3, vcc_lo, 0, v3, vcc_lo
	s_addc_u32 s44, s44, 0
	s_add_u32 s45, s45, s39
	s_addc_u32 s46, s46, 0
	s_add_u32 s34, s34, s39
	s_addc_u32 s35, s35, 0
	v_cmp_le_i64_e32 vcc_lo, s[30:31], v[2:3]
	s_add_u32 s47, s47, s39
	s_addc_u32 s48, s48, 0
	s_add_u32 s49, s49, s39
	s_addc_u32 s50, s50, 0
	s_add_u32 s51, s51, s39
	s_addc_u32 s52, s52, 0
	s_or_b32 s33, vcc_lo, s33
	s_waitcnt vmcnt(6) lgkmcnt(0)
	v_fma_mixlo_f16 v1, -v10, v1, v25
	s_waitcnt vmcnt(4)
	v_fma_mixlo_f16 v15, -v10, v26, v15
	s_waitcnt vmcnt(2)
	v_fma_mixlo_f16 v16, -v10, v16, v17
	global_store_b16 v[6:7], v1, off
	v_add_co_u32 v6, s0, v6, s42
	s_delay_alu instid0(VALU_DEP_1)
	v_add_co_ci_u32_e64 v7, s0, 0, v7, s0
	s_waitcnt vmcnt(0)
	v_fma_mixlo_f16 v17, -v10, v18, v19
	s_clause 0x2
	global_store_b16 v[8:9], v15, off
	global_store_b16 v[11:12], v16, off
	;; [unrolled: 1-line block ×3, first 2 shown]
	s_and_not1_b32 exec_lo, exec_lo, s33
	s_cbranch_execnz .LBB617_50
; %bb.51:
	s_or_b32 exec_lo, exec_lo, s33
.LBB617_52:
	s_delay_alu instid0(SALU_CYCLE_1) | instskip(NEXT) | instid1(SALU_CYCLE_1)
	s_or_b32 exec_lo, exec_lo, s17
	s_mov_b32 s17, exec_lo
	v_cmpx_gt_i64_e64 s[26:27], v[2:3]
	s_cbranch_execz .LBB617_55
; %bb.53:
	v_lshlrev_b64 v[4:5], 2, v[2:3]
	v_lshlrev_b64 v[7:8], 1, v[2:3]
	s_add_u32 s0, s4, s28
	s_addc_u32 s4, s5, s29
	s_lshl_b32 s5, s16, 1
	s_delay_alu instid0(VALU_DEP_2)
	v_add_co_u32 v1, vcc_lo, s22, v4
	v_add_co_ci_u32_e32 v6, vcc_lo, s23, v5, vcc_lo
	v_add_co_u32 v4, vcc_lo, s0, v7
	v_add_co_ci_u32_e32 v5, vcc_lo, s4, v8, vcc_lo
	s_mov_b32 s4, 0
	.p2align	6
.LBB617_54:                             ; =>This Inner Loop Header: Depth=1
	v_add_co_u32 v7, vcc_lo, s8, v1
	v_add_co_ci_u32_e32 v8, vcc_lo, s9, v6, vcc_lo
	v_add_co_u32 v11, vcc_lo, s6, v1
	v_add_co_ci_u32_e32 v12, vcc_lo, s7, v6, vcc_lo
	v_add_co_u32 v2, vcc_lo, v2, s16
	global_load_b32 v7, v[7:8], off
	global_load_b32 v8, v[11:12], off
	v_add_co_ci_u32_e32 v3, vcc_lo, 0, v3, vcc_lo
	v_add_co_u32 v1, vcc_lo, v1, s1
	v_add_co_ci_u32_e32 v6, vcc_lo, 0, v6, vcc_lo
	s_delay_alu instid0(VALU_DEP_3)
	v_cmp_le_i64_e32 vcc_lo, s[26:27], v[2:3]
	s_or_b32 s4, vcc_lo, s4
	s_waitcnt vmcnt(0) lgkmcnt(0)
	v_fma_mixlo_f16 v7, -v10, v8, v7
	global_store_b16 v[4:5], v7, off
	v_add_co_u32 v4, s0, v4, s5
	s_delay_alu instid0(VALU_DEP_1)
	v_add_co_ci_u32_e64 v5, s0, 0, v5, s0
	s_and_not1_b32 exec_lo, exec_lo, s4
	s_cbranch_execnz .LBB617_54
.LBB617_55:
	s_or_b32 exec_lo, exec_lo, s17
	s_mov_b32 s0, 0
.LBB617_56:
	s_delay_alu instid0(SALU_CYCLE_1)
	s_and_b32 vcc_lo, exec_lo, s0
	s_cbranch_vccz .LBB617_92
; %bb.57:
	s_lshl_b32 s0, s16, 2
	s_mov_b32 s5, 0
	v_cvt_f32_u32_e32 v1, s0
	s_sub_i32 s4, 0, s0
	s_delay_alu instid0(VALU_DEP_1) | instskip(SKIP_2) | instid1(VALU_DEP_1)
	v_rcp_iflag_f32_e32 v1, v1
	s_waitcnt_depctr 0xfff
	v_mul_f32_e32 v1, 0x4f7ffffe, v1
	v_cvt_u32_f32_e32 v1, v1
	s_delay_alu instid0(VALU_DEP_1) | instskip(SKIP_1) | instid1(VALU_DEP_2)
	v_readfirstlane_b32 s1, v1
	v_mov_b32_e32 v1, v0
	s_mul_i32 s4, s4, s1
	s_delay_alu instid0(SALU_CYCLE_1) | instskip(NEXT) | instid1(SALU_CYCLE_1)
	s_mul_hi_u32 s4, s1, s4
	s_add_i32 s1, s1, s4
	s_delay_alu instid0(SALU_CYCLE_1) | instskip(NEXT) | instid1(SALU_CYCLE_1)
	s_mul_hi_u32 s1, s10, s1
	s_mul_i32 s1, s1, s0
	s_delay_alu instid0(SALU_CYCLE_1) | instskip(NEXT) | instid1(SALU_CYCLE_1)
	s_sub_i32 s1, s10, s1
	s_sub_i32 s4, s1, s0
	s_cmp_ge_u32 s1, s0
	s_cselect_b32 s1, s4, s1
	s_delay_alu instid0(SALU_CYCLE_1) | instskip(SKIP_4) | instid1(SALU_CYCLE_1)
	s_sub_i32 s4, s1, s0
	s_cmp_ge_u32 s1, s0
	s_cselect_b32 s0, s4, s1
	s_mov_b32 s1, exec_lo
	s_sub_i32 s4, s10, s0
	v_cmpx_gt_i32_e64 s4, v0
	s_cbranch_execz .LBB617_61
; %bb.58:
	v_dual_mov_b32 v2, 0 :: v_dual_mov_b32 v1, v0
	s_lshl_b32 s6, s16, 1
	s_mul_i32 s7, s16, 3
	s_add_i32 s8, s16, s16
.LBB617_59:                             ; =>This Inner Loop Header: Depth=1
	s_delay_alu instid0(VALU_DEP_1) | instskip(SKIP_3) | instid1(VALU_DEP_4)
	v_lshlrev_b64 v[11:12], 2, v[1:2]
	v_dual_mov_b32 v4, v2 :: v_dual_add_nc_u32 v3, s16, v1
	v_dual_mov_b32 v6, v2 :: v_dual_add_nc_u32 v5, s6, v1
	;; [unrolled: 1-line block ×3, first 2 shown]
	v_add_co_u32 v19, vcc_lo, s20, v11
	v_add_co_ci_u32_e32 v20, vcc_lo, s21, v12, vcc_lo
	v_lshlrev_b64 v[13:14], 2, v[3:4]
	v_add_co_u32 v11, vcc_lo, s12, v11
	v_add_co_ci_u32_e32 v12, vcc_lo, s13, v12, vcc_lo
	v_lshlrev_b64 v[15:16], 2, v[5:6]
	global_load_b32 v23, v[19:20], off
	global_load_b32 v24, v[11:12], off
	v_add_co_u32 v11, vcc_lo, s20, v13
	v_add_co_ci_u32_e32 v12, vcc_lo, s21, v14, vcc_lo
	v_add_co_u32 v13, vcc_lo, s12, v13
	v_add_co_ci_u32_e32 v14, vcc_lo, s13, v14, vcc_lo
	v_lshlrev_b64 v[17:18], 2, v[7:8]
	v_add_co_u32 v19, vcc_lo, s20, v15
	v_add_co_ci_u32_e32 v20, vcc_lo, s21, v16, vcc_lo
	v_add_co_u32 v15, vcc_lo, s12, v15
	v_add_co_ci_u32_e32 v16, vcc_lo, s13, v16, vcc_lo
	;; [unrolled: 2-line block ×4, first 2 shown]
	global_load_b32 v25, v[11:12], off
	global_load_b32 v26, v[13:14], off
	;; [unrolled: 1-line block ×6, first 2 shown]
	v_lshlrev_b64 v[11:12], 1, v[1:2]
	v_lshlrev_b64 v[13:14], 1, v[3:4]
	;; [unrolled: 1-line block ×4, first 2 shown]
	v_add3_u32 v1, s8, s16, v3
	v_add_co_u32 v8, vcc_lo, s18, v11
	v_add_co_u32 v11, s0, s18, v13
	v_add_co_ci_u32_e32 v9, vcc_lo, s19, v12, vcc_lo
	v_add_co_ci_u32_e64 v12, s0, s19, v14, s0
	v_add_co_u32 v3, s0, s18, v4
	s_delay_alu instid0(VALU_DEP_1) | instskip(SKIP_2) | instid1(VALU_DEP_1)
	v_add_co_ci_u32_e64 v4, s0, s19, v5, s0
	v_cmp_le_i32_e32 vcc_lo, s4, v1
	v_add_co_u32 v5, s0, s18, v6
	v_add_co_ci_u32_e64 v6, s0, s19, v7, s0
	s_or_b32 s5, vcc_lo, s5
	s_waitcnt vmcnt(6) lgkmcnt(0)
	v_fma_mixlo_f16 v7, -v10, v23, v24
	s_waitcnt vmcnt(4)
	v_fma_mixlo_f16 v13, -v10, v25, v26
	s_waitcnt vmcnt(2)
	;; [unrolled: 2-line block ×3, first 2 shown]
	v_fma_mixlo_f16 v15, -v10, v16, v17
	s_clause 0x3
	global_store_b16 v[8:9], v7, off
	global_store_b16 v[11:12], v13, off
	;; [unrolled: 1-line block ×4, first 2 shown]
	s_and_not1_b32 exec_lo, exec_lo, s5
	s_cbranch_execnz .LBB617_59
; %bb.60:
	s_or_b32 exec_lo, exec_lo, s5
.LBB617_61:
	s_delay_alu instid0(SALU_CYCLE_1) | instskip(NEXT) | instid1(SALU_CYCLE_1)
	s_or_b32 exec_lo, exec_lo, s1
	s_mov_b32 s1, exec_lo
	v_cmpx_gt_i32_e64 s10, v1
	s_cbranch_execz .LBB617_64
; %bb.62:
	s_mov_b32 s4, 0
	.p2align	6
.LBB617_63:                             ; =>This Inner Loop Header: Depth=1
	v_ashrrev_i32_e32 v2, 31, v1
	s_delay_alu instid0(VALU_DEP_1) | instskip(NEXT) | instid1(VALU_DEP_1)
	v_lshlrev_b64 v[3:4], 2, v[1:2]
	v_add_co_u32 v5, vcc_lo, s12, v3
	s_delay_alu instid0(VALU_DEP_2)
	v_add_co_ci_u32_e32 v6, vcc_lo, s13, v4, vcc_lo
	v_add_co_u32 v3, vcc_lo, s20, v3
	v_add_co_ci_u32_e32 v4, vcc_lo, s21, v4, vcc_lo
	global_load_b32 v5, v[5:6], off
	global_load_b32 v4, v[3:4], off
	v_lshlrev_b64 v[2:3], 1, v[1:2]
	v_add_nc_u32_e32 v1, s16, v1
	s_delay_alu instid0(VALU_DEP_1) | instskip(NEXT) | instid1(VALU_DEP_3)
	v_cmp_le_i32_e32 vcc_lo, s10, v1
	v_add_co_u32 v2, s0, s18, v2
	s_delay_alu instid0(VALU_DEP_1)
	v_add_co_ci_u32_e64 v3, s0, s19, v3, s0
	s_or_b32 s4, vcc_lo, s4
	s_waitcnt vmcnt(0) lgkmcnt(0)
	v_fma_mixlo_f16 v4, -v10, v4, v5
	global_store_b16 v[2:3], v4, off
	s_and_not1_b32 exec_lo, exec_lo, s4
	s_cbranch_execnz .LBB617_63
.LBB617_64:
	s_or_b32 exec_lo, exec_lo, s1
	s_mov_b32 s0, 0
.LBB617_65:
	s_delay_alu instid0(SALU_CYCLE_1)
	s_and_not1_b32 vcc_lo, exec_lo, s0
	s_cbranch_vccnz .LBB617_93
.LBB617_66:
	s_cmp_lg_u64 s[24:25], 0
	s_mov_b32 s4, -1
	s_cselect_b32 s1, -1, 0
	s_and_b32 vcc_lo, exec_lo, s14
	v_cndmask_b32_e64 v1, 0, 1, s1
	s_delay_alu instid0(VALU_DEP_1)
	v_cmp_ne_u32_e64 s0, 1, v1
	s_cbranch_vccz .LBB617_81
; %bb.67:
	v_mov_b32_e32 v1, 0
	s_delay_alu instid0(VALU_DEP_2)
	s_and_b32 vcc_lo, exec_lo, s0
	s_mov_b64 s[4:5], s[10:11]
	s_mov_b64 s[22:23], s[18:19]
	;; [unrolled: 1-line block ×4, first 2 shown]
	s_cbranch_vccnz .LBB617_71
; %bb.68:
	s_lshl_b32 s0, s24, 1
	s_mov_b32 s17, 0
	s_sub_u32 s0, s18, s0
	s_subb_u32 s6, s19, 0
	s_lshl_b32 s4, s24, 2
	s_delay_alu instid0(SALU_CYCLE_1)
	s_sub_u32 s7, s20, s4
	s_subb_u32 s14, s21, 0
	s_sub_u32 s8, s12, s4
	s_subb_u32 s9, s13, 0
	s_mov_b32 s4, exec_lo
	v_cmpx_le_u64_e64 s[24:25], v[0:1]
	s_cbranch_execz .LBB617_70
; %bb.69:
	v_lshlrev_b64 v[2:3], 2, v[0:1]
	s_delay_alu instid0(VALU_DEP_1) | instskip(NEXT) | instid1(VALU_DEP_2)
	v_add_co_u32 v4, vcc_lo, s8, v2
	v_add_co_ci_u32_e32 v5, vcc_lo, s9, v3, vcc_lo
	v_add_co_u32 v2, vcc_lo, s7, v2
	v_add_co_ci_u32_e32 v3, vcc_lo, s14, v3, vcc_lo
	global_load_b32 v4, v[4:5], off
	global_load_b32 v5, v[2:3], off
	v_lshlrev_b64 v[2:3], 1, v[0:1]
	s_delay_alu instid0(VALU_DEP_1) | instskip(NEXT) | instid1(VALU_DEP_2)
	v_add_co_u32 v2, vcc_lo, s0, v2
	v_add_co_ci_u32_e32 v3, vcc_lo, s6, v3, vcc_lo
	s_waitcnt vmcnt(0) lgkmcnt(0)
	v_fma_mixlo_f16 v4, -v10, v5, v4
	global_store_b16 v[2:3], v4, off
.LBB617_70:
	s_or_b32 exec_lo, exec_lo, s4
	s_add_u32 s4, s24, s10
	s_addc_u32 s5, 0, s11
	s_delay_alu instid0(SALU_CYCLE_1) | instskip(NEXT) | instid1(VALU_DEP_1)
	v_cmp_lt_i64_e64 s11, s[4:5], s[16:17]
	s_and_b32 s11, s11, exec_lo
	s_cselect_b32 s11, s4, s16
	s_cselect_b32 s17, s5, 0
	s_sub_u32 s4, s4, s11
	s_subb_u32 s5, s5, s17
	s_lshl_b32 s11, s16, 1
	s_delay_alu instid0(SALU_CYCLE_1) | instskip(SKIP_2) | instid1(SALU_CYCLE_1)
	s_add_u32 s22, s0, s11
	s_addc_u32 s23, s6, 0
	s_lshl_b32 s0, s16, 2
	s_add_u32 s6, s7, s0
	s_addc_u32 s7, s14, 0
	s_add_u32 s8, s8, s0
	s_addc_u32 s9, s9, 0
.LBB617_71:
	s_load_b32 s0, s[2:3], 0x0
	v_mov_b32_e32 v2, 0
	s_waitcnt lgkmcnt(0)
	s_cmp_lt_u32 s15, s0
	s_cselect_b32 s0, 12, 18
	s_delay_alu instid0(SALU_CYCLE_1)
	s_add_u32 s26, s2, s0
	s_addc_u32 s27, s3, 0
	global_load_u16 v2, v2, s[26:27]
	s_mov_b32 s26, 0
	s_mov_b32 s27, s5
	s_waitcnt vmcnt(0)
	v_readfirstlane_b32 s0, v2
	s_delay_alu instid0(VALU_DEP_1) | instskip(NEXT) | instid1(SALU_CYCLE_1)
	s_and_b32 s11, s0, 0xffff
	s_lshl_b32 s14, s11, 2
	s_cmp_lg_u64 s[26:27], 0
	s_cbranch_scc0 .LBB617_94
; %bb.72:
	v_cvt_f32_ubyte0_e32 v2, 0
	v_cvt_f32_u32_e32 v3, s14
	s_sub_u32 s25, 0, s14
	s_subb_u32 s27, 0, 0
	s_delay_alu instid0(VALU_DEP_1) | instskip(NEXT) | instid1(VALU_DEP_1)
	v_fmamk_f32 v2, v2, 0x4f800000, v3
	v_rcp_f32_e32 v2, v2
	s_waitcnt_depctr 0xfff
	v_mul_f32_e32 v2, 0x5f7ffffc, v2
	s_delay_alu instid0(VALU_DEP_1) | instskip(NEXT) | instid1(VALU_DEP_1)
	v_mul_f32_e32 v3, 0x2f800000, v2
	v_trunc_f32_e32 v3, v3
	s_delay_alu instid0(VALU_DEP_1) | instskip(SKIP_1) | instid1(VALU_DEP_2)
	v_fmamk_f32 v2, v3, 0xcf800000, v2
	v_cvt_u32_f32_e32 v3, v3
	v_cvt_u32_f32_e32 v2, v2
	s_delay_alu instid0(VALU_DEP_2) | instskip(NEXT) | instid1(VALU_DEP_2)
	v_readfirstlane_b32 s0, v3
	v_readfirstlane_b32 s17, v2
	s_delay_alu instid0(VALU_DEP_2) | instskip(NEXT) | instid1(VALU_DEP_1)
	s_mul_i32 s28, s25, s0
	s_mul_hi_u32 s30, s25, s17
	s_mul_i32 s29, s27, s17
	s_add_i32 s28, s30, s28
	s_mul_i32 s31, s25, s17
	s_add_i32 s28, s28, s29
	s_mul_hi_u32 s30, s17, s31
	s_mul_hi_u32 s33, s0, s31
	s_mul_i32 s29, s0, s31
	s_mul_hi_u32 s31, s17, s28
	s_mul_i32 s17, s17, s28
	s_mul_hi_u32 s34, s0, s28
	s_add_u32 s17, s30, s17
	s_addc_u32 s30, 0, s31
	s_add_u32 s17, s17, s29
	s_mul_i32 s28, s0, s28
	s_addc_u32 s17, s30, s33
	s_addc_u32 s29, s34, 0
	s_add_u32 s17, s17, s28
	s_addc_u32 s28, 0, s29
	v_add_co_u32 v2, s17, v2, s17
	s_delay_alu instid0(VALU_DEP_1) | instskip(SKIP_1) | instid1(VALU_DEP_1)
	s_cmp_lg_u32 s17, 0
	s_addc_u32 s0, s0, s28
	v_readfirstlane_b32 s17, v2
	s_mul_i32 s28, s25, s0
	s_delay_alu instid0(VALU_DEP_1)
	s_mul_hi_u32 s29, s25, s17
	s_mul_i32 s27, s27, s17
	s_add_i32 s28, s29, s28
	s_mul_i32 s25, s25, s17
	s_add_i32 s28, s28, s27
	s_mul_hi_u32 s29, s0, s25
	s_mul_i32 s30, s0, s25
	s_mul_hi_u32 s25, s17, s25
	s_mul_hi_u32 s31, s17, s28
	s_mul_i32 s17, s17, s28
	s_mul_hi_u32 s27, s0, s28
	s_add_u32 s17, s25, s17
	s_addc_u32 s25, 0, s31
	s_add_u32 s17, s17, s30
	s_mul_i32 s28, s0, s28
	s_addc_u32 s17, s25, s29
	s_addc_u32 s25, s27, 0
	s_add_u32 s17, s17, s28
	s_addc_u32 s25, 0, s25
	v_add_co_u32 v2, s17, v2, s17
	s_delay_alu instid0(VALU_DEP_1) | instskip(SKIP_2) | instid1(VALU_DEP_1)
	s_cmp_lg_u32 s17, 0
	s_addc_u32 s0, s0, s25
	s_ashr_i32 s28, s5, 31
	v_readfirstlane_b32 s17, v2
	s_add_u32 s30, s4, s28
	s_mov_b32 s29, s28
	s_addc_u32 s31, s5, s28
	s_delay_alu instid0(SALU_CYCLE_1) | instskip(NEXT) | instid1(SALU_CYCLE_1)
	s_xor_b64 s[30:31], s[30:31], s[28:29]
	s_mul_i32 s27, s30, s0
	s_mul_hi_u32 s29, s30, s17
	s_mul_hi_u32 s25, s30, s0
	;; [unrolled: 1-line block ×3, first 2 shown]
	s_mul_i32 s17, s31, s17
	s_add_u32 s27, s29, s27
	s_addc_u32 s25, 0, s25
	s_mul_hi_u32 s33, s31, s0
	s_add_u32 s17, s27, s17
	s_mul_i32 s0, s31, s0
	s_addc_u32 s17, s25, s34
	s_addc_u32 s25, s33, 0
	s_add_u32 s0, s17, s0
	s_addc_u32 s17, 0, s25
	s_mul_hi_u32 s25, s14, s0
	s_mul_i32 s0, s14, s0
	s_mul_i32 s17, s14, s17
	v_sub_co_u32 v2, s0, s30, s0
	s_add_i32 s25, s25, s17
	s_cmp_lg_u32 s0, 0
	s_delay_alu instid0(VALU_DEP_1) | instskip(SKIP_2) | instid1(VALU_DEP_1)
	v_sub_co_u32 v3, s0, v2, s14
	s_subb_u32 s17, s31, s25
	s_cmp_lg_u32 s0, 0
	v_cmp_le_u32_e32 vcc_lo, s14, v3
	v_sub_co_u32 v4, s0, v3, s14
	s_subb_u32 s25, s17, 0
	s_cmp_lg_u32 s0, 0
	v_cndmask_b32_e64 v5, 0, -1, vcc_lo
	s_subb_u32 s0, s25, 0
	s_cmp_eq_u32 s25, 0
	v_mov_b32_e32 v7, s0
	s_cselect_b32 vcc_lo, -1, 0
	s_cmp_eq_u32 s17, 0
	v_cndmask_b32_e32 v5, -1, v5, vcc_lo
	v_cmp_le_u32_e32 vcc_lo, s14, v2
	s_cselect_b32 s0, -1, 0
	v_cndmask_b32_e64 v6, 0, -1, vcc_lo
	s_delay_alu instid0(VALU_DEP_3) | instskip(NEXT) | instid1(VALU_DEP_2)
	v_cmp_ne_u32_e32 vcc_lo, 0, v5
	v_cndmask_b32_e64 v5, -1, v6, s0
	v_cndmask_b32_e32 v6, s25, v7, vcc_lo
	v_cndmask_b32_e32 v3, v3, v4, vcc_lo
	s_delay_alu instid0(VALU_DEP_3) | instskip(NEXT) | instid1(VALU_DEP_2)
	v_cmp_ne_u32_e32 vcc_lo, 0, v5
	v_cndmask_b32_e32 v2, v2, v3, vcc_lo
	s_delay_alu instid0(VALU_DEP_4) | instskip(NEXT) | instid1(VALU_DEP_2)
	v_cndmask_b32_e32 v4, s17, v6, vcc_lo
	v_xor_b32_e32 v2, s28, v2
	s_delay_alu instid0(VALU_DEP_2) | instskip(NEXT) | instid1(VALU_DEP_2)
	v_xor_b32_e32 v3, s28, v4
	v_sub_co_u32 v2, vcc_lo, v2, s28
	s_delay_alu instid0(VALU_DEP_2)
	v_subrev_co_ci_u32_e32 v3, vcc_lo, s28, v3, vcc_lo
	s_and_not1_b32 vcc_lo, exec_lo, s26
	s_cbranch_vccnz .LBB617_74
.LBB617_73:
	v_cvt_f32_u32_e32 v2, s14
	s_sub_i32 s0, 0, s14
	s_delay_alu instid0(VALU_DEP_1) | instskip(SKIP_2) | instid1(VALU_DEP_1)
	v_rcp_iflag_f32_e32 v2, v2
	s_waitcnt_depctr 0xfff
	v_mul_f32_e32 v2, 0x4f7ffffe, v2
	v_cvt_u32_f32_e32 v2, v2
	s_delay_alu instid0(VALU_DEP_1) | instskip(NEXT) | instid1(VALU_DEP_1)
	v_mul_lo_u32 v3, s0, v2
	v_mul_hi_u32 v3, v2, v3
	s_delay_alu instid0(VALU_DEP_1) | instskip(NEXT) | instid1(VALU_DEP_1)
	v_add_nc_u32_e32 v2, v2, v3
	v_mul_hi_u32 v2, s4, v2
	s_delay_alu instid0(VALU_DEP_1) | instskip(NEXT) | instid1(VALU_DEP_1)
	v_mul_lo_u32 v2, v2, s14
	v_sub_nc_u32_e32 v2, s4, v2
	s_delay_alu instid0(VALU_DEP_1) | instskip(SKIP_1) | instid1(VALU_DEP_2)
	v_subrev_nc_u32_e32 v3, s14, v2
	v_cmp_le_u32_e32 vcc_lo, s14, v2
	v_cndmask_b32_e32 v2, v2, v3, vcc_lo
	s_delay_alu instid0(VALU_DEP_1) | instskip(SKIP_1) | instid1(VALU_DEP_2)
	v_subrev_nc_u32_e32 v3, s14, v2
	v_cmp_le_u32_e32 vcc_lo, s14, v2
	v_dual_cndmask_b32 v2, v2, v3 :: v_dual_mov_b32 v3, 0
.LBB617_74:
	s_delay_alu instid0(VALU_DEP_1) | instskip(SKIP_1) | instid1(VALU_DEP_3)
	v_sub_co_u32 v2, vcc_lo, s4, v2
	v_lshlrev_b64 v[4:5], 2, v[0:1]
	v_sub_co_ci_u32_e32 v3, vcc_lo, s5, v3, vcc_lo
	s_mov_b32 s17, exec_lo
	s_delay_alu instid0(VALU_DEP_1)
	v_cmpx_lt_i64_e64 v[4:5], v[2:3]
	s_cbranch_execz .LBB617_77
; %bb.75:
	v_lshlrev_b64 v[4:5], 3, v[0:1]
	v_dual_mov_b32 v9, v1 :: v_dual_mov_b32 v8, v0
	s_lshl_b32 s25, s11, 3
	s_mov_b32 s30, 0
	s_lshl_b32 s31, s11, 4
	s_delay_alu instid0(VALU_DEP_2) | instskip(SKIP_2) | instid1(VALU_DEP_3)
	v_add_co_u32 v6, vcc_lo, v4, s22
	v_add_co_ci_u32_e32 v7, vcc_lo, s23, v5, vcc_lo
	v_lshlrev_b64 v[4:5], 4, v[0:1]
	v_add_co_u32 v6, vcc_lo, v6, 4
	s_delay_alu instid0(VALU_DEP_3)
	v_add_co_ci_u32_e32 v7, vcc_lo, 0, v7, vcc_lo
	s_mov_b64 s[26:27], s[8:9]
	s_mov_b64 s[28:29], s[6:7]
	s_set_inst_prefetch_distance 0x1
	.p2align	6
.LBB617_76:                             ; =>This Inner Loop Header: Depth=1
	v_add_co_u32 v11, vcc_lo, s28, v4
	v_add_co_ci_u32_e32 v12, vcc_lo, s29, v5, vcc_lo
	v_add_co_u32 v15, vcc_lo, s26, v4
	v_add_co_ci_u32_e32 v16, vcc_lo, s27, v5, vcc_lo
	v_add_co_u32 v8, vcc_lo, v8, s11
	global_load_b128 v[11:14], v[11:12], off
	global_load_b128 v[15:18], v[15:16], off
	v_add_co_ci_u32_e32 v9, vcc_lo, 0, v9, vcc_lo
	s_add_u32 s28, s28, s31
	s_addc_u32 s29, s29, 0
	s_add_u32 s26, s26, s31
	s_delay_alu instid0(VALU_DEP_1) | instskip(SKIP_1) | instid1(VALU_DEP_1)
	v_lshlrev_b64 v[19:20], 2, v[8:9]
	s_addc_u32 s27, s27, 0
	v_cmp_ge_i64_e32 vcc_lo, v[19:20], v[2:3]
	s_or_b32 s30, vcc_lo, s30
	s_waitcnt vmcnt(0)
	v_fma_mixlo_f16 v20, -v10, v13, v17
	v_fma_mixlo_f16 v19, -v10, v11, v15
	s_delay_alu instid0(VALU_DEP_2) | instskip(NEXT) | instid1(VALU_DEP_2)
	v_fma_mixhi_f16 v20, -v10, v14, v18
	v_fma_mixhi_f16 v19, -v10, v12, v16
	global_store_b64 v[6:7], v[19:20], off offset:-4
	v_add_co_u32 v6, s0, v6, s25
	s_delay_alu instid0(VALU_DEP_1)
	v_add_co_ci_u32_e64 v7, s0, 0, v7, s0
	s_and_not1_b32 exec_lo, exec_lo, s30
	s_cbranch_execnz .LBB617_76
.LBB617_77:
	s_set_inst_prefetch_distance 0x2
	s_or_b32 exec_lo, exec_lo, s17
	v_add_co_u32 v1, vcc_lo, v2, v0
	v_add_co_ci_u32_e32 v2, vcc_lo, 0, v3, vcc_lo
	s_mov_b32 s17, exec_lo
	s_delay_alu instid0(VALU_DEP_1)
	v_cmpx_gt_i64_e64 s[4:5], v[1:2]
	s_cbranch_execz .LBB617_80
; %bb.78:
	v_lshlrev_b64 v[5:6], 1, v[1:2]
	v_lshlrev_b64 v[3:4], 2, v[1:2]
	s_delay_alu instid0(VALU_DEP_2) | instskip(NEXT) | instid1(VALU_DEP_3)
	v_add_co_u32 v5, vcc_lo, s22, v5
	v_add_co_ci_u32_e32 v6, vcc_lo, s23, v6, vcc_lo
	s_lshl_b32 s22, s11, 1
	s_mov_b32 s23, 0
	.p2align	6
.LBB617_79:                             ; =>This Inner Loop Header: Depth=1
	s_delay_alu instid0(VALU_DEP_3)
	v_add_co_u32 v7, vcc_lo, s8, v3
	v_add_co_ci_u32_e32 v8, vcc_lo, s9, v4, vcc_lo
	v_add_co_u32 v11, vcc_lo, s6, v3
	v_add_co_ci_u32_e32 v12, vcc_lo, s7, v4, vcc_lo
	v_add_co_u32 v1, vcc_lo, v1, s11
	global_load_b32 v7, v[7:8], off
	global_load_b32 v8, v[11:12], off
	v_add_co_ci_u32_e32 v2, vcc_lo, 0, v2, vcc_lo
	v_add_co_u32 v3, vcc_lo, v3, s14
	v_add_co_ci_u32_e32 v4, vcc_lo, 0, v4, vcc_lo
	s_delay_alu instid0(VALU_DEP_3)
	v_cmp_le_i64_e32 vcc_lo, s[4:5], v[1:2]
	s_or_b32 s23, vcc_lo, s23
	s_waitcnt vmcnt(0)
	v_fma_mixlo_f16 v7, -v10, v8, v7
	global_store_b16 v[5:6], v7, off
	v_add_co_u32 v5, s0, v5, s22
	s_delay_alu instid0(VALU_DEP_1)
	v_add_co_ci_u32_e64 v6, s0, 0, v6, s0
	s_and_not1_b32 exec_lo, exec_lo, s23
	s_cbranch_execnz .LBB617_79
.LBB617_80:
	s_or_b32 exec_lo, exec_lo, s17
	s_mov_b32 s4, 0
.LBB617_81:
	s_delay_alu instid0(SALU_CYCLE_1)
	s_and_b32 vcc_lo, exec_lo, s4
	s_cbranch_vccz .LBB617_93
; %bb.82:
	s_and_not1_b32 vcc_lo, exec_lo, s1
	s_cbranch_vccnz .LBB617_86
; %bb.83:
	s_lshl_b32 s0, s24, 1
	s_mov_b32 s8, exec_lo
	s_sub_u32 s5, s18, s0
	s_subb_u32 s6, s19, 0
	s_lshl_b32 s1, s24, 2
	s_delay_alu instid0(SALU_CYCLE_1)
	s_sub_u32 s0, s20, s1
	s_subb_u32 s7, s21, 0
	s_sub_u32 s1, s12, s1
	s_subb_u32 s4, s13, 0
	v_cmpx_le_u32_e64 s24, v0
	s_cbranch_execz .LBB617_85
; %bb.84:
	v_mov_b32_e32 v1, 0
	s_delay_alu instid0(VALU_DEP_1) | instskip(NEXT) | instid1(VALU_DEP_1)
	v_lshlrev_b64 v[2:3], 2, v[0:1]
	v_add_co_u32 v4, vcc_lo, s1, v2
	s_delay_alu instid0(VALU_DEP_2)
	v_add_co_ci_u32_e32 v5, vcc_lo, s4, v3, vcc_lo
	v_add_co_u32 v2, vcc_lo, s0, v2
	v_add_co_ci_u32_e32 v3, vcc_lo, s7, v3, vcc_lo
	global_load_b32 v4, v[4:5], off
	global_load_b32 v3, v[2:3], off
	v_lshlrev_b64 v[1:2], 1, v[0:1]
	s_delay_alu instid0(VALU_DEP_1) | instskip(NEXT) | instid1(VALU_DEP_2)
	v_add_co_u32 v1, vcc_lo, s5, v1
	v_add_co_ci_u32_e32 v2, vcc_lo, s6, v2, vcc_lo
	s_waitcnt vmcnt(0) lgkmcnt(0)
	v_fma_mixlo_f16 v3, -v10, v3, v4
	global_store_b16 v[1:2], v3, off
.LBB617_85:
	s_or_b32 exec_lo, exec_lo, s8
	s_add_i32 s8, s24, s10
	s_lshl_b32 s9, s16, 1
	v_sub_nc_u32_e64 v1, s8, s16 clamp
	s_add_u32 s18, s5, s9
	s_addc_u32 s19, s6, 0
	s_lshl_b32 s5, s16, 2
	s_delay_alu instid0(SALU_CYCLE_1)
	s_add_u32 s20, s0, s5
	v_readfirstlane_b32 s10, v1
	s_addc_u32 s21, s7, 0
	s_add_u32 s12, s1, s5
	s_addc_u32 s13, s4, 0
.LBB617_86:
	s_load_b32 s0, s[2:3], 0x0
	v_mov_b32_e32 v1, 0
	s_waitcnt lgkmcnt(0)
	s_cmp_lt_u32 s15, s0
	s_cselect_b32 s0, 12, 18
	s_delay_alu instid0(SALU_CYCLE_1) | instskip(SKIP_4) | instid1(VALU_DEP_1)
	s_add_u32 s0, s2, s0
	s_addc_u32 s1, s3, 0
	global_load_u16 v3, v1, s[0:1]
	s_waitcnt vmcnt(0)
	v_readfirstlane_b32 s0, v3
	s_lshl_b32 s0, s0, 2
	s_delay_alu instid0(SALU_CYCLE_1) | instskip(SKIP_1) | instid1(VALU_DEP_1)
	v_cvt_f32_u32_e32 v1, s0
	s_sub_i32 s2, 0, s0
	v_rcp_iflag_f32_e32 v1, v1
	s_waitcnt_depctr 0xfff
	v_mul_f32_e32 v1, 0x4f7ffffe, v1
	s_delay_alu instid0(VALU_DEP_1) | instskip(NEXT) | instid1(VALU_DEP_1)
	v_cvt_u32_f32_e32 v1, v1
	v_readfirstlane_b32 s1, v1
	v_lshlrev_b32_e32 v1, 2, v0
	s_delay_alu instid0(VALU_DEP_2) | instskip(NEXT) | instid1(SALU_CYCLE_1)
	s_mul_i32 s2, s2, s1
	s_mul_hi_u32 s2, s1, s2
	s_delay_alu instid0(SALU_CYCLE_1) | instskip(NEXT) | instid1(SALU_CYCLE_1)
	s_add_i32 s1, s1, s2
	s_mul_hi_u32 s1, s10, s1
	s_delay_alu instid0(SALU_CYCLE_1) | instskip(NEXT) | instid1(SALU_CYCLE_1)
	s_mul_i32 s1, s1, s0
	s_sub_i32 s1, s10, s1
	s_delay_alu instid0(SALU_CYCLE_1) | instskip(SKIP_2) | instid1(SALU_CYCLE_1)
	s_sub_i32 s2, s1, s0
	s_cmp_ge_u32 s1, s0
	s_cselect_b32 s1, s2, s1
	s_sub_i32 s2, s1, s0
	s_cmp_ge_u32 s1, s0
	s_cselect_b32 s0, s2, s1
	s_mov_b32 s2, 0
	s_sub_i32 s0, s10, s0
	s_mov_b32 s1, exec_lo
	v_cmpx_gt_i32_e64 s0, v1
	s_cbranch_execz .LBB617_89
; %bb.87:
	v_mov_b32_e32 v1, v0
	s_set_inst_prefetch_distance 0x1
	.p2align	6
.LBB617_88:                             ; =>This Inner Loop Header: Depth=1
	s_delay_alu instid0(VALU_DEP_1) | instskip(NEXT) | instid1(VALU_DEP_1)
	v_ashrrev_i32_e32 v2, 31, v1
	v_lshlrev_b64 v[4:5], 4, v[1:2]
	s_delay_alu instid0(VALU_DEP_1) | instskip(NEXT) | instid1(VALU_DEP_2)
	v_add_co_u32 v6, vcc_lo, s20, v4
	v_add_co_ci_u32_e32 v7, vcc_lo, s21, v5, vcc_lo
	v_add_co_u32 v8, vcc_lo, s12, v4
	v_add_co_ci_u32_e32 v9, vcc_lo, s13, v5, vcc_lo
	global_load_b128 v[4:7], v[6:7], off
	global_load_b128 v[11:14], v[8:9], off
	v_lshlrev_b64 v[8:9], 3, v[1:2]
	v_add_nc_u32_e32 v1, v1, v3
	s_delay_alu instid0(VALU_DEP_1) | instskip(NEXT) | instid1(VALU_DEP_3)
	v_lshlrev_b32_e32 v2, 2, v1
	v_add_co_u32 v8, vcc_lo, s18, v8
	s_delay_alu instid0(VALU_DEP_4) | instskip(NEXT) | instid1(VALU_DEP_3)
	v_add_co_ci_u32_e32 v9, vcc_lo, s19, v9, vcc_lo
	v_cmp_le_i32_e32 vcc_lo, s0, v2
	s_or_b32 s2, vcc_lo, s2
	s_waitcnt vmcnt(0)
	v_fma_mixlo_f16 v15, -v10, v4, v11
	v_fma_mixlo_f16 v16, -v10, v6, v13
	s_delay_alu instid0(VALU_DEP_2) | instskip(NEXT) | instid1(VALU_DEP_2)
	v_fma_mixhi_f16 v15, -v10, v5, v12
	v_fma_mixhi_f16 v16, -v10, v7, v14
	global_store_b64 v[8:9], v[15:16], off
	s_and_not1_b32 exec_lo, exec_lo, s2
	s_cbranch_execnz .LBB617_88
.LBB617_89:
	s_set_inst_prefetch_distance 0x2
	s_or_b32 exec_lo, exec_lo, s1
	v_add_nc_u32_e32 v0, s0, v0
	s_mov_b32 s0, exec_lo
	s_delay_alu instid0(VALU_DEP_1)
	v_cmpx_gt_i32_e64 s10, v0
	s_cbranch_execz .LBB617_93
; %bb.90:
	s_mov_b32 s1, 0
	.p2align	6
.LBB617_91:                             ; =>This Inner Loop Header: Depth=1
	v_ashrrev_i32_e32 v1, 31, v0
	s_delay_alu instid0(VALU_DEP_1) | instskip(SKIP_2) | instid1(VALU_DEP_3)
	v_lshlrev_b64 v[4:5], 2, v[0:1]
	v_lshlrev_b64 v[1:2], 1, v[0:1]
	v_add_nc_u32_e32 v0, v0, v3
	v_add_co_u32 v6, vcc_lo, s12, v4
	s_delay_alu instid0(VALU_DEP_4)
	v_add_co_ci_u32_e32 v7, vcc_lo, s13, v5, vcc_lo
	v_add_co_u32 v4, vcc_lo, s20, v4
	v_add_co_ci_u32_e32 v5, vcc_lo, s21, v5, vcc_lo
	v_cmp_le_i32_e32 vcc_lo, s10, v0
	global_load_b32 v6, v[6:7], off
	global_load_b32 v4, v[4:5], off
	v_add_co_u32 v1, s0, s18, v1
	s_delay_alu instid0(VALU_DEP_1)
	v_add_co_ci_u32_e64 v2, s0, s19, v2, s0
	s_or_b32 s1, vcc_lo, s1
	s_waitcnt vmcnt(0)
	v_fma_mixlo_f16 v4, -v10, v4, v6
	global_store_b16 v[1:2], v4, off
	s_and_not1_b32 exec_lo, exec_lo, s1
	s_cbranch_execnz .LBB617_91
	s_branch .LBB617_93
.LBB617_92:
	s_cbranch_execz .LBB617_66
.LBB617_93:
	s_nop 0
	s_sendmsg sendmsg(MSG_DEALLOC_VGPRS)
	s_endpgm
.LBB617_94:
                                        ; implicit-def: $vgpr2_vgpr3
	s_branch .LBB617_73
	.section	.rodata,"a",@progbits
	.p2align	6, 0x0
	.amdhsa_kernel _ZN2at6native12_GLOBAL__N_120cunn_SoftMaxBackwardILi4EN3c104HalfEffNS1_23SoftMaxBackwardEpilogueEEEvPT0_PKT2_SA_l
		.amdhsa_group_segment_fixed_size 0
		.amdhsa_private_segment_fixed_size 0
		.amdhsa_kernarg_size 288
		.amdhsa_user_sgpr_count 15
		.amdhsa_user_sgpr_dispatch_ptr 0
		.amdhsa_user_sgpr_queue_ptr 0
		.amdhsa_user_sgpr_kernarg_segment_ptr 1
		.amdhsa_user_sgpr_dispatch_id 0
		.amdhsa_user_sgpr_private_segment_size 0
		.amdhsa_wavefront_size32 1
		.amdhsa_uses_dynamic_stack 0
		.amdhsa_enable_private_segment 0
		.amdhsa_system_sgpr_workgroup_id_x 1
		.amdhsa_system_sgpr_workgroup_id_y 0
		.amdhsa_system_sgpr_workgroup_id_z 0
		.amdhsa_system_sgpr_workgroup_info 0
		.amdhsa_system_vgpr_workitem_id 0
		.amdhsa_next_free_vgpr 27
		.amdhsa_next_free_sgpr 54
		.amdhsa_reserve_vcc 1
		.amdhsa_float_round_mode_32 0
		.amdhsa_float_round_mode_16_64 0
		.amdhsa_float_denorm_mode_32 3
		.amdhsa_float_denorm_mode_16_64 3
		.amdhsa_dx10_clamp 1
		.amdhsa_ieee_mode 1
		.amdhsa_fp16_overflow 0
		.amdhsa_workgroup_processor_mode 1
		.amdhsa_memory_ordered 1
		.amdhsa_forward_progress 0
		.amdhsa_shared_vgpr_count 0
		.amdhsa_exception_fp_ieee_invalid_op 0
		.amdhsa_exception_fp_denorm_src 0
		.amdhsa_exception_fp_ieee_div_zero 0
		.amdhsa_exception_fp_ieee_overflow 0
		.amdhsa_exception_fp_ieee_underflow 0
		.amdhsa_exception_fp_ieee_inexact 0
		.amdhsa_exception_int_div_zero 0
	.end_amdhsa_kernel
	.section	.text._ZN2at6native12_GLOBAL__N_120cunn_SoftMaxBackwardILi4EN3c104HalfEffNS1_23SoftMaxBackwardEpilogueEEEvPT0_PKT2_SA_l,"axG",@progbits,_ZN2at6native12_GLOBAL__N_120cunn_SoftMaxBackwardILi4EN3c104HalfEffNS1_23SoftMaxBackwardEpilogueEEEvPT0_PKT2_SA_l,comdat
.Lfunc_end617:
	.size	_ZN2at6native12_GLOBAL__N_120cunn_SoftMaxBackwardILi4EN3c104HalfEffNS1_23SoftMaxBackwardEpilogueEEEvPT0_PKT2_SA_l, .Lfunc_end617-_ZN2at6native12_GLOBAL__N_120cunn_SoftMaxBackwardILi4EN3c104HalfEffNS1_23SoftMaxBackwardEpilogueEEEvPT0_PKT2_SA_l
                                        ; -- End function
	.section	.AMDGPU.csdata,"",@progbits
; Kernel info:
; codeLenInByte = 6856
; NumSgprs: 56
; NumVgprs: 27
; ScratchSize: 0
; MemoryBound: 0
; FloatMode: 240
; IeeeMode: 1
; LDSByteSize: 0 bytes/workgroup (compile time only)
; SGPRBlocks: 6
; VGPRBlocks: 3
; NumSGPRsForWavesPerEU: 56
; NumVGPRsForWavesPerEU: 27
; Occupancy: 16
; WaveLimiterHint : 0
; COMPUTE_PGM_RSRC2:SCRATCH_EN: 0
; COMPUTE_PGM_RSRC2:USER_SGPR: 15
; COMPUTE_PGM_RSRC2:TRAP_HANDLER: 0
; COMPUTE_PGM_RSRC2:TGID_X_EN: 1
; COMPUTE_PGM_RSRC2:TGID_Y_EN: 0
; COMPUTE_PGM_RSRC2:TGID_Z_EN: 0
; COMPUTE_PGM_RSRC2:TIDIG_COMP_CNT: 0
	.section	.text._ZN12_GLOBAL__N_121softmax_warp_backwardIN3c108BFloat16ES2_fLi0ELb0ELb0ELi64EEEvPT0_PKT_S7_iiiPKb,"axG",@progbits,_ZN12_GLOBAL__N_121softmax_warp_backwardIN3c108BFloat16ES2_fLi0ELb0ELb0ELi64EEEvPT0_PKT_S7_iiiPKb,comdat
	.globl	_ZN12_GLOBAL__N_121softmax_warp_backwardIN3c108BFloat16ES2_fLi0ELb0ELb0ELi64EEEvPT0_PKT_S7_iiiPKb ; -- Begin function _ZN12_GLOBAL__N_121softmax_warp_backwardIN3c108BFloat16ES2_fLi0ELb0ELb0ELi64EEEvPT0_PKT_S7_iiiPKb
	.p2align	8
	.type	_ZN12_GLOBAL__N_121softmax_warp_backwardIN3c108BFloat16ES2_fLi0ELb0ELb0ELi64EEEvPT0_PKT_S7_iiiPKb,@function
_ZN12_GLOBAL__N_121softmax_warp_backwardIN3c108BFloat16ES2_fLi0ELb0ELb0ELi64EEEvPT0_PKT_S7_iiiPKb: ; @_ZN12_GLOBAL__N_121softmax_warp_backwardIN3c108BFloat16ES2_fLi0ELb0ELb0ELi64EEEvPT0_PKT_S7_iiiPKb
; %bb.0:
	s_clause 0x1
	s_load_b32 s2, s[0:1], 0x3c
	s_load_b128 s[4:7], s[0:1], 0x18
	v_bfe_u32 v0, v0, 10, 10
	s_load_b128 s[8:11], s[0:1], 0x0
	v_dual_mov_b32 v7, 0 :: v_dual_mov_b32 v8, 0
	v_mov_b32_e32 v9, 0
	s_waitcnt lgkmcnt(0)
	s_lshr_b32 s2, s2, 16
	s_cmp_gt_i32 s6, 0
	s_mul_i32 s15, s15, s2
	s_load_b64 s[2:3], s[0:1], 0x10
	v_add_lshl_u32 v2, s15, v0, 1
	s_cselect_b32 s1, -1, 0
	s_delay_alu instid0(VALU_DEP_1) | instskip(SKIP_1) | instid1(VALU_DEP_1)
	v_mul_lo_u32 v0, v2, s5
	v_sub_nc_u32_e32 v6, s4, v2
	v_cmp_lt_i32_e32 vcc_lo, 0, v6
	s_delay_alu instid0(VALU_DEP_3) | instskip(NEXT) | instid1(VALU_DEP_1)
	v_ashrrev_i32_e32 v1, 31, v0
	v_lshlrev_b64 v[0:1], 1, v[0:1]
	s_delay_alu instid0(VALU_DEP_1) | instskip(NEXT) | instid1(VALU_DEP_1)
	v_add_co_u32 v2, s0, s10, v0
	v_add_co_ci_u32_e64 v3, s0, s11, v1, s0
	s_waitcnt lgkmcnt(0)
	v_add_co_u32 v4, s0, s2, v0
	s_delay_alu instid0(VALU_DEP_1) | instskip(SKIP_1) | instid1(SALU_CYCLE_1)
	v_add_co_ci_u32_e64 v5, s0, s3, v1, s0
	s_and_b32 s2, s1, vcc_lo
	s_and_saveexec_b32 s0, s2
	s_cbranch_execz .LBB618_2
; %bb.1:
	global_load_u16 v8, v[4:5], off
	global_load_u16 v9, v[2:3], off
	s_waitcnt vmcnt(1)
	v_lshlrev_b32_e32 v8, 16, v8
	s_waitcnt vmcnt(0)
	v_lshlrev_b32_e32 v9, 16, v9
.LBB618_2:
	s_or_b32 exec_lo, exec_lo, s0
	v_cmp_lt_i32_e64 s0, 1, v6
	v_mov_b32_e32 v10, 0
	s_mov_b32 s7, 0
	s_delay_alu instid0(VALU_DEP_2) | instskip(NEXT) | instid1(SALU_CYCLE_1)
	s_and_b32 s0, s1, s0
	s_and_saveexec_b32 s2, s0
	s_cbranch_execz .LBB618_4
; %bb.3:
	s_lshl_b64 s[4:5], s[6:7], 1
	s_delay_alu instid0(SALU_CYCLE_1) | instskip(NEXT) | instid1(VALU_DEP_1)
	v_add_co_u32 v4, s0, v4, s4
	v_add_co_ci_u32_e64 v5, s0, s5, v5, s0
	v_add_co_u32 v2, s0, v2, s4
	s_delay_alu instid0(VALU_DEP_1)
	v_add_co_ci_u32_e64 v3, s0, s5, v3, s0
	global_load_u16 v4, v[4:5], off
	global_load_u16 v2, v[2:3], off
	s_waitcnt vmcnt(1)
	v_lshlrev_b32_e32 v7, 16, v4
	s_waitcnt vmcnt(0)
	v_lshlrev_b32_e32 v10, 16, v2
.LBB618_4:
	s_or_b32 exec_lo, exec_lo, s2
	s_and_saveexec_b32 s0, vcc_lo
	s_cbranch_execz .LBB618_10
; %bb.5:
	v_add_co_u32 v0, vcc_lo, s8, v0
	v_cndmask_b32_e64 v2, 0, 1, s1
	v_add_co_ci_u32_e32 v1, vcc_lo, s9, v1, vcc_lo
	s_and_not1_b32 vcc_lo, exec_lo, s1
	s_cbranch_vccnz .LBB618_7
; %bb.6:
	v_add_f32_e32 v3, 0, v9
	s_delay_alu instid0(VALU_DEP_1) | instskip(NEXT) | instid1(VALU_DEP_1)
	v_fma_f32 v3, -v3, v8, v9
	v_bfe_u32 v4, v3, 16, 1
	v_cmp_o_f32_e32 vcc_lo, v3, v3
	s_delay_alu instid0(VALU_DEP_2) | instskip(NEXT) | instid1(VALU_DEP_1)
	v_add3_u32 v4, v3, v4, 0x7fff
	v_lshrrev_b32_e32 v4, 16, v4
	s_delay_alu instid0(VALU_DEP_1)
	v_cndmask_b32_e32 v3, 0x7fc0, v4, vcc_lo
	global_store_b16 v[0:1], v3, off
.LBB618_7:
	v_cmp_ne_u32_e32 vcc_lo, 1, v6
	s_and_b32 exec_lo, exec_lo, vcc_lo
	s_cbranch_execz .LBB618_10
; %bb.8:
	v_cmp_ne_u32_e32 vcc_lo, 1, v2
	s_cbranch_vccnz .LBB618_10
; %bb.9:
	v_add_f32_e32 v2, 0, v10
	s_lshl_b64 s[0:1], s[6:7], 1
	s_delay_alu instid0(VALU_DEP_1) | instskip(NEXT) | instid1(VALU_DEP_1)
	v_fma_f32 v2, -v2, v7, v10
	v_bfe_u32 v3, v2, 16, 1
	v_cmp_o_f32_e32 vcc_lo, v2, v2
	s_delay_alu instid0(VALU_DEP_2) | instskip(NEXT) | instid1(VALU_DEP_1)
	v_add3_u32 v3, v2, v3, 0x7fff
	v_lshrrev_b32_e32 v3, 16, v3
	s_delay_alu instid0(VALU_DEP_1)
	v_cndmask_b32_e32 v2, 0x7fc0, v3, vcc_lo
	v_add_co_u32 v0, vcc_lo, v0, s0
	v_add_co_ci_u32_e32 v1, vcc_lo, s1, v1, vcc_lo
	global_store_b16 v[0:1], v2, off
.LBB618_10:
	s_nop 0
	s_sendmsg sendmsg(MSG_DEALLOC_VGPRS)
	s_endpgm
	.section	.rodata,"a",@progbits
	.p2align	6, 0x0
	.amdhsa_kernel _ZN12_GLOBAL__N_121softmax_warp_backwardIN3c108BFloat16ES2_fLi0ELb0ELb0ELi64EEEvPT0_PKT_S7_iiiPKb
		.amdhsa_group_segment_fixed_size 0
		.amdhsa_private_segment_fixed_size 0
		.amdhsa_kernarg_size 304
		.amdhsa_user_sgpr_count 15
		.amdhsa_user_sgpr_dispatch_ptr 0
		.amdhsa_user_sgpr_queue_ptr 0
		.amdhsa_user_sgpr_kernarg_segment_ptr 1
		.amdhsa_user_sgpr_dispatch_id 0
		.amdhsa_user_sgpr_private_segment_size 0
		.amdhsa_wavefront_size32 1
		.amdhsa_uses_dynamic_stack 0
		.amdhsa_enable_private_segment 0
		.amdhsa_system_sgpr_workgroup_id_x 1
		.amdhsa_system_sgpr_workgroup_id_y 0
		.amdhsa_system_sgpr_workgroup_id_z 0
		.amdhsa_system_sgpr_workgroup_info 0
		.amdhsa_system_vgpr_workitem_id 1
		.amdhsa_next_free_vgpr 11
		.amdhsa_next_free_sgpr 16
		.amdhsa_reserve_vcc 1
		.amdhsa_float_round_mode_32 0
		.amdhsa_float_round_mode_16_64 0
		.amdhsa_float_denorm_mode_32 3
		.amdhsa_float_denorm_mode_16_64 3
		.amdhsa_dx10_clamp 1
		.amdhsa_ieee_mode 1
		.amdhsa_fp16_overflow 0
		.amdhsa_workgroup_processor_mode 1
		.amdhsa_memory_ordered 1
		.amdhsa_forward_progress 0
		.amdhsa_shared_vgpr_count 0
		.amdhsa_exception_fp_ieee_invalid_op 0
		.amdhsa_exception_fp_denorm_src 0
		.amdhsa_exception_fp_ieee_div_zero 0
		.amdhsa_exception_fp_ieee_overflow 0
		.amdhsa_exception_fp_ieee_underflow 0
		.amdhsa_exception_fp_ieee_inexact 0
		.amdhsa_exception_int_div_zero 0
	.end_amdhsa_kernel
	.section	.text._ZN12_GLOBAL__N_121softmax_warp_backwardIN3c108BFloat16ES2_fLi0ELb0ELb0ELi64EEEvPT0_PKT_S7_iiiPKb,"axG",@progbits,_ZN12_GLOBAL__N_121softmax_warp_backwardIN3c108BFloat16ES2_fLi0ELb0ELb0ELi64EEEvPT0_PKT_S7_iiiPKb,comdat
.Lfunc_end618:
	.size	_ZN12_GLOBAL__N_121softmax_warp_backwardIN3c108BFloat16ES2_fLi0ELb0ELb0ELi64EEEvPT0_PKT_S7_iiiPKb, .Lfunc_end618-_ZN12_GLOBAL__N_121softmax_warp_backwardIN3c108BFloat16ES2_fLi0ELb0ELb0ELi64EEEvPT0_PKT_S7_iiiPKb
                                        ; -- End function
	.section	.AMDGPU.csdata,"",@progbits
; Kernel info:
; codeLenInByte = 544
; NumSgprs: 18
; NumVgprs: 11
; ScratchSize: 0
; MemoryBound: 0
; FloatMode: 240
; IeeeMode: 1
; LDSByteSize: 0 bytes/workgroup (compile time only)
; SGPRBlocks: 2
; VGPRBlocks: 1
; NumSGPRsForWavesPerEU: 18
; NumVGPRsForWavesPerEU: 11
; Occupancy: 16
; WaveLimiterHint : 0
; COMPUTE_PGM_RSRC2:SCRATCH_EN: 0
; COMPUTE_PGM_RSRC2:USER_SGPR: 15
; COMPUTE_PGM_RSRC2:TRAP_HANDLER: 0
; COMPUTE_PGM_RSRC2:TGID_X_EN: 1
; COMPUTE_PGM_RSRC2:TGID_Y_EN: 0
; COMPUTE_PGM_RSRC2:TGID_Z_EN: 0
; COMPUTE_PGM_RSRC2:TIDIG_COMP_CNT: 1
	.section	.text._ZN12_GLOBAL__N_121softmax_warp_backwardIN3c108BFloat16ES2_fLi0ELb0ELb0ELi32EEEvPT0_PKT_S7_iiiPKb,"axG",@progbits,_ZN12_GLOBAL__N_121softmax_warp_backwardIN3c108BFloat16ES2_fLi0ELb0ELb0ELi32EEEvPT0_PKT_S7_iiiPKb,comdat
	.globl	_ZN12_GLOBAL__N_121softmax_warp_backwardIN3c108BFloat16ES2_fLi0ELb0ELb0ELi32EEEvPT0_PKT_S7_iiiPKb ; -- Begin function _ZN12_GLOBAL__N_121softmax_warp_backwardIN3c108BFloat16ES2_fLi0ELb0ELb0ELi32EEEvPT0_PKT_S7_iiiPKb
	.p2align	8
	.type	_ZN12_GLOBAL__N_121softmax_warp_backwardIN3c108BFloat16ES2_fLi0ELb0ELb0ELi32EEEvPT0_PKT_S7_iiiPKb,@function
_ZN12_GLOBAL__N_121softmax_warp_backwardIN3c108BFloat16ES2_fLi0ELb0ELb0ELi32EEEvPT0_PKT_S7_iiiPKb: ; @_ZN12_GLOBAL__N_121softmax_warp_backwardIN3c108BFloat16ES2_fLi0ELb0ELb0ELi32EEEvPT0_PKT_S7_iiiPKb
; %bb.0:
	s_clause 0x1
	s_load_b32 s2, s[0:1], 0x3c
	s_load_b128 s[4:7], s[0:1], 0x18
	v_bfe_u32 v0, v0, 10, 10
	s_load_b128 s[8:11], s[0:1], 0x0
	v_dual_mov_b32 v7, 0 :: v_dual_mov_b32 v8, 0
	v_mov_b32_e32 v9, 0
	s_waitcnt lgkmcnt(0)
	s_lshr_b32 s2, s2, 16
	s_cmp_gt_i32 s6, 0
	s_mul_i32 s15, s15, s2
	s_load_b64 s[2:3], s[0:1], 0x10
	v_add_lshl_u32 v2, s15, v0, 1
	s_cselect_b32 s1, -1, 0
	s_delay_alu instid0(VALU_DEP_1) | instskip(SKIP_1) | instid1(VALU_DEP_1)
	v_mul_lo_u32 v0, v2, s5
	v_sub_nc_u32_e32 v6, s4, v2
	v_cmp_lt_i32_e32 vcc_lo, 0, v6
	s_delay_alu instid0(VALU_DEP_3) | instskip(NEXT) | instid1(VALU_DEP_1)
	v_ashrrev_i32_e32 v1, 31, v0
	v_lshlrev_b64 v[0:1], 1, v[0:1]
	s_delay_alu instid0(VALU_DEP_1) | instskip(NEXT) | instid1(VALU_DEP_1)
	v_add_co_u32 v2, s0, s10, v0
	v_add_co_ci_u32_e64 v3, s0, s11, v1, s0
	s_waitcnt lgkmcnt(0)
	v_add_co_u32 v4, s0, s2, v0
	s_delay_alu instid0(VALU_DEP_1) | instskip(SKIP_1) | instid1(SALU_CYCLE_1)
	v_add_co_ci_u32_e64 v5, s0, s3, v1, s0
	s_and_b32 s2, s1, vcc_lo
	s_and_saveexec_b32 s0, s2
	s_cbranch_execz .LBB619_2
; %bb.1:
	global_load_u16 v8, v[4:5], off
	global_load_u16 v9, v[2:3], off
	s_waitcnt vmcnt(1)
	v_lshlrev_b32_e32 v8, 16, v8
	s_waitcnt vmcnt(0)
	v_lshlrev_b32_e32 v9, 16, v9
.LBB619_2:
	s_or_b32 exec_lo, exec_lo, s0
	v_cmp_lt_i32_e64 s0, 1, v6
	v_mov_b32_e32 v10, 0
	s_mov_b32 s7, 0
	s_delay_alu instid0(VALU_DEP_2) | instskip(NEXT) | instid1(SALU_CYCLE_1)
	s_and_b32 s0, s1, s0
	s_and_saveexec_b32 s2, s0
	s_cbranch_execz .LBB619_4
; %bb.3:
	s_lshl_b64 s[4:5], s[6:7], 1
	s_delay_alu instid0(SALU_CYCLE_1) | instskip(NEXT) | instid1(VALU_DEP_1)
	v_add_co_u32 v4, s0, v4, s4
	v_add_co_ci_u32_e64 v5, s0, s5, v5, s0
	v_add_co_u32 v2, s0, v2, s4
	s_delay_alu instid0(VALU_DEP_1)
	v_add_co_ci_u32_e64 v3, s0, s5, v3, s0
	global_load_u16 v4, v[4:5], off
	global_load_u16 v2, v[2:3], off
	s_waitcnt vmcnt(1)
	v_lshlrev_b32_e32 v7, 16, v4
	s_waitcnt vmcnt(0)
	v_lshlrev_b32_e32 v10, 16, v2
.LBB619_4:
	s_or_b32 exec_lo, exec_lo, s2
	s_and_saveexec_b32 s0, vcc_lo
	s_cbranch_execz .LBB619_10
; %bb.5:
	v_add_co_u32 v0, vcc_lo, s8, v0
	v_cndmask_b32_e64 v2, 0, 1, s1
	v_add_co_ci_u32_e32 v1, vcc_lo, s9, v1, vcc_lo
	s_and_not1_b32 vcc_lo, exec_lo, s1
	s_cbranch_vccnz .LBB619_7
; %bb.6:
	v_add_f32_e32 v3, 0, v9
	s_delay_alu instid0(VALU_DEP_1) | instskip(NEXT) | instid1(VALU_DEP_1)
	v_fma_f32 v3, -v3, v8, v9
	v_bfe_u32 v4, v3, 16, 1
	v_cmp_o_f32_e32 vcc_lo, v3, v3
	s_delay_alu instid0(VALU_DEP_2) | instskip(NEXT) | instid1(VALU_DEP_1)
	v_add3_u32 v4, v3, v4, 0x7fff
	v_lshrrev_b32_e32 v4, 16, v4
	s_delay_alu instid0(VALU_DEP_1)
	v_cndmask_b32_e32 v3, 0x7fc0, v4, vcc_lo
	global_store_b16 v[0:1], v3, off
.LBB619_7:
	v_cmp_ne_u32_e32 vcc_lo, 1, v6
	s_and_b32 exec_lo, exec_lo, vcc_lo
	s_cbranch_execz .LBB619_10
; %bb.8:
	v_cmp_ne_u32_e32 vcc_lo, 1, v2
	s_cbranch_vccnz .LBB619_10
; %bb.9:
	v_add_f32_e32 v2, 0, v10
	s_lshl_b64 s[0:1], s[6:7], 1
	s_delay_alu instid0(VALU_DEP_1) | instskip(NEXT) | instid1(VALU_DEP_1)
	v_fma_f32 v2, -v2, v7, v10
	v_bfe_u32 v3, v2, 16, 1
	v_cmp_o_f32_e32 vcc_lo, v2, v2
	s_delay_alu instid0(VALU_DEP_2) | instskip(NEXT) | instid1(VALU_DEP_1)
	v_add3_u32 v3, v2, v3, 0x7fff
	v_lshrrev_b32_e32 v3, 16, v3
	s_delay_alu instid0(VALU_DEP_1)
	v_cndmask_b32_e32 v2, 0x7fc0, v3, vcc_lo
	v_add_co_u32 v0, vcc_lo, v0, s0
	v_add_co_ci_u32_e32 v1, vcc_lo, s1, v1, vcc_lo
	global_store_b16 v[0:1], v2, off
.LBB619_10:
	s_nop 0
	s_sendmsg sendmsg(MSG_DEALLOC_VGPRS)
	s_endpgm
	.section	.rodata,"a",@progbits
	.p2align	6, 0x0
	.amdhsa_kernel _ZN12_GLOBAL__N_121softmax_warp_backwardIN3c108BFloat16ES2_fLi0ELb0ELb0ELi32EEEvPT0_PKT_S7_iiiPKb
		.amdhsa_group_segment_fixed_size 0
		.amdhsa_private_segment_fixed_size 0
		.amdhsa_kernarg_size 304
		.amdhsa_user_sgpr_count 15
		.amdhsa_user_sgpr_dispatch_ptr 0
		.amdhsa_user_sgpr_queue_ptr 0
		.amdhsa_user_sgpr_kernarg_segment_ptr 1
		.amdhsa_user_sgpr_dispatch_id 0
		.amdhsa_user_sgpr_private_segment_size 0
		.amdhsa_wavefront_size32 1
		.amdhsa_uses_dynamic_stack 0
		.amdhsa_enable_private_segment 0
		.amdhsa_system_sgpr_workgroup_id_x 1
		.amdhsa_system_sgpr_workgroup_id_y 0
		.amdhsa_system_sgpr_workgroup_id_z 0
		.amdhsa_system_sgpr_workgroup_info 0
		.amdhsa_system_vgpr_workitem_id 1
		.amdhsa_next_free_vgpr 11
		.amdhsa_next_free_sgpr 16
		.amdhsa_reserve_vcc 1
		.amdhsa_float_round_mode_32 0
		.amdhsa_float_round_mode_16_64 0
		.amdhsa_float_denorm_mode_32 3
		.amdhsa_float_denorm_mode_16_64 3
		.amdhsa_dx10_clamp 1
		.amdhsa_ieee_mode 1
		.amdhsa_fp16_overflow 0
		.amdhsa_workgroup_processor_mode 1
		.amdhsa_memory_ordered 1
		.amdhsa_forward_progress 0
		.amdhsa_shared_vgpr_count 0
		.amdhsa_exception_fp_ieee_invalid_op 0
		.amdhsa_exception_fp_denorm_src 0
		.amdhsa_exception_fp_ieee_div_zero 0
		.amdhsa_exception_fp_ieee_overflow 0
		.amdhsa_exception_fp_ieee_underflow 0
		.amdhsa_exception_fp_ieee_inexact 0
		.amdhsa_exception_int_div_zero 0
	.end_amdhsa_kernel
	.section	.text._ZN12_GLOBAL__N_121softmax_warp_backwardIN3c108BFloat16ES2_fLi0ELb0ELb0ELi32EEEvPT0_PKT_S7_iiiPKb,"axG",@progbits,_ZN12_GLOBAL__N_121softmax_warp_backwardIN3c108BFloat16ES2_fLi0ELb0ELb0ELi32EEEvPT0_PKT_S7_iiiPKb,comdat
.Lfunc_end619:
	.size	_ZN12_GLOBAL__N_121softmax_warp_backwardIN3c108BFloat16ES2_fLi0ELb0ELb0ELi32EEEvPT0_PKT_S7_iiiPKb, .Lfunc_end619-_ZN12_GLOBAL__N_121softmax_warp_backwardIN3c108BFloat16ES2_fLi0ELb0ELb0ELi32EEEvPT0_PKT_S7_iiiPKb
                                        ; -- End function
	.section	.AMDGPU.csdata,"",@progbits
; Kernel info:
; codeLenInByte = 544
; NumSgprs: 18
; NumVgprs: 11
; ScratchSize: 0
; MemoryBound: 0
; FloatMode: 240
; IeeeMode: 1
; LDSByteSize: 0 bytes/workgroup (compile time only)
; SGPRBlocks: 2
; VGPRBlocks: 1
; NumSGPRsForWavesPerEU: 18
; NumVGPRsForWavesPerEU: 11
; Occupancy: 16
; WaveLimiterHint : 0
; COMPUTE_PGM_RSRC2:SCRATCH_EN: 0
; COMPUTE_PGM_RSRC2:USER_SGPR: 15
; COMPUTE_PGM_RSRC2:TRAP_HANDLER: 0
; COMPUTE_PGM_RSRC2:TGID_X_EN: 1
; COMPUTE_PGM_RSRC2:TGID_Y_EN: 0
; COMPUTE_PGM_RSRC2:TGID_Z_EN: 0
; COMPUTE_PGM_RSRC2:TIDIG_COMP_CNT: 1
	.section	.text._ZN12_GLOBAL__N_121softmax_warp_backwardIN3c108BFloat16ES2_fLi1ELb0ELb0ELi64EEEvPT0_PKT_S7_iiiPKb,"axG",@progbits,_ZN12_GLOBAL__N_121softmax_warp_backwardIN3c108BFloat16ES2_fLi1ELb0ELb0ELi64EEEvPT0_PKT_S7_iiiPKb,comdat
	.globl	_ZN12_GLOBAL__N_121softmax_warp_backwardIN3c108BFloat16ES2_fLi1ELb0ELb0ELi64EEEvPT0_PKT_S7_iiiPKb ; -- Begin function _ZN12_GLOBAL__N_121softmax_warp_backwardIN3c108BFloat16ES2_fLi1ELb0ELb0ELi64EEEvPT0_PKT_S7_iiiPKb
	.p2align	8
	.type	_ZN12_GLOBAL__N_121softmax_warp_backwardIN3c108BFloat16ES2_fLi1ELb0ELb0ELi64EEEvPT0_PKT_S7_iiiPKb,@function
_ZN12_GLOBAL__N_121softmax_warp_backwardIN3c108BFloat16ES2_fLi1ELb0ELb0ELi64EEEvPT0_PKT_S7_iiiPKb: ; @_ZN12_GLOBAL__N_121softmax_warp_backwardIN3c108BFloat16ES2_fLi1ELb0ELb0ELi64EEEvPT0_PKT_S7_iiiPKb
; %bb.0:
	s_clause 0x1
	s_load_b32 s2, s[0:1], 0x3c
	s_load_b128 s[4:7], s[0:1], 0x18
	v_bfe_u32 v1, v0, 10, 10
	v_dual_mov_b32 v8, 0 :: v_dual_and_b32 v3, 1, v0
	v_mov_b32_e32 v7, 0
	v_mov_b32_e32 v9, 0
	s_waitcnt lgkmcnt(0)
	s_lshr_b32 s2, s2, 16
	v_cmp_gt_i32_e32 vcc_lo, s6, v3
	s_mul_i32 s15, s15, s2
	s_clause 0x1
	s_load_b128 s[8:11], s[0:1], 0x0
	s_load_b64 s[2:3], s[0:1], 0x10
	v_add_lshl_u32 v2, s15, v1, 1
	s_delay_alu instid0(VALU_DEP_1) | instskip(SKIP_1) | instid1(VALU_DEP_1)
	v_mul_lo_u32 v1, v2, s5
	v_sub_nc_u32_e32 v6, s4, v2
	v_cmp_lt_i32_e64 s0, 0, v6
	s_delay_alu instid0(VALU_DEP_3) | instskip(NEXT) | instid1(VALU_DEP_1)
	v_or_b32_e32 v0, v1, v3
	v_ashrrev_i32_e32 v1, 31, v0
	s_delay_alu instid0(VALU_DEP_1) | instskip(SKIP_1) | instid1(VALU_DEP_1)
	v_lshlrev_b64 v[0:1], 1, v[0:1]
	s_waitcnt lgkmcnt(0)
	v_add_co_u32 v2, s1, s10, v0
	s_delay_alu instid0(VALU_DEP_1) | instskip(SKIP_1) | instid1(VALU_DEP_1)
	v_add_co_ci_u32_e64 v3, s1, s11, v1, s1
	v_add_co_u32 v4, s1, s2, v0
	v_add_co_ci_u32_e64 v5, s1, s3, v1, s1
	s_and_b32 s2, vcc_lo, s0
	s_delay_alu instid0(SALU_CYCLE_1)
	s_and_saveexec_b32 s1, s2
	s_cbranch_execz .LBB620_2
; %bb.1:
	global_load_u16 v8, v[4:5], off
	global_load_u16 v9, v[2:3], off
	s_waitcnt vmcnt(1)
	v_lshlrev_b32_e32 v8, 16, v8
	s_waitcnt vmcnt(0)
	v_lshlrev_b32_e32 v9, 16, v9
.LBB620_2:
	s_or_b32 exec_lo, exec_lo, s1
	v_cmp_lt_i32_e64 s1, 1, v6
	v_mov_b32_e32 v10, 0
	s_mov_b32 s7, 0
	s_delay_alu instid0(VALU_DEP_2) | instskip(NEXT) | instid1(SALU_CYCLE_1)
	s_and_b32 s1, vcc_lo, s1
	s_and_saveexec_b32 s2, s1
	s_cbranch_execz .LBB620_4
; %bb.3:
	s_lshl_b64 s[4:5], s[6:7], 1
	s_delay_alu instid0(SALU_CYCLE_1) | instskip(NEXT) | instid1(VALU_DEP_1)
	v_add_co_u32 v4, s1, v4, s4
	v_add_co_ci_u32_e64 v5, s1, s5, v5, s1
	v_add_co_u32 v2, s1, v2, s4
	s_delay_alu instid0(VALU_DEP_1)
	v_add_co_ci_u32_e64 v3, s1, s5, v3, s1
	global_load_u16 v4, v[4:5], off
	global_load_u16 v2, v[2:3], off
	s_waitcnt vmcnt(1)
	v_lshlrev_b32_e32 v7, 16, v4
	s_waitcnt vmcnt(0)
	v_lshlrev_b32_e32 v10, 16, v2
.LBB620_4:
	s_or_b32 exec_lo, exec_lo, s2
	v_mbcnt_lo_u32_b32 v2, -1, 0
	s_delay_alu instid0(VALU_DEP_1) | instskip(SKIP_1) | instid1(VALU_DEP_2)
	v_and_b32_e32 v3, 30, v2
	v_xor_b32_e32 v4, 1, v2
	v_add_nc_u32_e32 v3, 2, v3
	s_delay_alu instid0(VALU_DEP_1) | instskip(NEXT) | instid1(VALU_DEP_1)
	v_cmp_lt_i32_e64 s1, v4, v3
	v_cndmask_b32_e64 v2, v2, v4, s1
	s_delay_alu instid0(VALU_DEP_1)
	v_dual_add_f32 v4, 0, v9 :: v_dual_lshlrev_b32 v3, 2, v2
	v_add_f32_e32 v2, 0, v10
	ds_bpermute_b32 v5, v3, v4
	ds_bpermute_b32 v3, v3, v2
	s_and_saveexec_b32 s1, s0
	s_cbranch_execz .LBB620_10
; %bb.5:
	v_add_co_u32 v0, s0, s8, v0
	s_delay_alu instid0(VALU_DEP_1)
	v_add_co_ci_u32_e64 v1, s0, s9, v1, s0
	s_and_saveexec_b32 s1, vcc_lo
	s_cbranch_execz .LBB620_7
; %bb.6:
	s_waitcnt lgkmcnt(1)
	v_add_f32_e32 v4, v4, v5
	s_delay_alu instid0(VALU_DEP_1) | instskip(NEXT) | instid1(VALU_DEP_1)
	v_fma_f32 v4, -v4, v8, v9
	v_bfe_u32 v5, v4, 16, 1
	v_cmp_o_f32_e64 s0, v4, v4
	s_delay_alu instid0(VALU_DEP_2) | instskip(NEXT) | instid1(VALU_DEP_1)
	v_add3_u32 v5, v4, v5, 0x7fff
	v_lshrrev_b32_e32 v5, 16, v5
	s_delay_alu instid0(VALU_DEP_1)
	v_cndmask_b32_e64 v4, 0x7fc0, v5, s0
	global_store_b16 v[0:1], v4, off
.LBB620_7:
	s_or_b32 exec_lo, exec_lo, s1
	v_cmp_ne_u32_e64 s0, 1, v6
	s_delay_alu instid0(VALU_DEP_1)
	s_and_b32 exec_lo, exec_lo, s0
	s_cbranch_execz .LBB620_10
; %bb.8:
	s_and_b32 exec_lo, exec_lo, vcc_lo
	s_cbranch_execz .LBB620_10
; %bb.9:
	s_waitcnt lgkmcnt(0)
	v_add_f32_e32 v2, v2, v3
	s_lshl_b64 s[0:1], s[6:7], 1
	s_delay_alu instid0(VALU_DEP_1) | instskip(NEXT) | instid1(VALU_DEP_1)
	v_fma_f32 v2, -v2, v7, v10
	v_bfe_u32 v3, v2, 16, 1
	v_cmp_o_f32_e32 vcc_lo, v2, v2
	s_delay_alu instid0(VALU_DEP_2) | instskip(NEXT) | instid1(VALU_DEP_1)
	v_add3_u32 v3, v2, v3, 0x7fff
	v_lshrrev_b32_e32 v3, 16, v3
	s_delay_alu instid0(VALU_DEP_1)
	v_cndmask_b32_e32 v2, 0x7fc0, v3, vcc_lo
	v_add_co_u32 v0, vcc_lo, v0, s0
	v_add_co_ci_u32_e32 v1, vcc_lo, s1, v1, vcc_lo
	global_store_b16 v[0:1], v2, off
.LBB620_10:
	s_nop 0
	s_sendmsg sendmsg(MSG_DEALLOC_VGPRS)
	s_endpgm
	.section	.rodata,"a",@progbits
	.p2align	6, 0x0
	.amdhsa_kernel _ZN12_GLOBAL__N_121softmax_warp_backwardIN3c108BFloat16ES2_fLi1ELb0ELb0ELi64EEEvPT0_PKT_S7_iiiPKb
		.amdhsa_group_segment_fixed_size 0
		.amdhsa_private_segment_fixed_size 0
		.amdhsa_kernarg_size 304
		.amdhsa_user_sgpr_count 15
		.amdhsa_user_sgpr_dispatch_ptr 0
		.amdhsa_user_sgpr_queue_ptr 0
		.amdhsa_user_sgpr_kernarg_segment_ptr 1
		.amdhsa_user_sgpr_dispatch_id 0
		.amdhsa_user_sgpr_private_segment_size 0
		.amdhsa_wavefront_size32 1
		.amdhsa_uses_dynamic_stack 0
		.amdhsa_enable_private_segment 0
		.amdhsa_system_sgpr_workgroup_id_x 1
		.amdhsa_system_sgpr_workgroup_id_y 0
		.amdhsa_system_sgpr_workgroup_id_z 0
		.amdhsa_system_sgpr_workgroup_info 0
		.amdhsa_system_vgpr_workitem_id 1
		.amdhsa_next_free_vgpr 11
		.amdhsa_next_free_sgpr 16
		.amdhsa_reserve_vcc 1
		.amdhsa_float_round_mode_32 0
		.amdhsa_float_round_mode_16_64 0
		.amdhsa_float_denorm_mode_32 3
		.amdhsa_float_denorm_mode_16_64 3
		.amdhsa_dx10_clamp 1
		.amdhsa_ieee_mode 1
		.amdhsa_fp16_overflow 0
		.amdhsa_workgroup_processor_mode 1
		.amdhsa_memory_ordered 1
		.amdhsa_forward_progress 0
		.amdhsa_shared_vgpr_count 0
		.amdhsa_exception_fp_ieee_invalid_op 0
		.amdhsa_exception_fp_denorm_src 0
		.amdhsa_exception_fp_ieee_div_zero 0
		.amdhsa_exception_fp_ieee_overflow 0
		.amdhsa_exception_fp_ieee_underflow 0
		.amdhsa_exception_fp_ieee_inexact 0
		.amdhsa_exception_int_div_zero 0
	.end_amdhsa_kernel
	.section	.text._ZN12_GLOBAL__N_121softmax_warp_backwardIN3c108BFloat16ES2_fLi1ELb0ELb0ELi64EEEvPT0_PKT_S7_iiiPKb,"axG",@progbits,_ZN12_GLOBAL__N_121softmax_warp_backwardIN3c108BFloat16ES2_fLi1ELb0ELb0ELi64EEEvPT0_PKT_S7_iiiPKb,comdat
.Lfunc_end620:
	.size	_ZN12_GLOBAL__N_121softmax_warp_backwardIN3c108BFloat16ES2_fLi1ELb0ELb0ELi64EEEvPT0_PKT_S7_iiiPKb, .Lfunc_end620-_ZN12_GLOBAL__N_121softmax_warp_backwardIN3c108BFloat16ES2_fLi1ELb0ELb0ELi64EEEvPT0_PKT_S7_iiiPKb
                                        ; -- End function
	.section	.AMDGPU.csdata,"",@progbits
; Kernel info:
; codeLenInByte = 664
; NumSgprs: 18
; NumVgprs: 11
; ScratchSize: 0
; MemoryBound: 0
; FloatMode: 240
; IeeeMode: 1
; LDSByteSize: 0 bytes/workgroup (compile time only)
; SGPRBlocks: 2
; VGPRBlocks: 1
; NumSGPRsForWavesPerEU: 18
; NumVGPRsForWavesPerEU: 11
; Occupancy: 16
; WaveLimiterHint : 0
; COMPUTE_PGM_RSRC2:SCRATCH_EN: 0
; COMPUTE_PGM_RSRC2:USER_SGPR: 15
; COMPUTE_PGM_RSRC2:TRAP_HANDLER: 0
; COMPUTE_PGM_RSRC2:TGID_X_EN: 1
; COMPUTE_PGM_RSRC2:TGID_Y_EN: 0
; COMPUTE_PGM_RSRC2:TGID_Z_EN: 0
; COMPUTE_PGM_RSRC2:TIDIG_COMP_CNT: 1
	.section	.text._ZN12_GLOBAL__N_121softmax_warp_backwardIN3c108BFloat16ES2_fLi1ELb0ELb0ELi32EEEvPT0_PKT_S7_iiiPKb,"axG",@progbits,_ZN12_GLOBAL__N_121softmax_warp_backwardIN3c108BFloat16ES2_fLi1ELb0ELb0ELi32EEEvPT0_PKT_S7_iiiPKb,comdat
	.globl	_ZN12_GLOBAL__N_121softmax_warp_backwardIN3c108BFloat16ES2_fLi1ELb0ELb0ELi32EEEvPT0_PKT_S7_iiiPKb ; -- Begin function _ZN12_GLOBAL__N_121softmax_warp_backwardIN3c108BFloat16ES2_fLi1ELb0ELb0ELi32EEEvPT0_PKT_S7_iiiPKb
	.p2align	8
	.type	_ZN12_GLOBAL__N_121softmax_warp_backwardIN3c108BFloat16ES2_fLi1ELb0ELb0ELi32EEEvPT0_PKT_S7_iiiPKb,@function
_ZN12_GLOBAL__N_121softmax_warp_backwardIN3c108BFloat16ES2_fLi1ELb0ELb0ELi32EEEvPT0_PKT_S7_iiiPKb: ; @_ZN12_GLOBAL__N_121softmax_warp_backwardIN3c108BFloat16ES2_fLi1ELb0ELb0ELi32EEEvPT0_PKT_S7_iiiPKb
; %bb.0:
	s_clause 0x1
	s_load_b32 s2, s[0:1], 0x3c
	s_load_b128 s[4:7], s[0:1], 0x18
	v_bfe_u32 v1, v0, 10, 10
	v_dual_mov_b32 v8, 0 :: v_dual_and_b32 v3, 1, v0
	v_mov_b32_e32 v7, 0
	v_mov_b32_e32 v9, 0
	s_waitcnt lgkmcnt(0)
	s_lshr_b32 s2, s2, 16
	v_cmp_gt_i32_e32 vcc_lo, s6, v3
	s_mul_i32 s15, s15, s2
	s_clause 0x1
	s_load_b128 s[8:11], s[0:1], 0x0
	s_load_b64 s[2:3], s[0:1], 0x10
	v_add_lshl_u32 v2, s15, v1, 1
	s_delay_alu instid0(VALU_DEP_1) | instskip(SKIP_1) | instid1(VALU_DEP_1)
	v_mul_lo_u32 v1, v2, s5
	v_sub_nc_u32_e32 v6, s4, v2
	v_cmp_lt_i32_e64 s0, 0, v6
	s_delay_alu instid0(VALU_DEP_3) | instskip(NEXT) | instid1(VALU_DEP_1)
	v_or_b32_e32 v0, v1, v3
	v_ashrrev_i32_e32 v1, 31, v0
	s_delay_alu instid0(VALU_DEP_1) | instskip(SKIP_1) | instid1(VALU_DEP_1)
	v_lshlrev_b64 v[0:1], 1, v[0:1]
	s_waitcnt lgkmcnt(0)
	v_add_co_u32 v2, s1, s10, v0
	s_delay_alu instid0(VALU_DEP_1) | instskip(SKIP_1) | instid1(VALU_DEP_1)
	v_add_co_ci_u32_e64 v3, s1, s11, v1, s1
	v_add_co_u32 v4, s1, s2, v0
	v_add_co_ci_u32_e64 v5, s1, s3, v1, s1
	s_and_b32 s2, vcc_lo, s0
	s_delay_alu instid0(SALU_CYCLE_1)
	s_and_saveexec_b32 s1, s2
	s_cbranch_execz .LBB621_2
; %bb.1:
	global_load_u16 v8, v[4:5], off
	global_load_u16 v9, v[2:3], off
	s_waitcnt vmcnt(1)
	v_lshlrev_b32_e32 v8, 16, v8
	s_waitcnt vmcnt(0)
	v_lshlrev_b32_e32 v9, 16, v9
.LBB621_2:
	s_or_b32 exec_lo, exec_lo, s1
	v_cmp_lt_i32_e64 s1, 1, v6
	v_mov_b32_e32 v10, 0
	s_mov_b32 s7, 0
	s_delay_alu instid0(VALU_DEP_2) | instskip(NEXT) | instid1(SALU_CYCLE_1)
	s_and_b32 s1, vcc_lo, s1
	s_and_saveexec_b32 s2, s1
	s_cbranch_execz .LBB621_4
; %bb.3:
	s_lshl_b64 s[4:5], s[6:7], 1
	s_delay_alu instid0(SALU_CYCLE_1) | instskip(NEXT) | instid1(VALU_DEP_1)
	v_add_co_u32 v4, s1, v4, s4
	v_add_co_ci_u32_e64 v5, s1, s5, v5, s1
	v_add_co_u32 v2, s1, v2, s4
	s_delay_alu instid0(VALU_DEP_1)
	v_add_co_ci_u32_e64 v3, s1, s5, v3, s1
	global_load_u16 v4, v[4:5], off
	global_load_u16 v2, v[2:3], off
	s_waitcnt vmcnt(1)
	v_lshlrev_b32_e32 v7, 16, v4
	s_waitcnt vmcnt(0)
	v_lshlrev_b32_e32 v10, 16, v2
.LBB621_4:
	s_or_b32 exec_lo, exec_lo, s2
	v_mbcnt_lo_u32_b32 v2, -1, 0
	s_delay_alu instid0(VALU_DEP_1) | instskip(SKIP_1) | instid1(VALU_DEP_2)
	v_and_b32_e32 v3, 30, v2
	v_xor_b32_e32 v4, 1, v2
	v_add_nc_u32_e32 v3, 2, v3
	s_delay_alu instid0(VALU_DEP_1) | instskip(NEXT) | instid1(VALU_DEP_1)
	v_cmp_lt_i32_e64 s1, v4, v3
	v_cndmask_b32_e64 v2, v2, v4, s1
	s_delay_alu instid0(VALU_DEP_1)
	v_dual_add_f32 v4, 0, v9 :: v_dual_lshlrev_b32 v3, 2, v2
	v_add_f32_e32 v2, 0, v10
	ds_bpermute_b32 v5, v3, v4
	ds_bpermute_b32 v3, v3, v2
	s_and_saveexec_b32 s1, s0
	s_cbranch_execz .LBB621_10
; %bb.5:
	v_add_co_u32 v0, s0, s8, v0
	s_delay_alu instid0(VALU_DEP_1)
	v_add_co_ci_u32_e64 v1, s0, s9, v1, s0
	s_and_saveexec_b32 s1, vcc_lo
	s_cbranch_execz .LBB621_7
; %bb.6:
	s_waitcnt lgkmcnt(1)
	v_add_f32_e32 v4, v4, v5
	s_delay_alu instid0(VALU_DEP_1) | instskip(NEXT) | instid1(VALU_DEP_1)
	v_fma_f32 v4, -v4, v8, v9
	v_bfe_u32 v5, v4, 16, 1
	v_cmp_o_f32_e64 s0, v4, v4
	s_delay_alu instid0(VALU_DEP_2) | instskip(NEXT) | instid1(VALU_DEP_1)
	v_add3_u32 v5, v4, v5, 0x7fff
	v_lshrrev_b32_e32 v5, 16, v5
	s_delay_alu instid0(VALU_DEP_1)
	v_cndmask_b32_e64 v4, 0x7fc0, v5, s0
	global_store_b16 v[0:1], v4, off
.LBB621_7:
	s_or_b32 exec_lo, exec_lo, s1
	v_cmp_ne_u32_e64 s0, 1, v6
	s_delay_alu instid0(VALU_DEP_1)
	s_and_b32 exec_lo, exec_lo, s0
	s_cbranch_execz .LBB621_10
; %bb.8:
	s_and_b32 exec_lo, exec_lo, vcc_lo
	s_cbranch_execz .LBB621_10
; %bb.9:
	s_waitcnt lgkmcnt(0)
	v_add_f32_e32 v2, v2, v3
	s_lshl_b64 s[0:1], s[6:7], 1
	s_delay_alu instid0(VALU_DEP_1) | instskip(NEXT) | instid1(VALU_DEP_1)
	v_fma_f32 v2, -v2, v7, v10
	v_bfe_u32 v3, v2, 16, 1
	v_cmp_o_f32_e32 vcc_lo, v2, v2
	s_delay_alu instid0(VALU_DEP_2) | instskip(NEXT) | instid1(VALU_DEP_1)
	v_add3_u32 v3, v2, v3, 0x7fff
	v_lshrrev_b32_e32 v3, 16, v3
	s_delay_alu instid0(VALU_DEP_1)
	v_cndmask_b32_e32 v2, 0x7fc0, v3, vcc_lo
	v_add_co_u32 v0, vcc_lo, v0, s0
	v_add_co_ci_u32_e32 v1, vcc_lo, s1, v1, vcc_lo
	global_store_b16 v[0:1], v2, off
.LBB621_10:
	s_nop 0
	s_sendmsg sendmsg(MSG_DEALLOC_VGPRS)
	s_endpgm
	.section	.rodata,"a",@progbits
	.p2align	6, 0x0
	.amdhsa_kernel _ZN12_GLOBAL__N_121softmax_warp_backwardIN3c108BFloat16ES2_fLi1ELb0ELb0ELi32EEEvPT0_PKT_S7_iiiPKb
		.amdhsa_group_segment_fixed_size 0
		.amdhsa_private_segment_fixed_size 0
		.amdhsa_kernarg_size 304
		.amdhsa_user_sgpr_count 15
		.amdhsa_user_sgpr_dispatch_ptr 0
		.amdhsa_user_sgpr_queue_ptr 0
		.amdhsa_user_sgpr_kernarg_segment_ptr 1
		.amdhsa_user_sgpr_dispatch_id 0
		.amdhsa_user_sgpr_private_segment_size 0
		.amdhsa_wavefront_size32 1
		.amdhsa_uses_dynamic_stack 0
		.amdhsa_enable_private_segment 0
		.amdhsa_system_sgpr_workgroup_id_x 1
		.amdhsa_system_sgpr_workgroup_id_y 0
		.amdhsa_system_sgpr_workgroup_id_z 0
		.amdhsa_system_sgpr_workgroup_info 0
		.amdhsa_system_vgpr_workitem_id 1
		.amdhsa_next_free_vgpr 11
		.amdhsa_next_free_sgpr 16
		.amdhsa_reserve_vcc 1
		.amdhsa_float_round_mode_32 0
		.amdhsa_float_round_mode_16_64 0
		.amdhsa_float_denorm_mode_32 3
		.amdhsa_float_denorm_mode_16_64 3
		.amdhsa_dx10_clamp 1
		.amdhsa_ieee_mode 1
		.amdhsa_fp16_overflow 0
		.amdhsa_workgroup_processor_mode 1
		.amdhsa_memory_ordered 1
		.amdhsa_forward_progress 0
		.amdhsa_shared_vgpr_count 0
		.amdhsa_exception_fp_ieee_invalid_op 0
		.amdhsa_exception_fp_denorm_src 0
		.amdhsa_exception_fp_ieee_div_zero 0
		.amdhsa_exception_fp_ieee_overflow 0
		.amdhsa_exception_fp_ieee_underflow 0
		.amdhsa_exception_fp_ieee_inexact 0
		.amdhsa_exception_int_div_zero 0
	.end_amdhsa_kernel
	.section	.text._ZN12_GLOBAL__N_121softmax_warp_backwardIN3c108BFloat16ES2_fLi1ELb0ELb0ELi32EEEvPT0_PKT_S7_iiiPKb,"axG",@progbits,_ZN12_GLOBAL__N_121softmax_warp_backwardIN3c108BFloat16ES2_fLi1ELb0ELb0ELi32EEEvPT0_PKT_S7_iiiPKb,comdat
.Lfunc_end621:
	.size	_ZN12_GLOBAL__N_121softmax_warp_backwardIN3c108BFloat16ES2_fLi1ELb0ELb0ELi32EEEvPT0_PKT_S7_iiiPKb, .Lfunc_end621-_ZN12_GLOBAL__N_121softmax_warp_backwardIN3c108BFloat16ES2_fLi1ELb0ELb0ELi32EEEvPT0_PKT_S7_iiiPKb
                                        ; -- End function
	.section	.AMDGPU.csdata,"",@progbits
; Kernel info:
; codeLenInByte = 664
; NumSgprs: 18
; NumVgprs: 11
; ScratchSize: 0
; MemoryBound: 0
; FloatMode: 240
; IeeeMode: 1
; LDSByteSize: 0 bytes/workgroup (compile time only)
; SGPRBlocks: 2
; VGPRBlocks: 1
; NumSGPRsForWavesPerEU: 18
; NumVGPRsForWavesPerEU: 11
; Occupancy: 16
; WaveLimiterHint : 0
; COMPUTE_PGM_RSRC2:SCRATCH_EN: 0
; COMPUTE_PGM_RSRC2:USER_SGPR: 15
; COMPUTE_PGM_RSRC2:TRAP_HANDLER: 0
; COMPUTE_PGM_RSRC2:TGID_X_EN: 1
; COMPUTE_PGM_RSRC2:TGID_Y_EN: 0
; COMPUTE_PGM_RSRC2:TGID_Z_EN: 0
; COMPUTE_PGM_RSRC2:TIDIG_COMP_CNT: 1
	.section	.text._ZN12_GLOBAL__N_121softmax_warp_backwardIN3c108BFloat16ES2_fLi2ELb0ELb0ELi64EEEvPT0_PKT_S7_iiiPKb,"axG",@progbits,_ZN12_GLOBAL__N_121softmax_warp_backwardIN3c108BFloat16ES2_fLi2ELb0ELb0ELi64EEEvPT0_PKT_S7_iiiPKb,comdat
	.globl	_ZN12_GLOBAL__N_121softmax_warp_backwardIN3c108BFloat16ES2_fLi2ELb0ELb0ELi64EEEvPT0_PKT_S7_iiiPKb ; -- Begin function _ZN12_GLOBAL__N_121softmax_warp_backwardIN3c108BFloat16ES2_fLi2ELb0ELb0ELi64EEEvPT0_PKT_S7_iiiPKb
	.p2align	8
	.type	_ZN12_GLOBAL__N_121softmax_warp_backwardIN3c108BFloat16ES2_fLi2ELb0ELb0ELi64EEEvPT0_PKT_S7_iiiPKb,@function
_ZN12_GLOBAL__N_121softmax_warp_backwardIN3c108BFloat16ES2_fLi2ELb0ELb0ELi64EEEvPT0_PKT_S7_iiiPKb: ; @_ZN12_GLOBAL__N_121softmax_warp_backwardIN3c108BFloat16ES2_fLi2ELb0ELb0ELi64EEEvPT0_PKT_S7_iiiPKb
; %bb.0:
	s_clause 0x1
	s_load_b32 s2, s[0:1], 0x3c
	s_load_b128 s[4:7], s[0:1], 0x18
	v_bfe_u32 v1, v0, 10, 10
	v_dual_mov_b32 v7, 0 :: v_dual_and_b32 v2, 3, v0
	s_load_b128 s[8:11], s[0:1], 0x0
	v_dual_mov_b32 v8, 0 :: v_dual_mov_b32 v9, 0
	s_waitcnt lgkmcnt(0)
	s_lshr_b32 s2, s2, 16
	v_cmp_gt_i32_e32 vcc_lo, s6, v2
	s_mul_i32 s15, s15, s2
	s_load_b64 s[2:3], s[0:1], 0x10
	v_add_lshl_u32 v3, s15, v1, 1
	s_delay_alu instid0(VALU_DEP_1) | instskip(SKIP_1) | instid1(VALU_DEP_1)
	v_mad_u64_u32 v[0:1], null, v3, s5, v[2:3]
	v_sub_nc_u32_e32 v6, s4, v3
	v_cmp_lt_i32_e64 s0, 0, v6
	s_delay_alu instid0(VALU_DEP_3) | instskip(NEXT) | instid1(VALU_DEP_1)
	v_ashrrev_i32_e32 v1, 31, v0
	v_lshlrev_b64 v[0:1], 1, v[0:1]
	s_delay_alu instid0(VALU_DEP_1) | instskip(NEXT) | instid1(VALU_DEP_1)
	v_add_co_u32 v2, s1, s10, v0
	v_add_co_ci_u32_e64 v3, s1, s11, v1, s1
	s_waitcnt lgkmcnt(0)
	v_add_co_u32 v4, s1, s2, v0
	s_delay_alu instid0(VALU_DEP_1) | instskip(SKIP_1) | instid1(SALU_CYCLE_1)
	v_add_co_ci_u32_e64 v5, s1, s3, v1, s1
	s_and_b32 s2, vcc_lo, s0
	s_and_saveexec_b32 s1, s2
	s_cbranch_execz .LBB622_2
; %bb.1:
	global_load_u16 v8, v[4:5], off
	global_load_u16 v9, v[2:3], off
	s_waitcnt vmcnt(1)
	v_lshlrev_b32_e32 v8, 16, v8
	s_waitcnt vmcnt(0)
	v_lshlrev_b32_e32 v9, 16, v9
.LBB622_2:
	s_or_b32 exec_lo, exec_lo, s1
	v_cmp_lt_i32_e64 s1, 1, v6
	v_mov_b32_e32 v10, 0
	s_mov_b32 s7, 0
	s_delay_alu instid0(VALU_DEP_2) | instskip(NEXT) | instid1(SALU_CYCLE_1)
	s_and_b32 s1, vcc_lo, s1
	s_and_saveexec_b32 s2, s1
	s_cbranch_execz .LBB622_4
; %bb.3:
	s_lshl_b64 s[4:5], s[6:7], 1
	s_delay_alu instid0(SALU_CYCLE_1) | instskip(NEXT) | instid1(VALU_DEP_1)
	v_add_co_u32 v4, s1, v4, s4
	v_add_co_ci_u32_e64 v5, s1, s5, v5, s1
	v_add_co_u32 v2, s1, v2, s4
	s_delay_alu instid0(VALU_DEP_1)
	v_add_co_ci_u32_e64 v3, s1, s5, v3, s1
	global_load_u16 v4, v[4:5], off
	global_load_u16 v2, v[2:3], off
	s_waitcnt vmcnt(1)
	v_lshlrev_b32_e32 v7, 16, v4
	s_waitcnt vmcnt(0)
	v_lshlrev_b32_e32 v10, 16, v2
.LBB622_4:
	s_or_b32 exec_lo, exec_lo, s2
	v_mbcnt_lo_u32_b32 v2, -1, 0
	v_add_f32_e32 v5, 0, v9
	s_delay_alu instid0(VALU_DEP_3) | instskip(NEXT) | instid1(VALU_DEP_3)
	v_add_f32_e32 v11, 0, v10
	v_and_b32_e32 v3, 28, v2
	v_xor_b32_e32 v4, 2, v2
	s_delay_alu instid0(VALU_DEP_2) | instskip(NEXT) | instid1(VALU_DEP_1)
	v_add_nc_u32_e32 v3, 4, v3
	v_cmp_lt_i32_e64 s1, v4, v3
	s_delay_alu instid0(VALU_DEP_1) | instskip(NEXT) | instid1(VALU_DEP_1)
	v_cndmask_b32_e64 v4, v2, v4, s1
	v_lshlrev_b32_e32 v4, 2, v4
	ds_bpermute_b32 v12, v4, v5
	ds_bpermute_b32 v13, v4, v11
	v_xor_b32_e32 v4, 1, v2
	s_delay_alu instid0(VALU_DEP_1) | instskip(NEXT) | instid1(VALU_DEP_1)
	v_cmp_lt_i32_e64 s1, v4, v3
	v_cndmask_b32_e64 v2, v2, v4, s1
	s_waitcnt lgkmcnt(1)
	s_delay_alu instid0(VALU_DEP_1)
	v_dual_add_f32 v4, v5, v12 :: v_dual_lshlrev_b32 v3, 2, v2
	s_waitcnt lgkmcnt(0)
	v_add_f32_e32 v2, v11, v13
	ds_bpermute_b32 v5, v3, v4
	ds_bpermute_b32 v3, v3, v2
	s_and_saveexec_b32 s1, s0
	s_cbranch_execz .LBB622_10
; %bb.5:
	v_add_co_u32 v0, s0, s8, v0
	s_delay_alu instid0(VALU_DEP_1)
	v_add_co_ci_u32_e64 v1, s0, s9, v1, s0
	s_and_saveexec_b32 s1, vcc_lo
	s_cbranch_execz .LBB622_7
; %bb.6:
	s_waitcnt lgkmcnt(1)
	v_add_f32_e32 v4, v4, v5
	s_delay_alu instid0(VALU_DEP_1) | instskip(NEXT) | instid1(VALU_DEP_1)
	v_fma_f32 v4, -v4, v8, v9
	v_bfe_u32 v5, v4, 16, 1
	v_cmp_o_f32_e64 s0, v4, v4
	s_delay_alu instid0(VALU_DEP_2) | instskip(NEXT) | instid1(VALU_DEP_1)
	v_add3_u32 v5, v4, v5, 0x7fff
	v_lshrrev_b32_e32 v5, 16, v5
	s_delay_alu instid0(VALU_DEP_1)
	v_cndmask_b32_e64 v4, 0x7fc0, v5, s0
	global_store_b16 v[0:1], v4, off
.LBB622_7:
	s_or_b32 exec_lo, exec_lo, s1
	v_cmp_ne_u32_e64 s0, 1, v6
	s_delay_alu instid0(VALU_DEP_1)
	s_and_b32 exec_lo, exec_lo, s0
	s_cbranch_execz .LBB622_10
; %bb.8:
	s_and_b32 exec_lo, exec_lo, vcc_lo
	s_cbranch_execz .LBB622_10
; %bb.9:
	s_waitcnt lgkmcnt(0)
	v_add_f32_e32 v2, v2, v3
	s_lshl_b64 s[0:1], s[6:7], 1
	s_delay_alu instid0(VALU_DEP_1) | instskip(NEXT) | instid1(VALU_DEP_1)
	v_fma_f32 v2, -v2, v7, v10
	v_bfe_u32 v3, v2, 16, 1
	v_cmp_o_f32_e32 vcc_lo, v2, v2
	s_delay_alu instid0(VALU_DEP_2) | instskip(NEXT) | instid1(VALU_DEP_1)
	v_add3_u32 v3, v2, v3, 0x7fff
	v_lshrrev_b32_e32 v3, 16, v3
	s_delay_alu instid0(VALU_DEP_1)
	v_cndmask_b32_e32 v2, 0x7fc0, v3, vcc_lo
	v_add_co_u32 v0, vcc_lo, v0, s0
	v_add_co_ci_u32_e32 v1, vcc_lo, s1, v1, vcc_lo
	global_store_b16 v[0:1], v2, off
.LBB622_10:
	s_nop 0
	s_sendmsg sendmsg(MSG_DEALLOC_VGPRS)
	s_endpgm
	.section	.rodata,"a",@progbits
	.p2align	6, 0x0
	.amdhsa_kernel _ZN12_GLOBAL__N_121softmax_warp_backwardIN3c108BFloat16ES2_fLi2ELb0ELb0ELi64EEEvPT0_PKT_S7_iiiPKb
		.amdhsa_group_segment_fixed_size 0
		.amdhsa_private_segment_fixed_size 0
		.amdhsa_kernarg_size 304
		.amdhsa_user_sgpr_count 15
		.amdhsa_user_sgpr_dispatch_ptr 0
		.amdhsa_user_sgpr_queue_ptr 0
		.amdhsa_user_sgpr_kernarg_segment_ptr 1
		.amdhsa_user_sgpr_dispatch_id 0
		.amdhsa_user_sgpr_private_segment_size 0
		.amdhsa_wavefront_size32 1
		.amdhsa_uses_dynamic_stack 0
		.amdhsa_enable_private_segment 0
		.amdhsa_system_sgpr_workgroup_id_x 1
		.amdhsa_system_sgpr_workgroup_id_y 0
		.amdhsa_system_sgpr_workgroup_id_z 0
		.amdhsa_system_sgpr_workgroup_info 0
		.amdhsa_system_vgpr_workitem_id 1
		.amdhsa_next_free_vgpr 14
		.amdhsa_next_free_sgpr 16
		.amdhsa_reserve_vcc 1
		.amdhsa_float_round_mode_32 0
		.amdhsa_float_round_mode_16_64 0
		.amdhsa_float_denorm_mode_32 3
		.amdhsa_float_denorm_mode_16_64 3
		.amdhsa_dx10_clamp 1
		.amdhsa_ieee_mode 1
		.amdhsa_fp16_overflow 0
		.amdhsa_workgroup_processor_mode 1
		.amdhsa_memory_ordered 1
		.amdhsa_forward_progress 0
		.amdhsa_shared_vgpr_count 0
		.amdhsa_exception_fp_ieee_invalid_op 0
		.amdhsa_exception_fp_denorm_src 0
		.amdhsa_exception_fp_ieee_div_zero 0
		.amdhsa_exception_fp_ieee_overflow 0
		.amdhsa_exception_fp_ieee_underflow 0
		.amdhsa_exception_fp_ieee_inexact 0
		.amdhsa_exception_int_div_zero 0
	.end_amdhsa_kernel
	.section	.text._ZN12_GLOBAL__N_121softmax_warp_backwardIN3c108BFloat16ES2_fLi2ELb0ELb0ELi64EEEvPT0_PKT_S7_iiiPKb,"axG",@progbits,_ZN12_GLOBAL__N_121softmax_warp_backwardIN3c108BFloat16ES2_fLi2ELb0ELb0ELi64EEEvPT0_PKT_S7_iiiPKb,comdat
.Lfunc_end622:
	.size	_ZN12_GLOBAL__N_121softmax_warp_backwardIN3c108BFloat16ES2_fLi2ELb0ELb0ELi64EEEvPT0_PKT_S7_iiiPKb, .Lfunc_end622-_ZN12_GLOBAL__N_121softmax_warp_backwardIN3c108BFloat16ES2_fLi2ELb0ELb0ELi64EEEvPT0_PKT_S7_iiiPKb
                                        ; -- End function
	.section	.AMDGPU.csdata,"",@progbits
; Kernel info:
; codeLenInByte = 716
; NumSgprs: 18
; NumVgprs: 14
; ScratchSize: 0
; MemoryBound: 0
; FloatMode: 240
; IeeeMode: 1
; LDSByteSize: 0 bytes/workgroup (compile time only)
; SGPRBlocks: 2
; VGPRBlocks: 1
; NumSGPRsForWavesPerEU: 18
; NumVGPRsForWavesPerEU: 14
; Occupancy: 16
; WaveLimiterHint : 0
; COMPUTE_PGM_RSRC2:SCRATCH_EN: 0
; COMPUTE_PGM_RSRC2:USER_SGPR: 15
; COMPUTE_PGM_RSRC2:TRAP_HANDLER: 0
; COMPUTE_PGM_RSRC2:TGID_X_EN: 1
; COMPUTE_PGM_RSRC2:TGID_Y_EN: 0
; COMPUTE_PGM_RSRC2:TGID_Z_EN: 0
; COMPUTE_PGM_RSRC2:TIDIG_COMP_CNT: 1
	.section	.text._ZN12_GLOBAL__N_121softmax_warp_backwardIN3c108BFloat16ES2_fLi2ELb0ELb0ELi32EEEvPT0_PKT_S7_iiiPKb,"axG",@progbits,_ZN12_GLOBAL__N_121softmax_warp_backwardIN3c108BFloat16ES2_fLi2ELb0ELb0ELi32EEEvPT0_PKT_S7_iiiPKb,comdat
	.globl	_ZN12_GLOBAL__N_121softmax_warp_backwardIN3c108BFloat16ES2_fLi2ELb0ELb0ELi32EEEvPT0_PKT_S7_iiiPKb ; -- Begin function _ZN12_GLOBAL__N_121softmax_warp_backwardIN3c108BFloat16ES2_fLi2ELb0ELb0ELi32EEEvPT0_PKT_S7_iiiPKb
	.p2align	8
	.type	_ZN12_GLOBAL__N_121softmax_warp_backwardIN3c108BFloat16ES2_fLi2ELb0ELb0ELi32EEEvPT0_PKT_S7_iiiPKb,@function
_ZN12_GLOBAL__N_121softmax_warp_backwardIN3c108BFloat16ES2_fLi2ELb0ELb0ELi32EEEvPT0_PKT_S7_iiiPKb: ; @_ZN12_GLOBAL__N_121softmax_warp_backwardIN3c108BFloat16ES2_fLi2ELb0ELb0ELi32EEEvPT0_PKT_S7_iiiPKb
; %bb.0:
	s_clause 0x1
	s_load_b32 s2, s[0:1], 0x3c
	s_load_b128 s[4:7], s[0:1], 0x18
	v_bfe_u32 v1, v0, 10, 10
	v_dual_mov_b32 v7, 0 :: v_dual_and_b32 v2, 3, v0
	s_load_b128 s[8:11], s[0:1], 0x0
	v_dual_mov_b32 v8, 0 :: v_dual_mov_b32 v9, 0
	s_waitcnt lgkmcnt(0)
	s_lshr_b32 s2, s2, 16
	v_cmp_gt_i32_e32 vcc_lo, s6, v2
	s_mul_i32 s15, s15, s2
	s_load_b64 s[2:3], s[0:1], 0x10
	v_add_lshl_u32 v3, s15, v1, 1
	s_delay_alu instid0(VALU_DEP_1) | instskip(SKIP_1) | instid1(VALU_DEP_1)
	v_mad_u64_u32 v[0:1], null, v3, s5, v[2:3]
	v_sub_nc_u32_e32 v6, s4, v3
	v_cmp_lt_i32_e64 s0, 0, v6
	s_delay_alu instid0(VALU_DEP_3) | instskip(NEXT) | instid1(VALU_DEP_1)
	v_ashrrev_i32_e32 v1, 31, v0
	v_lshlrev_b64 v[0:1], 1, v[0:1]
	s_delay_alu instid0(VALU_DEP_1) | instskip(NEXT) | instid1(VALU_DEP_1)
	v_add_co_u32 v2, s1, s10, v0
	v_add_co_ci_u32_e64 v3, s1, s11, v1, s1
	s_waitcnt lgkmcnt(0)
	v_add_co_u32 v4, s1, s2, v0
	s_delay_alu instid0(VALU_DEP_1) | instskip(SKIP_1) | instid1(SALU_CYCLE_1)
	v_add_co_ci_u32_e64 v5, s1, s3, v1, s1
	s_and_b32 s2, vcc_lo, s0
	s_and_saveexec_b32 s1, s2
	s_cbranch_execz .LBB623_2
; %bb.1:
	global_load_u16 v8, v[4:5], off
	global_load_u16 v9, v[2:3], off
	s_waitcnt vmcnt(1)
	v_lshlrev_b32_e32 v8, 16, v8
	s_waitcnt vmcnt(0)
	v_lshlrev_b32_e32 v9, 16, v9
.LBB623_2:
	s_or_b32 exec_lo, exec_lo, s1
	v_cmp_lt_i32_e64 s1, 1, v6
	v_mov_b32_e32 v10, 0
	s_mov_b32 s7, 0
	s_delay_alu instid0(VALU_DEP_2) | instskip(NEXT) | instid1(SALU_CYCLE_1)
	s_and_b32 s1, vcc_lo, s1
	s_and_saveexec_b32 s2, s1
	s_cbranch_execz .LBB623_4
; %bb.3:
	s_lshl_b64 s[4:5], s[6:7], 1
	s_delay_alu instid0(SALU_CYCLE_1) | instskip(NEXT) | instid1(VALU_DEP_1)
	v_add_co_u32 v4, s1, v4, s4
	v_add_co_ci_u32_e64 v5, s1, s5, v5, s1
	v_add_co_u32 v2, s1, v2, s4
	s_delay_alu instid0(VALU_DEP_1)
	v_add_co_ci_u32_e64 v3, s1, s5, v3, s1
	global_load_u16 v4, v[4:5], off
	global_load_u16 v2, v[2:3], off
	s_waitcnt vmcnt(1)
	v_lshlrev_b32_e32 v7, 16, v4
	s_waitcnt vmcnt(0)
	v_lshlrev_b32_e32 v10, 16, v2
.LBB623_4:
	s_or_b32 exec_lo, exec_lo, s2
	v_mbcnt_lo_u32_b32 v2, -1, 0
	v_add_f32_e32 v5, 0, v9
	s_delay_alu instid0(VALU_DEP_3) | instskip(NEXT) | instid1(VALU_DEP_3)
	v_add_f32_e32 v11, 0, v10
	v_and_b32_e32 v3, 28, v2
	v_xor_b32_e32 v4, 2, v2
	s_delay_alu instid0(VALU_DEP_2) | instskip(NEXT) | instid1(VALU_DEP_1)
	v_add_nc_u32_e32 v3, 4, v3
	v_cmp_lt_i32_e64 s1, v4, v3
	s_delay_alu instid0(VALU_DEP_1) | instskip(NEXT) | instid1(VALU_DEP_1)
	v_cndmask_b32_e64 v4, v2, v4, s1
	v_lshlrev_b32_e32 v4, 2, v4
	ds_bpermute_b32 v12, v4, v5
	ds_bpermute_b32 v13, v4, v11
	v_xor_b32_e32 v4, 1, v2
	s_delay_alu instid0(VALU_DEP_1) | instskip(NEXT) | instid1(VALU_DEP_1)
	v_cmp_lt_i32_e64 s1, v4, v3
	v_cndmask_b32_e64 v2, v2, v4, s1
	s_waitcnt lgkmcnt(1)
	s_delay_alu instid0(VALU_DEP_1)
	v_dual_add_f32 v4, v5, v12 :: v_dual_lshlrev_b32 v3, 2, v2
	s_waitcnt lgkmcnt(0)
	v_add_f32_e32 v2, v11, v13
	ds_bpermute_b32 v5, v3, v4
	ds_bpermute_b32 v3, v3, v2
	s_and_saveexec_b32 s1, s0
	s_cbranch_execz .LBB623_10
; %bb.5:
	v_add_co_u32 v0, s0, s8, v0
	s_delay_alu instid0(VALU_DEP_1)
	v_add_co_ci_u32_e64 v1, s0, s9, v1, s0
	s_and_saveexec_b32 s1, vcc_lo
	s_cbranch_execz .LBB623_7
; %bb.6:
	s_waitcnt lgkmcnt(1)
	v_add_f32_e32 v4, v4, v5
	s_delay_alu instid0(VALU_DEP_1) | instskip(NEXT) | instid1(VALU_DEP_1)
	v_fma_f32 v4, -v4, v8, v9
	v_bfe_u32 v5, v4, 16, 1
	v_cmp_o_f32_e64 s0, v4, v4
	s_delay_alu instid0(VALU_DEP_2) | instskip(NEXT) | instid1(VALU_DEP_1)
	v_add3_u32 v5, v4, v5, 0x7fff
	v_lshrrev_b32_e32 v5, 16, v5
	s_delay_alu instid0(VALU_DEP_1)
	v_cndmask_b32_e64 v4, 0x7fc0, v5, s0
	global_store_b16 v[0:1], v4, off
.LBB623_7:
	s_or_b32 exec_lo, exec_lo, s1
	v_cmp_ne_u32_e64 s0, 1, v6
	s_delay_alu instid0(VALU_DEP_1)
	s_and_b32 exec_lo, exec_lo, s0
	s_cbranch_execz .LBB623_10
; %bb.8:
	s_and_b32 exec_lo, exec_lo, vcc_lo
	s_cbranch_execz .LBB623_10
; %bb.9:
	s_waitcnt lgkmcnt(0)
	v_add_f32_e32 v2, v2, v3
	s_lshl_b64 s[0:1], s[6:7], 1
	s_delay_alu instid0(VALU_DEP_1) | instskip(NEXT) | instid1(VALU_DEP_1)
	v_fma_f32 v2, -v2, v7, v10
	v_bfe_u32 v3, v2, 16, 1
	v_cmp_o_f32_e32 vcc_lo, v2, v2
	s_delay_alu instid0(VALU_DEP_2) | instskip(NEXT) | instid1(VALU_DEP_1)
	v_add3_u32 v3, v2, v3, 0x7fff
	v_lshrrev_b32_e32 v3, 16, v3
	s_delay_alu instid0(VALU_DEP_1)
	v_cndmask_b32_e32 v2, 0x7fc0, v3, vcc_lo
	v_add_co_u32 v0, vcc_lo, v0, s0
	v_add_co_ci_u32_e32 v1, vcc_lo, s1, v1, vcc_lo
	global_store_b16 v[0:1], v2, off
.LBB623_10:
	s_nop 0
	s_sendmsg sendmsg(MSG_DEALLOC_VGPRS)
	s_endpgm
	.section	.rodata,"a",@progbits
	.p2align	6, 0x0
	.amdhsa_kernel _ZN12_GLOBAL__N_121softmax_warp_backwardIN3c108BFloat16ES2_fLi2ELb0ELb0ELi32EEEvPT0_PKT_S7_iiiPKb
		.amdhsa_group_segment_fixed_size 0
		.amdhsa_private_segment_fixed_size 0
		.amdhsa_kernarg_size 304
		.amdhsa_user_sgpr_count 15
		.amdhsa_user_sgpr_dispatch_ptr 0
		.amdhsa_user_sgpr_queue_ptr 0
		.amdhsa_user_sgpr_kernarg_segment_ptr 1
		.amdhsa_user_sgpr_dispatch_id 0
		.amdhsa_user_sgpr_private_segment_size 0
		.amdhsa_wavefront_size32 1
		.amdhsa_uses_dynamic_stack 0
		.amdhsa_enable_private_segment 0
		.amdhsa_system_sgpr_workgroup_id_x 1
		.amdhsa_system_sgpr_workgroup_id_y 0
		.amdhsa_system_sgpr_workgroup_id_z 0
		.amdhsa_system_sgpr_workgroup_info 0
		.amdhsa_system_vgpr_workitem_id 1
		.amdhsa_next_free_vgpr 14
		.amdhsa_next_free_sgpr 16
		.amdhsa_reserve_vcc 1
		.amdhsa_float_round_mode_32 0
		.amdhsa_float_round_mode_16_64 0
		.amdhsa_float_denorm_mode_32 3
		.amdhsa_float_denorm_mode_16_64 3
		.amdhsa_dx10_clamp 1
		.amdhsa_ieee_mode 1
		.amdhsa_fp16_overflow 0
		.amdhsa_workgroup_processor_mode 1
		.amdhsa_memory_ordered 1
		.amdhsa_forward_progress 0
		.amdhsa_shared_vgpr_count 0
		.amdhsa_exception_fp_ieee_invalid_op 0
		.amdhsa_exception_fp_denorm_src 0
		.amdhsa_exception_fp_ieee_div_zero 0
		.amdhsa_exception_fp_ieee_overflow 0
		.amdhsa_exception_fp_ieee_underflow 0
		.amdhsa_exception_fp_ieee_inexact 0
		.amdhsa_exception_int_div_zero 0
	.end_amdhsa_kernel
	.section	.text._ZN12_GLOBAL__N_121softmax_warp_backwardIN3c108BFloat16ES2_fLi2ELb0ELb0ELi32EEEvPT0_PKT_S7_iiiPKb,"axG",@progbits,_ZN12_GLOBAL__N_121softmax_warp_backwardIN3c108BFloat16ES2_fLi2ELb0ELb0ELi32EEEvPT0_PKT_S7_iiiPKb,comdat
.Lfunc_end623:
	.size	_ZN12_GLOBAL__N_121softmax_warp_backwardIN3c108BFloat16ES2_fLi2ELb0ELb0ELi32EEEvPT0_PKT_S7_iiiPKb, .Lfunc_end623-_ZN12_GLOBAL__N_121softmax_warp_backwardIN3c108BFloat16ES2_fLi2ELb0ELb0ELi32EEEvPT0_PKT_S7_iiiPKb
                                        ; -- End function
	.section	.AMDGPU.csdata,"",@progbits
; Kernel info:
; codeLenInByte = 716
; NumSgprs: 18
; NumVgprs: 14
; ScratchSize: 0
; MemoryBound: 0
; FloatMode: 240
; IeeeMode: 1
; LDSByteSize: 0 bytes/workgroup (compile time only)
; SGPRBlocks: 2
; VGPRBlocks: 1
; NumSGPRsForWavesPerEU: 18
; NumVGPRsForWavesPerEU: 14
; Occupancy: 16
; WaveLimiterHint : 0
; COMPUTE_PGM_RSRC2:SCRATCH_EN: 0
; COMPUTE_PGM_RSRC2:USER_SGPR: 15
; COMPUTE_PGM_RSRC2:TRAP_HANDLER: 0
; COMPUTE_PGM_RSRC2:TGID_X_EN: 1
; COMPUTE_PGM_RSRC2:TGID_Y_EN: 0
; COMPUTE_PGM_RSRC2:TGID_Z_EN: 0
; COMPUTE_PGM_RSRC2:TIDIG_COMP_CNT: 1
	.section	.text._ZN12_GLOBAL__N_121softmax_warp_backwardIN3c108BFloat16ES2_fLi3ELb0ELb0ELi64EEEvPT0_PKT_S7_iiiPKb,"axG",@progbits,_ZN12_GLOBAL__N_121softmax_warp_backwardIN3c108BFloat16ES2_fLi3ELb0ELb0ELi64EEEvPT0_PKT_S7_iiiPKb,comdat
	.globl	_ZN12_GLOBAL__N_121softmax_warp_backwardIN3c108BFloat16ES2_fLi3ELb0ELb0ELi64EEEvPT0_PKT_S7_iiiPKb ; -- Begin function _ZN12_GLOBAL__N_121softmax_warp_backwardIN3c108BFloat16ES2_fLi3ELb0ELb0ELi64EEEvPT0_PKT_S7_iiiPKb
	.p2align	8
	.type	_ZN12_GLOBAL__N_121softmax_warp_backwardIN3c108BFloat16ES2_fLi3ELb0ELb0ELi64EEEvPT0_PKT_S7_iiiPKb,@function
_ZN12_GLOBAL__N_121softmax_warp_backwardIN3c108BFloat16ES2_fLi3ELb0ELb0ELi64EEEvPT0_PKT_S7_iiiPKb: ; @_ZN12_GLOBAL__N_121softmax_warp_backwardIN3c108BFloat16ES2_fLi3ELb0ELb0ELi64EEEvPT0_PKT_S7_iiiPKb
; %bb.0:
	s_clause 0x1
	s_load_b32 s2, s[0:1], 0x3c
	s_load_b128 s[4:7], s[0:1], 0x18
	v_bfe_u32 v1, v0, 10, 10
	v_dual_mov_b32 v7, 0 :: v_dual_and_b32 v2, 7, v0
	s_load_b128 s[8:11], s[0:1], 0x0
	v_dual_mov_b32 v8, 0 :: v_dual_mov_b32 v9, 0
	s_waitcnt lgkmcnt(0)
	s_lshr_b32 s2, s2, 16
	v_cmp_gt_i32_e32 vcc_lo, s6, v2
	s_mul_i32 s15, s15, s2
	s_load_b64 s[2:3], s[0:1], 0x10
	v_add_lshl_u32 v3, s15, v1, 1
	s_delay_alu instid0(VALU_DEP_1) | instskip(SKIP_1) | instid1(VALU_DEP_1)
	v_mad_u64_u32 v[0:1], null, v3, s5, v[2:3]
	v_sub_nc_u32_e32 v6, s4, v3
	v_cmp_lt_i32_e64 s0, 0, v6
	s_delay_alu instid0(VALU_DEP_3) | instskip(NEXT) | instid1(VALU_DEP_1)
	v_ashrrev_i32_e32 v1, 31, v0
	v_lshlrev_b64 v[0:1], 1, v[0:1]
	s_delay_alu instid0(VALU_DEP_1) | instskip(NEXT) | instid1(VALU_DEP_1)
	v_add_co_u32 v2, s1, s10, v0
	v_add_co_ci_u32_e64 v3, s1, s11, v1, s1
	s_waitcnt lgkmcnt(0)
	v_add_co_u32 v4, s1, s2, v0
	s_delay_alu instid0(VALU_DEP_1) | instskip(SKIP_1) | instid1(SALU_CYCLE_1)
	v_add_co_ci_u32_e64 v5, s1, s3, v1, s1
	s_and_b32 s2, vcc_lo, s0
	s_and_saveexec_b32 s1, s2
	s_cbranch_execz .LBB624_2
; %bb.1:
	global_load_u16 v8, v[4:5], off
	global_load_u16 v9, v[2:3], off
	s_waitcnt vmcnt(1)
	v_lshlrev_b32_e32 v8, 16, v8
	s_waitcnt vmcnt(0)
	v_lshlrev_b32_e32 v9, 16, v9
.LBB624_2:
	s_or_b32 exec_lo, exec_lo, s1
	v_cmp_lt_i32_e64 s1, 1, v6
	v_mov_b32_e32 v10, 0
	s_mov_b32 s7, 0
	s_delay_alu instid0(VALU_DEP_2) | instskip(NEXT) | instid1(SALU_CYCLE_1)
	s_and_b32 s1, vcc_lo, s1
	s_and_saveexec_b32 s2, s1
	s_cbranch_execz .LBB624_4
; %bb.3:
	s_lshl_b64 s[4:5], s[6:7], 1
	s_delay_alu instid0(SALU_CYCLE_1) | instskip(NEXT) | instid1(VALU_DEP_1)
	v_add_co_u32 v4, s1, v4, s4
	v_add_co_ci_u32_e64 v5, s1, s5, v5, s1
	v_add_co_u32 v2, s1, v2, s4
	s_delay_alu instid0(VALU_DEP_1)
	v_add_co_ci_u32_e64 v3, s1, s5, v3, s1
	global_load_u16 v4, v[4:5], off
	global_load_u16 v2, v[2:3], off
	s_waitcnt vmcnt(1)
	v_lshlrev_b32_e32 v7, 16, v4
	s_waitcnt vmcnt(0)
	v_lshlrev_b32_e32 v10, 16, v2
.LBB624_4:
	s_or_b32 exec_lo, exec_lo, s2
	v_mbcnt_lo_u32_b32 v2, -1, 0
	s_delay_alu instid0(VALU_DEP_2) | instskip(NEXT) | instid1(VALU_DEP_2)
	v_add_f32_e32 v11, 0, v10
	v_and_b32_e32 v3, 24, v2
	v_xor_b32_e32 v4, 4, v2
	v_xor_b32_e32 v13, 2, v2
	s_delay_alu instid0(VALU_DEP_3) | instskip(NEXT) | instid1(VALU_DEP_1)
	v_add_nc_u32_e32 v3, 8, v3
	v_cmp_lt_i32_e64 s1, v4, v3
	s_delay_alu instid0(VALU_DEP_1) | instskip(SKIP_2) | instid1(VALU_DEP_3)
	v_cndmask_b32_e64 v4, v2, v4, s1
	v_add_f32_e32 v5, 0, v9
	v_cmp_lt_i32_e64 s1, v13, v3
	v_lshlrev_b32_e32 v4, 2, v4
	s_delay_alu instid0(VALU_DEP_2)
	v_cndmask_b32_e64 v13, v2, v13, s1
	ds_bpermute_b32 v12, v4, v5
	ds_bpermute_b32 v4, v4, v11
	v_lshlrev_b32_e32 v13, 2, v13
	s_waitcnt lgkmcnt(1)
	v_add_f32_e32 v5, v5, v12
	s_waitcnt lgkmcnt(0)
	v_add_f32_e32 v11, v11, v4
	ds_bpermute_b32 v4, v13, v5
	ds_bpermute_b32 v12, v13, v11
	v_xor_b32_e32 v13, 1, v2
	s_delay_alu instid0(VALU_DEP_1) | instskip(NEXT) | instid1(VALU_DEP_1)
	v_cmp_lt_i32_e64 s1, v13, v3
	v_cndmask_b32_e64 v2, v2, v13, s1
	s_waitcnt lgkmcnt(1)
	s_delay_alu instid0(VALU_DEP_1)
	v_dual_add_f32 v4, v5, v4 :: v_dual_lshlrev_b32 v3, 2, v2
	s_waitcnt lgkmcnt(0)
	v_add_f32_e32 v2, v11, v12
	ds_bpermute_b32 v5, v3, v4
	ds_bpermute_b32 v3, v3, v2
	s_and_saveexec_b32 s1, s0
	s_cbranch_execz .LBB624_10
; %bb.5:
	v_add_co_u32 v0, s0, s8, v0
	s_delay_alu instid0(VALU_DEP_1)
	v_add_co_ci_u32_e64 v1, s0, s9, v1, s0
	s_and_saveexec_b32 s1, vcc_lo
	s_cbranch_execz .LBB624_7
; %bb.6:
	s_waitcnt lgkmcnt(1)
	v_add_f32_e32 v4, v4, v5
	s_delay_alu instid0(VALU_DEP_1) | instskip(NEXT) | instid1(VALU_DEP_1)
	v_fma_f32 v4, -v4, v8, v9
	v_bfe_u32 v5, v4, 16, 1
	v_cmp_o_f32_e64 s0, v4, v4
	s_delay_alu instid0(VALU_DEP_2) | instskip(NEXT) | instid1(VALU_DEP_1)
	v_add3_u32 v5, v4, v5, 0x7fff
	v_lshrrev_b32_e32 v5, 16, v5
	s_delay_alu instid0(VALU_DEP_1)
	v_cndmask_b32_e64 v4, 0x7fc0, v5, s0
	global_store_b16 v[0:1], v4, off
.LBB624_7:
	s_or_b32 exec_lo, exec_lo, s1
	v_cmp_ne_u32_e64 s0, 1, v6
	s_delay_alu instid0(VALU_DEP_1)
	s_and_b32 exec_lo, exec_lo, s0
	s_cbranch_execz .LBB624_10
; %bb.8:
	s_and_b32 exec_lo, exec_lo, vcc_lo
	s_cbranch_execz .LBB624_10
; %bb.9:
	s_waitcnt lgkmcnt(0)
	v_add_f32_e32 v2, v2, v3
	s_lshl_b64 s[0:1], s[6:7], 1
	s_delay_alu instid0(VALU_DEP_1) | instskip(NEXT) | instid1(VALU_DEP_1)
	v_fma_f32 v2, -v2, v7, v10
	v_bfe_u32 v3, v2, 16, 1
	v_cmp_o_f32_e32 vcc_lo, v2, v2
	s_delay_alu instid0(VALU_DEP_2) | instskip(NEXT) | instid1(VALU_DEP_1)
	v_add3_u32 v3, v2, v3, 0x7fff
	v_lshrrev_b32_e32 v3, 16, v3
	s_delay_alu instid0(VALU_DEP_1)
	v_cndmask_b32_e32 v2, 0x7fc0, v3, vcc_lo
	v_add_co_u32 v0, vcc_lo, v0, s0
	v_add_co_ci_u32_e32 v1, vcc_lo, s1, v1, vcc_lo
	global_store_b16 v[0:1], v2, off
.LBB624_10:
	s_nop 0
	s_sendmsg sendmsg(MSG_DEALLOC_VGPRS)
	s_endpgm
	.section	.rodata,"a",@progbits
	.p2align	6, 0x0
	.amdhsa_kernel _ZN12_GLOBAL__N_121softmax_warp_backwardIN3c108BFloat16ES2_fLi3ELb0ELb0ELi64EEEvPT0_PKT_S7_iiiPKb
		.amdhsa_group_segment_fixed_size 0
		.amdhsa_private_segment_fixed_size 0
		.amdhsa_kernarg_size 304
		.amdhsa_user_sgpr_count 15
		.amdhsa_user_sgpr_dispatch_ptr 0
		.amdhsa_user_sgpr_queue_ptr 0
		.amdhsa_user_sgpr_kernarg_segment_ptr 1
		.amdhsa_user_sgpr_dispatch_id 0
		.amdhsa_user_sgpr_private_segment_size 0
		.amdhsa_wavefront_size32 1
		.amdhsa_uses_dynamic_stack 0
		.amdhsa_enable_private_segment 0
		.amdhsa_system_sgpr_workgroup_id_x 1
		.amdhsa_system_sgpr_workgroup_id_y 0
		.amdhsa_system_sgpr_workgroup_id_z 0
		.amdhsa_system_sgpr_workgroup_info 0
		.amdhsa_system_vgpr_workitem_id 1
		.amdhsa_next_free_vgpr 14
		.amdhsa_next_free_sgpr 16
		.amdhsa_reserve_vcc 1
		.amdhsa_float_round_mode_32 0
		.amdhsa_float_round_mode_16_64 0
		.amdhsa_float_denorm_mode_32 3
		.amdhsa_float_denorm_mode_16_64 3
		.amdhsa_dx10_clamp 1
		.amdhsa_ieee_mode 1
		.amdhsa_fp16_overflow 0
		.amdhsa_workgroup_processor_mode 1
		.amdhsa_memory_ordered 1
		.amdhsa_forward_progress 0
		.amdhsa_shared_vgpr_count 0
		.amdhsa_exception_fp_ieee_invalid_op 0
		.amdhsa_exception_fp_denorm_src 0
		.amdhsa_exception_fp_ieee_div_zero 0
		.amdhsa_exception_fp_ieee_overflow 0
		.amdhsa_exception_fp_ieee_underflow 0
		.amdhsa_exception_fp_ieee_inexact 0
		.amdhsa_exception_int_div_zero 0
	.end_amdhsa_kernel
	.section	.text._ZN12_GLOBAL__N_121softmax_warp_backwardIN3c108BFloat16ES2_fLi3ELb0ELb0ELi64EEEvPT0_PKT_S7_iiiPKb,"axG",@progbits,_ZN12_GLOBAL__N_121softmax_warp_backwardIN3c108BFloat16ES2_fLi3ELb0ELb0ELi64EEEvPT0_PKT_S7_iiiPKb,comdat
.Lfunc_end624:
	.size	_ZN12_GLOBAL__N_121softmax_warp_backwardIN3c108BFloat16ES2_fLi3ELb0ELb0ELi64EEEvPT0_PKT_S7_iiiPKb, .Lfunc_end624-_ZN12_GLOBAL__N_121softmax_warp_backwardIN3c108BFloat16ES2_fLi3ELb0ELb0ELi64EEEvPT0_PKT_S7_iiiPKb
                                        ; -- End function
	.section	.AMDGPU.csdata,"",@progbits
; Kernel info:
; codeLenInByte = 776
; NumSgprs: 18
; NumVgprs: 14
; ScratchSize: 0
; MemoryBound: 0
; FloatMode: 240
; IeeeMode: 1
; LDSByteSize: 0 bytes/workgroup (compile time only)
; SGPRBlocks: 2
; VGPRBlocks: 1
; NumSGPRsForWavesPerEU: 18
; NumVGPRsForWavesPerEU: 14
; Occupancy: 16
; WaveLimiterHint : 0
; COMPUTE_PGM_RSRC2:SCRATCH_EN: 0
; COMPUTE_PGM_RSRC2:USER_SGPR: 15
; COMPUTE_PGM_RSRC2:TRAP_HANDLER: 0
; COMPUTE_PGM_RSRC2:TGID_X_EN: 1
; COMPUTE_PGM_RSRC2:TGID_Y_EN: 0
; COMPUTE_PGM_RSRC2:TGID_Z_EN: 0
; COMPUTE_PGM_RSRC2:TIDIG_COMP_CNT: 1
	.section	.text._ZN12_GLOBAL__N_121softmax_warp_backwardIN3c108BFloat16ES2_fLi3ELb0ELb0ELi32EEEvPT0_PKT_S7_iiiPKb,"axG",@progbits,_ZN12_GLOBAL__N_121softmax_warp_backwardIN3c108BFloat16ES2_fLi3ELb0ELb0ELi32EEEvPT0_PKT_S7_iiiPKb,comdat
	.globl	_ZN12_GLOBAL__N_121softmax_warp_backwardIN3c108BFloat16ES2_fLi3ELb0ELb0ELi32EEEvPT0_PKT_S7_iiiPKb ; -- Begin function _ZN12_GLOBAL__N_121softmax_warp_backwardIN3c108BFloat16ES2_fLi3ELb0ELb0ELi32EEEvPT0_PKT_S7_iiiPKb
	.p2align	8
	.type	_ZN12_GLOBAL__N_121softmax_warp_backwardIN3c108BFloat16ES2_fLi3ELb0ELb0ELi32EEEvPT0_PKT_S7_iiiPKb,@function
_ZN12_GLOBAL__N_121softmax_warp_backwardIN3c108BFloat16ES2_fLi3ELb0ELb0ELi32EEEvPT0_PKT_S7_iiiPKb: ; @_ZN12_GLOBAL__N_121softmax_warp_backwardIN3c108BFloat16ES2_fLi3ELb0ELb0ELi32EEEvPT0_PKT_S7_iiiPKb
; %bb.0:
	s_clause 0x1
	s_load_b32 s2, s[0:1], 0x3c
	s_load_b128 s[4:7], s[0:1], 0x18
	v_bfe_u32 v1, v0, 10, 10
	v_dual_mov_b32 v7, 0 :: v_dual_and_b32 v2, 7, v0
	s_load_b128 s[8:11], s[0:1], 0x0
	v_dual_mov_b32 v8, 0 :: v_dual_mov_b32 v9, 0
	s_waitcnt lgkmcnt(0)
	s_lshr_b32 s2, s2, 16
	v_cmp_gt_i32_e32 vcc_lo, s6, v2
	s_mul_i32 s15, s15, s2
	s_load_b64 s[2:3], s[0:1], 0x10
	v_add_lshl_u32 v3, s15, v1, 1
	s_delay_alu instid0(VALU_DEP_1) | instskip(SKIP_1) | instid1(VALU_DEP_1)
	v_mad_u64_u32 v[0:1], null, v3, s5, v[2:3]
	v_sub_nc_u32_e32 v6, s4, v3
	v_cmp_lt_i32_e64 s0, 0, v6
	s_delay_alu instid0(VALU_DEP_3) | instskip(NEXT) | instid1(VALU_DEP_1)
	v_ashrrev_i32_e32 v1, 31, v0
	v_lshlrev_b64 v[0:1], 1, v[0:1]
	s_delay_alu instid0(VALU_DEP_1) | instskip(NEXT) | instid1(VALU_DEP_1)
	v_add_co_u32 v2, s1, s10, v0
	v_add_co_ci_u32_e64 v3, s1, s11, v1, s1
	s_waitcnt lgkmcnt(0)
	v_add_co_u32 v4, s1, s2, v0
	s_delay_alu instid0(VALU_DEP_1) | instskip(SKIP_1) | instid1(SALU_CYCLE_1)
	v_add_co_ci_u32_e64 v5, s1, s3, v1, s1
	s_and_b32 s2, vcc_lo, s0
	s_and_saveexec_b32 s1, s2
	s_cbranch_execz .LBB625_2
; %bb.1:
	global_load_u16 v8, v[4:5], off
	global_load_u16 v9, v[2:3], off
	s_waitcnt vmcnt(1)
	v_lshlrev_b32_e32 v8, 16, v8
	s_waitcnt vmcnt(0)
	v_lshlrev_b32_e32 v9, 16, v9
.LBB625_2:
	s_or_b32 exec_lo, exec_lo, s1
	v_cmp_lt_i32_e64 s1, 1, v6
	v_mov_b32_e32 v10, 0
	s_mov_b32 s7, 0
	s_delay_alu instid0(VALU_DEP_2) | instskip(NEXT) | instid1(SALU_CYCLE_1)
	s_and_b32 s1, vcc_lo, s1
	s_and_saveexec_b32 s2, s1
	s_cbranch_execz .LBB625_4
; %bb.3:
	s_lshl_b64 s[4:5], s[6:7], 1
	s_delay_alu instid0(SALU_CYCLE_1) | instskip(NEXT) | instid1(VALU_DEP_1)
	v_add_co_u32 v4, s1, v4, s4
	v_add_co_ci_u32_e64 v5, s1, s5, v5, s1
	v_add_co_u32 v2, s1, v2, s4
	s_delay_alu instid0(VALU_DEP_1)
	v_add_co_ci_u32_e64 v3, s1, s5, v3, s1
	global_load_u16 v4, v[4:5], off
	global_load_u16 v2, v[2:3], off
	s_waitcnt vmcnt(1)
	v_lshlrev_b32_e32 v7, 16, v4
	s_waitcnt vmcnt(0)
	v_lshlrev_b32_e32 v10, 16, v2
.LBB625_4:
	s_or_b32 exec_lo, exec_lo, s2
	v_mbcnt_lo_u32_b32 v2, -1, 0
	s_delay_alu instid0(VALU_DEP_2) | instskip(NEXT) | instid1(VALU_DEP_2)
	v_add_f32_e32 v11, 0, v10
	v_and_b32_e32 v3, 24, v2
	v_xor_b32_e32 v4, 4, v2
	v_xor_b32_e32 v13, 2, v2
	s_delay_alu instid0(VALU_DEP_3) | instskip(NEXT) | instid1(VALU_DEP_1)
	v_add_nc_u32_e32 v3, 8, v3
	v_cmp_lt_i32_e64 s1, v4, v3
	s_delay_alu instid0(VALU_DEP_1) | instskip(SKIP_2) | instid1(VALU_DEP_3)
	v_cndmask_b32_e64 v4, v2, v4, s1
	v_add_f32_e32 v5, 0, v9
	v_cmp_lt_i32_e64 s1, v13, v3
	v_lshlrev_b32_e32 v4, 2, v4
	s_delay_alu instid0(VALU_DEP_2)
	v_cndmask_b32_e64 v13, v2, v13, s1
	ds_bpermute_b32 v12, v4, v5
	ds_bpermute_b32 v4, v4, v11
	v_lshlrev_b32_e32 v13, 2, v13
	s_waitcnt lgkmcnt(1)
	v_add_f32_e32 v5, v5, v12
	s_waitcnt lgkmcnt(0)
	v_add_f32_e32 v11, v11, v4
	ds_bpermute_b32 v4, v13, v5
	ds_bpermute_b32 v12, v13, v11
	v_xor_b32_e32 v13, 1, v2
	s_delay_alu instid0(VALU_DEP_1) | instskip(NEXT) | instid1(VALU_DEP_1)
	v_cmp_lt_i32_e64 s1, v13, v3
	v_cndmask_b32_e64 v2, v2, v13, s1
	s_waitcnt lgkmcnt(1)
	s_delay_alu instid0(VALU_DEP_1)
	v_dual_add_f32 v4, v5, v4 :: v_dual_lshlrev_b32 v3, 2, v2
	s_waitcnt lgkmcnt(0)
	v_add_f32_e32 v2, v11, v12
	ds_bpermute_b32 v5, v3, v4
	ds_bpermute_b32 v3, v3, v2
	s_and_saveexec_b32 s1, s0
	s_cbranch_execz .LBB625_10
; %bb.5:
	v_add_co_u32 v0, s0, s8, v0
	s_delay_alu instid0(VALU_DEP_1)
	v_add_co_ci_u32_e64 v1, s0, s9, v1, s0
	s_and_saveexec_b32 s1, vcc_lo
	s_cbranch_execz .LBB625_7
; %bb.6:
	s_waitcnt lgkmcnt(1)
	v_add_f32_e32 v4, v4, v5
	s_delay_alu instid0(VALU_DEP_1) | instskip(NEXT) | instid1(VALU_DEP_1)
	v_fma_f32 v4, -v4, v8, v9
	v_bfe_u32 v5, v4, 16, 1
	v_cmp_o_f32_e64 s0, v4, v4
	s_delay_alu instid0(VALU_DEP_2) | instskip(NEXT) | instid1(VALU_DEP_1)
	v_add3_u32 v5, v4, v5, 0x7fff
	v_lshrrev_b32_e32 v5, 16, v5
	s_delay_alu instid0(VALU_DEP_1)
	v_cndmask_b32_e64 v4, 0x7fc0, v5, s0
	global_store_b16 v[0:1], v4, off
.LBB625_7:
	s_or_b32 exec_lo, exec_lo, s1
	v_cmp_ne_u32_e64 s0, 1, v6
	s_delay_alu instid0(VALU_DEP_1)
	s_and_b32 exec_lo, exec_lo, s0
	s_cbranch_execz .LBB625_10
; %bb.8:
	s_and_b32 exec_lo, exec_lo, vcc_lo
	s_cbranch_execz .LBB625_10
; %bb.9:
	s_waitcnt lgkmcnt(0)
	v_add_f32_e32 v2, v2, v3
	s_lshl_b64 s[0:1], s[6:7], 1
	s_delay_alu instid0(VALU_DEP_1) | instskip(NEXT) | instid1(VALU_DEP_1)
	v_fma_f32 v2, -v2, v7, v10
	v_bfe_u32 v3, v2, 16, 1
	v_cmp_o_f32_e32 vcc_lo, v2, v2
	s_delay_alu instid0(VALU_DEP_2) | instskip(NEXT) | instid1(VALU_DEP_1)
	v_add3_u32 v3, v2, v3, 0x7fff
	v_lshrrev_b32_e32 v3, 16, v3
	s_delay_alu instid0(VALU_DEP_1)
	v_cndmask_b32_e32 v2, 0x7fc0, v3, vcc_lo
	v_add_co_u32 v0, vcc_lo, v0, s0
	v_add_co_ci_u32_e32 v1, vcc_lo, s1, v1, vcc_lo
	global_store_b16 v[0:1], v2, off
.LBB625_10:
	s_nop 0
	s_sendmsg sendmsg(MSG_DEALLOC_VGPRS)
	s_endpgm
	.section	.rodata,"a",@progbits
	.p2align	6, 0x0
	.amdhsa_kernel _ZN12_GLOBAL__N_121softmax_warp_backwardIN3c108BFloat16ES2_fLi3ELb0ELb0ELi32EEEvPT0_PKT_S7_iiiPKb
		.amdhsa_group_segment_fixed_size 0
		.amdhsa_private_segment_fixed_size 0
		.amdhsa_kernarg_size 304
		.amdhsa_user_sgpr_count 15
		.amdhsa_user_sgpr_dispatch_ptr 0
		.amdhsa_user_sgpr_queue_ptr 0
		.amdhsa_user_sgpr_kernarg_segment_ptr 1
		.amdhsa_user_sgpr_dispatch_id 0
		.amdhsa_user_sgpr_private_segment_size 0
		.amdhsa_wavefront_size32 1
		.amdhsa_uses_dynamic_stack 0
		.amdhsa_enable_private_segment 0
		.amdhsa_system_sgpr_workgroup_id_x 1
		.amdhsa_system_sgpr_workgroup_id_y 0
		.amdhsa_system_sgpr_workgroup_id_z 0
		.amdhsa_system_sgpr_workgroup_info 0
		.amdhsa_system_vgpr_workitem_id 1
		.amdhsa_next_free_vgpr 14
		.amdhsa_next_free_sgpr 16
		.amdhsa_reserve_vcc 1
		.amdhsa_float_round_mode_32 0
		.amdhsa_float_round_mode_16_64 0
		.amdhsa_float_denorm_mode_32 3
		.amdhsa_float_denorm_mode_16_64 3
		.amdhsa_dx10_clamp 1
		.amdhsa_ieee_mode 1
		.amdhsa_fp16_overflow 0
		.amdhsa_workgroup_processor_mode 1
		.amdhsa_memory_ordered 1
		.amdhsa_forward_progress 0
		.amdhsa_shared_vgpr_count 0
		.amdhsa_exception_fp_ieee_invalid_op 0
		.amdhsa_exception_fp_denorm_src 0
		.amdhsa_exception_fp_ieee_div_zero 0
		.amdhsa_exception_fp_ieee_overflow 0
		.amdhsa_exception_fp_ieee_underflow 0
		.amdhsa_exception_fp_ieee_inexact 0
		.amdhsa_exception_int_div_zero 0
	.end_amdhsa_kernel
	.section	.text._ZN12_GLOBAL__N_121softmax_warp_backwardIN3c108BFloat16ES2_fLi3ELb0ELb0ELi32EEEvPT0_PKT_S7_iiiPKb,"axG",@progbits,_ZN12_GLOBAL__N_121softmax_warp_backwardIN3c108BFloat16ES2_fLi3ELb0ELb0ELi32EEEvPT0_PKT_S7_iiiPKb,comdat
.Lfunc_end625:
	.size	_ZN12_GLOBAL__N_121softmax_warp_backwardIN3c108BFloat16ES2_fLi3ELb0ELb0ELi32EEEvPT0_PKT_S7_iiiPKb, .Lfunc_end625-_ZN12_GLOBAL__N_121softmax_warp_backwardIN3c108BFloat16ES2_fLi3ELb0ELb0ELi32EEEvPT0_PKT_S7_iiiPKb
                                        ; -- End function
	.section	.AMDGPU.csdata,"",@progbits
; Kernel info:
; codeLenInByte = 776
; NumSgprs: 18
; NumVgprs: 14
; ScratchSize: 0
; MemoryBound: 0
; FloatMode: 240
; IeeeMode: 1
; LDSByteSize: 0 bytes/workgroup (compile time only)
; SGPRBlocks: 2
; VGPRBlocks: 1
; NumSGPRsForWavesPerEU: 18
; NumVGPRsForWavesPerEU: 14
; Occupancy: 16
; WaveLimiterHint : 0
; COMPUTE_PGM_RSRC2:SCRATCH_EN: 0
; COMPUTE_PGM_RSRC2:USER_SGPR: 15
; COMPUTE_PGM_RSRC2:TRAP_HANDLER: 0
; COMPUTE_PGM_RSRC2:TGID_X_EN: 1
; COMPUTE_PGM_RSRC2:TGID_Y_EN: 0
; COMPUTE_PGM_RSRC2:TGID_Z_EN: 0
; COMPUTE_PGM_RSRC2:TIDIG_COMP_CNT: 1
	.section	.text._ZN12_GLOBAL__N_121softmax_warp_backwardIN3c108BFloat16ES2_fLi4ELb0ELb0ELi64EEEvPT0_PKT_S7_iiiPKb,"axG",@progbits,_ZN12_GLOBAL__N_121softmax_warp_backwardIN3c108BFloat16ES2_fLi4ELb0ELb0ELi64EEEvPT0_PKT_S7_iiiPKb,comdat
	.globl	_ZN12_GLOBAL__N_121softmax_warp_backwardIN3c108BFloat16ES2_fLi4ELb0ELb0ELi64EEEvPT0_PKT_S7_iiiPKb ; -- Begin function _ZN12_GLOBAL__N_121softmax_warp_backwardIN3c108BFloat16ES2_fLi4ELb0ELb0ELi64EEEvPT0_PKT_S7_iiiPKb
	.p2align	8
	.type	_ZN12_GLOBAL__N_121softmax_warp_backwardIN3c108BFloat16ES2_fLi4ELb0ELb0ELi64EEEvPT0_PKT_S7_iiiPKb,@function
_ZN12_GLOBAL__N_121softmax_warp_backwardIN3c108BFloat16ES2_fLi4ELb0ELb0ELi64EEEvPT0_PKT_S7_iiiPKb: ; @_ZN12_GLOBAL__N_121softmax_warp_backwardIN3c108BFloat16ES2_fLi4ELb0ELb0ELi64EEEvPT0_PKT_S7_iiiPKb
; %bb.0:
	s_clause 0x1
	s_load_b32 s2, s[0:1], 0x3c
	s_load_b128 s[4:7], s[0:1], 0x18
	v_bfe_u32 v1, v0, 10, 10
	v_dual_mov_b32 v7, 0 :: v_dual_and_b32 v2, 15, v0
	s_load_b128 s[8:11], s[0:1], 0x0
	v_dual_mov_b32 v8, 0 :: v_dual_mov_b32 v9, 0
	s_waitcnt lgkmcnt(0)
	s_lshr_b32 s2, s2, 16
	v_cmp_gt_i32_e32 vcc_lo, s6, v2
	s_mul_i32 s15, s15, s2
	s_load_b64 s[2:3], s[0:1], 0x10
	v_add_lshl_u32 v3, s15, v1, 1
	s_delay_alu instid0(VALU_DEP_1) | instskip(SKIP_1) | instid1(VALU_DEP_1)
	v_mad_u64_u32 v[0:1], null, v3, s5, v[2:3]
	v_sub_nc_u32_e32 v6, s4, v3
	v_cmp_lt_i32_e64 s0, 0, v6
	s_delay_alu instid0(VALU_DEP_3) | instskip(NEXT) | instid1(VALU_DEP_1)
	v_ashrrev_i32_e32 v1, 31, v0
	v_lshlrev_b64 v[0:1], 1, v[0:1]
	s_delay_alu instid0(VALU_DEP_1) | instskip(NEXT) | instid1(VALU_DEP_1)
	v_add_co_u32 v2, s1, s10, v0
	v_add_co_ci_u32_e64 v3, s1, s11, v1, s1
	s_waitcnt lgkmcnt(0)
	v_add_co_u32 v4, s1, s2, v0
	s_delay_alu instid0(VALU_DEP_1) | instskip(SKIP_1) | instid1(SALU_CYCLE_1)
	v_add_co_ci_u32_e64 v5, s1, s3, v1, s1
	s_and_b32 s2, vcc_lo, s0
	s_and_saveexec_b32 s1, s2
	s_cbranch_execz .LBB626_2
; %bb.1:
	global_load_u16 v8, v[4:5], off
	global_load_u16 v9, v[2:3], off
	s_waitcnt vmcnt(1)
	v_lshlrev_b32_e32 v8, 16, v8
	s_waitcnt vmcnt(0)
	v_lshlrev_b32_e32 v9, 16, v9
.LBB626_2:
	s_or_b32 exec_lo, exec_lo, s1
	v_cmp_lt_i32_e64 s1, 1, v6
	v_mov_b32_e32 v10, 0
	s_mov_b32 s7, 0
	s_delay_alu instid0(VALU_DEP_2) | instskip(NEXT) | instid1(SALU_CYCLE_1)
	s_and_b32 s1, vcc_lo, s1
	s_and_saveexec_b32 s2, s1
	s_cbranch_execz .LBB626_4
; %bb.3:
	s_lshl_b64 s[4:5], s[6:7], 1
	s_delay_alu instid0(SALU_CYCLE_1) | instskip(NEXT) | instid1(VALU_DEP_1)
	v_add_co_u32 v4, s1, v4, s4
	v_add_co_ci_u32_e64 v5, s1, s5, v5, s1
	v_add_co_u32 v2, s1, v2, s4
	s_delay_alu instid0(VALU_DEP_1)
	v_add_co_ci_u32_e64 v3, s1, s5, v3, s1
	global_load_u16 v4, v[4:5], off
	global_load_u16 v2, v[2:3], off
	s_waitcnt vmcnt(1)
	v_lshlrev_b32_e32 v7, 16, v4
	s_waitcnt vmcnt(0)
	v_lshlrev_b32_e32 v10, 16, v2
.LBB626_4:
	s_or_b32 exec_lo, exec_lo, s2
	v_mbcnt_lo_u32_b32 v2, -1, 0
	s_delay_alu instid0(VALU_DEP_2) | instskip(NEXT) | instid1(VALU_DEP_2)
	v_add_f32_e32 v11, 0, v10
	v_and_b32_e32 v3, 16, v2
	v_xor_b32_e32 v4, 8, v2
	v_xor_b32_e32 v13, 4, v2
	s_delay_alu instid0(VALU_DEP_3) | instskip(NEXT) | instid1(VALU_DEP_1)
	v_add_nc_u32_e32 v3, 16, v3
	v_cmp_lt_i32_e64 s1, v4, v3
	s_delay_alu instid0(VALU_DEP_1) | instskip(SKIP_2) | instid1(VALU_DEP_3)
	v_cndmask_b32_e64 v4, v2, v4, s1
	v_add_f32_e32 v5, 0, v9
	v_cmp_lt_i32_e64 s1, v13, v3
	v_lshlrev_b32_e32 v4, 2, v4
	s_delay_alu instid0(VALU_DEP_2)
	v_cndmask_b32_e64 v13, v2, v13, s1
	ds_bpermute_b32 v12, v4, v5
	ds_bpermute_b32 v4, v4, v11
	v_lshlrev_b32_e32 v13, 2, v13
	s_waitcnt lgkmcnt(1)
	v_add_f32_e32 v5, v5, v12
	s_waitcnt lgkmcnt(0)
	v_add_f32_e32 v4, v11, v4
	ds_bpermute_b32 v11, v13, v5
	ds_bpermute_b32 v12, v13, v4
	v_xor_b32_e32 v13, 2, v2
	s_delay_alu instid0(VALU_DEP_1) | instskip(NEXT) | instid1(VALU_DEP_1)
	v_cmp_lt_i32_e64 s1, v13, v3
	v_cndmask_b32_e64 v13, v2, v13, s1
	s_delay_alu instid0(VALU_DEP_1)
	v_lshlrev_b32_e32 v13, 2, v13
	s_waitcnt lgkmcnt(1)
	v_add_f32_e32 v5, v5, v11
	s_waitcnt lgkmcnt(0)
	v_add_f32_e32 v11, v4, v12
	ds_bpermute_b32 v4, v13, v5
	ds_bpermute_b32 v12, v13, v11
	v_xor_b32_e32 v13, 1, v2
	s_waitcnt lgkmcnt(1)
	v_add_f32_e32 v4, v5, v4
	s_delay_alu instid0(VALU_DEP_2) | instskip(NEXT) | instid1(VALU_DEP_1)
	v_cmp_lt_i32_e64 s1, v13, v3
	v_cndmask_b32_e64 v2, v2, v13, s1
	s_waitcnt lgkmcnt(0)
	s_delay_alu instid0(VALU_DEP_1)
	v_dual_add_f32 v2, v11, v12 :: v_dual_lshlrev_b32 v3, 2, v2
	ds_bpermute_b32 v5, v3, v4
	ds_bpermute_b32 v3, v3, v2
	s_and_saveexec_b32 s1, s0
	s_cbranch_execz .LBB626_10
; %bb.5:
	v_add_co_u32 v0, s0, s8, v0
	s_delay_alu instid0(VALU_DEP_1)
	v_add_co_ci_u32_e64 v1, s0, s9, v1, s0
	s_and_saveexec_b32 s1, vcc_lo
	s_cbranch_execz .LBB626_7
; %bb.6:
	s_waitcnt lgkmcnt(1)
	v_add_f32_e32 v4, v4, v5
	s_delay_alu instid0(VALU_DEP_1) | instskip(NEXT) | instid1(VALU_DEP_1)
	v_fma_f32 v4, -v4, v8, v9
	v_bfe_u32 v5, v4, 16, 1
	v_cmp_o_f32_e64 s0, v4, v4
	s_delay_alu instid0(VALU_DEP_2) | instskip(NEXT) | instid1(VALU_DEP_1)
	v_add3_u32 v5, v4, v5, 0x7fff
	v_lshrrev_b32_e32 v5, 16, v5
	s_delay_alu instid0(VALU_DEP_1)
	v_cndmask_b32_e64 v4, 0x7fc0, v5, s0
	global_store_b16 v[0:1], v4, off
.LBB626_7:
	s_or_b32 exec_lo, exec_lo, s1
	v_cmp_ne_u32_e64 s0, 1, v6
	s_delay_alu instid0(VALU_DEP_1)
	s_and_b32 exec_lo, exec_lo, s0
	s_cbranch_execz .LBB626_10
; %bb.8:
	s_and_b32 exec_lo, exec_lo, vcc_lo
	s_cbranch_execz .LBB626_10
; %bb.9:
	s_waitcnt lgkmcnt(0)
	v_add_f32_e32 v2, v2, v3
	s_lshl_b64 s[0:1], s[6:7], 1
	s_delay_alu instid0(VALU_DEP_1) | instskip(NEXT) | instid1(VALU_DEP_1)
	v_fma_f32 v2, -v2, v7, v10
	v_bfe_u32 v3, v2, 16, 1
	v_cmp_o_f32_e32 vcc_lo, v2, v2
	s_delay_alu instid0(VALU_DEP_2) | instskip(NEXT) | instid1(VALU_DEP_1)
	v_add3_u32 v3, v2, v3, 0x7fff
	v_lshrrev_b32_e32 v3, 16, v3
	s_delay_alu instid0(VALU_DEP_1)
	v_cndmask_b32_e32 v2, 0x7fc0, v3, vcc_lo
	v_add_co_u32 v0, vcc_lo, v0, s0
	v_add_co_ci_u32_e32 v1, vcc_lo, s1, v1, vcc_lo
	global_store_b16 v[0:1], v2, off
.LBB626_10:
	s_nop 0
	s_sendmsg sendmsg(MSG_DEALLOC_VGPRS)
	s_endpgm
	.section	.rodata,"a",@progbits
	.p2align	6, 0x0
	.amdhsa_kernel _ZN12_GLOBAL__N_121softmax_warp_backwardIN3c108BFloat16ES2_fLi4ELb0ELb0ELi64EEEvPT0_PKT_S7_iiiPKb
		.amdhsa_group_segment_fixed_size 0
		.amdhsa_private_segment_fixed_size 0
		.amdhsa_kernarg_size 304
		.amdhsa_user_sgpr_count 15
		.amdhsa_user_sgpr_dispatch_ptr 0
		.amdhsa_user_sgpr_queue_ptr 0
		.amdhsa_user_sgpr_kernarg_segment_ptr 1
		.amdhsa_user_sgpr_dispatch_id 0
		.amdhsa_user_sgpr_private_segment_size 0
		.amdhsa_wavefront_size32 1
		.amdhsa_uses_dynamic_stack 0
		.amdhsa_enable_private_segment 0
		.amdhsa_system_sgpr_workgroup_id_x 1
		.amdhsa_system_sgpr_workgroup_id_y 0
		.amdhsa_system_sgpr_workgroup_id_z 0
		.amdhsa_system_sgpr_workgroup_info 0
		.amdhsa_system_vgpr_workitem_id 1
		.amdhsa_next_free_vgpr 14
		.amdhsa_next_free_sgpr 16
		.amdhsa_reserve_vcc 1
		.amdhsa_float_round_mode_32 0
		.amdhsa_float_round_mode_16_64 0
		.amdhsa_float_denorm_mode_32 3
		.amdhsa_float_denorm_mode_16_64 3
		.amdhsa_dx10_clamp 1
		.amdhsa_ieee_mode 1
		.amdhsa_fp16_overflow 0
		.amdhsa_workgroup_processor_mode 1
		.amdhsa_memory_ordered 1
		.amdhsa_forward_progress 0
		.amdhsa_shared_vgpr_count 0
		.amdhsa_exception_fp_ieee_invalid_op 0
		.amdhsa_exception_fp_denorm_src 0
		.amdhsa_exception_fp_ieee_div_zero 0
		.amdhsa_exception_fp_ieee_overflow 0
		.amdhsa_exception_fp_ieee_underflow 0
		.amdhsa_exception_fp_ieee_inexact 0
		.amdhsa_exception_int_div_zero 0
	.end_amdhsa_kernel
	.section	.text._ZN12_GLOBAL__N_121softmax_warp_backwardIN3c108BFloat16ES2_fLi4ELb0ELb0ELi64EEEvPT0_PKT_S7_iiiPKb,"axG",@progbits,_ZN12_GLOBAL__N_121softmax_warp_backwardIN3c108BFloat16ES2_fLi4ELb0ELb0ELi64EEEvPT0_PKT_S7_iiiPKb,comdat
.Lfunc_end626:
	.size	_ZN12_GLOBAL__N_121softmax_warp_backwardIN3c108BFloat16ES2_fLi4ELb0ELb0ELi64EEEvPT0_PKT_S7_iiiPKb, .Lfunc_end626-_ZN12_GLOBAL__N_121softmax_warp_backwardIN3c108BFloat16ES2_fLi4ELb0ELb0ELi64EEEvPT0_PKT_S7_iiiPKb
                                        ; -- End function
	.section	.AMDGPU.csdata,"",@progbits
; Kernel info:
; codeLenInByte = 840
; NumSgprs: 18
; NumVgprs: 14
; ScratchSize: 0
; MemoryBound: 0
; FloatMode: 240
; IeeeMode: 1
; LDSByteSize: 0 bytes/workgroup (compile time only)
; SGPRBlocks: 2
; VGPRBlocks: 1
; NumSGPRsForWavesPerEU: 18
; NumVGPRsForWavesPerEU: 14
; Occupancy: 16
; WaveLimiterHint : 0
; COMPUTE_PGM_RSRC2:SCRATCH_EN: 0
; COMPUTE_PGM_RSRC2:USER_SGPR: 15
; COMPUTE_PGM_RSRC2:TRAP_HANDLER: 0
; COMPUTE_PGM_RSRC2:TGID_X_EN: 1
; COMPUTE_PGM_RSRC2:TGID_Y_EN: 0
; COMPUTE_PGM_RSRC2:TGID_Z_EN: 0
; COMPUTE_PGM_RSRC2:TIDIG_COMP_CNT: 1
	.section	.text._ZN12_GLOBAL__N_121softmax_warp_backwardIN3c108BFloat16ES2_fLi4ELb0ELb0ELi32EEEvPT0_PKT_S7_iiiPKb,"axG",@progbits,_ZN12_GLOBAL__N_121softmax_warp_backwardIN3c108BFloat16ES2_fLi4ELb0ELb0ELi32EEEvPT0_PKT_S7_iiiPKb,comdat
	.globl	_ZN12_GLOBAL__N_121softmax_warp_backwardIN3c108BFloat16ES2_fLi4ELb0ELb0ELi32EEEvPT0_PKT_S7_iiiPKb ; -- Begin function _ZN12_GLOBAL__N_121softmax_warp_backwardIN3c108BFloat16ES2_fLi4ELb0ELb0ELi32EEEvPT0_PKT_S7_iiiPKb
	.p2align	8
	.type	_ZN12_GLOBAL__N_121softmax_warp_backwardIN3c108BFloat16ES2_fLi4ELb0ELb0ELi32EEEvPT0_PKT_S7_iiiPKb,@function
_ZN12_GLOBAL__N_121softmax_warp_backwardIN3c108BFloat16ES2_fLi4ELb0ELb0ELi32EEEvPT0_PKT_S7_iiiPKb: ; @_ZN12_GLOBAL__N_121softmax_warp_backwardIN3c108BFloat16ES2_fLi4ELb0ELb0ELi32EEEvPT0_PKT_S7_iiiPKb
; %bb.0:
	s_clause 0x1
	s_load_b32 s2, s[0:1], 0x3c
	s_load_b128 s[4:7], s[0:1], 0x18
	v_bfe_u32 v1, v0, 10, 10
	v_dual_mov_b32 v7, 0 :: v_dual_and_b32 v2, 15, v0
	s_load_b128 s[8:11], s[0:1], 0x0
	v_dual_mov_b32 v8, 0 :: v_dual_mov_b32 v9, 0
	s_waitcnt lgkmcnt(0)
	s_lshr_b32 s2, s2, 16
	v_cmp_gt_i32_e32 vcc_lo, s6, v2
	s_mul_i32 s15, s15, s2
	s_load_b64 s[2:3], s[0:1], 0x10
	v_add_lshl_u32 v3, s15, v1, 1
	s_delay_alu instid0(VALU_DEP_1) | instskip(SKIP_1) | instid1(VALU_DEP_1)
	v_mad_u64_u32 v[0:1], null, v3, s5, v[2:3]
	v_sub_nc_u32_e32 v6, s4, v3
	v_cmp_lt_i32_e64 s0, 0, v6
	s_delay_alu instid0(VALU_DEP_3) | instskip(NEXT) | instid1(VALU_DEP_1)
	v_ashrrev_i32_e32 v1, 31, v0
	v_lshlrev_b64 v[0:1], 1, v[0:1]
	s_delay_alu instid0(VALU_DEP_1) | instskip(NEXT) | instid1(VALU_DEP_1)
	v_add_co_u32 v2, s1, s10, v0
	v_add_co_ci_u32_e64 v3, s1, s11, v1, s1
	s_waitcnt lgkmcnt(0)
	v_add_co_u32 v4, s1, s2, v0
	s_delay_alu instid0(VALU_DEP_1) | instskip(SKIP_1) | instid1(SALU_CYCLE_1)
	v_add_co_ci_u32_e64 v5, s1, s3, v1, s1
	s_and_b32 s2, vcc_lo, s0
	s_and_saveexec_b32 s1, s2
	s_cbranch_execz .LBB627_2
; %bb.1:
	global_load_u16 v8, v[4:5], off
	global_load_u16 v9, v[2:3], off
	s_waitcnt vmcnt(1)
	v_lshlrev_b32_e32 v8, 16, v8
	s_waitcnt vmcnt(0)
	v_lshlrev_b32_e32 v9, 16, v9
.LBB627_2:
	s_or_b32 exec_lo, exec_lo, s1
	v_cmp_lt_i32_e64 s1, 1, v6
	v_mov_b32_e32 v10, 0
	s_mov_b32 s7, 0
	s_delay_alu instid0(VALU_DEP_2) | instskip(NEXT) | instid1(SALU_CYCLE_1)
	s_and_b32 s1, vcc_lo, s1
	s_and_saveexec_b32 s2, s1
	s_cbranch_execz .LBB627_4
; %bb.3:
	s_lshl_b64 s[4:5], s[6:7], 1
	s_delay_alu instid0(SALU_CYCLE_1) | instskip(NEXT) | instid1(VALU_DEP_1)
	v_add_co_u32 v4, s1, v4, s4
	v_add_co_ci_u32_e64 v5, s1, s5, v5, s1
	v_add_co_u32 v2, s1, v2, s4
	s_delay_alu instid0(VALU_DEP_1)
	v_add_co_ci_u32_e64 v3, s1, s5, v3, s1
	global_load_u16 v4, v[4:5], off
	global_load_u16 v2, v[2:3], off
	s_waitcnt vmcnt(1)
	v_lshlrev_b32_e32 v7, 16, v4
	s_waitcnt vmcnt(0)
	v_lshlrev_b32_e32 v10, 16, v2
.LBB627_4:
	s_or_b32 exec_lo, exec_lo, s2
	v_mbcnt_lo_u32_b32 v2, -1, 0
	s_delay_alu instid0(VALU_DEP_2) | instskip(NEXT) | instid1(VALU_DEP_2)
	v_add_f32_e32 v11, 0, v10
	v_and_b32_e32 v3, 16, v2
	v_xor_b32_e32 v4, 8, v2
	v_xor_b32_e32 v13, 4, v2
	s_delay_alu instid0(VALU_DEP_3) | instskip(NEXT) | instid1(VALU_DEP_1)
	v_add_nc_u32_e32 v3, 16, v3
	v_cmp_lt_i32_e64 s1, v4, v3
	s_delay_alu instid0(VALU_DEP_1) | instskip(SKIP_2) | instid1(VALU_DEP_3)
	v_cndmask_b32_e64 v4, v2, v4, s1
	v_add_f32_e32 v5, 0, v9
	v_cmp_lt_i32_e64 s1, v13, v3
	v_lshlrev_b32_e32 v4, 2, v4
	s_delay_alu instid0(VALU_DEP_2)
	v_cndmask_b32_e64 v13, v2, v13, s1
	ds_bpermute_b32 v12, v4, v5
	ds_bpermute_b32 v4, v4, v11
	v_lshlrev_b32_e32 v13, 2, v13
	s_waitcnt lgkmcnt(1)
	v_add_f32_e32 v5, v5, v12
	s_waitcnt lgkmcnt(0)
	v_add_f32_e32 v4, v11, v4
	ds_bpermute_b32 v11, v13, v5
	ds_bpermute_b32 v12, v13, v4
	v_xor_b32_e32 v13, 2, v2
	s_delay_alu instid0(VALU_DEP_1) | instskip(NEXT) | instid1(VALU_DEP_1)
	v_cmp_lt_i32_e64 s1, v13, v3
	v_cndmask_b32_e64 v13, v2, v13, s1
	s_delay_alu instid0(VALU_DEP_1)
	v_lshlrev_b32_e32 v13, 2, v13
	s_waitcnt lgkmcnt(1)
	v_add_f32_e32 v5, v5, v11
	s_waitcnt lgkmcnt(0)
	v_add_f32_e32 v11, v4, v12
	ds_bpermute_b32 v4, v13, v5
	ds_bpermute_b32 v12, v13, v11
	v_xor_b32_e32 v13, 1, v2
	s_waitcnt lgkmcnt(1)
	v_add_f32_e32 v4, v5, v4
	s_delay_alu instid0(VALU_DEP_2) | instskip(NEXT) | instid1(VALU_DEP_1)
	v_cmp_lt_i32_e64 s1, v13, v3
	v_cndmask_b32_e64 v2, v2, v13, s1
	s_waitcnt lgkmcnt(0)
	s_delay_alu instid0(VALU_DEP_1)
	v_dual_add_f32 v2, v11, v12 :: v_dual_lshlrev_b32 v3, 2, v2
	ds_bpermute_b32 v5, v3, v4
	ds_bpermute_b32 v3, v3, v2
	s_and_saveexec_b32 s1, s0
	s_cbranch_execz .LBB627_10
; %bb.5:
	v_add_co_u32 v0, s0, s8, v0
	s_delay_alu instid0(VALU_DEP_1)
	v_add_co_ci_u32_e64 v1, s0, s9, v1, s0
	s_and_saveexec_b32 s1, vcc_lo
	s_cbranch_execz .LBB627_7
; %bb.6:
	s_waitcnt lgkmcnt(1)
	v_add_f32_e32 v4, v4, v5
	s_delay_alu instid0(VALU_DEP_1) | instskip(NEXT) | instid1(VALU_DEP_1)
	v_fma_f32 v4, -v4, v8, v9
	v_bfe_u32 v5, v4, 16, 1
	v_cmp_o_f32_e64 s0, v4, v4
	s_delay_alu instid0(VALU_DEP_2) | instskip(NEXT) | instid1(VALU_DEP_1)
	v_add3_u32 v5, v4, v5, 0x7fff
	v_lshrrev_b32_e32 v5, 16, v5
	s_delay_alu instid0(VALU_DEP_1)
	v_cndmask_b32_e64 v4, 0x7fc0, v5, s0
	global_store_b16 v[0:1], v4, off
.LBB627_7:
	s_or_b32 exec_lo, exec_lo, s1
	v_cmp_ne_u32_e64 s0, 1, v6
	s_delay_alu instid0(VALU_DEP_1)
	s_and_b32 exec_lo, exec_lo, s0
	s_cbranch_execz .LBB627_10
; %bb.8:
	s_and_b32 exec_lo, exec_lo, vcc_lo
	s_cbranch_execz .LBB627_10
; %bb.9:
	s_waitcnt lgkmcnt(0)
	v_add_f32_e32 v2, v2, v3
	s_lshl_b64 s[0:1], s[6:7], 1
	s_delay_alu instid0(VALU_DEP_1) | instskip(NEXT) | instid1(VALU_DEP_1)
	v_fma_f32 v2, -v2, v7, v10
	v_bfe_u32 v3, v2, 16, 1
	v_cmp_o_f32_e32 vcc_lo, v2, v2
	s_delay_alu instid0(VALU_DEP_2) | instskip(NEXT) | instid1(VALU_DEP_1)
	v_add3_u32 v3, v2, v3, 0x7fff
	v_lshrrev_b32_e32 v3, 16, v3
	s_delay_alu instid0(VALU_DEP_1)
	v_cndmask_b32_e32 v2, 0x7fc0, v3, vcc_lo
	v_add_co_u32 v0, vcc_lo, v0, s0
	v_add_co_ci_u32_e32 v1, vcc_lo, s1, v1, vcc_lo
	global_store_b16 v[0:1], v2, off
.LBB627_10:
	s_nop 0
	s_sendmsg sendmsg(MSG_DEALLOC_VGPRS)
	s_endpgm
	.section	.rodata,"a",@progbits
	.p2align	6, 0x0
	.amdhsa_kernel _ZN12_GLOBAL__N_121softmax_warp_backwardIN3c108BFloat16ES2_fLi4ELb0ELb0ELi32EEEvPT0_PKT_S7_iiiPKb
		.amdhsa_group_segment_fixed_size 0
		.amdhsa_private_segment_fixed_size 0
		.amdhsa_kernarg_size 304
		.amdhsa_user_sgpr_count 15
		.amdhsa_user_sgpr_dispatch_ptr 0
		.amdhsa_user_sgpr_queue_ptr 0
		.amdhsa_user_sgpr_kernarg_segment_ptr 1
		.amdhsa_user_sgpr_dispatch_id 0
		.amdhsa_user_sgpr_private_segment_size 0
		.amdhsa_wavefront_size32 1
		.amdhsa_uses_dynamic_stack 0
		.amdhsa_enable_private_segment 0
		.amdhsa_system_sgpr_workgroup_id_x 1
		.amdhsa_system_sgpr_workgroup_id_y 0
		.amdhsa_system_sgpr_workgroup_id_z 0
		.amdhsa_system_sgpr_workgroup_info 0
		.amdhsa_system_vgpr_workitem_id 1
		.amdhsa_next_free_vgpr 14
		.amdhsa_next_free_sgpr 16
		.amdhsa_reserve_vcc 1
		.amdhsa_float_round_mode_32 0
		.amdhsa_float_round_mode_16_64 0
		.amdhsa_float_denorm_mode_32 3
		.amdhsa_float_denorm_mode_16_64 3
		.amdhsa_dx10_clamp 1
		.amdhsa_ieee_mode 1
		.amdhsa_fp16_overflow 0
		.amdhsa_workgroup_processor_mode 1
		.amdhsa_memory_ordered 1
		.amdhsa_forward_progress 0
		.amdhsa_shared_vgpr_count 0
		.amdhsa_exception_fp_ieee_invalid_op 0
		.amdhsa_exception_fp_denorm_src 0
		.amdhsa_exception_fp_ieee_div_zero 0
		.amdhsa_exception_fp_ieee_overflow 0
		.amdhsa_exception_fp_ieee_underflow 0
		.amdhsa_exception_fp_ieee_inexact 0
		.amdhsa_exception_int_div_zero 0
	.end_amdhsa_kernel
	.section	.text._ZN12_GLOBAL__N_121softmax_warp_backwardIN3c108BFloat16ES2_fLi4ELb0ELb0ELi32EEEvPT0_PKT_S7_iiiPKb,"axG",@progbits,_ZN12_GLOBAL__N_121softmax_warp_backwardIN3c108BFloat16ES2_fLi4ELb0ELb0ELi32EEEvPT0_PKT_S7_iiiPKb,comdat
.Lfunc_end627:
	.size	_ZN12_GLOBAL__N_121softmax_warp_backwardIN3c108BFloat16ES2_fLi4ELb0ELb0ELi32EEEvPT0_PKT_S7_iiiPKb, .Lfunc_end627-_ZN12_GLOBAL__N_121softmax_warp_backwardIN3c108BFloat16ES2_fLi4ELb0ELb0ELi32EEEvPT0_PKT_S7_iiiPKb
                                        ; -- End function
	.section	.AMDGPU.csdata,"",@progbits
; Kernel info:
; codeLenInByte = 840
; NumSgprs: 18
; NumVgprs: 14
; ScratchSize: 0
; MemoryBound: 0
; FloatMode: 240
; IeeeMode: 1
; LDSByteSize: 0 bytes/workgroup (compile time only)
; SGPRBlocks: 2
; VGPRBlocks: 1
; NumSGPRsForWavesPerEU: 18
; NumVGPRsForWavesPerEU: 14
; Occupancy: 16
; WaveLimiterHint : 0
; COMPUTE_PGM_RSRC2:SCRATCH_EN: 0
; COMPUTE_PGM_RSRC2:USER_SGPR: 15
; COMPUTE_PGM_RSRC2:TRAP_HANDLER: 0
; COMPUTE_PGM_RSRC2:TGID_X_EN: 1
; COMPUTE_PGM_RSRC2:TGID_Y_EN: 0
; COMPUTE_PGM_RSRC2:TGID_Z_EN: 0
; COMPUTE_PGM_RSRC2:TIDIG_COMP_CNT: 1
	.section	.text._ZN12_GLOBAL__N_121softmax_warp_backwardIN3c108BFloat16ES2_fLi5ELb0ELb0ELi64EEEvPT0_PKT_S7_iiiPKb,"axG",@progbits,_ZN12_GLOBAL__N_121softmax_warp_backwardIN3c108BFloat16ES2_fLi5ELb0ELb0ELi64EEEvPT0_PKT_S7_iiiPKb,comdat
	.globl	_ZN12_GLOBAL__N_121softmax_warp_backwardIN3c108BFloat16ES2_fLi5ELb0ELb0ELi64EEEvPT0_PKT_S7_iiiPKb ; -- Begin function _ZN12_GLOBAL__N_121softmax_warp_backwardIN3c108BFloat16ES2_fLi5ELb0ELb0ELi64EEEvPT0_PKT_S7_iiiPKb
	.p2align	8
	.type	_ZN12_GLOBAL__N_121softmax_warp_backwardIN3c108BFloat16ES2_fLi5ELb0ELb0ELi64EEEvPT0_PKT_S7_iiiPKb,@function
_ZN12_GLOBAL__N_121softmax_warp_backwardIN3c108BFloat16ES2_fLi5ELb0ELb0ELi64EEEvPT0_PKT_S7_iiiPKb: ; @_ZN12_GLOBAL__N_121softmax_warp_backwardIN3c108BFloat16ES2_fLi5ELb0ELb0ELi64EEEvPT0_PKT_S7_iiiPKb
; %bb.0:
	s_clause 0x1
	s_load_b32 s2, s[0:1], 0x3c
	s_load_b128 s[4:7], s[0:1], 0x18
	v_bfe_u32 v1, v0, 10, 10
	v_dual_mov_b32 v7, 0 :: v_dual_and_b32 v2, 31, v0
	s_load_b128 s[8:11], s[0:1], 0x0
	v_dual_mov_b32 v8, 0 :: v_dual_mov_b32 v9, 0
	s_waitcnt lgkmcnt(0)
	s_lshr_b32 s2, s2, 16
	v_cmp_gt_i32_e32 vcc_lo, s6, v2
	s_mul_i32 s15, s15, s2
	s_load_b64 s[2:3], s[0:1], 0x10
	v_add_lshl_u32 v3, s15, v1, 1
	s_delay_alu instid0(VALU_DEP_1) | instskip(SKIP_1) | instid1(VALU_DEP_1)
	v_mad_u64_u32 v[0:1], null, v3, s5, v[2:3]
	v_sub_nc_u32_e32 v6, s4, v3
	v_cmp_lt_i32_e64 s0, 0, v6
	s_delay_alu instid0(VALU_DEP_3) | instskip(NEXT) | instid1(VALU_DEP_1)
	v_ashrrev_i32_e32 v1, 31, v0
	v_lshlrev_b64 v[0:1], 1, v[0:1]
	s_delay_alu instid0(VALU_DEP_1) | instskip(NEXT) | instid1(VALU_DEP_1)
	v_add_co_u32 v2, s1, s10, v0
	v_add_co_ci_u32_e64 v3, s1, s11, v1, s1
	s_waitcnt lgkmcnt(0)
	v_add_co_u32 v4, s1, s2, v0
	s_delay_alu instid0(VALU_DEP_1) | instskip(SKIP_1) | instid1(SALU_CYCLE_1)
	v_add_co_ci_u32_e64 v5, s1, s3, v1, s1
	s_and_b32 s2, vcc_lo, s0
	s_and_saveexec_b32 s1, s2
	s_cbranch_execz .LBB628_2
; %bb.1:
	global_load_u16 v8, v[4:5], off
	global_load_u16 v9, v[2:3], off
	s_waitcnt vmcnt(1)
	v_lshlrev_b32_e32 v8, 16, v8
	s_waitcnt vmcnt(0)
	v_lshlrev_b32_e32 v9, 16, v9
.LBB628_2:
	s_or_b32 exec_lo, exec_lo, s1
	v_cmp_lt_i32_e64 s1, 1, v6
	v_mov_b32_e32 v10, 0
	s_mov_b32 s7, 0
	s_delay_alu instid0(VALU_DEP_2) | instskip(NEXT) | instid1(SALU_CYCLE_1)
	s_and_b32 s1, vcc_lo, s1
	s_and_saveexec_b32 s2, s1
	s_cbranch_execz .LBB628_4
; %bb.3:
	s_lshl_b64 s[4:5], s[6:7], 1
	s_delay_alu instid0(SALU_CYCLE_1) | instskip(NEXT) | instid1(VALU_DEP_1)
	v_add_co_u32 v4, s1, v4, s4
	v_add_co_ci_u32_e64 v5, s1, s5, v5, s1
	v_add_co_u32 v2, s1, v2, s4
	s_delay_alu instid0(VALU_DEP_1)
	v_add_co_ci_u32_e64 v3, s1, s5, v3, s1
	global_load_u16 v4, v[4:5], off
	global_load_u16 v2, v[2:3], off
	s_waitcnt vmcnt(1)
	v_lshlrev_b32_e32 v7, 16, v4
	s_waitcnt vmcnt(0)
	v_lshlrev_b32_e32 v10, 16, v2
.LBB628_4:
	s_or_b32 exec_lo, exec_lo, s2
	v_mbcnt_lo_u32_b32 v2, -1, 0
	s_delay_alu instid0(VALU_DEP_1) | instskip(SKIP_1) | instid1(VALU_DEP_2)
	v_xor_b32_e32 v3, 16, v2
	v_xor_b32_e32 v12, 8, v2
	v_cmp_gt_i32_e64 s1, 32, v3
	s_delay_alu instid0(VALU_DEP_1) | instskip(NEXT) | instid1(VALU_DEP_3)
	v_cndmask_b32_e64 v3, v2, v3, s1
	v_cmp_gt_i32_e64 s1, 32, v12
	s_delay_alu instid0(VALU_DEP_2) | instskip(NEXT) | instid1(VALU_DEP_2)
	v_dual_add_f32 v4, 0, v9 :: v_dual_lshlrev_b32 v3, 2, v3
	v_cndmask_b32_e64 v12, v2, v12, s1
	v_add_f32_e32 v5, 0, v10
	ds_bpermute_b32 v11, v3, v4
	v_lshlrev_b32_e32 v12, 2, v12
	ds_bpermute_b32 v3, v3, v5
	s_waitcnt lgkmcnt(1)
	v_add_f32_e32 v4, v4, v11
	s_waitcnt lgkmcnt(0)
	v_add_f32_e32 v3, v5, v3
	ds_bpermute_b32 v5, v12, v4
	ds_bpermute_b32 v11, v12, v3
	v_xor_b32_e32 v12, 4, v2
	s_delay_alu instid0(VALU_DEP_1) | instskip(NEXT) | instid1(VALU_DEP_1)
	v_cmp_gt_i32_e64 s1, 32, v12
	v_cndmask_b32_e64 v12, v2, v12, s1
	s_delay_alu instid0(VALU_DEP_1)
	v_lshlrev_b32_e32 v12, 2, v12
	s_waitcnt lgkmcnt(0)
	v_dual_add_f32 v4, v4, v5 :: v_dual_add_f32 v3, v3, v11
	ds_bpermute_b32 v5, v12, v4
	ds_bpermute_b32 v11, v12, v3
	v_xor_b32_e32 v12, 2, v2
	s_delay_alu instid0(VALU_DEP_1) | instskip(NEXT) | instid1(VALU_DEP_1)
	v_cmp_gt_i32_e64 s1, 32, v12
	v_cndmask_b32_e64 v12, v2, v12, s1
	s_delay_alu instid0(VALU_DEP_1)
	v_lshlrev_b32_e32 v12, 2, v12
	s_waitcnt lgkmcnt(0)
	v_dual_add_f32 v4, v4, v5 :: v_dual_add_f32 v3, v3, v11
	ds_bpermute_b32 v5, v12, v4
	ds_bpermute_b32 v11, v12, v3
	v_xor_b32_e32 v12, 1, v2
	s_delay_alu instid0(VALU_DEP_1) | instskip(NEXT) | instid1(VALU_DEP_1)
	v_cmp_gt_i32_e64 s1, 32, v12
	v_cndmask_b32_e64 v2, v2, v12, s1
	s_delay_alu instid0(VALU_DEP_1)
	v_lshlrev_b32_e32 v12, 2, v2
	s_waitcnt lgkmcnt(1)
	v_add_f32_e32 v4, v4, v5
	s_waitcnt lgkmcnt(0)
	v_add_f32_e32 v2, v3, v11
	ds_bpermute_b32 v5, v12, v4
	ds_bpermute_b32 v3, v12, v2
	s_and_saveexec_b32 s1, s0
	s_cbranch_execz .LBB628_10
; %bb.5:
	v_add_co_u32 v0, s0, s8, v0
	s_delay_alu instid0(VALU_DEP_1)
	v_add_co_ci_u32_e64 v1, s0, s9, v1, s0
	s_and_saveexec_b32 s1, vcc_lo
	s_cbranch_execz .LBB628_7
; %bb.6:
	s_waitcnt lgkmcnt(1)
	v_add_f32_e32 v4, v4, v5
	s_delay_alu instid0(VALU_DEP_1) | instskip(NEXT) | instid1(VALU_DEP_1)
	v_fma_f32 v4, -v4, v8, v9
	v_bfe_u32 v5, v4, 16, 1
	v_cmp_o_f32_e64 s0, v4, v4
	s_delay_alu instid0(VALU_DEP_2) | instskip(NEXT) | instid1(VALU_DEP_1)
	v_add3_u32 v5, v4, v5, 0x7fff
	v_lshrrev_b32_e32 v5, 16, v5
	s_delay_alu instid0(VALU_DEP_1)
	v_cndmask_b32_e64 v4, 0x7fc0, v5, s0
	global_store_b16 v[0:1], v4, off
.LBB628_7:
	s_or_b32 exec_lo, exec_lo, s1
	v_cmp_ne_u32_e64 s0, 1, v6
	s_delay_alu instid0(VALU_DEP_1)
	s_and_b32 exec_lo, exec_lo, s0
	s_cbranch_execz .LBB628_10
; %bb.8:
	s_and_b32 exec_lo, exec_lo, vcc_lo
	s_cbranch_execz .LBB628_10
; %bb.9:
	s_waitcnt lgkmcnt(0)
	v_add_f32_e32 v2, v2, v3
	s_lshl_b64 s[0:1], s[6:7], 1
	s_delay_alu instid0(VALU_DEP_1) | instskip(NEXT) | instid1(VALU_DEP_1)
	v_fma_f32 v2, -v2, v7, v10
	v_bfe_u32 v3, v2, 16, 1
	v_cmp_o_f32_e32 vcc_lo, v2, v2
	s_delay_alu instid0(VALU_DEP_2) | instskip(NEXT) | instid1(VALU_DEP_1)
	v_add3_u32 v3, v2, v3, 0x7fff
	v_lshrrev_b32_e32 v3, 16, v3
	s_delay_alu instid0(VALU_DEP_1)
	v_cndmask_b32_e32 v2, 0x7fc0, v3, vcc_lo
	v_add_co_u32 v0, vcc_lo, v0, s0
	v_add_co_ci_u32_e32 v1, vcc_lo, s1, v1, vcc_lo
	global_store_b16 v[0:1], v2, off
.LBB628_10:
	s_nop 0
	s_sendmsg sendmsg(MSG_DEALLOC_VGPRS)
	s_endpgm
	.section	.rodata,"a",@progbits
	.p2align	6, 0x0
	.amdhsa_kernel _ZN12_GLOBAL__N_121softmax_warp_backwardIN3c108BFloat16ES2_fLi5ELb0ELb0ELi64EEEvPT0_PKT_S7_iiiPKb
		.amdhsa_group_segment_fixed_size 0
		.amdhsa_private_segment_fixed_size 0
		.amdhsa_kernarg_size 304
		.amdhsa_user_sgpr_count 15
		.amdhsa_user_sgpr_dispatch_ptr 0
		.amdhsa_user_sgpr_queue_ptr 0
		.amdhsa_user_sgpr_kernarg_segment_ptr 1
		.amdhsa_user_sgpr_dispatch_id 0
		.amdhsa_user_sgpr_private_segment_size 0
		.amdhsa_wavefront_size32 1
		.amdhsa_uses_dynamic_stack 0
		.amdhsa_enable_private_segment 0
		.amdhsa_system_sgpr_workgroup_id_x 1
		.amdhsa_system_sgpr_workgroup_id_y 0
		.amdhsa_system_sgpr_workgroup_id_z 0
		.amdhsa_system_sgpr_workgroup_info 0
		.amdhsa_system_vgpr_workitem_id 1
		.amdhsa_next_free_vgpr 13
		.amdhsa_next_free_sgpr 16
		.amdhsa_reserve_vcc 1
		.amdhsa_float_round_mode_32 0
		.amdhsa_float_round_mode_16_64 0
		.amdhsa_float_denorm_mode_32 3
		.amdhsa_float_denorm_mode_16_64 3
		.amdhsa_dx10_clamp 1
		.amdhsa_ieee_mode 1
		.amdhsa_fp16_overflow 0
		.amdhsa_workgroup_processor_mode 1
		.amdhsa_memory_ordered 1
		.amdhsa_forward_progress 0
		.amdhsa_shared_vgpr_count 0
		.amdhsa_exception_fp_ieee_invalid_op 0
		.amdhsa_exception_fp_denorm_src 0
		.amdhsa_exception_fp_ieee_div_zero 0
		.amdhsa_exception_fp_ieee_overflow 0
		.amdhsa_exception_fp_ieee_underflow 0
		.amdhsa_exception_fp_ieee_inexact 0
		.amdhsa_exception_int_div_zero 0
	.end_amdhsa_kernel
	.section	.text._ZN12_GLOBAL__N_121softmax_warp_backwardIN3c108BFloat16ES2_fLi5ELb0ELb0ELi64EEEvPT0_PKT_S7_iiiPKb,"axG",@progbits,_ZN12_GLOBAL__N_121softmax_warp_backwardIN3c108BFloat16ES2_fLi5ELb0ELb0ELi64EEEvPT0_PKT_S7_iiiPKb,comdat
.Lfunc_end628:
	.size	_ZN12_GLOBAL__N_121softmax_warp_backwardIN3c108BFloat16ES2_fLi5ELb0ELb0ELi64EEEvPT0_PKT_S7_iiiPKb, .Lfunc_end628-_ZN12_GLOBAL__N_121softmax_warp_backwardIN3c108BFloat16ES2_fLi5ELb0ELb0ELi64EEEvPT0_PKT_S7_iiiPKb
                                        ; -- End function
	.section	.AMDGPU.csdata,"",@progbits
; Kernel info:
; codeLenInByte = 884
; NumSgprs: 18
; NumVgprs: 13
; ScratchSize: 0
; MemoryBound: 0
; FloatMode: 240
; IeeeMode: 1
; LDSByteSize: 0 bytes/workgroup (compile time only)
; SGPRBlocks: 2
; VGPRBlocks: 1
; NumSGPRsForWavesPerEU: 18
; NumVGPRsForWavesPerEU: 13
; Occupancy: 16
; WaveLimiterHint : 0
; COMPUTE_PGM_RSRC2:SCRATCH_EN: 0
; COMPUTE_PGM_RSRC2:USER_SGPR: 15
; COMPUTE_PGM_RSRC2:TRAP_HANDLER: 0
; COMPUTE_PGM_RSRC2:TGID_X_EN: 1
; COMPUTE_PGM_RSRC2:TGID_Y_EN: 0
; COMPUTE_PGM_RSRC2:TGID_Z_EN: 0
; COMPUTE_PGM_RSRC2:TIDIG_COMP_CNT: 1
	.section	.text._ZN12_GLOBAL__N_121softmax_warp_backwardIN3c108BFloat16ES2_fLi5ELb0ELb0ELi32EEEvPT0_PKT_S7_iiiPKb,"axG",@progbits,_ZN12_GLOBAL__N_121softmax_warp_backwardIN3c108BFloat16ES2_fLi5ELb0ELb0ELi32EEEvPT0_PKT_S7_iiiPKb,comdat
	.globl	_ZN12_GLOBAL__N_121softmax_warp_backwardIN3c108BFloat16ES2_fLi5ELb0ELb0ELi32EEEvPT0_PKT_S7_iiiPKb ; -- Begin function _ZN12_GLOBAL__N_121softmax_warp_backwardIN3c108BFloat16ES2_fLi5ELb0ELb0ELi32EEEvPT0_PKT_S7_iiiPKb
	.p2align	8
	.type	_ZN12_GLOBAL__N_121softmax_warp_backwardIN3c108BFloat16ES2_fLi5ELb0ELb0ELi32EEEvPT0_PKT_S7_iiiPKb,@function
_ZN12_GLOBAL__N_121softmax_warp_backwardIN3c108BFloat16ES2_fLi5ELb0ELb0ELi32EEEvPT0_PKT_S7_iiiPKb: ; @_ZN12_GLOBAL__N_121softmax_warp_backwardIN3c108BFloat16ES2_fLi5ELb0ELb0ELi32EEEvPT0_PKT_S7_iiiPKb
; %bb.0:
	s_clause 0x1
	s_load_b32 s2, s[0:1], 0x3c
	s_load_b128 s[4:7], s[0:1], 0x18
	v_bfe_u32 v1, v0, 10, 10
	v_dual_mov_b32 v7, 0 :: v_dual_and_b32 v2, 31, v0
	s_load_b128 s[8:11], s[0:1], 0x0
	v_dual_mov_b32 v8, 0 :: v_dual_mov_b32 v9, 0
	s_waitcnt lgkmcnt(0)
	s_lshr_b32 s2, s2, 16
	v_cmp_gt_i32_e32 vcc_lo, s6, v2
	s_mul_i32 s15, s15, s2
	s_load_b64 s[2:3], s[0:1], 0x10
	v_add_lshl_u32 v3, s15, v1, 1
	s_delay_alu instid0(VALU_DEP_1) | instskip(SKIP_1) | instid1(VALU_DEP_1)
	v_mad_u64_u32 v[0:1], null, v3, s5, v[2:3]
	v_sub_nc_u32_e32 v6, s4, v3
	v_cmp_lt_i32_e64 s0, 0, v6
	s_delay_alu instid0(VALU_DEP_3) | instskip(NEXT) | instid1(VALU_DEP_1)
	v_ashrrev_i32_e32 v1, 31, v0
	v_lshlrev_b64 v[0:1], 1, v[0:1]
	s_delay_alu instid0(VALU_DEP_1) | instskip(NEXT) | instid1(VALU_DEP_1)
	v_add_co_u32 v2, s1, s10, v0
	v_add_co_ci_u32_e64 v3, s1, s11, v1, s1
	s_waitcnt lgkmcnt(0)
	v_add_co_u32 v4, s1, s2, v0
	s_delay_alu instid0(VALU_DEP_1) | instskip(SKIP_1) | instid1(SALU_CYCLE_1)
	v_add_co_ci_u32_e64 v5, s1, s3, v1, s1
	s_and_b32 s2, vcc_lo, s0
	s_and_saveexec_b32 s1, s2
	s_cbranch_execz .LBB629_2
; %bb.1:
	global_load_u16 v8, v[4:5], off
	global_load_u16 v9, v[2:3], off
	s_waitcnt vmcnt(1)
	v_lshlrev_b32_e32 v8, 16, v8
	s_waitcnt vmcnt(0)
	v_lshlrev_b32_e32 v9, 16, v9
.LBB629_2:
	s_or_b32 exec_lo, exec_lo, s1
	v_cmp_lt_i32_e64 s1, 1, v6
	v_mov_b32_e32 v10, 0
	s_mov_b32 s7, 0
	s_delay_alu instid0(VALU_DEP_2) | instskip(NEXT) | instid1(SALU_CYCLE_1)
	s_and_b32 s1, vcc_lo, s1
	s_and_saveexec_b32 s2, s1
	s_cbranch_execz .LBB629_4
; %bb.3:
	s_lshl_b64 s[4:5], s[6:7], 1
	s_delay_alu instid0(SALU_CYCLE_1) | instskip(NEXT) | instid1(VALU_DEP_1)
	v_add_co_u32 v4, s1, v4, s4
	v_add_co_ci_u32_e64 v5, s1, s5, v5, s1
	v_add_co_u32 v2, s1, v2, s4
	s_delay_alu instid0(VALU_DEP_1)
	v_add_co_ci_u32_e64 v3, s1, s5, v3, s1
	global_load_u16 v4, v[4:5], off
	global_load_u16 v2, v[2:3], off
	s_waitcnt vmcnt(1)
	v_lshlrev_b32_e32 v7, 16, v4
	s_waitcnt vmcnt(0)
	v_lshlrev_b32_e32 v10, 16, v2
.LBB629_4:
	s_or_b32 exec_lo, exec_lo, s2
	v_mbcnt_lo_u32_b32 v2, -1, 0
	s_delay_alu instid0(VALU_DEP_1) | instskip(SKIP_1) | instid1(VALU_DEP_2)
	v_xor_b32_e32 v3, 16, v2
	v_xor_b32_e32 v12, 8, v2
	v_cmp_gt_i32_e64 s1, 32, v3
	s_delay_alu instid0(VALU_DEP_1) | instskip(NEXT) | instid1(VALU_DEP_3)
	v_cndmask_b32_e64 v3, v2, v3, s1
	v_cmp_gt_i32_e64 s1, 32, v12
	s_delay_alu instid0(VALU_DEP_2) | instskip(NEXT) | instid1(VALU_DEP_2)
	v_dual_add_f32 v4, 0, v9 :: v_dual_lshlrev_b32 v3, 2, v3
	v_cndmask_b32_e64 v12, v2, v12, s1
	v_add_f32_e32 v5, 0, v10
	ds_bpermute_b32 v11, v3, v4
	v_lshlrev_b32_e32 v12, 2, v12
	ds_bpermute_b32 v3, v3, v5
	s_waitcnt lgkmcnt(1)
	v_add_f32_e32 v4, v4, v11
	s_waitcnt lgkmcnt(0)
	v_add_f32_e32 v3, v5, v3
	ds_bpermute_b32 v5, v12, v4
	ds_bpermute_b32 v11, v12, v3
	v_xor_b32_e32 v12, 4, v2
	s_delay_alu instid0(VALU_DEP_1) | instskip(NEXT) | instid1(VALU_DEP_1)
	v_cmp_gt_i32_e64 s1, 32, v12
	v_cndmask_b32_e64 v12, v2, v12, s1
	s_delay_alu instid0(VALU_DEP_1)
	v_lshlrev_b32_e32 v12, 2, v12
	s_waitcnt lgkmcnt(0)
	v_dual_add_f32 v4, v4, v5 :: v_dual_add_f32 v3, v3, v11
	ds_bpermute_b32 v5, v12, v4
	ds_bpermute_b32 v11, v12, v3
	v_xor_b32_e32 v12, 2, v2
	s_delay_alu instid0(VALU_DEP_1) | instskip(NEXT) | instid1(VALU_DEP_1)
	v_cmp_gt_i32_e64 s1, 32, v12
	v_cndmask_b32_e64 v12, v2, v12, s1
	s_delay_alu instid0(VALU_DEP_1)
	v_lshlrev_b32_e32 v12, 2, v12
	s_waitcnt lgkmcnt(0)
	v_dual_add_f32 v4, v4, v5 :: v_dual_add_f32 v3, v3, v11
	ds_bpermute_b32 v5, v12, v4
	ds_bpermute_b32 v11, v12, v3
	v_xor_b32_e32 v12, 1, v2
	s_delay_alu instid0(VALU_DEP_1) | instskip(NEXT) | instid1(VALU_DEP_1)
	v_cmp_gt_i32_e64 s1, 32, v12
	v_cndmask_b32_e64 v2, v2, v12, s1
	s_delay_alu instid0(VALU_DEP_1)
	v_lshlrev_b32_e32 v12, 2, v2
	s_waitcnt lgkmcnt(1)
	v_add_f32_e32 v4, v4, v5
	s_waitcnt lgkmcnt(0)
	v_add_f32_e32 v2, v3, v11
	ds_bpermute_b32 v5, v12, v4
	ds_bpermute_b32 v3, v12, v2
	s_and_saveexec_b32 s1, s0
	s_cbranch_execz .LBB629_10
; %bb.5:
	v_add_co_u32 v0, s0, s8, v0
	s_delay_alu instid0(VALU_DEP_1)
	v_add_co_ci_u32_e64 v1, s0, s9, v1, s0
	s_and_saveexec_b32 s1, vcc_lo
	s_cbranch_execz .LBB629_7
; %bb.6:
	s_waitcnt lgkmcnt(1)
	v_add_f32_e32 v4, v4, v5
	s_delay_alu instid0(VALU_DEP_1) | instskip(NEXT) | instid1(VALU_DEP_1)
	v_fma_f32 v4, -v4, v8, v9
	v_bfe_u32 v5, v4, 16, 1
	v_cmp_o_f32_e64 s0, v4, v4
	s_delay_alu instid0(VALU_DEP_2) | instskip(NEXT) | instid1(VALU_DEP_1)
	v_add3_u32 v5, v4, v5, 0x7fff
	v_lshrrev_b32_e32 v5, 16, v5
	s_delay_alu instid0(VALU_DEP_1)
	v_cndmask_b32_e64 v4, 0x7fc0, v5, s0
	global_store_b16 v[0:1], v4, off
.LBB629_7:
	s_or_b32 exec_lo, exec_lo, s1
	v_cmp_ne_u32_e64 s0, 1, v6
	s_delay_alu instid0(VALU_DEP_1)
	s_and_b32 exec_lo, exec_lo, s0
	s_cbranch_execz .LBB629_10
; %bb.8:
	s_and_b32 exec_lo, exec_lo, vcc_lo
	s_cbranch_execz .LBB629_10
; %bb.9:
	s_waitcnt lgkmcnt(0)
	v_add_f32_e32 v2, v2, v3
	s_lshl_b64 s[0:1], s[6:7], 1
	s_delay_alu instid0(VALU_DEP_1) | instskip(NEXT) | instid1(VALU_DEP_1)
	v_fma_f32 v2, -v2, v7, v10
	v_bfe_u32 v3, v2, 16, 1
	v_cmp_o_f32_e32 vcc_lo, v2, v2
	s_delay_alu instid0(VALU_DEP_2) | instskip(NEXT) | instid1(VALU_DEP_1)
	v_add3_u32 v3, v2, v3, 0x7fff
	v_lshrrev_b32_e32 v3, 16, v3
	s_delay_alu instid0(VALU_DEP_1)
	v_cndmask_b32_e32 v2, 0x7fc0, v3, vcc_lo
	v_add_co_u32 v0, vcc_lo, v0, s0
	v_add_co_ci_u32_e32 v1, vcc_lo, s1, v1, vcc_lo
	global_store_b16 v[0:1], v2, off
.LBB629_10:
	s_nop 0
	s_sendmsg sendmsg(MSG_DEALLOC_VGPRS)
	s_endpgm
	.section	.rodata,"a",@progbits
	.p2align	6, 0x0
	.amdhsa_kernel _ZN12_GLOBAL__N_121softmax_warp_backwardIN3c108BFloat16ES2_fLi5ELb0ELb0ELi32EEEvPT0_PKT_S7_iiiPKb
		.amdhsa_group_segment_fixed_size 0
		.amdhsa_private_segment_fixed_size 0
		.amdhsa_kernarg_size 304
		.amdhsa_user_sgpr_count 15
		.amdhsa_user_sgpr_dispatch_ptr 0
		.amdhsa_user_sgpr_queue_ptr 0
		.amdhsa_user_sgpr_kernarg_segment_ptr 1
		.amdhsa_user_sgpr_dispatch_id 0
		.amdhsa_user_sgpr_private_segment_size 0
		.amdhsa_wavefront_size32 1
		.amdhsa_uses_dynamic_stack 0
		.amdhsa_enable_private_segment 0
		.amdhsa_system_sgpr_workgroup_id_x 1
		.amdhsa_system_sgpr_workgroup_id_y 0
		.amdhsa_system_sgpr_workgroup_id_z 0
		.amdhsa_system_sgpr_workgroup_info 0
		.amdhsa_system_vgpr_workitem_id 1
		.amdhsa_next_free_vgpr 13
		.amdhsa_next_free_sgpr 16
		.amdhsa_reserve_vcc 1
		.amdhsa_float_round_mode_32 0
		.amdhsa_float_round_mode_16_64 0
		.amdhsa_float_denorm_mode_32 3
		.amdhsa_float_denorm_mode_16_64 3
		.amdhsa_dx10_clamp 1
		.amdhsa_ieee_mode 1
		.amdhsa_fp16_overflow 0
		.amdhsa_workgroup_processor_mode 1
		.amdhsa_memory_ordered 1
		.amdhsa_forward_progress 0
		.amdhsa_shared_vgpr_count 0
		.amdhsa_exception_fp_ieee_invalid_op 0
		.amdhsa_exception_fp_denorm_src 0
		.amdhsa_exception_fp_ieee_div_zero 0
		.amdhsa_exception_fp_ieee_overflow 0
		.amdhsa_exception_fp_ieee_underflow 0
		.amdhsa_exception_fp_ieee_inexact 0
		.amdhsa_exception_int_div_zero 0
	.end_amdhsa_kernel
	.section	.text._ZN12_GLOBAL__N_121softmax_warp_backwardIN3c108BFloat16ES2_fLi5ELb0ELb0ELi32EEEvPT0_PKT_S7_iiiPKb,"axG",@progbits,_ZN12_GLOBAL__N_121softmax_warp_backwardIN3c108BFloat16ES2_fLi5ELb0ELb0ELi32EEEvPT0_PKT_S7_iiiPKb,comdat
.Lfunc_end629:
	.size	_ZN12_GLOBAL__N_121softmax_warp_backwardIN3c108BFloat16ES2_fLi5ELb0ELb0ELi32EEEvPT0_PKT_S7_iiiPKb, .Lfunc_end629-_ZN12_GLOBAL__N_121softmax_warp_backwardIN3c108BFloat16ES2_fLi5ELb0ELb0ELi32EEEvPT0_PKT_S7_iiiPKb
                                        ; -- End function
	.section	.AMDGPU.csdata,"",@progbits
; Kernel info:
; codeLenInByte = 884
; NumSgprs: 18
; NumVgprs: 13
; ScratchSize: 0
; MemoryBound: 0
; FloatMode: 240
; IeeeMode: 1
; LDSByteSize: 0 bytes/workgroup (compile time only)
; SGPRBlocks: 2
; VGPRBlocks: 1
; NumSGPRsForWavesPerEU: 18
; NumVGPRsForWavesPerEU: 13
; Occupancy: 16
; WaveLimiterHint : 0
; COMPUTE_PGM_RSRC2:SCRATCH_EN: 0
; COMPUTE_PGM_RSRC2:USER_SGPR: 15
; COMPUTE_PGM_RSRC2:TRAP_HANDLER: 0
; COMPUTE_PGM_RSRC2:TGID_X_EN: 1
; COMPUTE_PGM_RSRC2:TGID_Y_EN: 0
; COMPUTE_PGM_RSRC2:TGID_Z_EN: 0
; COMPUTE_PGM_RSRC2:TIDIG_COMP_CNT: 1
	.section	.text._ZN12_GLOBAL__N_121softmax_warp_backwardIN3c108BFloat16ES2_fLi6ELb0ELb0ELi64EEEvPT0_PKT_S7_iiiPKb,"axG",@progbits,_ZN12_GLOBAL__N_121softmax_warp_backwardIN3c108BFloat16ES2_fLi6ELb0ELb0ELi64EEEvPT0_PKT_S7_iiiPKb,comdat
	.globl	_ZN12_GLOBAL__N_121softmax_warp_backwardIN3c108BFloat16ES2_fLi6ELb0ELb0ELi64EEEvPT0_PKT_S7_iiiPKb ; -- Begin function _ZN12_GLOBAL__N_121softmax_warp_backwardIN3c108BFloat16ES2_fLi6ELb0ELb0ELi64EEEvPT0_PKT_S7_iiiPKb
	.p2align	8
	.type	_ZN12_GLOBAL__N_121softmax_warp_backwardIN3c108BFloat16ES2_fLi6ELb0ELb0ELi64EEEvPT0_PKT_S7_iiiPKb,@function
_ZN12_GLOBAL__N_121softmax_warp_backwardIN3c108BFloat16ES2_fLi6ELb0ELb0ELi64EEEvPT0_PKT_S7_iiiPKb: ; @_ZN12_GLOBAL__N_121softmax_warp_backwardIN3c108BFloat16ES2_fLi6ELb0ELb0ELi64EEEvPT0_PKT_S7_iiiPKb
; %bb.0:
	s_clause 0x1
	s_load_b32 s2, s[0:1], 0x3c
	s_load_b128 s[4:7], s[0:1], 0x18
	v_bfe_u32 v1, v0, 10, 10
	v_dual_mov_b32 v7, 0 :: v_dual_and_b32 v2, 63, v0
	s_load_b128 s[8:11], s[0:1], 0x0
	v_dual_mov_b32 v8, 0 :: v_dual_mov_b32 v9, 0
	s_waitcnt lgkmcnt(0)
	s_lshr_b32 s2, s2, 16
	v_cmp_gt_i32_e32 vcc_lo, s6, v2
	s_mul_i32 s15, s15, s2
	s_load_b64 s[2:3], s[0:1], 0x10
	v_add_lshl_u32 v3, s15, v1, 1
	s_delay_alu instid0(VALU_DEP_1) | instskip(SKIP_1) | instid1(VALU_DEP_1)
	v_mad_u64_u32 v[0:1], null, v3, s5, v[2:3]
	v_sub_nc_u32_e32 v6, s4, v3
	v_cmp_lt_i32_e64 s0, 0, v6
	s_delay_alu instid0(VALU_DEP_3) | instskip(NEXT) | instid1(VALU_DEP_1)
	v_ashrrev_i32_e32 v1, 31, v0
	v_lshlrev_b64 v[0:1], 1, v[0:1]
	s_delay_alu instid0(VALU_DEP_1) | instskip(NEXT) | instid1(VALU_DEP_1)
	v_add_co_u32 v2, s1, s10, v0
	v_add_co_ci_u32_e64 v3, s1, s11, v1, s1
	s_waitcnt lgkmcnt(0)
	v_add_co_u32 v4, s1, s2, v0
	s_delay_alu instid0(VALU_DEP_1) | instskip(SKIP_1) | instid1(SALU_CYCLE_1)
	v_add_co_ci_u32_e64 v5, s1, s3, v1, s1
	s_and_b32 s2, vcc_lo, s0
	s_and_saveexec_b32 s1, s2
	s_cbranch_execz .LBB630_2
; %bb.1:
	global_load_u16 v8, v[4:5], off
	global_load_u16 v9, v[2:3], off
	s_waitcnt vmcnt(1)
	v_lshlrev_b32_e32 v8, 16, v8
	s_waitcnt vmcnt(0)
	v_lshlrev_b32_e32 v9, 16, v9
.LBB630_2:
	s_or_b32 exec_lo, exec_lo, s1
	v_cmp_lt_i32_e64 s1, 1, v6
	v_mov_b32_e32 v10, 0
	s_mov_b32 s7, 0
	s_delay_alu instid0(VALU_DEP_2) | instskip(NEXT) | instid1(SALU_CYCLE_1)
	s_and_b32 s1, vcc_lo, s1
	s_and_saveexec_b32 s2, s1
	s_cbranch_execz .LBB630_4
; %bb.3:
	s_lshl_b64 s[4:5], s[6:7], 1
	s_delay_alu instid0(SALU_CYCLE_1) | instskip(NEXT) | instid1(VALU_DEP_1)
	v_add_co_u32 v4, s1, v4, s4
	v_add_co_ci_u32_e64 v5, s1, s5, v5, s1
	v_add_co_u32 v2, s1, v2, s4
	s_delay_alu instid0(VALU_DEP_1)
	v_add_co_ci_u32_e64 v3, s1, s5, v3, s1
	global_load_u16 v4, v[4:5], off
	global_load_u16 v2, v[2:3], off
	s_waitcnt vmcnt(1)
	v_lshlrev_b32_e32 v7, 16, v4
	s_waitcnt vmcnt(0)
	v_lshlrev_b32_e32 v10, 16, v2
.LBB630_4:
	s_or_b32 exec_lo, exec_lo, s2
	v_mbcnt_lo_u32_b32 v2, -1, 0
	s_delay_alu instid0(VALU_DEP_1) | instskip(SKIP_1) | instid1(VALU_DEP_2)
	v_or_b32_e32 v3, 32, v2
	v_xor_b32_e32 v12, 16, v2
	v_cmp_gt_i32_e64 s1, 64, v3
	s_delay_alu instid0(VALU_DEP_1) | instskip(NEXT) | instid1(VALU_DEP_3)
	v_cndmask_b32_e64 v3, v2, v3, s1
	v_cmp_gt_i32_e64 s1, 64, v12
	s_delay_alu instid0(VALU_DEP_2) | instskip(NEXT) | instid1(VALU_DEP_2)
	v_dual_add_f32 v4, 0, v9 :: v_dual_lshlrev_b32 v3, 2, v3
	v_cndmask_b32_e64 v12, v2, v12, s1
	v_add_f32_e32 v5, 0, v10
	ds_bpermute_b32 v11, v3, v4
	v_lshlrev_b32_e32 v12, 2, v12
	ds_bpermute_b32 v3, v3, v5
	s_waitcnt lgkmcnt(1)
	v_add_f32_e32 v4, v4, v11
	s_waitcnt lgkmcnt(0)
	v_add_f32_e32 v3, v5, v3
	ds_bpermute_b32 v5, v12, v4
	ds_bpermute_b32 v11, v12, v3
	v_xor_b32_e32 v12, 8, v2
	s_delay_alu instid0(VALU_DEP_1) | instskip(NEXT) | instid1(VALU_DEP_1)
	v_cmp_gt_i32_e64 s1, 64, v12
	v_cndmask_b32_e64 v12, v2, v12, s1
	s_delay_alu instid0(VALU_DEP_1)
	v_lshlrev_b32_e32 v12, 2, v12
	s_waitcnt lgkmcnt(0)
	v_dual_add_f32 v4, v4, v5 :: v_dual_add_f32 v3, v3, v11
	ds_bpermute_b32 v5, v12, v4
	ds_bpermute_b32 v11, v12, v3
	v_xor_b32_e32 v12, 4, v2
	s_delay_alu instid0(VALU_DEP_1) | instskip(NEXT) | instid1(VALU_DEP_1)
	v_cmp_gt_i32_e64 s1, 64, v12
	v_cndmask_b32_e64 v12, v2, v12, s1
	s_waitcnt lgkmcnt(0)
	s_delay_alu instid0(VALU_DEP_1)
	v_dual_add_f32 v3, v3, v11 :: v_dual_lshlrev_b32 v12, 2, v12
	ds_bpermute_b32 v11, v12, v3
	s_waitcnt lgkmcnt(0)
	v_dual_add_f32 v4, v4, v5 :: v_dual_add_f32 v3, v3, v11
	ds_bpermute_b32 v5, v12, v4
	v_xor_b32_e32 v12, 2, v2
	s_delay_alu instid0(VALU_DEP_1) | instskip(NEXT) | instid1(VALU_DEP_1)
	v_cmp_gt_i32_e64 s1, 64, v12
	v_cndmask_b32_e64 v12, v2, v12, s1
	s_delay_alu instid0(VALU_DEP_1)
	v_lshlrev_b32_e32 v12, 2, v12
	s_waitcnt lgkmcnt(0)
	v_add_f32_e32 v4, v4, v5
	ds_bpermute_b32 v11, v12, v3
	ds_bpermute_b32 v5, v12, v4
	v_xor_b32_e32 v12, 1, v2
	s_delay_alu instid0(VALU_DEP_1) | instskip(NEXT) | instid1(VALU_DEP_1)
	v_cmp_gt_i32_e64 s1, 64, v12
	v_cndmask_b32_e64 v2, v2, v12, s1
	s_delay_alu instid0(VALU_DEP_1)
	v_lshlrev_b32_e32 v12, 2, v2
	s_waitcnt lgkmcnt(1)
	v_add_f32_e32 v2, v3, v11
	s_waitcnt lgkmcnt(0)
	v_add_f32_e32 v4, v4, v5
	ds_bpermute_b32 v3, v12, v2
	ds_bpermute_b32 v5, v12, v4
	s_and_saveexec_b32 s1, s0
	s_cbranch_execz .LBB630_10
; %bb.5:
	v_add_co_u32 v0, s0, s8, v0
	s_delay_alu instid0(VALU_DEP_1)
	v_add_co_ci_u32_e64 v1, s0, s9, v1, s0
	s_and_saveexec_b32 s1, vcc_lo
	s_cbranch_execz .LBB630_7
; %bb.6:
	s_waitcnt lgkmcnt(0)
	v_add_f32_e32 v4, v4, v5
	s_delay_alu instid0(VALU_DEP_1) | instskip(NEXT) | instid1(VALU_DEP_1)
	v_fma_f32 v4, -v4, v8, v9
	v_bfe_u32 v5, v4, 16, 1
	v_cmp_o_f32_e64 s0, v4, v4
	s_delay_alu instid0(VALU_DEP_2) | instskip(NEXT) | instid1(VALU_DEP_1)
	v_add3_u32 v5, v4, v5, 0x7fff
	v_lshrrev_b32_e32 v5, 16, v5
	s_delay_alu instid0(VALU_DEP_1)
	v_cndmask_b32_e64 v4, 0x7fc0, v5, s0
	global_store_b16 v[0:1], v4, off
.LBB630_7:
	s_or_b32 exec_lo, exec_lo, s1
	v_cmp_ne_u32_e64 s0, 1, v6
	s_delay_alu instid0(VALU_DEP_1)
	s_and_b32 exec_lo, exec_lo, s0
	s_cbranch_execz .LBB630_10
; %bb.8:
	s_and_b32 exec_lo, exec_lo, vcc_lo
	s_cbranch_execz .LBB630_10
; %bb.9:
	s_waitcnt lgkmcnt(1)
	v_add_f32_e32 v2, v2, v3
	s_lshl_b64 s[0:1], s[6:7], 1
	s_delay_alu instid0(VALU_DEP_1) | instskip(NEXT) | instid1(VALU_DEP_1)
	v_fma_f32 v2, -v2, v7, v10
	v_bfe_u32 v3, v2, 16, 1
	v_cmp_o_f32_e32 vcc_lo, v2, v2
	s_delay_alu instid0(VALU_DEP_2) | instskip(NEXT) | instid1(VALU_DEP_1)
	v_add3_u32 v3, v2, v3, 0x7fff
	v_lshrrev_b32_e32 v3, 16, v3
	s_delay_alu instid0(VALU_DEP_1)
	v_cndmask_b32_e32 v2, 0x7fc0, v3, vcc_lo
	v_add_co_u32 v0, vcc_lo, v0, s0
	v_add_co_ci_u32_e32 v1, vcc_lo, s1, v1, vcc_lo
	global_store_b16 v[0:1], v2, off
.LBB630_10:
	s_nop 0
	s_sendmsg sendmsg(MSG_DEALLOC_VGPRS)
	s_endpgm
	.section	.rodata,"a",@progbits
	.p2align	6, 0x0
	.amdhsa_kernel _ZN12_GLOBAL__N_121softmax_warp_backwardIN3c108BFloat16ES2_fLi6ELb0ELb0ELi64EEEvPT0_PKT_S7_iiiPKb
		.amdhsa_group_segment_fixed_size 0
		.amdhsa_private_segment_fixed_size 0
		.amdhsa_kernarg_size 304
		.amdhsa_user_sgpr_count 15
		.amdhsa_user_sgpr_dispatch_ptr 0
		.amdhsa_user_sgpr_queue_ptr 0
		.amdhsa_user_sgpr_kernarg_segment_ptr 1
		.amdhsa_user_sgpr_dispatch_id 0
		.amdhsa_user_sgpr_private_segment_size 0
		.amdhsa_wavefront_size32 1
		.amdhsa_uses_dynamic_stack 0
		.amdhsa_enable_private_segment 0
		.amdhsa_system_sgpr_workgroup_id_x 1
		.amdhsa_system_sgpr_workgroup_id_y 0
		.amdhsa_system_sgpr_workgroup_id_z 0
		.amdhsa_system_sgpr_workgroup_info 0
		.amdhsa_system_vgpr_workitem_id 1
		.amdhsa_next_free_vgpr 13
		.amdhsa_next_free_sgpr 16
		.amdhsa_reserve_vcc 1
		.amdhsa_float_round_mode_32 0
		.amdhsa_float_round_mode_16_64 0
		.amdhsa_float_denorm_mode_32 3
		.amdhsa_float_denorm_mode_16_64 3
		.amdhsa_dx10_clamp 1
		.amdhsa_ieee_mode 1
		.amdhsa_fp16_overflow 0
		.amdhsa_workgroup_processor_mode 1
		.amdhsa_memory_ordered 1
		.amdhsa_forward_progress 0
		.amdhsa_shared_vgpr_count 0
		.amdhsa_exception_fp_ieee_invalid_op 0
		.amdhsa_exception_fp_denorm_src 0
		.amdhsa_exception_fp_ieee_div_zero 0
		.amdhsa_exception_fp_ieee_overflow 0
		.amdhsa_exception_fp_ieee_underflow 0
		.amdhsa_exception_fp_ieee_inexact 0
		.amdhsa_exception_int_div_zero 0
	.end_amdhsa_kernel
	.section	.text._ZN12_GLOBAL__N_121softmax_warp_backwardIN3c108BFloat16ES2_fLi6ELb0ELb0ELi64EEEvPT0_PKT_S7_iiiPKb,"axG",@progbits,_ZN12_GLOBAL__N_121softmax_warp_backwardIN3c108BFloat16ES2_fLi6ELb0ELb0ELi64EEEvPT0_PKT_S7_iiiPKb,comdat
.Lfunc_end630:
	.size	_ZN12_GLOBAL__N_121softmax_warp_backwardIN3c108BFloat16ES2_fLi6ELb0ELb0ELi64EEEvPT0_PKT_S7_iiiPKb, .Lfunc_end630-_ZN12_GLOBAL__N_121softmax_warp_backwardIN3c108BFloat16ES2_fLi6ELb0ELb0ELi64EEEvPT0_PKT_S7_iiiPKb
                                        ; -- End function
	.section	.AMDGPU.csdata,"",@progbits
; Kernel info:
; codeLenInByte = 948
; NumSgprs: 18
; NumVgprs: 13
; ScratchSize: 0
; MemoryBound: 0
; FloatMode: 240
; IeeeMode: 1
; LDSByteSize: 0 bytes/workgroup (compile time only)
; SGPRBlocks: 2
; VGPRBlocks: 1
; NumSGPRsForWavesPerEU: 18
; NumVGPRsForWavesPerEU: 13
; Occupancy: 16
; WaveLimiterHint : 0
; COMPUTE_PGM_RSRC2:SCRATCH_EN: 0
; COMPUTE_PGM_RSRC2:USER_SGPR: 15
; COMPUTE_PGM_RSRC2:TRAP_HANDLER: 0
; COMPUTE_PGM_RSRC2:TGID_X_EN: 1
; COMPUTE_PGM_RSRC2:TGID_Y_EN: 0
; COMPUTE_PGM_RSRC2:TGID_Z_EN: 0
; COMPUTE_PGM_RSRC2:TIDIG_COMP_CNT: 1
	.section	.text._ZN12_GLOBAL__N_121softmax_warp_backwardIN3c108BFloat16ES2_fLi6ELb0ELb0ELi32EEEvPT0_PKT_S7_iiiPKb,"axG",@progbits,_ZN12_GLOBAL__N_121softmax_warp_backwardIN3c108BFloat16ES2_fLi6ELb0ELb0ELi32EEEvPT0_PKT_S7_iiiPKb,comdat
	.globl	_ZN12_GLOBAL__N_121softmax_warp_backwardIN3c108BFloat16ES2_fLi6ELb0ELb0ELi32EEEvPT0_PKT_S7_iiiPKb ; -- Begin function _ZN12_GLOBAL__N_121softmax_warp_backwardIN3c108BFloat16ES2_fLi6ELb0ELb0ELi32EEEvPT0_PKT_S7_iiiPKb
	.p2align	8
	.type	_ZN12_GLOBAL__N_121softmax_warp_backwardIN3c108BFloat16ES2_fLi6ELb0ELb0ELi32EEEvPT0_PKT_S7_iiiPKb,@function
_ZN12_GLOBAL__N_121softmax_warp_backwardIN3c108BFloat16ES2_fLi6ELb0ELb0ELi32EEEvPT0_PKT_S7_iiiPKb: ; @_ZN12_GLOBAL__N_121softmax_warp_backwardIN3c108BFloat16ES2_fLi6ELb0ELb0ELi32EEEvPT0_PKT_S7_iiiPKb
; %bb.0:
	s_clause 0x1
	s_load_b32 s2, s[0:1], 0x3c
	s_load_b128 s[4:7], s[0:1], 0x18
	v_bfe_u32 v1, v0, 10, 10
	v_dual_mov_b32 v9, 0 :: v_dual_and_b32 v6, 31, v0
	s_load_b128 s[8:11], s[0:1], 0x0
	v_mov_b32_e32 v8, 0
	v_mov_b32_e32 v10, 0
	s_waitcnt lgkmcnt(0)
	s_lshr_b32 s2, s2, 16
	v_cmp_gt_i32_e32 vcc_lo, s6, v6
	s_mul_i32 s15, s15, s2
	s_load_b64 s[2:3], s[0:1], 0x10
	v_add_lshl_u32 v2, s15, v1, 1
	s_delay_alu instid0(VALU_DEP_1) | instskip(SKIP_1) | instid1(VALU_DEP_1)
	v_mad_u64_u32 v[0:1], null, v2, s5, v[6:7]
	v_sub_nc_u32_e32 v7, s4, v2
	v_cmp_lt_i32_e64 s1, 0, v7
	s_delay_alu instid0(VALU_DEP_3) | instskip(NEXT) | instid1(VALU_DEP_1)
	v_ashrrev_i32_e32 v1, 31, v0
	v_lshlrev_b64 v[0:1], 1, v[0:1]
	s_delay_alu instid0(VALU_DEP_1) | instskip(NEXT) | instid1(VALU_DEP_1)
	v_add_co_u32 v2, s0, s10, v0
	v_add_co_ci_u32_e64 v3, s0, s11, v1, s0
	s_waitcnt lgkmcnt(0)
	v_add_co_u32 v4, s0, s2, v0
	s_delay_alu instid0(VALU_DEP_1) | instskip(SKIP_1) | instid1(SALU_CYCLE_1)
	v_add_co_ci_u32_e64 v5, s0, s3, v1, s0
	s_and_b32 s2, s1, vcc_lo
	s_and_saveexec_b32 s0, s2
	s_cbranch_execz .LBB631_2
; %bb.1:
	global_load_u16 v9, v[4:5], off
	global_load_u16 v10, v[2:3], off
	s_waitcnt vmcnt(1)
	v_lshlrev_b32_e32 v9, 16, v9
	s_waitcnt vmcnt(0)
	v_lshlrev_b32_e32 v10, 16, v10
.LBB631_2:
	s_or_b32 exec_lo, exec_lo, s0
	v_or_b32_e32 v6, 32, v6
	v_mov_b32_e32 v11, 0
	s_delay_alu instid0(VALU_DEP_2) | instskip(NEXT) | instid1(VALU_DEP_1)
	v_cmp_gt_i32_e64 s0, s6, v6
	s_and_b32 s3, s1, s0
	s_delay_alu instid0(SALU_CYCLE_1)
	s_and_saveexec_b32 s2, s3
	s_cbranch_execz .LBB631_4
; %bb.3:
	global_load_u16 v6, v[4:5], off offset:64
	global_load_u16 v11, v[2:3], off offset:64
	s_waitcnt vmcnt(1)
	v_lshlrev_b32_e32 v8, 16, v6
	s_waitcnt vmcnt(0)
	v_lshlrev_b32_e32 v11, 16, v11
.LBB631_4:
	s_or_b32 exec_lo, exec_lo, s2
	v_cmp_lt_i32_e64 s2, 1, v7
	v_dual_mov_b32 v6, 0 :: v_dual_mov_b32 v13, 0
	v_mov_b32_e32 v12, 0
	s_mov_b32 s7, 0
	s_delay_alu instid0(VALU_DEP_3) | instskip(NEXT) | instid1(SALU_CYCLE_1)
	s_and_b32 s3, s2, vcc_lo
	s_and_saveexec_b32 s4, s3
	s_cbranch_execz .LBB631_6
; %bb.5:
	s_lshl_b64 s[10:11], s[6:7], 1
	s_delay_alu instid0(SALU_CYCLE_1) | instskip(NEXT) | instid1(VALU_DEP_1)
	v_add_co_u32 v12, s3, v4, s10
	v_add_co_ci_u32_e64 v13, s3, s11, v5, s3
	v_add_co_u32 v14, s3, v2, s10
	s_delay_alu instid0(VALU_DEP_1)
	v_add_co_ci_u32_e64 v15, s3, s11, v3, s3
	global_load_u16 v12, v[12:13], off
	global_load_u16 v13, v[14:15], off
	s_waitcnt vmcnt(1)
	v_lshlrev_b32_e32 v12, 16, v12
	s_waitcnt vmcnt(0)
	v_lshlrev_b32_e32 v13, 16, v13
.LBB631_6:
	s_or_b32 exec_lo, exec_lo, s4
	v_mov_b32_e32 v14, 0
	s_and_b32 s2, s2, s0
	s_delay_alu instid0(SALU_CYCLE_1)
	s_and_saveexec_b32 s3, s2
	s_cbranch_execz .LBB631_8
; %bb.7:
	s_lshl_b64 s[4:5], s[6:7], 1
	s_delay_alu instid0(SALU_CYCLE_1) | instskip(NEXT) | instid1(VALU_DEP_1)
	v_add_co_u32 v4, s2, v4, s4
	v_add_co_ci_u32_e64 v5, s2, s5, v5, s2
	v_add_co_u32 v2, s2, v2, s4
	s_delay_alu instid0(VALU_DEP_1)
	v_add_co_ci_u32_e64 v3, s2, s5, v3, s2
	global_load_u16 v4, v[4:5], off offset:64
	global_load_u16 v2, v[2:3], off offset:64
	s_waitcnt vmcnt(1)
	v_lshlrev_b32_e32 v6, 16, v4
	s_waitcnt vmcnt(0)
	v_lshlrev_b32_e32 v14, 16, v2
.LBB631_8:
	s_or_b32 exec_lo, exec_lo, s3
	v_mbcnt_lo_u32_b32 v2, -1, 0
	v_dual_add_f32 v4, 0, v10 :: v_dual_add_f32 v5, 0, v13
	s_delay_alu instid0(VALU_DEP_2) | instskip(NEXT) | instid1(VALU_DEP_2)
	v_xor_b32_e32 v3, 16, v2
	v_dual_add_f32 v4, v4, v11 :: v_dual_add_f32 v5, v5, v14
	v_xor_b32_e32 v16, 8, v2
	s_delay_alu instid0(VALU_DEP_3) | instskip(NEXT) | instid1(VALU_DEP_1)
	v_cmp_gt_i32_e64 s2, 32, v3
	v_cndmask_b32_e64 v3, v2, v3, s2
	s_delay_alu instid0(VALU_DEP_3) | instskip(NEXT) | instid1(VALU_DEP_2)
	v_cmp_gt_i32_e64 s2, 32, v16
	v_lshlrev_b32_e32 v3, 2, v3
	s_delay_alu instid0(VALU_DEP_2)
	v_cndmask_b32_e64 v16, v2, v16, s2
	ds_bpermute_b32 v15, v3, v4
	ds_bpermute_b32 v3, v3, v5
	v_lshlrev_b32_e32 v16, 2, v16
	s_waitcnt lgkmcnt(1)
	v_add_f32_e32 v4, v4, v15
	s_waitcnt lgkmcnt(0)
	v_add_f32_e32 v3, v5, v3
	ds_bpermute_b32 v5, v16, v4
	ds_bpermute_b32 v15, v16, v3
	v_xor_b32_e32 v16, 4, v2
	s_delay_alu instid0(VALU_DEP_1) | instskip(NEXT) | instid1(VALU_DEP_1)
	v_cmp_gt_i32_e64 s2, 32, v16
	v_cndmask_b32_e64 v16, v2, v16, s2
	s_delay_alu instid0(VALU_DEP_1)
	v_lshlrev_b32_e32 v16, 2, v16
	s_waitcnt lgkmcnt(0)
	v_dual_add_f32 v4, v4, v5 :: v_dual_add_f32 v3, v3, v15
	ds_bpermute_b32 v5, v16, v4
	ds_bpermute_b32 v15, v16, v3
	v_xor_b32_e32 v16, 2, v2
	s_delay_alu instid0(VALU_DEP_1) | instskip(NEXT) | instid1(VALU_DEP_1)
	v_cmp_gt_i32_e64 s2, 32, v16
	v_cndmask_b32_e64 v16, v2, v16, s2
	s_delay_alu instid0(VALU_DEP_1)
	v_lshlrev_b32_e32 v16, 2, v16
	s_waitcnt lgkmcnt(0)
	v_dual_add_f32 v4, v4, v5 :: v_dual_add_f32 v3, v3, v15
	ds_bpermute_b32 v5, v16, v4
	ds_bpermute_b32 v15, v16, v3
	v_xor_b32_e32 v16, 1, v2
	s_delay_alu instid0(VALU_DEP_1) | instskip(NEXT) | instid1(VALU_DEP_1)
	v_cmp_gt_i32_e64 s2, 32, v16
	v_cndmask_b32_e64 v2, v2, v16, s2
	s_delay_alu instid0(VALU_DEP_1)
	v_lshlrev_b32_e32 v16, 2, v2
	s_waitcnt lgkmcnt(1)
	v_add_f32_e32 v4, v4, v5
	s_waitcnt lgkmcnt(0)
	v_add_f32_e32 v2, v3, v15
	ds_bpermute_b32 v5, v16, v4
	ds_bpermute_b32 v3, v16, v2
	s_and_saveexec_b32 s2, s1
	s_cbranch_execz .LBB631_12
; %bb.9:
	v_add_co_u32 v0, s1, s8, v0
	s_delay_alu instid0(VALU_DEP_1)
	v_add_co_ci_u32_e64 v1, s1, s9, v1, s1
	s_waitcnt lgkmcnt(1)
	v_add_f32_e32 v4, v4, v5
	s_and_saveexec_b32 s2, vcc_lo
	s_cbranch_execnz .LBB631_13
; %bb.10:
	s_or_b32 exec_lo, exec_lo, s2
	s_and_saveexec_b32 s2, s0
	s_cbranch_execnz .LBB631_14
.LBB631_11:
	s_or_b32 exec_lo, exec_lo, s2
	v_cmp_ne_u32_e64 s1, 1, v7
	s_delay_alu instid0(VALU_DEP_1)
	s_and_b32 exec_lo, exec_lo, s1
	s_cbranch_execnz .LBB631_15
.LBB631_12:
	s_nop 0
	s_sendmsg sendmsg(MSG_DEALLOC_VGPRS)
	s_endpgm
.LBB631_13:
	s_delay_alu instid0(VALU_DEP_1) | instskip(NEXT) | instid1(VALU_DEP_1)
	v_fma_f32 v5, -v4, v9, v10
	v_bfe_u32 v9, v5, 16, 1
	v_cmp_o_f32_e64 s1, v5, v5
	s_delay_alu instid0(VALU_DEP_2) | instskip(NEXT) | instid1(VALU_DEP_1)
	v_add3_u32 v9, v5, v9, 0x7fff
	v_lshrrev_b32_e32 v9, 16, v9
	s_delay_alu instid0(VALU_DEP_1)
	v_cndmask_b32_e64 v5, 0x7fc0, v9, s1
	global_store_b16 v[0:1], v5, off
	s_or_b32 exec_lo, exec_lo, s2
	s_and_saveexec_b32 s2, s0
	s_cbranch_execz .LBB631_11
.LBB631_14:
	v_fma_f32 v4, -v4, v8, v11
	s_delay_alu instid0(VALU_DEP_1) | instskip(SKIP_1) | instid1(VALU_DEP_2)
	v_bfe_u32 v5, v4, 16, 1
	v_cmp_o_f32_e64 s1, v4, v4
	v_add3_u32 v5, v4, v5, 0x7fff
	s_delay_alu instid0(VALU_DEP_1) | instskip(NEXT) | instid1(VALU_DEP_1)
	v_lshrrev_b32_e32 v5, 16, v5
	v_cndmask_b32_e64 v4, 0x7fc0, v5, s1
	global_store_b16 v[0:1], v4, off offset:64
	s_or_b32 exec_lo, exec_lo, s2
	v_cmp_ne_u32_e64 s1, 1, v7
	s_delay_alu instid0(VALU_DEP_1)
	s_and_b32 exec_lo, exec_lo, s1
	s_cbranch_execz .LBB631_12
.LBB631_15:
	s_waitcnt lgkmcnt(0)
	v_add_f32_e32 v2, v2, v3
	s_and_saveexec_b32 s1, vcc_lo
	s_cbranch_execz .LBB631_17
; %bb.16:
	s_delay_alu instid0(VALU_DEP_1) | instskip(SKIP_1) | instid1(VALU_DEP_1)
	v_fma_f32 v3, -v2, v12, v13
	s_lshl_b64 s[2:3], s[6:7], 1
	v_bfe_u32 v4, v3, 16, 1
	v_cmp_o_f32_e32 vcc_lo, v3, v3
	s_delay_alu instid0(VALU_DEP_2) | instskip(NEXT) | instid1(VALU_DEP_1)
	v_add3_u32 v4, v3, v4, 0x7fff
	v_lshrrev_b32_e32 v4, 16, v4
	s_delay_alu instid0(VALU_DEP_1)
	v_cndmask_b32_e32 v5, 0x7fc0, v4, vcc_lo
	v_add_co_u32 v3, vcc_lo, v0, s2
	v_add_co_ci_u32_e32 v4, vcc_lo, s3, v1, vcc_lo
	global_store_b16 v[3:4], v5, off
.LBB631_17:
	s_or_b32 exec_lo, exec_lo, s1
	s_delay_alu instid0(SALU_CYCLE_1)
	s_and_b32 exec_lo, exec_lo, s0
	s_cbranch_execz .LBB631_12
; %bb.18:
	v_fma_f32 v2, -v2, v6, v14
	s_ashr_i32 s7, s6, 31
	s_delay_alu instid0(SALU_CYCLE_1) | instskip(NEXT) | instid1(VALU_DEP_1)
	s_lshl_b64 s[0:1], s[6:7], 1
	v_bfe_u32 v3, v2, 16, 1
	v_cmp_o_f32_e32 vcc_lo, v2, v2
	s_delay_alu instid0(VALU_DEP_2) | instskip(NEXT) | instid1(VALU_DEP_1)
	v_add3_u32 v3, v2, v3, 0x7fff
	v_lshrrev_b32_e32 v3, 16, v3
	s_delay_alu instid0(VALU_DEP_1)
	v_cndmask_b32_e32 v2, 0x7fc0, v3, vcc_lo
	v_add_co_u32 v0, vcc_lo, v0, s0
	v_add_co_ci_u32_e32 v1, vcc_lo, s1, v1, vcc_lo
	global_store_b16 v[0:1], v2, off offset:64
	s_nop 0
	s_sendmsg sendmsg(MSG_DEALLOC_VGPRS)
	s_endpgm
	.section	.rodata,"a",@progbits
	.p2align	6, 0x0
	.amdhsa_kernel _ZN12_GLOBAL__N_121softmax_warp_backwardIN3c108BFloat16ES2_fLi6ELb0ELb0ELi32EEEvPT0_PKT_S7_iiiPKb
		.amdhsa_group_segment_fixed_size 0
		.amdhsa_private_segment_fixed_size 0
		.amdhsa_kernarg_size 304
		.amdhsa_user_sgpr_count 15
		.amdhsa_user_sgpr_dispatch_ptr 0
		.amdhsa_user_sgpr_queue_ptr 0
		.amdhsa_user_sgpr_kernarg_segment_ptr 1
		.amdhsa_user_sgpr_dispatch_id 0
		.amdhsa_user_sgpr_private_segment_size 0
		.amdhsa_wavefront_size32 1
		.amdhsa_uses_dynamic_stack 0
		.amdhsa_enable_private_segment 0
		.amdhsa_system_sgpr_workgroup_id_x 1
		.amdhsa_system_sgpr_workgroup_id_y 0
		.amdhsa_system_sgpr_workgroup_id_z 0
		.amdhsa_system_sgpr_workgroup_info 0
		.amdhsa_system_vgpr_workitem_id 1
		.amdhsa_next_free_vgpr 17
		.amdhsa_next_free_sgpr 16
		.amdhsa_reserve_vcc 1
		.amdhsa_float_round_mode_32 0
		.amdhsa_float_round_mode_16_64 0
		.amdhsa_float_denorm_mode_32 3
		.amdhsa_float_denorm_mode_16_64 3
		.amdhsa_dx10_clamp 1
		.amdhsa_ieee_mode 1
		.amdhsa_fp16_overflow 0
		.amdhsa_workgroup_processor_mode 1
		.amdhsa_memory_ordered 1
		.amdhsa_forward_progress 0
		.amdhsa_shared_vgpr_count 0
		.amdhsa_exception_fp_ieee_invalid_op 0
		.amdhsa_exception_fp_denorm_src 0
		.amdhsa_exception_fp_ieee_div_zero 0
		.amdhsa_exception_fp_ieee_overflow 0
		.amdhsa_exception_fp_ieee_underflow 0
		.amdhsa_exception_fp_ieee_inexact 0
		.amdhsa_exception_int_div_zero 0
	.end_amdhsa_kernel
	.section	.text._ZN12_GLOBAL__N_121softmax_warp_backwardIN3c108BFloat16ES2_fLi6ELb0ELb0ELi32EEEvPT0_PKT_S7_iiiPKb,"axG",@progbits,_ZN12_GLOBAL__N_121softmax_warp_backwardIN3c108BFloat16ES2_fLi6ELb0ELb0ELi32EEEvPT0_PKT_S7_iiiPKb,comdat
.Lfunc_end631:
	.size	_ZN12_GLOBAL__N_121softmax_warp_backwardIN3c108BFloat16ES2_fLi6ELb0ELb0ELi32EEEvPT0_PKT_S7_iiiPKb, .Lfunc_end631-_ZN12_GLOBAL__N_121softmax_warp_backwardIN3c108BFloat16ES2_fLi6ELb0ELb0ELi32EEEvPT0_PKT_S7_iiiPKb
                                        ; -- End function
	.section	.AMDGPU.csdata,"",@progbits
; Kernel info:
; codeLenInByte = 1304
; NumSgprs: 18
; NumVgprs: 17
; ScratchSize: 0
; MemoryBound: 0
; FloatMode: 240
; IeeeMode: 1
; LDSByteSize: 0 bytes/workgroup (compile time only)
; SGPRBlocks: 2
; VGPRBlocks: 2
; NumSGPRsForWavesPerEU: 18
; NumVGPRsForWavesPerEU: 17
; Occupancy: 16
; WaveLimiterHint : 0
; COMPUTE_PGM_RSRC2:SCRATCH_EN: 0
; COMPUTE_PGM_RSRC2:USER_SGPR: 15
; COMPUTE_PGM_RSRC2:TRAP_HANDLER: 0
; COMPUTE_PGM_RSRC2:TGID_X_EN: 1
; COMPUTE_PGM_RSRC2:TGID_Y_EN: 0
; COMPUTE_PGM_RSRC2:TGID_Z_EN: 0
; COMPUTE_PGM_RSRC2:TIDIG_COMP_CNT: 1
	.section	.text._ZN12_GLOBAL__N_121softmax_warp_backwardIN3c108BFloat16ES2_fLi7ELb0ELb0ELi64EEEvPT0_PKT_S7_iiiPKb,"axG",@progbits,_ZN12_GLOBAL__N_121softmax_warp_backwardIN3c108BFloat16ES2_fLi7ELb0ELb0ELi64EEEvPT0_PKT_S7_iiiPKb,comdat
	.globl	_ZN12_GLOBAL__N_121softmax_warp_backwardIN3c108BFloat16ES2_fLi7ELb0ELb0ELi64EEEvPT0_PKT_S7_iiiPKb ; -- Begin function _ZN12_GLOBAL__N_121softmax_warp_backwardIN3c108BFloat16ES2_fLi7ELb0ELb0ELi64EEEvPT0_PKT_S7_iiiPKb
	.p2align	8
	.type	_ZN12_GLOBAL__N_121softmax_warp_backwardIN3c108BFloat16ES2_fLi7ELb0ELb0ELi64EEEvPT0_PKT_S7_iiiPKb,@function
_ZN12_GLOBAL__N_121softmax_warp_backwardIN3c108BFloat16ES2_fLi7ELb0ELb0ELi64EEEvPT0_PKT_S7_iiiPKb: ; @_ZN12_GLOBAL__N_121softmax_warp_backwardIN3c108BFloat16ES2_fLi7ELb0ELb0ELi64EEEvPT0_PKT_S7_iiiPKb
; %bb.0:
	s_clause 0x1
	s_load_b32 s2, s[0:1], 0x3c
	s_load_b128 s[4:7], s[0:1], 0x18
	v_bfe_u32 v1, v0, 10, 10
	v_dual_mov_b32 v9, 0 :: v_dual_and_b32 v6, 63, v0
	s_load_b128 s[8:11], s[0:1], 0x0
	v_mov_b32_e32 v8, 0
	v_mov_b32_e32 v10, 0
	s_waitcnt lgkmcnt(0)
	s_lshr_b32 s2, s2, 16
	v_cmp_gt_i32_e32 vcc_lo, s6, v6
	s_mul_i32 s15, s15, s2
	s_load_b64 s[2:3], s[0:1], 0x10
	v_add_lshl_u32 v2, s15, v1, 1
	s_delay_alu instid0(VALU_DEP_1) | instskip(SKIP_1) | instid1(VALU_DEP_1)
	v_mad_u64_u32 v[0:1], null, v2, s5, v[6:7]
	v_sub_nc_u32_e32 v7, s4, v2
	v_cmp_lt_i32_e64 s1, 0, v7
	s_delay_alu instid0(VALU_DEP_3) | instskip(NEXT) | instid1(VALU_DEP_1)
	v_ashrrev_i32_e32 v1, 31, v0
	v_lshlrev_b64 v[0:1], 1, v[0:1]
	s_delay_alu instid0(VALU_DEP_1) | instskip(NEXT) | instid1(VALU_DEP_1)
	v_add_co_u32 v2, s0, s10, v0
	v_add_co_ci_u32_e64 v3, s0, s11, v1, s0
	s_waitcnt lgkmcnt(0)
	v_add_co_u32 v4, s0, s2, v0
	s_delay_alu instid0(VALU_DEP_1) | instskip(SKIP_1) | instid1(SALU_CYCLE_1)
	v_add_co_ci_u32_e64 v5, s0, s3, v1, s0
	s_and_b32 s2, s1, vcc_lo
	s_and_saveexec_b32 s0, s2
	s_cbranch_execz .LBB632_2
; %bb.1:
	global_load_u16 v9, v[4:5], off
	global_load_u16 v10, v[2:3], off
	s_waitcnt vmcnt(1)
	v_lshlrev_b32_e32 v9, 16, v9
	s_waitcnt vmcnt(0)
	v_lshlrev_b32_e32 v10, 16, v10
.LBB632_2:
	s_or_b32 exec_lo, exec_lo, s0
	v_or_b32_e32 v6, 64, v6
	v_mov_b32_e32 v11, 0
	s_delay_alu instid0(VALU_DEP_2) | instskip(NEXT) | instid1(VALU_DEP_1)
	v_cmp_gt_i32_e64 s0, s6, v6
	s_and_b32 s3, s1, s0
	s_delay_alu instid0(SALU_CYCLE_1)
	s_and_saveexec_b32 s2, s3
	s_cbranch_execz .LBB632_4
; %bb.3:
	global_load_u16 v6, v[4:5], off offset:128
	global_load_u16 v11, v[2:3], off offset:128
	s_waitcnt vmcnt(1)
	v_lshlrev_b32_e32 v8, 16, v6
	s_waitcnt vmcnt(0)
	v_lshlrev_b32_e32 v11, 16, v11
.LBB632_4:
	s_or_b32 exec_lo, exec_lo, s2
	v_cmp_lt_i32_e64 s2, 1, v7
	v_dual_mov_b32 v6, 0 :: v_dual_mov_b32 v13, 0
	v_mov_b32_e32 v12, 0
	s_mov_b32 s7, 0
	s_delay_alu instid0(VALU_DEP_3) | instskip(NEXT) | instid1(SALU_CYCLE_1)
	s_and_b32 s3, s2, vcc_lo
	s_and_saveexec_b32 s4, s3
	s_cbranch_execz .LBB632_6
; %bb.5:
	s_lshl_b64 s[10:11], s[6:7], 1
	s_delay_alu instid0(SALU_CYCLE_1) | instskip(NEXT) | instid1(VALU_DEP_1)
	v_add_co_u32 v12, s3, v4, s10
	v_add_co_ci_u32_e64 v13, s3, s11, v5, s3
	v_add_co_u32 v14, s3, v2, s10
	s_delay_alu instid0(VALU_DEP_1)
	v_add_co_ci_u32_e64 v15, s3, s11, v3, s3
	global_load_u16 v12, v[12:13], off
	global_load_u16 v13, v[14:15], off
	s_waitcnt vmcnt(1)
	v_lshlrev_b32_e32 v12, 16, v12
	s_waitcnt vmcnt(0)
	v_lshlrev_b32_e32 v13, 16, v13
.LBB632_6:
	s_or_b32 exec_lo, exec_lo, s4
	v_mov_b32_e32 v14, 0
	s_and_b32 s2, s2, s0
	s_delay_alu instid0(SALU_CYCLE_1)
	s_and_saveexec_b32 s3, s2
	s_cbranch_execz .LBB632_8
; %bb.7:
	s_lshl_b64 s[4:5], s[6:7], 1
	s_delay_alu instid0(SALU_CYCLE_1) | instskip(NEXT) | instid1(VALU_DEP_1)
	v_add_co_u32 v4, s2, v4, s4
	v_add_co_ci_u32_e64 v5, s2, s5, v5, s2
	v_add_co_u32 v2, s2, v2, s4
	s_delay_alu instid0(VALU_DEP_1)
	v_add_co_ci_u32_e64 v3, s2, s5, v3, s2
	global_load_u16 v4, v[4:5], off offset:128
	global_load_u16 v2, v[2:3], off offset:128
	s_waitcnt vmcnt(1)
	v_lshlrev_b32_e32 v6, 16, v4
	s_waitcnt vmcnt(0)
	v_lshlrev_b32_e32 v14, 16, v2
.LBB632_8:
	s_or_b32 exec_lo, exec_lo, s3
	v_mbcnt_lo_u32_b32 v2, -1, 0
	v_dual_add_f32 v4, 0, v10 :: v_dual_add_f32 v5, 0, v13
	s_delay_alu instid0(VALU_DEP_2) | instskip(NEXT) | instid1(VALU_DEP_2)
	v_or_b32_e32 v3, 32, v2
	v_dual_add_f32 v4, v4, v11 :: v_dual_add_f32 v5, v5, v14
	v_xor_b32_e32 v16, 16, v2
	s_delay_alu instid0(VALU_DEP_3) | instskip(NEXT) | instid1(VALU_DEP_1)
	v_cmp_gt_i32_e64 s2, 64, v3
	v_cndmask_b32_e64 v3, v2, v3, s2
	s_delay_alu instid0(VALU_DEP_3) | instskip(NEXT) | instid1(VALU_DEP_2)
	v_cmp_gt_i32_e64 s2, 64, v16
	v_lshlrev_b32_e32 v3, 2, v3
	s_delay_alu instid0(VALU_DEP_2)
	v_cndmask_b32_e64 v16, v2, v16, s2
	ds_bpermute_b32 v15, v3, v4
	ds_bpermute_b32 v3, v3, v5
	v_lshlrev_b32_e32 v16, 2, v16
	s_waitcnt lgkmcnt(1)
	v_add_f32_e32 v4, v4, v15
	s_waitcnt lgkmcnt(0)
	v_add_f32_e32 v3, v5, v3
	ds_bpermute_b32 v5, v16, v4
	ds_bpermute_b32 v15, v16, v3
	v_xor_b32_e32 v16, 8, v2
	s_delay_alu instid0(VALU_DEP_1) | instskip(NEXT) | instid1(VALU_DEP_1)
	v_cmp_gt_i32_e64 s2, 64, v16
	v_cndmask_b32_e64 v16, v2, v16, s2
	s_delay_alu instid0(VALU_DEP_1)
	v_lshlrev_b32_e32 v16, 2, v16
	s_waitcnt lgkmcnt(0)
	v_dual_add_f32 v4, v4, v5 :: v_dual_add_f32 v3, v3, v15
	ds_bpermute_b32 v5, v16, v4
	ds_bpermute_b32 v15, v16, v3
	v_xor_b32_e32 v16, 4, v2
	s_delay_alu instid0(VALU_DEP_1) | instskip(NEXT) | instid1(VALU_DEP_1)
	v_cmp_gt_i32_e64 s2, 64, v16
	v_cndmask_b32_e64 v16, v2, v16, s2
	s_waitcnt lgkmcnt(0)
	s_delay_alu instid0(VALU_DEP_1)
	v_dual_add_f32 v3, v3, v15 :: v_dual_lshlrev_b32 v16, 2, v16
	ds_bpermute_b32 v15, v16, v3
	s_waitcnt lgkmcnt(0)
	v_dual_add_f32 v4, v4, v5 :: v_dual_add_f32 v3, v3, v15
	ds_bpermute_b32 v5, v16, v4
	v_xor_b32_e32 v16, 2, v2
	s_delay_alu instid0(VALU_DEP_1) | instskip(NEXT) | instid1(VALU_DEP_1)
	v_cmp_gt_i32_e64 s2, 64, v16
	v_cndmask_b32_e64 v16, v2, v16, s2
	s_delay_alu instid0(VALU_DEP_1)
	v_lshlrev_b32_e32 v16, 2, v16
	s_waitcnt lgkmcnt(0)
	v_add_f32_e32 v4, v4, v5
	ds_bpermute_b32 v15, v16, v3
	ds_bpermute_b32 v5, v16, v4
	v_xor_b32_e32 v16, 1, v2
	s_delay_alu instid0(VALU_DEP_1) | instskip(NEXT) | instid1(VALU_DEP_1)
	v_cmp_gt_i32_e64 s2, 64, v16
	v_cndmask_b32_e64 v2, v2, v16, s2
	s_delay_alu instid0(VALU_DEP_1)
	v_lshlrev_b32_e32 v16, 2, v2
	s_waitcnt lgkmcnt(1)
	v_add_f32_e32 v2, v3, v15
	s_waitcnt lgkmcnt(0)
	v_add_f32_e32 v4, v4, v5
	ds_bpermute_b32 v3, v16, v2
	ds_bpermute_b32 v5, v16, v4
	s_and_saveexec_b32 s2, s1
	s_cbranch_execz .LBB632_12
; %bb.9:
	v_add_co_u32 v0, s1, s8, v0
	s_delay_alu instid0(VALU_DEP_1)
	v_add_co_ci_u32_e64 v1, s1, s9, v1, s1
	s_waitcnt lgkmcnt(0)
	v_add_f32_e32 v4, v4, v5
	s_and_saveexec_b32 s2, vcc_lo
	s_cbranch_execnz .LBB632_13
; %bb.10:
	s_or_b32 exec_lo, exec_lo, s2
	s_and_saveexec_b32 s2, s0
	s_cbranch_execnz .LBB632_14
.LBB632_11:
	s_or_b32 exec_lo, exec_lo, s2
	v_cmp_ne_u32_e64 s1, 1, v7
	s_delay_alu instid0(VALU_DEP_1)
	s_and_b32 exec_lo, exec_lo, s1
	s_cbranch_execnz .LBB632_15
.LBB632_12:
	s_nop 0
	s_sendmsg sendmsg(MSG_DEALLOC_VGPRS)
	s_endpgm
.LBB632_13:
	s_delay_alu instid0(VALU_DEP_1) | instskip(NEXT) | instid1(VALU_DEP_1)
	v_fma_f32 v5, -v4, v9, v10
	v_bfe_u32 v9, v5, 16, 1
	v_cmp_o_f32_e64 s1, v5, v5
	s_delay_alu instid0(VALU_DEP_2) | instskip(NEXT) | instid1(VALU_DEP_1)
	v_add3_u32 v9, v5, v9, 0x7fff
	v_lshrrev_b32_e32 v9, 16, v9
	s_delay_alu instid0(VALU_DEP_1)
	v_cndmask_b32_e64 v5, 0x7fc0, v9, s1
	global_store_b16 v[0:1], v5, off
	s_or_b32 exec_lo, exec_lo, s2
	s_and_saveexec_b32 s2, s0
	s_cbranch_execz .LBB632_11
.LBB632_14:
	v_fma_f32 v4, -v4, v8, v11
	s_delay_alu instid0(VALU_DEP_1) | instskip(SKIP_1) | instid1(VALU_DEP_2)
	v_bfe_u32 v5, v4, 16, 1
	v_cmp_o_f32_e64 s1, v4, v4
	v_add3_u32 v5, v4, v5, 0x7fff
	s_delay_alu instid0(VALU_DEP_1) | instskip(NEXT) | instid1(VALU_DEP_1)
	v_lshrrev_b32_e32 v5, 16, v5
	v_cndmask_b32_e64 v4, 0x7fc0, v5, s1
	global_store_b16 v[0:1], v4, off offset:128
	s_or_b32 exec_lo, exec_lo, s2
	v_cmp_ne_u32_e64 s1, 1, v7
	s_delay_alu instid0(VALU_DEP_1)
	s_and_b32 exec_lo, exec_lo, s1
	s_cbranch_execz .LBB632_12
.LBB632_15:
	v_add_f32_e32 v2, v2, v3
	s_and_saveexec_b32 s1, vcc_lo
	s_cbranch_execz .LBB632_17
; %bb.16:
	s_delay_alu instid0(VALU_DEP_1) | instskip(SKIP_1) | instid1(VALU_DEP_1)
	v_fma_f32 v3, -v2, v12, v13
	s_lshl_b64 s[2:3], s[6:7], 1
	v_bfe_u32 v4, v3, 16, 1
	v_cmp_o_f32_e32 vcc_lo, v3, v3
	s_delay_alu instid0(VALU_DEP_2) | instskip(NEXT) | instid1(VALU_DEP_1)
	v_add3_u32 v4, v3, v4, 0x7fff
	v_lshrrev_b32_e32 v4, 16, v4
	s_delay_alu instid0(VALU_DEP_1)
	v_cndmask_b32_e32 v5, 0x7fc0, v4, vcc_lo
	v_add_co_u32 v3, vcc_lo, v0, s2
	v_add_co_ci_u32_e32 v4, vcc_lo, s3, v1, vcc_lo
	global_store_b16 v[3:4], v5, off
.LBB632_17:
	s_or_b32 exec_lo, exec_lo, s1
	s_delay_alu instid0(SALU_CYCLE_1)
	s_and_b32 exec_lo, exec_lo, s0
	s_cbranch_execz .LBB632_12
; %bb.18:
	v_fma_f32 v2, -v2, v6, v14
	s_ashr_i32 s7, s6, 31
	s_delay_alu instid0(SALU_CYCLE_1) | instskip(NEXT) | instid1(VALU_DEP_1)
	s_lshl_b64 s[0:1], s[6:7], 1
	v_bfe_u32 v3, v2, 16, 1
	v_cmp_o_f32_e32 vcc_lo, v2, v2
	s_delay_alu instid0(VALU_DEP_2) | instskip(NEXT) | instid1(VALU_DEP_1)
	v_add3_u32 v3, v2, v3, 0x7fff
	v_lshrrev_b32_e32 v3, 16, v3
	s_delay_alu instid0(VALU_DEP_1)
	v_cndmask_b32_e32 v2, 0x7fc0, v3, vcc_lo
	v_add_co_u32 v0, vcc_lo, v0, s0
	v_add_co_ci_u32_e32 v1, vcc_lo, s1, v1, vcc_lo
	global_store_b16 v[0:1], v2, off offset:128
	s_nop 0
	s_sendmsg sendmsg(MSG_DEALLOC_VGPRS)
	s_endpgm
	.section	.rodata,"a",@progbits
	.p2align	6, 0x0
	.amdhsa_kernel _ZN12_GLOBAL__N_121softmax_warp_backwardIN3c108BFloat16ES2_fLi7ELb0ELb0ELi64EEEvPT0_PKT_S7_iiiPKb
		.amdhsa_group_segment_fixed_size 0
		.amdhsa_private_segment_fixed_size 0
		.amdhsa_kernarg_size 304
		.amdhsa_user_sgpr_count 15
		.amdhsa_user_sgpr_dispatch_ptr 0
		.amdhsa_user_sgpr_queue_ptr 0
		.amdhsa_user_sgpr_kernarg_segment_ptr 1
		.amdhsa_user_sgpr_dispatch_id 0
		.amdhsa_user_sgpr_private_segment_size 0
		.amdhsa_wavefront_size32 1
		.amdhsa_uses_dynamic_stack 0
		.amdhsa_enable_private_segment 0
		.amdhsa_system_sgpr_workgroup_id_x 1
		.amdhsa_system_sgpr_workgroup_id_y 0
		.amdhsa_system_sgpr_workgroup_id_z 0
		.amdhsa_system_sgpr_workgroup_info 0
		.amdhsa_system_vgpr_workitem_id 1
		.amdhsa_next_free_vgpr 17
		.amdhsa_next_free_sgpr 16
		.amdhsa_reserve_vcc 1
		.amdhsa_float_round_mode_32 0
		.amdhsa_float_round_mode_16_64 0
		.amdhsa_float_denorm_mode_32 3
		.amdhsa_float_denorm_mode_16_64 3
		.amdhsa_dx10_clamp 1
		.amdhsa_ieee_mode 1
		.amdhsa_fp16_overflow 0
		.amdhsa_workgroup_processor_mode 1
		.amdhsa_memory_ordered 1
		.amdhsa_forward_progress 0
		.amdhsa_shared_vgpr_count 0
		.amdhsa_exception_fp_ieee_invalid_op 0
		.amdhsa_exception_fp_denorm_src 0
		.amdhsa_exception_fp_ieee_div_zero 0
		.amdhsa_exception_fp_ieee_overflow 0
		.amdhsa_exception_fp_ieee_underflow 0
		.amdhsa_exception_fp_ieee_inexact 0
		.amdhsa_exception_int_div_zero 0
	.end_amdhsa_kernel
	.section	.text._ZN12_GLOBAL__N_121softmax_warp_backwardIN3c108BFloat16ES2_fLi7ELb0ELb0ELi64EEEvPT0_PKT_S7_iiiPKb,"axG",@progbits,_ZN12_GLOBAL__N_121softmax_warp_backwardIN3c108BFloat16ES2_fLi7ELb0ELb0ELi64EEEvPT0_PKT_S7_iiiPKb,comdat
.Lfunc_end632:
	.size	_ZN12_GLOBAL__N_121softmax_warp_backwardIN3c108BFloat16ES2_fLi7ELb0ELb0ELi64EEEvPT0_PKT_S7_iiiPKb, .Lfunc_end632-_ZN12_GLOBAL__N_121softmax_warp_backwardIN3c108BFloat16ES2_fLi7ELb0ELb0ELi64EEEvPT0_PKT_S7_iiiPKb
                                        ; -- End function
	.section	.AMDGPU.csdata,"",@progbits
; Kernel info:
; codeLenInByte = 1364
; NumSgprs: 18
; NumVgprs: 17
; ScratchSize: 0
; MemoryBound: 0
; FloatMode: 240
; IeeeMode: 1
; LDSByteSize: 0 bytes/workgroup (compile time only)
; SGPRBlocks: 2
; VGPRBlocks: 2
; NumSGPRsForWavesPerEU: 18
; NumVGPRsForWavesPerEU: 17
; Occupancy: 16
; WaveLimiterHint : 0
; COMPUTE_PGM_RSRC2:SCRATCH_EN: 0
; COMPUTE_PGM_RSRC2:USER_SGPR: 15
; COMPUTE_PGM_RSRC2:TRAP_HANDLER: 0
; COMPUTE_PGM_RSRC2:TGID_X_EN: 1
; COMPUTE_PGM_RSRC2:TGID_Y_EN: 0
; COMPUTE_PGM_RSRC2:TGID_Z_EN: 0
; COMPUTE_PGM_RSRC2:TIDIG_COMP_CNT: 1
	.section	.text._ZN12_GLOBAL__N_121softmax_warp_backwardIN3c108BFloat16ES2_fLi7ELb0ELb0ELi32EEEvPT0_PKT_S7_iiiPKb,"axG",@progbits,_ZN12_GLOBAL__N_121softmax_warp_backwardIN3c108BFloat16ES2_fLi7ELb0ELb0ELi32EEEvPT0_PKT_S7_iiiPKb,comdat
	.globl	_ZN12_GLOBAL__N_121softmax_warp_backwardIN3c108BFloat16ES2_fLi7ELb0ELb0ELi32EEEvPT0_PKT_S7_iiiPKb ; -- Begin function _ZN12_GLOBAL__N_121softmax_warp_backwardIN3c108BFloat16ES2_fLi7ELb0ELb0ELi32EEEvPT0_PKT_S7_iiiPKb
	.p2align	8
	.type	_ZN12_GLOBAL__N_121softmax_warp_backwardIN3c108BFloat16ES2_fLi7ELb0ELb0ELi32EEEvPT0_PKT_S7_iiiPKb,@function
_ZN12_GLOBAL__N_121softmax_warp_backwardIN3c108BFloat16ES2_fLi7ELb0ELb0ELi32EEEvPT0_PKT_S7_iiiPKb: ; @_ZN12_GLOBAL__N_121softmax_warp_backwardIN3c108BFloat16ES2_fLi7ELb0ELb0ELi32EEEvPT0_PKT_S7_iiiPKb
; %bb.0:
	s_clause 0x1
	s_load_b32 s2, s[0:1], 0x3c
	s_load_b128 s[4:7], s[0:1], 0x18
	v_bfe_u32 v1, v0, 10, 10
	v_dual_mov_b32 v9, 0 :: v_dual_and_b32 v6, 31, v0
	s_clause 0x1
	s_load_b128 s[8:11], s[0:1], 0x0
	s_load_b64 s[12:13], s[0:1], 0x10
	v_dual_mov_b32 v8, 0 :: v_dual_mov_b32 v11, 0
	s_waitcnt lgkmcnt(0)
	s_lshr_b32 s2, s2, 16
	v_cmp_gt_i32_e32 vcc_lo, s6, v6
	s_mul_i32 s15, s15, s2
	s_delay_alu instid0(SALU_CYCLE_1) | instskip(NEXT) | instid1(VALU_DEP_1)
	v_add_lshl_u32 v2, s15, v1, 1
	v_mad_u64_u32 v[0:1], null, v2, s5, v[6:7]
	v_sub_nc_u32_e32 v7, s4, v2
	s_delay_alu instid0(VALU_DEP_1) | instskip(NEXT) | instid1(VALU_DEP_3)
	v_cmp_lt_i32_e64 s3, 0, v7
	v_ashrrev_i32_e32 v1, 31, v0
	s_delay_alu instid0(VALU_DEP_2) | instskip(NEXT) | instid1(VALU_DEP_1)
	s_and_b32 s1, s3, vcc_lo
	v_lshlrev_b64 v[0:1], 1, v[0:1]
	s_delay_alu instid0(VALU_DEP_1) | instskip(NEXT) | instid1(VALU_DEP_1)
	v_add_co_u32 v2, s0, s10, v0
	v_add_co_ci_u32_e64 v3, s0, s11, v1, s0
	v_add_co_u32 v4, s0, s12, v0
	s_delay_alu instid0(VALU_DEP_1)
	v_add_co_ci_u32_e64 v5, s0, s13, v1, s0
	s_and_saveexec_b32 s0, s1
	s_cbranch_execz .LBB633_2
; %bb.1:
	global_load_u16 v9, v[4:5], off
	global_load_u16 v10, v[2:3], off
	s_waitcnt vmcnt(1)
	v_lshlrev_b32_e32 v9, 16, v9
	s_waitcnt vmcnt(0)
	v_lshlrev_b32_e32 v11, 16, v10
.LBB633_2:
	s_or_b32 exec_lo, exec_lo, s0
	v_or_b32_e32 v10, 32, v6
	v_mov_b32_e32 v12, 0
	s_delay_alu instid0(VALU_DEP_2) | instskip(NEXT) | instid1(VALU_DEP_1)
	v_cmp_gt_i32_e64 s0, s6, v10
	s_and_b32 s2, s3, s0
	s_delay_alu instid0(SALU_CYCLE_1)
	s_and_saveexec_b32 s1, s2
	s_cbranch_execz .LBB633_4
; %bb.3:
	global_load_u16 v8, v[4:5], off offset:64
	global_load_u16 v10, v[2:3], off offset:64
	s_waitcnt vmcnt(1)
	v_lshlrev_b32_e32 v8, 16, v8
	s_waitcnt vmcnt(0)
	v_lshlrev_b32_e32 v12, 16, v10
.LBB633_4:
	s_or_b32 exec_lo, exec_lo, s1
	v_or_b32_e32 v10, 64, v6
	v_dual_mov_b32 v14, 0 :: v_dual_mov_b32 v13, 0
	s_delay_alu instid0(VALU_DEP_2) | instskip(SKIP_1) | instid1(VALU_DEP_2)
	v_cmp_gt_i32_e64 s1, s6, v10
	v_mov_b32_e32 v10, 0
	s_and_b32 s4, s3, s1
	s_delay_alu instid0(SALU_CYCLE_1)
	s_and_saveexec_b32 s2, s4
	s_cbranch_execz .LBB633_6
; %bb.5:
	global_load_u16 v13, v[4:5], off offset:128
	global_load_u16 v14, v[2:3], off offset:128
	s_waitcnt vmcnt(1)
	v_lshlrev_b32_e32 v13, 16, v13
	s_waitcnt vmcnt(0)
	v_lshlrev_b32_e32 v14, 16, v14
.LBB633_6:
	s_or_b32 exec_lo, exec_lo, s2
	v_or_b32_e32 v6, 0x60, v6
	v_mov_b32_e32 v15, 0
	s_delay_alu instid0(VALU_DEP_2) | instskip(NEXT) | instid1(VALU_DEP_1)
	v_cmp_gt_i32_e64 s2, s6, v6
	s_and_b32 s5, s3, s2
	s_delay_alu instid0(SALU_CYCLE_1)
	s_and_saveexec_b32 s4, s5
	s_cbranch_execz .LBB633_8
; %bb.7:
	global_load_u16 v6, v[4:5], off offset:192
	global_load_u16 v15, v[2:3], off offset:192
	s_waitcnt vmcnt(1)
	v_lshlrev_b32_e32 v10, 16, v6
	s_waitcnt vmcnt(0)
	v_lshlrev_b32_e32 v15, 16, v15
.LBB633_8:
	s_or_b32 exec_lo, exec_lo, s4
	v_cmp_lt_i32_e64 s4, 1, v7
	v_dual_mov_b32 v6, 0 :: v_dual_mov_b32 v17, 0
	v_mov_b32_e32 v16, 0
	s_mov_b32 s7, 0
	s_delay_alu instid0(VALU_DEP_3) | instskip(NEXT) | instid1(SALU_CYCLE_1)
	s_and_b32 s5, s4, vcc_lo
	s_and_saveexec_b32 s10, s5
	s_cbranch_execz .LBB633_10
; %bb.9:
	s_lshl_b64 s[12:13], s[6:7], 1
	s_delay_alu instid0(SALU_CYCLE_1) | instskip(NEXT) | instid1(VALU_DEP_1)
	v_add_co_u32 v16, s5, v4, s12
	v_add_co_ci_u32_e64 v17, s5, s13, v5, s5
	v_add_co_u32 v18, s5, v2, s12
	s_delay_alu instid0(VALU_DEP_1)
	v_add_co_ci_u32_e64 v19, s5, s13, v3, s5
	global_load_u16 v16, v[16:17], off
	global_load_u16 v17, v[18:19], off
	s_waitcnt vmcnt(1)
	v_lshlrev_b32_e32 v16, 16, v16
	s_waitcnt vmcnt(0)
	v_lshlrev_b32_e32 v17, 16, v17
.LBB633_10:
	s_or_b32 exec_lo, exec_lo, s10
	v_mov_b32_e32 v18, 0
	s_and_b32 s5, s4, s0
	s_delay_alu instid0(SALU_CYCLE_1)
	s_and_saveexec_b32 s10, s5
	s_cbranch_execz .LBB633_12
; %bb.11:
	s_lshl_b64 s[12:13], s[6:7], 1
	s_delay_alu instid0(SALU_CYCLE_1) | instskip(NEXT) | instid1(VALU_DEP_1)
	v_add_co_u32 v18, s5, v4, s12
	v_add_co_ci_u32_e64 v19, s5, s13, v5, s5
	v_add_co_u32 v20, s5, v2, s12
	s_delay_alu instid0(VALU_DEP_1)
	v_add_co_ci_u32_e64 v21, s5, s13, v3, s5
	global_load_u16 v6, v[18:19], off offset:64
	global_load_u16 v18, v[20:21], off offset:64
	s_waitcnt vmcnt(1)
	v_lshlrev_b32_e32 v6, 16, v6
	s_waitcnt vmcnt(0)
	v_lshlrev_b32_e32 v18, 16, v18
.LBB633_12:
	s_or_b32 exec_lo, exec_lo, s10
	v_dual_mov_b32 v19, 0 :: v_dual_mov_b32 v20, 0
	v_mov_b32_e32 v21, 0
	s_and_b32 s5, s4, s1
	s_delay_alu instid0(SALU_CYCLE_1)
	s_and_saveexec_b32 s10, s5
	s_cbranch_execz .LBB633_14
; %bb.13:
	s_lshl_b64 s[12:13], s[6:7], 1
	s_delay_alu instid0(SALU_CYCLE_1) | instskip(NEXT) | instid1(VALU_DEP_1)
	v_add_co_u32 v20, s5, v4, s12
	v_add_co_ci_u32_e64 v21, s5, s13, v5, s5
	v_add_co_u32 v22, s5, v2, s12
	s_delay_alu instid0(VALU_DEP_1)
	v_add_co_ci_u32_e64 v23, s5, s13, v3, s5
	global_load_u16 v20, v[20:21], off offset:128
	global_load_u16 v21, v[22:23], off offset:128
	s_waitcnt vmcnt(1)
	v_lshlrev_b32_e32 v20, 16, v20
	s_waitcnt vmcnt(0)
	v_lshlrev_b32_e32 v21, 16, v21
.LBB633_14:
	s_or_b32 exec_lo, exec_lo, s10
	v_mov_b32_e32 v22, 0
	s_and_b32 s4, s4, s2
	s_delay_alu instid0(SALU_CYCLE_1)
	s_and_saveexec_b32 s5, s4
	s_cbranch_execz .LBB633_16
; %bb.15:
	s_lshl_b64 s[10:11], s[6:7], 1
	s_delay_alu instid0(SALU_CYCLE_1) | instskip(NEXT) | instid1(VALU_DEP_1)
	v_add_co_u32 v4, s4, v4, s10
	v_add_co_ci_u32_e64 v5, s4, s11, v5, s4
	v_add_co_u32 v2, s4, v2, s10
	s_delay_alu instid0(VALU_DEP_1)
	v_add_co_ci_u32_e64 v3, s4, s11, v3, s4
	global_load_u16 v4, v[4:5], off offset:192
	global_load_u16 v2, v[2:3], off offset:192
	s_waitcnt vmcnt(1)
	v_lshlrev_b32_e32 v19, 16, v4
	s_waitcnt vmcnt(0)
	v_lshlrev_b32_e32 v22, 16, v2
.LBB633_16:
	s_or_b32 exec_lo, exec_lo, s5
	v_mbcnt_lo_u32_b32 v3, -1, 0
	v_add_f32_e32 v4, 0, v17
	s_delay_alu instid0(VALU_DEP_2) | instskip(NEXT) | instid1(VALU_DEP_2)
	v_xor_b32_e32 v5, 16, v3
	v_add_f32_e32 v4, v4, v18
	v_xor_b32_e32 v24, 8, v3
	s_delay_alu instid0(VALU_DEP_3) | instskip(NEXT) | instid1(VALU_DEP_3)
	v_cmp_gt_i32_e64 s4, 32, v5
	v_add_f32_e32 v4, v4, v21
	s_delay_alu instid0(VALU_DEP_2) | instskip(SKIP_1) | instid1(VALU_DEP_3)
	v_cndmask_b32_e64 v5, v3, v5, s4
	v_add_f32_e32 v2, 0, v11
	v_add_f32_e32 v4, v4, v22
	v_cmp_gt_i32_e64 s4, 32, v24
	s_delay_alu instid0(VALU_DEP_3) | instskip(NEXT) | instid1(VALU_DEP_2)
	v_dual_add_f32 v2, v2, v12 :: v_dual_lshlrev_b32 v5, 2, v5
	v_cndmask_b32_e64 v24, v3, v24, s4
	s_delay_alu instid0(VALU_DEP_2) | instskip(NEXT) | instid1(VALU_DEP_2)
	v_add_f32_e32 v2, v2, v14
	v_lshlrev_b32_e32 v24, 2, v24
	s_delay_alu instid0(VALU_DEP_2)
	v_add_f32_e32 v2, v2, v15
	ds_bpermute_b32 v23, v5, v2
	ds_bpermute_b32 v5, v5, v4
	s_waitcnt lgkmcnt(1)
	v_add_f32_e32 v2, v2, v23
	s_waitcnt lgkmcnt(0)
	v_add_f32_e32 v4, v4, v5
	ds_bpermute_b32 v5, v24, v2
	ds_bpermute_b32 v23, v24, v4
	v_xor_b32_e32 v24, 4, v3
	s_delay_alu instid0(VALU_DEP_1) | instskip(NEXT) | instid1(VALU_DEP_1)
	v_cmp_gt_i32_e64 s4, 32, v24
	v_cndmask_b32_e64 v24, v3, v24, s4
	s_delay_alu instid0(VALU_DEP_1)
	v_lshlrev_b32_e32 v24, 2, v24
	s_waitcnt lgkmcnt(1)
	v_add_f32_e32 v2, v2, v5
	s_waitcnt lgkmcnt(0)
	v_add_f32_e32 v4, v4, v23
	ds_bpermute_b32 v5, v24, v2
	ds_bpermute_b32 v23, v24, v4
	v_xor_b32_e32 v24, 2, v3
	s_delay_alu instid0(VALU_DEP_1) | instskip(NEXT) | instid1(VALU_DEP_1)
	v_cmp_gt_i32_e64 s4, 32, v24
	v_cndmask_b32_e64 v24, v3, v24, s4
	s_delay_alu instid0(VALU_DEP_1)
	v_lshlrev_b32_e32 v24, 2, v24
	s_waitcnt lgkmcnt(0)
	v_dual_add_f32 v2, v2, v5 :: v_dual_add_f32 v5, v4, v23
	ds_bpermute_b32 v4, v24, v2
	ds_bpermute_b32 v23, v24, v5
	v_xor_b32_e32 v24, 1, v3
	s_delay_alu instid0(VALU_DEP_1) | instskip(NEXT) | instid1(VALU_DEP_1)
	v_cmp_gt_i32_e64 s4, 32, v24
	v_cndmask_b32_e64 v3, v3, v24, s4
	s_waitcnt lgkmcnt(1)
	s_delay_alu instid0(VALU_DEP_1)
	v_dual_add_f32 v4, v2, v4 :: v_dual_lshlrev_b32 v3, 2, v3
	s_waitcnt lgkmcnt(0)
	v_add_f32_e32 v2, v5, v23
	ds_bpermute_b32 v5, v3, v4
	ds_bpermute_b32 v3, v3, v2
	s_and_saveexec_b32 s4, s3
	s_cbranch_execz .LBB633_22
; %bb.17:
	v_add_co_u32 v0, s3, s8, v0
	s_delay_alu instid0(VALU_DEP_1)
	v_add_co_ci_u32_e64 v1, s3, s9, v1, s3
	s_waitcnt lgkmcnt(1)
	v_add_f32_e32 v4, v4, v5
	s_and_saveexec_b32 s4, vcc_lo
	s_cbranch_execnz .LBB633_23
; %bb.18:
	s_or_b32 exec_lo, exec_lo, s4
	s_and_saveexec_b32 s4, s0
	s_cbranch_execnz .LBB633_24
.LBB633_19:
	s_or_b32 exec_lo, exec_lo, s4
	s_and_saveexec_b32 s4, s1
	s_cbranch_execnz .LBB633_25
.LBB633_20:
	s_or_b32 exec_lo, exec_lo, s4
	s_and_saveexec_b32 s4, s2
	s_cbranch_execnz .LBB633_26
.LBB633_21:
	s_or_b32 exec_lo, exec_lo, s4
	v_cmp_ne_u32_e64 s3, 1, v7
	s_delay_alu instid0(VALU_DEP_1)
	s_and_b32 exec_lo, exec_lo, s3
	s_cbranch_execnz .LBB633_27
.LBB633_22:
	s_nop 0
	s_sendmsg sendmsg(MSG_DEALLOC_VGPRS)
	s_endpgm
.LBB633_23:
	s_delay_alu instid0(VALU_DEP_1) | instskip(NEXT) | instid1(VALU_DEP_1)
	v_fma_f32 v5, -v4, v9, v11
	v_bfe_u32 v9, v5, 16, 1
	v_cmp_o_f32_e64 s3, v5, v5
	s_delay_alu instid0(VALU_DEP_2) | instskip(NEXT) | instid1(VALU_DEP_1)
	v_add3_u32 v9, v5, v9, 0x7fff
	v_lshrrev_b32_e32 v9, 16, v9
	s_delay_alu instid0(VALU_DEP_1)
	v_cndmask_b32_e64 v5, 0x7fc0, v9, s3
	global_store_b16 v[0:1], v5, off
	s_or_b32 exec_lo, exec_lo, s4
	s_and_saveexec_b32 s4, s0
	s_cbranch_execz .LBB633_19
.LBB633_24:
	v_fma_f32 v5, -v4, v8, v12
	s_delay_alu instid0(VALU_DEP_1) | instskip(SKIP_1) | instid1(VALU_DEP_2)
	v_bfe_u32 v8, v5, 16, 1
	v_cmp_o_f32_e64 s3, v5, v5
	v_add3_u32 v8, v5, v8, 0x7fff
	s_delay_alu instid0(VALU_DEP_1) | instskip(NEXT) | instid1(VALU_DEP_1)
	v_lshrrev_b32_e32 v8, 16, v8
	v_cndmask_b32_e64 v5, 0x7fc0, v8, s3
	global_store_b16 v[0:1], v5, off offset:64
	s_or_b32 exec_lo, exec_lo, s4
	s_and_saveexec_b32 s4, s1
	s_cbranch_execz .LBB633_20
.LBB633_25:
	v_fma_f32 v5, -v4, v13, v14
	s_delay_alu instid0(VALU_DEP_1) | instskip(SKIP_1) | instid1(VALU_DEP_2)
	v_bfe_u32 v8, v5, 16, 1
	v_cmp_o_f32_e64 s3, v5, v5
	v_add3_u32 v8, v5, v8, 0x7fff
	s_delay_alu instid0(VALU_DEP_1) | instskip(NEXT) | instid1(VALU_DEP_1)
	v_lshrrev_b32_e32 v8, 16, v8
	v_cndmask_b32_e64 v5, 0x7fc0, v8, s3
	global_store_b16 v[0:1], v5, off offset:128
	s_or_b32 exec_lo, exec_lo, s4
	s_and_saveexec_b32 s4, s2
	s_cbranch_execz .LBB633_21
.LBB633_26:
	v_fma_f32 v4, -v4, v10, v15
	s_delay_alu instid0(VALU_DEP_1) | instskip(SKIP_1) | instid1(VALU_DEP_2)
	v_bfe_u32 v5, v4, 16, 1
	v_cmp_o_f32_e64 s3, v4, v4
	v_add3_u32 v5, v4, v5, 0x7fff
	s_delay_alu instid0(VALU_DEP_1) | instskip(NEXT) | instid1(VALU_DEP_1)
	v_lshrrev_b32_e32 v5, 16, v5
	v_cndmask_b32_e64 v4, 0x7fc0, v5, s3
	global_store_b16 v[0:1], v4, off offset:192
	s_or_b32 exec_lo, exec_lo, s4
	v_cmp_ne_u32_e64 s3, 1, v7
	s_delay_alu instid0(VALU_DEP_1)
	s_and_b32 exec_lo, exec_lo, s3
	s_cbranch_execz .LBB633_22
.LBB633_27:
	s_ashr_i32 s7, s6, 31
	s_waitcnt lgkmcnt(0)
	v_add_f32_e32 v2, v2, v3
	s_lshl_b64 s[4:5], s[6:7], 1
	s_delay_alu instid0(SALU_CYCLE_1) | instskip(NEXT) | instid1(VALU_DEP_1)
	v_add_co_u32 v0, s3, v0, s4
	v_add_co_ci_u32_e64 v1, s3, s5, v1, s3
	s_and_saveexec_b32 s3, vcc_lo
	s_cbranch_execnz .LBB633_31
; %bb.28:
	s_or_b32 exec_lo, exec_lo, s3
	s_and_saveexec_b32 s3, s0
	s_cbranch_execnz .LBB633_32
.LBB633_29:
	s_or_b32 exec_lo, exec_lo, s3
	s_and_saveexec_b32 s0, s1
	s_cbranch_execnz .LBB633_33
.LBB633_30:
	s_or_b32 exec_lo, exec_lo, s0
	s_delay_alu instid0(SALU_CYCLE_1)
	s_and_b32 exec_lo, exec_lo, s2
	s_cbranch_execz .LBB633_22
	s_branch .LBB633_34
.LBB633_31:
	v_fma_f32 v3, -v2, v16, v17
	s_delay_alu instid0(VALU_DEP_1) | instskip(SKIP_1) | instid1(VALU_DEP_2)
	v_bfe_u32 v4, v3, 16, 1
	v_cmp_o_f32_e32 vcc_lo, v3, v3
	v_add3_u32 v4, v3, v4, 0x7fff
	s_delay_alu instid0(VALU_DEP_1) | instskip(NEXT) | instid1(VALU_DEP_1)
	v_lshrrev_b32_e32 v4, 16, v4
	v_cndmask_b32_e32 v3, 0x7fc0, v4, vcc_lo
	global_store_b16 v[0:1], v3, off
	s_or_b32 exec_lo, exec_lo, s3
	s_and_saveexec_b32 s3, s0
	s_cbranch_execz .LBB633_29
.LBB633_32:
	v_fma_f32 v3, -v2, v6, v18
	s_delay_alu instid0(VALU_DEP_1) | instskip(SKIP_1) | instid1(VALU_DEP_2)
	v_bfe_u32 v4, v3, 16, 1
	v_cmp_o_f32_e32 vcc_lo, v3, v3
	v_add3_u32 v4, v3, v4, 0x7fff
	s_delay_alu instid0(VALU_DEP_1) | instskip(NEXT) | instid1(VALU_DEP_1)
	v_lshrrev_b32_e32 v4, 16, v4
	v_cndmask_b32_e32 v3, 0x7fc0, v4, vcc_lo
	global_store_b16 v[0:1], v3, off offset:64
	s_or_b32 exec_lo, exec_lo, s3
	s_and_saveexec_b32 s0, s1
	s_cbranch_execz .LBB633_30
.LBB633_33:
	v_fma_f32 v3, -v2, v20, v21
	s_delay_alu instid0(VALU_DEP_1) | instskip(SKIP_1) | instid1(VALU_DEP_2)
	v_bfe_u32 v4, v3, 16, 1
	v_cmp_o_f32_e32 vcc_lo, v3, v3
	v_add3_u32 v4, v3, v4, 0x7fff
	s_delay_alu instid0(VALU_DEP_1) | instskip(NEXT) | instid1(VALU_DEP_1)
	v_lshrrev_b32_e32 v4, 16, v4
	v_cndmask_b32_e32 v3, 0x7fc0, v4, vcc_lo
	global_store_b16 v[0:1], v3, off offset:128
	s_or_b32 exec_lo, exec_lo, s0
	s_delay_alu instid0(SALU_CYCLE_1)
	s_and_b32 exec_lo, exec_lo, s2
	s_cbranch_execz .LBB633_22
.LBB633_34:
	v_fma_f32 v2, -v2, v19, v22
	s_delay_alu instid0(VALU_DEP_1) | instskip(SKIP_1) | instid1(VALU_DEP_2)
	v_bfe_u32 v3, v2, 16, 1
	v_cmp_o_f32_e32 vcc_lo, v2, v2
	v_add3_u32 v3, v2, v3, 0x7fff
	s_delay_alu instid0(VALU_DEP_1) | instskip(NEXT) | instid1(VALU_DEP_1)
	v_lshrrev_b32_e32 v3, 16, v3
	v_cndmask_b32_e32 v2, 0x7fc0, v3, vcc_lo
	global_store_b16 v[0:1], v2, off offset:192
	s_nop 0
	s_sendmsg sendmsg(MSG_DEALLOC_VGPRS)
	s_endpgm
	.section	.rodata,"a",@progbits
	.p2align	6, 0x0
	.amdhsa_kernel _ZN12_GLOBAL__N_121softmax_warp_backwardIN3c108BFloat16ES2_fLi7ELb0ELb0ELi32EEEvPT0_PKT_S7_iiiPKb
		.amdhsa_group_segment_fixed_size 0
		.amdhsa_private_segment_fixed_size 0
		.amdhsa_kernarg_size 304
		.amdhsa_user_sgpr_count 15
		.amdhsa_user_sgpr_dispatch_ptr 0
		.amdhsa_user_sgpr_queue_ptr 0
		.amdhsa_user_sgpr_kernarg_segment_ptr 1
		.amdhsa_user_sgpr_dispatch_id 0
		.amdhsa_user_sgpr_private_segment_size 0
		.amdhsa_wavefront_size32 1
		.amdhsa_uses_dynamic_stack 0
		.amdhsa_enable_private_segment 0
		.amdhsa_system_sgpr_workgroup_id_x 1
		.amdhsa_system_sgpr_workgroup_id_y 0
		.amdhsa_system_sgpr_workgroup_id_z 0
		.amdhsa_system_sgpr_workgroup_info 0
		.amdhsa_system_vgpr_workitem_id 1
		.amdhsa_next_free_vgpr 25
		.amdhsa_next_free_sgpr 16
		.amdhsa_reserve_vcc 1
		.amdhsa_float_round_mode_32 0
		.amdhsa_float_round_mode_16_64 0
		.amdhsa_float_denorm_mode_32 3
		.amdhsa_float_denorm_mode_16_64 3
		.amdhsa_dx10_clamp 1
		.amdhsa_ieee_mode 1
		.amdhsa_fp16_overflow 0
		.amdhsa_workgroup_processor_mode 1
		.amdhsa_memory_ordered 1
		.amdhsa_forward_progress 0
		.amdhsa_shared_vgpr_count 0
		.amdhsa_exception_fp_ieee_invalid_op 0
		.amdhsa_exception_fp_denorm_src 0
		.amdhsa_exception_fp_ieee_div_zero 0
		.amdhsa_exception_fp_ieee_overflow 0
		.amdhsa_exception_fp_ieee_underflow 0
		.amdhsa_exception_fp_ieee_inexact 0
		.amdhsa_exception_int_div_zero 0
	.end_amdhsa_kernel
	.section	.text._ZN12_GLOBAL__N_121softmax_warp_backwardIN3c108BFloat16ES2_fLi7ELb0ELb0ELi32EEEvPT0_PKT_S7_iiiPKb,"axG",@progbits,_ZN12_GLOBAL__N_121softmax_warp_backwardIN3c108BFloat16ES2_fLi7ELb0ELb0ELi32EEEvPT0_PKT_S7_iiiPKb,comdat
.Lfunc_end633:
	.size	_ZN12_GLOBAL__N_121softmax_warp_backwardIN3c108BFloat16ES2_fLi7ELb0ELb0ELi32EEEvPT0_PKT_S7_iiiPKb, .Lfunc_end633-_ZN12_GLOBAL__N_121softmax_warp_backwardIN3c108BFloat16ES2_fLi7ELb0ELb0ELi32EEEvPT0_PKT_S7_iiiPKb
                                        ; -- End function
	.section	.AMDGPU.csdata,"",@progbits
; Kernel info:
; codeLenInByte = 2056
; NumSgprs: 18
; NumVgprs: 25
; ScratchSize: 0
; MemoryBound: 0
; FloatMode: 240
; IeeeMode: 1
; LDSByteSize: 0 bytes/workgroup (compile time only)
; SGPRBlocks: 2
; VGPRBlocks: 3
; NumSGPRsForWavesPerEU: 18
; NumVGPRsForWavesPerEU: 25
; Occupancy: 16
; WaveLimiterHint : 0
; COMPUTE_PGM_RSRC2:SCRATCH_EN: 0
; COMPUTE_PGM_RSRC2:USER_SGPR: 15
; COMPUTE_PGM_RSRC2:TRAP_HANDLER: 0
; COMPUTE_PGM_RSRC2:TGID_X_EN: 1
; COMPUTE_PGM_RSRC2:TGID_Y_EN: 0
; COMPUTE_PGM_RSRC2:TGID_Z_EN: 0
; COMPUTE_PGM_RSRC2:TIDIG_COMP_CNT: 1
	.section	.text._ZN12_GLOBAL__N_121softmax_warp_backwardIN3c108BFloat16ES2_fLi8ELb0ELb0ELi64EEEvPT0_PKT_S7_iiiPKb,"axG",@progbits,_ZN12_GLOBAL__N_121softmax_warp_backwardIN3c108BFloat16ES2_fLi8ELb0ELb0ELi64EEEvPT0_PKT_S7_iiiPKb,comdat
	.globl	_ZN12_GLOBAL__N_121softmax_warp_backwardIN3c108BFloat16ES2_fLi8ELb0ELb0ELi64EEEvPT0_PKT_S7_iiiPKb ; -- Begin function _ZN12_GLOBAL__N_121softmax_warp_backwardIN3c108BFloat16ES2_fLi8ELb0ELb0ELi64EEEvPT0_PKT_S7_iiiPKb
	.p2align	8
	.type	_ZN12_GLOBAL__N_121softmax_warp_backwardIN3c108BFloat16ES2_fLi8ELb0ELb0ELi64EEEvPT0_PKT_S7_iiiPKb,@function
_ZN12_GLOBAL__N_121softmax_warp_backwardIN3c108BFloat16ES2_fLi8ELb0ELb0ELi64EEEvPT0_PKT_S7_iiiPKb: ; @_ZN12_GLOBAL__N_121softmax_warp_backwardIN3c108BFloat16ES2_fLi8ELb0ELb0ELi64EEEvPT0_PKT_S7_iiiPKb
; %bb.0:
	s_clause 0x1
	s_load_b32 s2, s[0:1], 0x3c
	s_load_b128 s[8:11], s[0:1], 0x18
	v_bfe_u32 v1, v0, 10, 10
	s_clause 0x1
	s_load_b128 s[4:7], s[0:1], 0x0
	s_load_b64 s[12:13], s[0:1], 0x10
	v_mov_b32_e32 v9, 0
	v_mov_b32_e32 v11, 0
	;; [unrolled: 1-line block ×3, first 2 shown]
	s_waitcnt lgkmcnt(0)
	s_lshr_b32 s2, s2, 16
	s_delay_alu instid0(SALU_CYCLE_1) | instskip(SKIP_1) | instid1(VALU_DEP_1)
	v_mad_u64_u32 v[3:4], null, s15, s2, v[1:2]
	v_and_b32_e32 v2, 63, v0
	v_cmp_gt_i32_e32 vcc_lo, s10, v2
	s_delay_alu instid0(VALU_DEP_3) | instskip(SKIP_1) | instid1(VALU_DEP_1)
	v_mad_u64_u32 v[0:1], null, v3, s9, v[2:3]
	v_sub_nc_u32_e32 v8, s8, v3
	v_cmp_lt_i32_e64 s3, 0, v8
	s_delay_alu instid0(VALU_DEP_3) | instskip(NEXT) | instid1(VALU_DEP_2)
	v_ashrrev_i32_e32 v1, 31, v0
	s_and_b32 s1, s3, vcc_lo
	s_delay_alu instid0(VALU_DEP_1) | instskip(NEXT) | instid1(VALU_DEP_1)
	v_lshlrev_b64 v[0:1], 1, v[0:1]
	v_add_co_u32 v3, s0, s6, v0
	s_delay_alu instid0(VALU_DEP_1) | instskip(SKIP_1) | instid1(VALU_DEP_1)
	v_add_co_ci_u32_e64 v4, s0, s7, v1, s0
	v_add_co_u32 v5, s0, s12, v0
	v_add_co_ci_u32_e64 v6, s0, s13, v1, s0
	s_and_saveexec_b32 s0, s1
	s_cbranch_execz .LBB634_2
; %bb.1:
	global_load_u16 v9, v[3:4], off
	global_load_u16 v10, v[5:6], off
	s_waitcnt vmcnt(1)
	v_lshlrev_b32_e32 v9, 16, v9
	s_waitcnt vmcnt(0)
	v_lshlrev_b32_e32 v11, 16, v10
.LBB634_2:
	s_or_b32 exec_lo, exec_lo, s0
	v_or_b32_e32 v10, 64, v2
	v_mov_b32_e32 v12, 0
	s_delay_alu instid0(VALU_DEP_2) | instskip(NEXT) | instid1(VALU_DEP_1)
	v_cmp_gt_i32_e64 s0, s10, v10
	s_and_b32 s2, s3, s0
	s_delay_alu instid0(SALU_CYCLE_1)
	s_and_saveexec_b32 s1, s2
	s_cbranch_execz .LBB634_4
; %bb.3:
	global_load_u16 v7, v[3:4], off offset:128
	global_load_u16 v10, v[5:6], off offset:128
	s_waitcnt vmcnt(1)
	v_lshlrev_b32_e32 v7, 16, v7
	s_waitcnt vmcnt(0)
	v_lshlrev_b32_e32 v12, 16, v10
.LBB634_4:
	s_or_b32 exec_lo, exec_lo, s1
	v_or_b32_e32 v10, 0x80, v2
	v_dual_mov_b32 v14, 0 :: v_dual_mov_b32 v13, 0
	s_delay_alu instid0(VALU_DEP_2) | instskip(SKIP_1) | instid1(VALU_DEP_2)
	v_cmp_gt_i32_e64 s1, s10, v10
	v_mov_b32_e32 v10, 0
	s_and_b32 s6, s3, s1
	s_delay_alu instid0(SALU_CYCLE_1)
	s_and_saveexec_b32 s2, s6
	s_cbranch_execz .LBB634_6
; %bb.5:
	global_load_u16 v13, v[3:4], off offset:256
	global_load_u16 v14, v[5:6], off offset:256
	s_waitcnt vmcnt(1)
	v_lshlrev_b32_e32 v13, 16, v13
	s_waitcnt vmcnt(0)
	v_lshlrev_b32_e32 v14, 16, v14
.LBB634_6:
	s_or_b32 exec_lo, exec_lo, s2
	v_or_b32_e32 v2, 0xc0, v2
	s_delay_alu instid0(VALU_DEP_1) | instskip(SKIP_1) | instid1(VALU_DEP_2)
	v_cmp_gt_i32_e64 s2, s10, v2
	v_mov_b32_e32 v2, 0
	s_and_b32 s6, s3, s2
	s_delay_alu instid0(SALU_CYCLE_1)
	s_and_saveexec_b32 s3, s6
	s_cbranch_execz .LBB634_8
; %bb.7:
	global_load_u16 v2, v[3:4], off offset:384
	global_load_u16 v3, v[5:6], off offset:384
	s_waitcnt vmcnt(1)
	v_lshlrev_b32_e32 v10, 16, v2
	s_waitcnt vmcnt(0)
	v_lshlrev_b32_e32 v2, 16, v3
.LBB634_8:
	s_or_b32 exec_lo, exec_lo, s3
	v_mbcnt_lo_u32_b32 v4, -1, 0
	s_mov_b32 s6, exec_lo
	s_delay_alu instid0(VALU_DEP_1) | instskip(SKIP_1) | instid1(VALU_DEP_2)
	v_or_b32_e32 v5, 32, v4
	v_xor_b32_e32 v6, 16, v4
	v_cmp_gt_i32_e64 s3, 64, v5
	s_delay_alu instid0(VALU_DEP_1) | instskip(NEXT) | instid1(VALU_DEP_3)
	v_cndmask_b32_e64 v5, v4, v5, s3
	v_cmp_gt_i32_e64 s3, 64, v6
	s_delay_alu instid0(VALU_DEP_2) | instskip(NEXT) | instid1(VALU_DEP_2)
	v_lshlrev_b32_e32 v5, 2, v5
	v_cndmask_b32_e64 v6, v4, v6, s3
	s_delay_alu instid0(VALU_DEP_1) | instskip(NEXT) | instid1(VALU_DEP_1)
	v_dual_add_f32 v3, 0, v9 :: v_dual_lshlrev_b32 v6, 2, v6
	v_add_f32_e32 v3, v3, v7
	s_delay_alu instid0(VALU_DEP_1) | instskip(NEXT) | instid1(VALU_DEP_1)
	v_add_f32_e32 v3, v3, v13
	v_add_f32_e32 v3, v3, v10
	ds_bpermute_b32 v5, v5, v3
	s_waitcnt lgkmcnt(0)
	v_add_f32_e32 v3, v3, v5
	ds_bpermute_b32 v5, v6, v3
	v_xor_b32_e32 v6, 8, v4
	s_delay_alu instid0(VALU_DEP_1) | instskip(NEXT) | instid1(VALU_DEP_1)
	v_cmp_gt_i32_e64 s3, 64, v6
	v_cndmask_b32_e64 v6, v4, v6, s3
	s_waitcnt lgkmcnt(0)
	s_delay_alu instid0(VALU_DEP_1) | instskip(SKIP_2) | instid1(VALU_DEP_1)
	v_dual_add_f32 v3, v3, v5 :: v_dual_lshlrev_b32 v6, 2, v6
	ds_bpermute_b32 v5, v6, v3
	v_xor_b32_e32 v6, 4, v4
	v_cmp_gt_i32_e64 s3, 64, v6
	s_delay_alu instid0(VALU_DEP_1) | instskip(SKIP_1) | instid1(VALU_DEP_1)
	v_cndmask_b32_e64 v6, v4, v6, s3
	s_waitcnt lgkmcnt(0)
	v_dual_add_f32 v3, v3, v5 :: v_dual_lshlrev_b32 v6, 2, v6
	ds_bpermute_b32 v5, v6, v3
	v_xor_b32_e32 v6, 2, v4
	s_delay_alu instid0(VALU_DEP_1) | instskip(NEXT) | instid1(VALU_DEP_1)
	v_cmp_gt_i32_e64 s3, 64, v6
	v_cndmask_b32_e64 v6, v4, v6, s3
	s_waitcnt lgkmcnt(0)
	s_delay_alu instid0(VALU_DEP_1) | instskip(SKIP_2) | instid1(VALU_DEP_1)
	v_dual_add_f32 v3, v3, v5 :: v_dual_lshlrev_b32 v6, 2, v6
	ds_bpermute_b32 v5, v6, v3
	v_xor_b32_e32 v6, 1, v4
	v_cmp_gt_i32_e64 s3, 64, v6
	s_delay_alu instid0(VALU_DEP_1) | instskip(SKIP_1) | instid1(VALU_DEP_1)
	v_cndmask_b32_e64 v4, v4, v6, s3
	s_waitcnt lgkmcnt(0)
	v_dual_add_f32 v3, v3, v5 :: v_dual_lshlrev_b32 v4, 2, v4
	ds_bpermute_b32 v4, v4, v3
	v_cmpx_lt_i32_e32 0, v8
	s_cbranch_execz .LBB634_14
; %bb.9:
	v_add_co_u32 v0, s3, s4, v0
	s_delay_alu instid0(VALU_DEP_1)
	v_add_co_ci_u32_e64 v1, s3, s5, v1, s3
	s_waitcnt lgkmcnt(0)
	v_add_f32_e32 v3, v3, v4
	s_and_saveexec_b32 s3, vcc_lo
	s_cbranch_execnz .LBB634_15
; %bb.10:
	s_or_b32 exec_lo, exec_lo, s3
	s_and_saveexec_b32 s3, s0
	s_cbranch_execnz .LBB634_16
.LBB634_11:
	s_or_b32 exec_lo, exec_lo, s3
	s_and_saveexec_b32 s0, s1
	s_cbranch_execnz .LBB634_17
.LBB634_12:
	s_or_b32 exec_lo, exec_lo, s0
	s_delay_alu instid0(SALU_CYCLE_1)
	s_and_b32 exec_lo, exec_lo, s2
	s_cbranch_execz .LBB634_14
.LBB634_13:
	v_fma_f32 v2, -v3, v2, v10
	s_delay_alu instid0(VALU_DEP_1) | instskip(SKIP_1) | instid1(VALU_DEP_2)
	v_bfe_u32 v3, v2, 16, 1
	v_cmp_o_f32_e32 vcc_lo, v2, v2
	v_add3_u32 v3, v2, v3, 0x7fff
	s_delay_alu instid0(VALU_DEP_1) | instskip(NEXT) | instid1(VALU_DEP_1)
	v_lshrrev_b32_e32 v3, 16, v3
	v_cndmask_b32_e32 v2, 0x7fc0, v3, vcc_lo
	global_store_b16 v[0:1], v2, off offset:384
.LBB634_14:
	s_nop 0
	s_sendmsg sendmsg(MSG_DEALLOC_VGPRS)
	s_endpgm
.LBB634_15:
	s_delay_alu instid0(VALU_DEP_1) | instskip(NEXT) | instid1(VALU_DEP_1)
	v_fma_f32 v4, -v3, v11, v9
	v_bfe_u32 v5, v4, 16, 1
	v_cmp_o_f32_e32 vcc_lo, v4, v4
	s_delay_alu instid0(VALU_DEP_2) | instskip(NEXT) | instid1(VALU_DEP_1)
	v_add3_u32 v5, v4, v5, 0x7fff
	v_lshrrev_b32_e32 v5, 16, v5
	s_delay_alu instid0(VALU_DEP_1)
	v_cndmask_b32_e32 v4, 0x7fc0, v5, vcc_lo
	global_store_b16 v[0:1], v4, off
	s_or_b32 exec_lo, exec_lo, s3
	s_and_saveexec_b32 s3, s0
	s_cbranch_execz .LBB634_11
.LBB634_16:
	v_fma_f32 v4, -v3, v12, v7
	s_delay_alu instid0(VALU_DEP_1) | instskip(SKIP_1) | instid1(VALU_DEP_2)
	v_bfe_u32 v5, v4, 16, 1
	v_cmp_o_f32_e32 vcc_lo, v4, v4
	v_add3_u32 v5, v4, v5, 0x7fff
	s_delay_alu instid0(VALU_DEP_1) | instskip(NEXT) | instid1(VALU_DEP_1)
	v_lshrrev_b32_e32 v5, 16, v5
	v_cndmask_b32_e32 v4, 0x7fc0, v5, vcc_lo
	global_store_b16 v[0:1], v4, off offset:128
	s_or_b32 exec_lo, exec_lo, s3
	s_and_saveexec_b32 s0, s1
	s_cbranch_execz .LBB634_12
.LBB634_17:
	v_fma_f32 v4, -v3, v14, v13
	s_delay_alu instid0(VALU_DEP_1) | instskip(SKIP_1) | instid1(VALU_DEP_2)
	v_bfe_u32 v5, v4, 16, 1
	v_cmp_o_f32_e32 vcc_lo, v4, v4
	v_add3_u32 v5, v4, v5, 0x7fff
	s_delay_alu instid0(VALU_DEP_1) | instskip(NEXT) | instid1(VALU_DEP_1)
	v_lshrrev_b32_e32 v5, 16, v5
	v_cndmask_b32_e32 v4, 0x7fc0, v5, vcc_lo
	global_store_b16 v[0:1], v4, off offset:256
	s_or_b32 exec_lo, exec_lo, s0
	s_delay_alu instid0(SALU_CYCLE_1)
	s_and_b32 exec_lo, exec_lo, s2
	s_cbranch_execnz .LBB634_13
	s_branch .LBB634_14
	.section	.rodata,"a",@progbits
	.p2align	6, 0x0
	.amdhsa_kernel _ZN12_GLOBAL__N_121softmax_warp_backwardIN3c108BFloat16ES2_fLi8ELb0ELb0ELi64EEEvPT0_PKT_S7_iiiPKb
		.amdhsa_group_segment_fixed_size 0
		.amdhsa_private_segment_fixed_size 0
		.amdhsa_kernarg_size 304
		.amdhsa_user_sgpr_count 15
		.amdhsa_user_sgpr_dispatch_ptr 0
		.amdhsa_user_sgpr_queue_ptr 0
		.amdhsa_user_sgpr_kernarg_segment_ptr 1
		.amdhsa_user_sgpr_dispatch_id 0
		.amdhsa_user_sgpr_private_segment_size 0
		.amdhsa_wavefront_size32 1
		.amdhsa_uses_dynamic_stack 0
		.amdhsa_enable_private_segment 0
		.amdhsa_system_sgpr_workgroup_id_x 1
		.amdhsa_system_sgpr_workgroup_id_y 0
		.amdhsa_system_sgpr_workgroup_id_z 0
		.amdhsa_system_sgpr_workgroup_info 0
		.amdhsa_system_vgpr_workitem_id 1
		.amdhsa_next_free_vgpr 15
		.amdhsa_next_free_sgpr 16
		.amdhsa_reserve_vcc 1
		.amdhsa_float_round_mode_32 0
		.amdhsa_float_round_mode_16_64 0
		.amdhsa_float_denorm_mode_32 3
		.amdhsa_float_denorm_mode_16_64 3
		.amdhsa_dx10_clamp 1
		.amdhsa_ieee_mode 1
		.amdhsa_fp16_overflow 0
		.amdhsa_workgroup_processor_mode 1
		.amdhsa_memory_ordered 1
		.amdhsa_forward_progress 0
		.amdhsa_shared_vgpr_count 0
		.amdhsa_exception_fp_ieee_invalid_op 0
		.amdhsa_exception_fp_denorm_src 0
		.amdhsa_exception_fp_ieee_div_zero 0
		.amdhsa_exception_fp_ieee_overflow 0
		.amdhsa_exception_fp_ieee_underflow 0
		.amdhsa_exception_fp_ieee_inexact 0
		.amdhsa_exception_int_div_zero 0
	.end_amdhsa_kernel
	.section	.text._ZN12_GLOBAL__N_121softmax_warp_backwardIN3c108BFloat16ES2_fLi8ELb0ELb0ELi64EEEvPT0_PKT_S7_iiiPKb,"axG",@progbits,_ZN12_GLOBAL__N_121softmax_warp_backwardIN3c108BFloat16ES2_fLi8ELb0ELb0ELi64EEEvPT0_PKT_S7_iiiPKb,comdat
.Lfunc_end634:
	.size	_ZN12_GLOBAL__N_121softmax_warp_backwardIN3c108BFloat16ES2_fLi8ELb0ELb0ELi64EEEvPT0_PKT_S7_iiiPKb, .Lfunc_end634-_ZN12_GLOBAL__N_121softmax_warp_backwardIN3c108BFloat16ES2_fLi8ELb0ELb0ELi64EEEvPT0_PKT_S7_iiiPKb
                                        ; -- End function
	.section	.AMDGPU.csdata,"",@progbits
; Kernel info:
; codeLenInByte = 1136
; NumSgprs: 18
; NumVgprs: 15
; ScratchSize: 0
; MemoryBound: 0
; FloatMode: 240
; IeeeMode: 1
; LDSByteSize: 0 bytes/workgroup (compile time only)
; SGPRBlocks: 2
; VGPRBlocks: 1
; NumSGPRsForWavesPerEU: 18
; NumVGPRsForWavesPerEU: 15
; Occupancy: 16
; WaveLimiterHint : 0
; COMPUTE_PGM_RSRC2:SCRATCH_EN: 0
; COMPUTE_PGM_RSRC2:USER_SGPR: 15
; COMPUTE_PGM_RSRC2:TRAP_HANDLER: 0
; COMPUTE_PGM_RSRC2:TGID_X_EN: 1
; COMPUTE_PGM_RSRC2:TGID_Y_EN: 0
; COMPUTE_PGM_RSRC2:TGID_Z_EN: 0
; COMPUTE_PGM_RSRC2:TIDIG_COMP_CNT: 1
	.section	.text._ZN12_GLOBAL__N_121softmax_warp_backwardIN3c108BFloat16ES2_fLi8ELb0ELb0ELi32EEEvPT0_PKT_S7_iiiPKb,"axG",@progbits,_ZN12_GLOBAL__N_121softmax_warp_backwardIN3c108BFloat16ES2_fLi8ELb0ELb0ELi32EEEvPT0_PKT_S7_iiiPKb,comdat
	.globl	_ZN12_GLOBAL__N_121softmax_warp_backwardIN3c108BFloat16ES2_fLi8ELb0ELb0ELi32EEEvPT0_PKT_S7_iiiPKb ; -- Begin function _ZN12_GLOBAL__N_121softmax_warp_backwardIN3c108BFloat16ES2_fLi8ELb0ELb0ELi32EEEvPT0_PKT_S7_iiiPKb
	.p2align	8
	.type	_ZN12_GLOBAL__N_121softmax_warp_backwardIN3c108BFloat16ES2_fLi8ELb0ELb0ELi32EEEvPT0_PKT_S7_iiiPKb,@function
_ZN12_GLOBAL__N_121softmax_warp_backwardIN3c108BFloat16ES2_fLi8ELb0ELb0ELi32EEEvPT0_PKT_S7_iiiPKb: ; @_ZN12_GLOBAL__N_121softmax_warp_backwardIN3c108BFloat16ES2_fLi8ELb0ELb0ELi32EEEvPT0_PKT_S7_iiiPKb
; %bb.0:
	s_clause 0x1
	s_load_b32 s2, s[0:1], 0x3c
	s_load_b128 s[4:7], s[0:1], 0x18
	v_bfe_u32 v1, v0, 10, 10
	s_load_b128 s[8:11], s[0:1], 0x0
	v_mov_b32_e32 v9, 0
	v_mov_b32_e32 v11, 0
	;; [unrolled: 1-line block ×3, first 2 shown]
	s_waitcnt lgkmcnt(0)
	s_lshr_b32 s2, s2, 16
	s_delay_alu instid0(SALU_CYCLE_1) | instskip(SKIP_2) | instid1(VALU_DEP_1)
	v_mad_u64_u32 v[3:4], null, s15, s2, v[1:2]
	s_load_b64 s[2:3], s[0:1], 0x10
	v_and_b32_e32 v2, 31, v0
	v_cmp_gt_i32_e32 vcc_lo, s6, v2
	s_delay_alu instid0(VALU_DEP_3) | instskip(SKIP_1) | instid1(VALU_DEP_1)
	v_mad_u64_u32 v[0:1], null, v3, s5, v[2:3]
	v_sub_nc_u32_e32 v8, s4, v3
	v_cmp_lt_i32_e64 s7, 0, v8
	s_delay_alu instid0(VALU_DEP_3) | instskip(NEXT) | instid1(VALU_DEP_2)
	v_ashrrev_i32_e32 v1, 31, v0
	s_and_b32 s1, s7, vcc_lo
	s_delay_alu instid0(VALU_DEP_1) | instskip(NEXT) | instid1(VALU_DEP_1)
	v_lshlrev_b64 v[0:1], 1, v[0:1]
	v_add_co_u32 v3, s0, s10, v0
	s_delay_alu instid0(VALU_DEP_1) | instskip(SKIP_2) | instid1(VALU_DEP_1)
	v_add_co_ci_u32_e64 v4, s0, s11, v1, s0
	s_waitcnt lgkmcnt(0)
	v_add_co_u32 v5, s0, s2, v0
	v_add_co_ci_u32_e64 v6, s0, s3, v1, s0
	s_and_saveexec_b32 s0, s1
	s_cbranch_execz .LBB635_2
; %bb.1:
	global_load_u16 v9, v[3:4], off
	global_load_u16 v10, v[5:6], off
	s_waitcnt vmcnt(1)
	v_lshlrev_b32_e32 v9, 16, v9
	s_waitcnt vmcnt(0)
	v_lshlrev_b32_e32 v11, 16, v10
.LBB635_2:
	s_or_b32 exec_lo, exec_lo, s0
	v_or_b32_e32 v10, 32, v2
	v_mov_b32_e32 v12, 0
	s_delay_alu instid0(VALU_DEP_2) | instskip(NEXT) | instid1(VALU_DEP_1)
	v_cmp_gt_i32_e64 s0, s6, v10
	s_and_b32 s2, s7, s0
	s_delay_alu instid0(SALU_CYCLE_1)
	s_and_saveexec_b32 s1, s2
	s_cbranch_execz .LBB635_4
; %bb.3:
	global_load_u16 v7, v[3:4], off offset:64
	global_load_u16 v10, v[5:6], off offset:64
	s_waitcnt vmcnt(1)
	v_lshlrev_b32_e32 v7, 16, v7
	s_waitcnt vmcnt(0)
	v_lshlrev_b32_e32 v12, 16, v10
.LBB635_4:
	s_or_b32 exec_lo, exec_lo, s1
	v_or_b32_e32 v10, 64, v2
	v_mov_b32_e32 v15, 0
	v_mov_b32_e32 v13, 0
	s_delay_alu instid0(VALU_DEP_3) | instskip(SKIP_1) | instid1(VALU_DEP_2)
	v_cmp_gt_i32_e64 s1, s6, v10
	v_mov_b32_e32 v10, 0
	s_and_b32 s3, s7, s1
	s_delay_alu instid0(SALU_CYCLE_1)
	s_and_saveexec_b32 s2, s3
	s_cbranch_execz .LBB635_6
; %bb.5:
	global_load_u16 v13, v[3:4], off offset:128
	global_load_u16 v14, v[5:6], off offset:128
	s_waitcnt vmcnt(1)
	v_lshlrev_b32_e32 v13, 16, v13
	s_waitcnt vmcnt(0)
	v_lshlrev_b32_e32 v15, 16, v14
.LBB635_6:
	s_or_b32 exec_lo, exec_lo, s2
	v_or_b32_e32 v14, 0x60, v2
	v_mov_b32_e32 v16, 0
	s_delay_alu instid0(VALU_DEP_2) | instskip(NEXT) | instid1(VALU_DEP_1)
	v_cmp_gt_i32_e64 s2, s6, v14
	s_and_b32 s4, s7, s2
	s_delay_alu instid0(SALU_CYCLE_1)
	s_and_saveexec_b32 s3, s4
	s_cbranch_execz .LBB635_8
; %bb.7:
	global_load_u16 v10, v[3:4], off offset:192
	global_load_u16 v14, v[5:6], off offset:192
	s_waitcnt vmcnt(1)
	v_lshlrev_b32_e32 v10, 16, v10
	s_waitcnt vmcnt(0)
	v_lshlrev_b32_e32 v16, 16, v14
.LBB635_8:
	s_or_b32 exec_lo, exec_lo, s3
	v_or_b32_e32 v14, 0x80, v2
	v_mov_b32_e32 v19, 0
	v_mov_b32_e32 v17, 0
	s_delay_alu instid0(VALU_DEP_3) | instskip(SKIP_1) | instid1(VALU_DEP_2)
	v_cmp_gt_i32_e64 s3, s6, v14
	v_mov_b32_e32 v14, 0
	s_and_b32 s5, s7, s3
	s_delay_alu instid0(SALU_CYCLE_1)
	s_and_saveexec_b32 s4, s5
	s_cbranch_execz .LBB635_10
; %bb.9:
	global_load_u16 v17, v[3:4], off offset:256
	global_load_u16 v18, v[5:6], off offset:256
	s_waitcnt vmcnt(1)
	v_lshlrev_b32_e32 v17, 16, v17
	s_waitcnt vmcnt(0)
	v_lshlrev_b32_e32 v19, 16, v18
.LBB635_10:
	s_or_b32 exec_lo, exec_lo, s4
	v_or_b32_e32 v18, 0xa0, v2
	v_mov_b32_e32 v20, 0
	s_delay_alu instid0(VALU_DEP_2) | instskip(NEXT) | instid1(VALU_DEP_1)
	v_cmp_gt_i32_e64 s4, s6, v18
	s_and_b32 s10, s7, s4
	s_delay_alu instid0(SALU_CYCLE_1)
	s_and_saveexec_b32 s5, s10
	s_cbranch_execz .LBB635_12
; %bb.11:
	global_load_u16 v14, v[3:4], off offset:320
	global_load_u16 v18, v[5:6], off offset:320
	s_waitcnt vmcnt(1)
	v_lshlrev_b32_e32 v14, 16, v14
	s_waitcnt vmcnt(0)
	v_lshlrev_b32_e32 v20, 16, v18
.LBB635_12:
	s_or_b32 exec_lo, exec_lo, s5
	v_or_b32_e32 v18, 0xc0, v2
	v_dual_mov_b32 v22, 0 :: v_dual_mov_b32 v21, 0
	s_delay_alu instid0(VALU_DEP_2) | instskip(SKIP_1) | instid1(VALU_DEP_2)
	v_cmp_gt_i32_e64 s5, s6, v18
	v_mov_b32_e32 v18, 0
	s_and_b32 s11, s7, s5
	s_delay_alu instid0(SALU_CYCLE_1)
	s_and_saveexec_b32 s10, s11
	s_cbranch_execz .LBB635_14
; %bb.13:
	global_load_u16 v21, v[3:4], off offset:384
	global_load_u16 v22, v[5:6], off offset:384
	s_waitcnt vmcnt(1)
	v_lshlrev_b32_e32 v21, 16, v21
	s_waitcnt vmcnt(0)
	v_lshlrev_b32_e32 v22, 16, v22
.LBB635_14:
	s_or_b32 exec_lo, exec_lo, s10
	v_or_b32_e32 v2, 0xe0, v2
	s_delay_alu instid0(VALU_DEP_1) | instskip(SKIP_1) | instid1(VALU_DEP_2)
	v_cmp_gt_i32_e64 s6, s6, v2
	v_mov_b32_e32 v2, 0
	s_and_b32 s10, s7, s6
	s_delay_alu instid0(SALU_CYCLE_1)
	s_and_saveexec_b32 s7, s10
	s_cbranch_execz .LBB635_16
; %bb.15:
	global_load_u16 v2, v[3:4], off offset:448
	global_load_u16 v3, v[5:6], off offset:448
	s_waitcnt vmcnt(1)
	v_lshlrev_b32_e32 v18, 16, v2
	s_waitcnt vmcnt(0)
	v_lshlrev_b32_e32 v2, 16, v3
.LBB635_16:
	s_or_b32 exec_lo, exec_lo, s7
	v_mbcnt_lo_u32_b32 v4, -1, 0
	s_mov_b32 s10, exec_lo
	s_delay_alu instid0(VALU_DEP_1) | instskip(SKIP_1) | instid1(VALU_DEP_2)
	v_xor_b32_e32 v5, 16, v4
	v_xor_b32_e32 v6, 8, v4
	v_cmp_gt_i32_e64 s7, 32, v5
	s_delay_alu instid0(VALU_DEP_1) | instskip(NEXT) | instid1(VALU_DEP_3)
	v_cndmask_b32_e64 v5, v4, v5, s7
	v_cmp_gt_i32_e64 s7, 32, v6
	s_delay_alu instid0(VALU_DEP_2) | instskip(NEXT) | instid1(VALU_DEP_2)
	v_lshlrev_b32_e32 v5, 2, v5
	v_cndmask_b32_e64 v6, v4, v6, s7
	s_delay_alu instid0(VALU_DEP_1) | instskip(NEXT) | instid1(VALU_DEP_1)
	v_dual_add_f32 v3, 0, v9 :: v_dual_lshlrev_b32 v6, 2, v6
	v_add_f32_e32 v3, v3, v7
	s_delay_alu instid0(VALU_DEP_1) | instskip(NEXT) | instid1(VALU_DEP_1)
	v_add_f32_e32 v3, v3, v13
	v_add_f32_e32 v3, v3, v10
	s_delay_alu instid0(VALU_DEP_1) | instskip(NEXT) | instid1(VALU_DEP_1)
	v_add_f32_e32 v3, v3, v17
	;; [unrolled: 3-line block ×3, first 2 shown]
	v_add_f32_e32 v3, v3, v18
	ds_bpermute_b32 v5, v5, v3
	s_waitcnt lgkmcnt(0)
	v_add_f32_e32 v3, v3, v5
	ds_bpermute_b32 v5, v6, v3
	v_xor_b32_e32 v6, 4, v4
	s_delay_alu instid0(VALU_DEP_1) | instskip(NEXT) | instid1(VALU_DEP_1)
	v_cmp_gt_i32_e64 s7, 32, v6
	v_cndmask_b32_e64 v6, v4, v6, s7
	s_waitcnt lgkmcnt(0)
	s_delay_alu instid0(VALU_DEP_1) | instskip(SKIP_2) | instid1(VALU_DEP_1)
	v_dual_add_f32 v3, v3, v5 :: v_dual_lshlrev_b32 v6, 2, v6
	ds_bpermute_b32 v5, v6, v3
	v_xor_b32_e32 v6, 2, v4
	v_cmp_gt_i32_e64 s7, 32, v6
	s_delay_alu instid0(VALU_DEP_1) | instskip(SKIP_1) | instid1(VALU_DEP_1)
	v_cndmask_b32_e64 v6, v4, v6, s7
	s_waitcnt lgkmcnt(0)
	v_dual_add_f32 v3, v3, v5 :: v_dual_lshlrev_b32 v6, 2, v6
	ds_bpermute_b32 v5, v6, v3
	v_xor_b32_e32 v6, 1, v4
	s_delay_alu instid0(VALU_DEP_1) | instskip(NEXT) | instid1(VALU_DEP_1)
	v_cmp_gt_i32_e64 s7, 32, v6
	v_cndmask_b32_e64 v4, v4, v6, s7
	s_waitcnt lgkmcnt(0)
	s_delay_alu instid0(VALU_DEP_1)
	v_dual_add_f32 v3, v3, v5 :: v_dual_lshlrev_b32 v4, 2, v4
	ds_bpermute_b32 v4, v4, v3
	v_cmpx_lt_i32_e32 0, v8
	s_cbranch_execz .LBB635_26
; %bb.17:
	v_add_co_u32 v0, s7, s8, v0
	s_delay_alu instid0(VALU_DEP_1)
	v_add_co_ci_u32_e64 v1, s7, s9, v1, s7
	s_waitcnt lgkmcnt(0)
	v_add_f32_e32 v3, v3, v4
	s_and_saveexec_b32 s7, vcc_lo
	s_cbranch_execnz .LBB635_27
; %bb.18:
	s_or_b32 exec_lo, exec_lo, s7
	s_and_saveexec_b32 s7, s0
	s_cbranch_execnz .LBB635_28
.LBB635_19:
	s_or_b32 exec_lo, exec_lo, s7
	s_and_saveexec_b32 s0, s1
	s_cbranch_execnz .LBB635_29
.LBB635_20:
	s_or_b32 exec_lo, exec_lo, s0
	s_and_saveexec_b32 s0, s2
	s_cbranch_execnz .LBB635_30
.LBB635_21:
	s_or_b32 exec_lo, exec_lo, s0
	s_and_saveexec_b32 s0, s3
	s_cbranch_execnz .LBB635_31
.LBB635_22:
	s_or_b32 exec_lo, exec_lo, s0
	s_and_saveexec_b32 s0, s4
	s_cbranch_execnz .LBB635_32
.LBB635_23:
	s_or_b32 exec_lo, exec_lo, s0
	s_and_saveexec_b32 s0, s5
	s_cbranch_execnz .LBB635_33
.LBB635_24:
	s_or_b32 exec_lo, exec_lo, s0
	s_delay_alu instid0(SALU_CYCLE_1)
	s_and_b32 exec_lo, exec_lo, s6
	s_cbranch_execz .LBB635_26
.LBB635_25:
	v_fma_f32 v2, -v3, v2, v18
	s_delay_alu instid0(VALU_DEP_1) | instskip(SKIP_1) | instid1(VALU_DEP_2)
	v_bfe_u32 v3, v2, 16, 1
	v_cmp_o_f32_e32 vcc_lo, v2, v2
	v_add3_u32 v3, v2, v3, 0x7fff
	s_delay_alu instid0(VALU_DEP_1) | instskip(NEXT) | instid1(VALU_DEP_1)
	v_lshrrev_b32_e32 v3, 16, v3
	v_cndmask_b32_e32 v2, 0x7fc0, v3, vcc_lo
	global_store_b16 v[0:1], v2, off offset:448
.LBB635_26:
	s_nop 0
	s_sendmsg sendmsg(MSG_DEALLOC_VGPRS)
	s_endpgm
.LBB635_27:
	s_delay_alu instid0(VALU_DEP_1) | instskip(NEXT) | instid1(VALU_DEP_1)
	v_fma_f32 v4, -v3, v11, v9
	v_bfe_u32 v5, v4, 16, 1
	v_cmp_o_f32_e32 vcc_lo, v4, v4
	s_delay_alu instid0(VALU_DEP_2) | instskip(NEXT) | instid1(VALU_DEP_1)
	v_add3_u32 v5, v4, v5, 0x7fff
	v_lshrrev_b32_e32 v5, 16, v5
	s_delay_alu instid0(VALU_DEP_1)
	v_cndmask_b32_e32 v4, 0x7fc0, v5, vcc_lo
	global_store_b16 v[0:1], v4, off
	s_or_b32 exec_lo, exec_lo, s7
	s_and_saveexec_b32 s7, s0
	s_cbranch_execz .LBB635_19
.LBB635_28:
	v_fma_f32 v4, -v3, v12, v7
	s_delay_alu instid0(VALU_DEP_1) | instskip(SKIP_1) | instid1(VALU_DEP_2)
	v_bfe_u32 v5, v4, 16, 1
	v_cmp_o_f32_e32 vcc_lo, v4, v4
	v_add3_u32 v5, v4, v5, 0x7fff
	s_delay_alu instid0(VALU_DEP_1) | instskip(NEXT) | instid1(VALU_DEP_1)
	v_lshrrev_b32_e32 v5, 16, v5
	v_cndmask_b32_e32 v4, 0x7fc0, v5, vcc_lo
	global_store_b16 v[0:1], v4, off offset:64
	s_or_b32 exec_lo, exec_lo, s7
	s_and_saveexec_b32 s0, s1
	s_cbranch_execz .LBB635_20
.LBB635_29:
	v_fma_f32 v4, -v3, v15, v13
	s_delay_alu instid0(VALU_DEP_1) | instskip(SKIP_1) | instid1(VALU_DEP_2)
	v_bfe_u32 v5, v4, 16, 1
	v_cmp_o_f32_e32 vcc_lo, v4, v4
	v_add3_u32 v5, v4, v5, 0x7fff
	s_delay_alu instid0(VALU_DEP_1) | instskip(NEXT) | instid1(VALU_DEP_1)
	v_lshrrev_b32_e32 v5, 16, v5
	v_cndmask_b32_e32 v4, 0x7fc0, v5, vcc_lo
	global_store_b16 v[0:1], v4, off offset:128
	s_or_b32 exec_lo, exec_lo, s0
	s_and_saveexec_b32 s0, s2
	s_cbranch_execz .LBB635_21
.LBB635_30:
	v_fma_f32 v4, -v3, v16, v10
	s_delay_alu instid0(VALU_DEP_1) | instskip(SKIP_1) | instid1(VALU_DEP_2)
	v_bfe_u32 v5, v4, 16, 1
	v_cmp_o_f32_e32 vcc_lo, v4, v4
	v_add3_u32 v5, v4, v5, 0x7fff
	s_delay_alu instid0(VALU_DEP_1) | instskip(NEXT) | instid1(VALU_DEP_1)
	v_lshrrev_b32_e32 v5, 16, v5
	v_cndmask_b32_e32 v4, 0x7fc0, v5, vcc_lo
	global_store_b16 v[0:1], v4, off offset:192
	s_or_b32 exec_lo, exec_lo, s0
	s_and_saveexec_b32 s0, s3
	s_cbranch_execz .LBB635_22
.LBB635_31:
	v_fma_f32 v4, -v3, v19, v17
	s_delay_alu instid0(VALU_DEP_1) | instskip(SKIP_1) | instid1(VALU_DEP_2)
	v_bfe_u32 v5, v4, 16, 1
	v_cmp_o_f32_e32 vcc_lo, v4, v4
	v_add3_u32 v5, v4, v5, 0x7fff
	s_delay_alu instid0(VALU_DEP_1) | instskip(NEXT) | instid1(VALU_DEP_1)
	v_lshrrev_b32_e32 v5, 16, v5
	v_cndmask_b32_e32 v4, 0x7fc0, v5, vcc_lo
	global_store_b16 v[0:1], v4, off offset:256
	s_or_b32 exec_lo, exec_lo, s0
	s_and_saveexec_b32 s0, s4
	s_cbranch_execz .LBB635_23
.LBB635_32:
	v_fma_f32 v4, -v3, v20, v14
	s_delay_alu instid0(VALU_DEP_1) | instskip(SKIP_1) | instid1(VALU_DEP_2)
	v_bfe_u32 v5, v4, 16, 1
	v_cmp_o_f32_e32 vcc_lo, v4, v4
	v_add3_u32 v5, v4, v5, 0x7fff
	s_delay_alu instid0(VALU_DEP_1) | instskip(NEXT) | instid1(VALU_DEP_1)
	v_lshrrev_b32_e32 v5, 16, v5
	v_cndmask_b32_e32 v4, 0x7fc0, v5, vcc_lo
	global_store_b16 v[0:1], v4, off offset:320
	s_or_b32 exec_lo, exec_lo, s0
	s_and_saveexec_b32 s0, s5
	s_cbranch_execz .LBB635_24
.LBB635_33:
	v_fma_f32 v4, -v3, v22, v21
	s_delay_alu instid0(VALU_DEP_1) | instskip(SKIP_1) | instid1(VALU_DEP_2)
	v_bfe_u32 v5, v4, 16, 1
	v_cmp_o_f32_e32 vcc_lo, v4, v4
	v_add3_u32 v5, v4, v5, 0x7fff
	s_delay_alu instid0(VALU_DEP_1) | instskip(NEXT) | instid1(VALU_DEP_1)
	v_lshrrev_b32_e32 v5, 16, v5
	v_cndmask_b32_e32 v4, 0x7fc0, v5, vcc_lo
	global_store_b16 v[0:1], v4, off offset:384
	s_or_b32 exec_lo, exec_lo, s0
	s_delay_alu instid0(SALU_CYCLE_1)
	s_and_b32 exec_lo, exec_lo, s6
	s_cbranch_execnz .LBB635_25
	s_branch .LBB635_26
	.section	.rodata,"a",@progbits
	.p2align	6, 0x0
	.amdhsa_kernel _ZN12_GLOBAL__N_121softmax_warp_backwardIN3c108BFloat16ES2_fLi8ELb0ELb0ELi32EEEvPT0_PKT_S7_iiiPKb
		.amdhsa_group_segment_fixed_size 0
		.amdhsa_private_segment_fixed_size 0
		.amdhsa_kernarg_size 304
		.amdhsa_user_sgpr_count 15
		.amdhsa_user_sgpr_dispatch_ptr 0
		.amdhsa_user_sgpr_queue_ptr 0
		.amdhsa_user_sgpr_kernarg_segment_ptr 1
		.amdhsa_user_sgpr_dispatch_id 0
		.amdhsa_user_sgpr_private_segment_size 0
		.amdhsa_wavefront_size32 1
		.amdhsa_uses_dynamic_stack 0
		.amdhsa_enable_private_segment 0
		.amdhsa_system_sgpr_workgroup_id_x 1
		.amdhsa_system_sgpr_workgroup_id_y 0
		.amdhsa_system_sgpr_workgroup_id_z 0
		.amdhsa_system_sgpr_workgroup_info 0
		.amdhsa_system_vgpr_workitem_id 1
		.amdhsa_next_free_vgpr 23
		.amdhsa_next_free_sgpr 16
		.amdhsa_reserve_vcc 1
		.amdhsa_float_round_mode_32 0
		.amdhsa_float_round_mode_16_64 0
		.amdhsa_float_denorm_mode_32 3
		.amdhsa_float_denorm_mode_16_64 3
		.amdhsa_dx10_clamp 1
		.amdhsa_ieee_mode 1
		.amdhsa_fp16_overflow 0
		.amdhsa_workgroup_processor_mode 1
		.amdhsa_memory_ordered 1
		.amdhsa_forward_progress 0
		.amdhsa_shared_vgpr_count 0
		.amdhsa_exception_fp_ieee_invalid_op 0
		.amdhsa_exception_fp_denorm_src 0
		.amdhsa_exception_fp_ieee_div_zero 0
		.amdhsa_exception_fp_ieee_overflow 0
		.amdhsa_exception_fp_ieee_underflow 0
		.amdhsa_exception_fp_ieee_inexact 0
		.amdhsa_exception_int_div_zero 0
	.end_amdhsa_kernel
	.section	.text._ZN12_GLOBAL__N_121softmax_warp_backwardIN3c108BFloat16ES2_fLi8ELb0ELb0ELi32EEEvPT0_PKT_S7_iiiPKb,"axG",@progbits,_ZN12_GLOBAL__N_121softmax_warp_backwardIN3c108BFloat16ES2_fLi8ELb0ELb0ELi32EEEvPT0_PKT_S7_iiiPKb,comdat
.Lfunc_end635:
	.size	_ZN12_GLOBAL__N_121softmax_warp_backwardIN3c108BFloat16ES2_fLi8ELb0ELb0ELi32EEEvPT0_PKT_S7_iiiPKb, .Lfunc_end635-_ZN12_GLOBAL__N_121softmax_warp_backwardIN3c108BFloat16ES2_fLi8ELb0ELb0ELi32EEEvPT0_PKT_S7_iiiPKb
                                        ; -- End function
	.section	.AMDGPU.csdata,"",@progbits
; Kernel info:
; codeLenInByte = 1768
; NumSgprs: 18
; NumVgprs: 23
; ScratchSize: 0
; MemoryBound: 0
; FloatMode: 240
; IeeeMode: 1
; LDSByteSize: 0 bytes/workgroup (compile time only)
; SGPRBlocks: 2
; VGPRBlocks: 2
; NumSGPRsForWavesPerEU: 18
; NumVGPRsForWavesPerEU: 23
; Occupancy: 16
; WaveLimiterHint : 0
; COMPUTE_PGM_RSRC2:SCRATCH_EN: 0
; COMPUTE_PGM_RSRC2:USER_SGPR: 15
; COMPUTE_PGM_RSRC2:TRAP_HANDLER: 0
; COMPUTE_PGM_RSRC2:TGID_X_EN: 1
; COMPUTE_PGM_RSRC2:TGID_Y_EN: 0
; COMPUTE_PGM_RSRC2:TGID_Z_EN: 0
; COMPUTE_PGM_RSRC2:TIDIG_COMP_CNT: 1
	.section	.text._ZN12_GLOBAL__N_121softmax_warp_backwardIN3c108BFloat16ES2_fLi9ELb0ELb0ELi64EEEvPT0_PKT_S7_iiiPKb,"axG",@progbits,_ZN12_GLOBAL__N_121softmax_warp_backwardIN3c108BFloat16ES2_fLi9ELb0ELb0ELi64EEEvPT0_PKT_S7_iiiPKb,comdat
	.globl	_ZN12_GLOBAL__N_121softmax_warp_backwardIN3c108BFloat16ES2_fLi9ELb0ELb0ELi64EEEvPT0_PKT_S7_iiiPKb ; -- Begin function _ZN12_GLOBAL__N_121softmax_warp_backwardIN3c108BFloat16ES2_fLi9ELb0ELb0ELi64EEEvPT0_PKT_S7_iiiPKb
	.p2align	8
	.type	_ZN12_GLOBAL__N_121softmax_warp_backwardIN3c108BFloat16ES2_fLi9ELb0ELb0ELi64EEEvPT0_PKT_S7_iiiPKb,@function
_ZN12_GLOBAL__N_121softmax_warp_backwardIN3c108BFloat16ES2_fLi9ELb0ELb0ELi64EEEvPT0_PKT_S7_iiiPKb: ; @_ZN12_GLOBAL__N_121softmax_warp_backwardIN3c108BFloat16ES2_fLi9ELb0ELb0ELi64EEEvPT0_PKT_S7_iiiPKb
; %bb.0:
	s_clause 0x1
	s_load_b32 s2, s[0:1], 0x3c
	s_load_b128 s[4:7], s[0:1], 0x18
	v_bfe_u32 v1, v0, 10, 10
	s_load_b128 s[8:11], s[0:1], 0x0
	v_mov_b32_e32 v9, 0
	v_mov_b32_e32 v11, 0
	;; [unrolled: 1-line block ×3, first 2 shown]
	s_waitcnt lgkmcnt(0)
	s_lshr_b32 s2, s2, 16
	s_delay_alu instid0(SALU_CYCLE_1) | instskip(SKIP_2) | instid1(VALU_DEP_1)
	v_mad_u64_u32 v[3:4], null, s15, s2, v[1:2]
	s_load_b64 s[2:3], s[0:1], 0x10
	v_and_b32_e32 v2, 63, v0
	v_cmp_gt_i32_e32 vcc_lo, s6, v2
	s_delay_alu instid0(VALU_DEP_3) | instskip(SKIP_1) | instid1(VALU_DEP_1)
	v_mad_u64_u32 v[0:1], null, v3, s5, v[2:3]
	v_sub_nc_u32_e32 v8, s4, v3
	v_cmp_lt_i32_e64 s7, 0, v8
	s_delay_alu instid0(VALU_DEP_3) | instskip(NEXT) | instid1(VALU_DEP_2)
	v_ashrrev_i32_e32 v1, 31, v0
	s_and_b32 s1, s7, vcc_lo
	s_delay_alu instid0(VALU_DEP_1) | instskip(NEXT) | instid1(VALU_DEP_1)
	v_lshlrev_b64 v[0:1], 1, v[0:1]
	v_add_co_u32 v3, s0, s10, v0
	s_delay_alu instid0(VALU_DEP_1) | instskip(SKIP_2) | instid1(VALU_DEP_1)
	v_add_co_ci_u32_e64 v4, s0, s11, v1, s0
	s_waitcnt lgkmcnt(0)
	v_add_co_u32 v5, s0, s2, v0
	v_add_co_ci_u32_e64 v6, s0, s3, v1, s0
	s_and_saveexec_b32 s0, s1
	s_cbranch_execz .LBB636_2
; %bb.1:
	global_load_u16 v9, v[3:4], off
	global_load_u16 v10, v[5:6], off
	s_waitcnt vmcnt(1)
	v_lshlrev_b32_e32 v9, 16, v9
	s_waitcnt vmcnt(0)
	v_lshlrev_b32_e32 v11, 16, v10
.LBB636_2:
	s_or_b32 exec_lo, exec_lo, s0
	v_or_b32_e32 v10, 64, v2
	v_mov_b32_e32 v12, 0
	s_delay_alu instid0(VALU_DEP_2) | instskip(NEXT) | instid1(VALU_DEP_1)
	v_cmp_gt_i32_e64 s0, s6, v10
	s_and_b32 s2, s7, s0
	s_delay_alu instid0(SALU_CYCLE_1)
	s_and_saveexec_b32 s1, s2
	s_cbranch_execz .LBB636_4
; %bb.3:
	global_load_u16 v7, v[3:4], off offset:128
	global_load_u16 v10, v[5:6], off offset:128
	s_waitcnt vmcnt(1)
	v_lshlrev_b32_e32 v7, 16, v7
	s_waitcnt vmcnt(0)
	v_lshlrev_b32_e32 v12, 16, v10
.LBB636_4:
	s_or_b32 exec_lo, exec_lo, s1
	v_or_b32_e32 v10, 0x80, v2
	v_mov_b32_e32 v15, 0
	v_mov_b32_e32 v13, 0
	s_delay_alu instid0(VALU_DEP_3) | instskip(SKIP_1) | instid1(VALU_DEP_2)
	v_cmp_gt_i32_e64 s1, s6, v10
	v_mov_b32_e32 v10, 0
	s_and_b32 s3, s7, s1
	s_delay_alu instid0(SALU_CYCLE_1)
	s_and_saveexec_b32 s2, s3
	s_cbranch_execz .LBB636_6
; %bb.5:
	global_load_u16 v13, v[3:4], off offset:256
	global_load_u16 v14, v[5:6], off offset:256
	s_waitcnt vmcnt(1)
	v_lshlrev_b32_e32 v13, 16, v13
	s_waitcnt vmcnt(0)
	v_lshlrev_b32_e32 v15, 16, v14
.LBB636_6:
	s_or_b32 exec_lo, exec_lo, s2
	v_or_b32_e32 v14, 0xc0, v2
	v_mov_b32_e32 v16, 0
	s_delay_alu instid0(VALU_DEP_2) | instskip(NEXT) | instid1(VALU_DEP_1)
	v_cmp_gt_i32_e64 s2, s6, v14
	s_and_b32 s4, s7, s2
	s_delay_alu instid0(SALU_CYCLE_1)
	s_and_saveexec_b32 s3, s4
	s_cbranch_execz .LBB636_8
; %bb.7:
	global_load_u16 v10, v[3:4], off offset:384
	global_load_u16 v14, v[5:6], off offset:384
	s_waitcnt vmcnt(1)
	v_lshlrev_b32_e32 v10, 16, v10
	s_waitcnt vmcnt(0)
	v_lshlrev_b32_e32 v16, 16, v14
.LBB636_8:
	s_or_b32 exec_lo, exec_lo, s3
	v_or_b32_e32 v14, 0x100, v2
	v_mov_b32_e32 v19, 0
	v_mov_b32_e32 v17, 0
	s_delay_alu instid0(VALU_DEP_3) | instskip(SKIP_1) | instid1(VALU_DEP_2)
	v_cmp_gt_i32_e64 s3, s6, v14
	v_mov_b32_e32 v14, 0
	s_and_b32 s5, s7, s3
	s_delay_alu instid0(SALU_CYCLE_1)
	s_and_saveexec_b32 s4, s5
	s_cbranch_execz .LBB636_10
; %bb.9:
	global_load_u16 v17, v[3:4], off offset:512
	global_load_u16 v18, v[5:6], off offset:512
	s_waitcnt vmcnt(1)
	v_lshlrev_b32_e32 v17, 16, v17
	s_waitcnt vmcnt(0)
	v_lshlrev_b32_e32 v19, 16, v18
.LBB636_10:
	s_or_b32 exec_lo, exec_lo, s4
	v_or_b32_e32 v18, 0x140, v2
	v_mov_b32_e32 v20, 0
	s_delay_alu instid0(VALU_DEP_2) | instskip(NEXT) | instid1(VALU_DEP_1)
	v_cmp_gt_i32_e64 s4, s6, v18
	s_and_b32 s10, s7, s4
	s_delay_alu instid0(SALU_CYCLE_1)
	s_and_saveexec_b32 s5, s10
	s_cbranch_execz .LBB636_12
; %bb.11:
	global_load_u16 v14, v[3:4], off offset:640
	global_load_u16 v18, v[5:6], off offset:640
	s_waitcnt vmcnt(1)
	v_lshlrev_b32_e32 v14, 16, v14
	s_waitcnt vmcnt(0)
	v_lshlrev_b32_e32 v20, 16, v18
.LBB636_12:
	s_or_b32 exec_lo, exec_lo, s5
	v_or_b32_e32 v18, 0x180, v2
	v_dual_mov_b32 v22, 0 :: v_dual_mov_b32 v21, 0
	s_delay_alu instid0(VALU_DEP_2) | instskip(SKIP_1) | instid1(VALU_DEP_2)
	v_cmp_gt_i32_e64 s5, s6, v18
	v_mov_b32_e32 v18, 0
	s_and_b32 s11, s7, s5
	s_delay_alu instid0(SALU_CYCLE_1)
	s_and_saveexec_b32 s10, s11
	s_cbranch_execz .LBB636_14
; %bb.13:
	global_load_u16 v21, v[3:4], off offset:768
	global_load_u16 v22, v[5:6], off offset:768
	s_waitcnt vmcnt(1)
	v_lshlrev_b32_e32 v21, 16, v21
	s_waitcnt vmcnt(0)
	v_lshlrev_b32_e32 v22, 16, v22
.LBB636_14:
	s_or_b32 exec_lo, exec_lo, s10
	v_or_b32_e32 v2, 0x1c0, v2
	s_delay_alu instid0(VALU_DEP_1) | instskip(SKIP_1) | instid1(VALU_DEP_2)
	v_cmp_gt_i32_e64 s6, s6, v2
	v_mov_b32_e32 v2, 0
	s_and_b32 s10, s7, s6
	s_delay_alu instid0(SALU_CYCLE_1)
	s_and_saveexec_b32 s7, s10
	s_cbranch_execz .LBB636_16
; %bb.15:
	global_load_u16 v2, v[3:4], off offset:896
	global_load_u16 v3, v[5:6], off offset:896
	s_waitcnt vmcnt(1)
	v_lshlrev_b32_e32 v18, 16, v2
	s_waitcnt vmcnt(0)
	v_lshlrev_b32_e32 v2, 16, v3
.LBB636_16:
	s_or_b32 exec_lo, exec_lo, s7
	v_mbcnt_lo_u32_b32 v4, -1, 0
	s_mov_b32 s10, exec_lo
	s_delay_alu instid0(VALU_DEP_1) | instskip(SKIP_1) | instid1(VALU_DEP_2)
	v_or_b32_e32 v5, 32, v4
	v_xor_b32_e32 v6, 16, v4
	v_cmp_gt_i32_e64 s7, 64, v5
	s_delay_alu instid0(VALU_DEP_1) | instskip(NEXT) | instid1(VALU_DEP_3)
	v_cndmask_b32_e64 v5, v4, v5, s7
	v_cmp_gt_i32_e64 s7, 64, v6
	s_delay_alu instid0(VALU_DEP_2) | instskip(NEXT) | instid1(VALU_DEP_2)
	v_lshlrev_b32_e32 v5, 2, v5
	v_cndmask_b32_e64 v6, v4, v6, s7
	s_delay_alu instid0(VALU_DEP_1) | instskip(NEXT) | instid1(VALU_DEP_1)
	v_dual_add_f32 v3, 0, v9 :: v_dual_lshlrev_b32 v6, 2, v6
	v_add_f32_e32 v3, v3, v7
	s_delay_alu instid0(VALU_DEP_1) | instskip(NEXT) | instid1(VALU_DEP_1)
	v_add_f32_e32 v3, v3, v13
	v_add_f32_e32 v3, v3, v10
	s_delay_alu instid0(VALU_DEP_1) | instskip(NEXT) | instid1(VALU_DEP_1)
	v_add_f32_e32 v3, v3, v17
	v_add_f32_e32 v3, v3, v14
	s_delay_alu instid0(VALU_DEP_1) | instskip(NEXT) | instid1(VALU_DEP_1)
	v_add_f32_e32 v3, v3, v21
	v_add_f32_e32 v3, v3, v18
	ds_bpermute_b32 v5, v5, v3
	s_waitcnt lgkmcnt(0)
	v_add_f32_e32 v3, v3, v5
	ds_bpermute_b32 v5, v6, v3
	v_xor_b32_e32 v6, 8, v4
	s_delay_alu instid0(VALU_DEP_1) | instskip(NEXT) | instid1(VALU_DEP_1)
	v_cmp_gt_i32_e64 s7, 64, v6
	v_cndmask_b32_e64 v6, v4, v6, s7
	s_waitcnt lgkmcnt(0)
	s_delay_alu instid0(VALU_DEP_1) | instskip(SKIP_2) | instid1(VALU_DEP_1)
	v_dual_add_f32 v3, v3, v5 :: v_dual_lshlrev_b32 v6, 2, v6
	ds_bpermute_b32 v5, v6, v3
	v_xor_b32_e32 v6, 4, v4
	v_cmp_gt_i32_e64 s7, 64, v6
	s_delay_alu instid0(VALU_DEP_1) | instskip(SKIP_1) | instid1(VALU_DEP_1)
	v_cndmask_b32_e64 v6, v4, v6, s7
	s_waitcnt lgkmcnt(0)
	v_dual_add_f32 v3, v3, v5 :: v_dual_lshlrev_b32 v6, 2, v6
	ds_bpermute_b32 v5, v6, v3
	v_xor_b32_e32 v6, 2, v4
	s_delay_alu instid0(VALU_DEP_1) | instskip(NEXT) | instid1(VALU_DEP_1)
	v_cmp_gt_i32_e64 s7, 64, v6
	v_cndmask_b32_e64 v6, v4, v6, s7
	s_waitcnt lgkmcnt(0)
	s_delay_alu instid0(VALU_DEP_1) | instskip(SKIP_2) | instid1(VALU_DEP_1)
	v_dual_add_f32 v3, v3, v5 :: v_dual_lshlrev_b32 v6, 2, v6
	ds_bpermute_b32 v5, v6, v3
	v_xor_b32_e32 v6, 1, v4
	v_cmp_gt_i32_e64 s7, 64, v6
	s_delay_alu instid0(VALU_DEP_1) | instskip(SKIP_1) | instid1(VALU_DEP_1)
	v_cndmask_b32_e64 v4, v4, v6, s7
	s_waitcnt lgkmcnt(0)
	v_dual_add_f32 v3, v3, v5 :: v_dual_lshlrev_b32 v4, 2, v4
	ds_bpermute_b32 v4, v4, v3
	v_cmpx_lt_i32_e32 0, v8
	s_cbranch_execz .LBB636_26
; %bb.17:
	v_add_co_u32 v0, s7, s8, v0
	s_delay_alu instid0(VALU_DEP_1)
	v_add_co_ci_u32_e64 v1, s7, s9, v1, s7
	s_waitcnt lgkmcnt(0)
	v_add_f32_e32 v3, v3, v4
	s_and_saveexec_b32 s7, vcc_lo
	s_cbranch_execnz .LBB636_27
; %bb.18:
	s_or_b32 exec_lo, exec_lo, s7
	s_and_saveexec_b32 s7, s0
	s_cbranch_execnz .LBB636_28
.LBB636_19:
	s_or_b32 exec_lo, exec_lo, s7
	s_and_saveexec_b32 s0, s1
	s_cbranch_execnz .LBB636_29
.LBB636_20:
	s_or_b32 exec_lo, exec_lo, s0
	s_and_saveexec_b32 s0, s2
	s_cbranch_execnz .LBB636_30
.LBB636_21:
	s_or_b32 exec_lo, exec_lo, s0
	s_and_saveexec_b32 s0, s3
	s_cbranch_execnz .LBB636_31
.LBB636_22:
	s_or_b32 exec_lo, exec_lo, s0
	s_and_saveexec_b32 s0, s4
	s_cbranch_execnz .LBB636_32
.LBB636_23:
	s_or_b32 exec_lo, exec_lo, s0
	s_and_saveexec_b32 s0, s5
	s_cbranch_execnz .LBB636_33
.LBB636_24:
	s_or_b32 exec_lo, exec_lo, s0
	s_delay_alu instid0(SALU_CYCLE_1)
	s_and_b32 exec_lo, exec_lo, s6
	s_cbranch_execz .LBB636_26
.LBB636_25:
	v_fma_f32 v2, -v3, v2, v18
	s_delay_alu instid0(VALU_DEP_1) | instskip(SKIP_1) | instid1(VALU_DEP_2)
	v_bfe_u32 v3, v2, 16, 1
	v_cmp_o_f32_e32 vcc_lo, v2, v2
	v_add3_u32 v3, v2, v3, 0x7fff
	s_delay_alu instid0(VALU_DEP_1) | instskip(NEXT) | instid1(VALU_DEP_1)
	v_lshrrev_b32_e32 v3, 16, v3
	v_cndmask_b32_e32 v2, 0x7fc0, v3, vcc_lo
	global_store_b16 v[0:1], v2, off offset:896
.LBB636_26:
	s_nop 0
	s_sendmsg sendmsg(MSG_DEALLOC_VGPRS)
	s_endpgm
.LBB636_27:
	s_delay_alu instid0(VALU_DEP_1) | instskip(NEXT) | instid1(VALU_DEP_1)
	v_fma_f32 v4, -v3, v11, v9
	v_bfe_u32 v5, v4, 16, 1
	v_cmp_o_f32_e32 vcc_lo, v4, v4
	s_delay_alu instid0(VALU_DEP_2) | instskip(NEXT) | instid1(VALU_DEP_1)
	v_add3_u32 v5, v4, v5, 0x7fff
	v_lshrrev_b32_e32 v5, 16, v5
	s_delay_alu instid0(VALU_DEP_1)
	v_cndmask_b32_e32 v4, 0x7fc0, v5, vcc_lo
	global_store_b16 v[0:1], v4, off
	s_or_b32 exec_lo, exec_lo, s7
	s_and_saveexec_b32 s7, s0
	s_cbranch_execz .LBB636_19
.LBB636_28:
	v_fma_f32 v4, -v3, v12, v7
	s_delay_alu instid0(VALU_DEP_1) | instskip(SKIP_1) | instid1(VALU_DEP_2)
	v_bfe_u32 v5, v4, 16, 1
	v_cmp_o_f32_e32 vcc_lo, v4, v4
	v_add3_u32 v5, v4, v5, 0x7fff
	s_delay_alu instid0(VALU_DEP_1) | instskip(NEXT) | instid1(VALU_DEP_1)
	v_lshrrev_b32_e32 v5, 16, v5
	v_cndmask_b32_e32 v4, 0x7fc0, v5, vcc_lo
	global_store_b16 v[0:1], v4, off offset:128
	s_or_b32 exec_lo, exec_lo, s7
	s_and_saveexec_b32 s0, s1
	s_cbranch_execz .LBB636_20
.LBB636_29:
	v_fma_f32 v4, -v3, v15, v13
	s_delay_alu instid0(VALU_DEP_1) | instskip(SKIP_1) | instid1(VALU_DEP_2)
	v_bfe_u32 v5, v4, 16, 1
	v_cmp_o_f32_e32 vcc_lo, v4, v4
	v_add3_u32 v5, v4, v5, 0x7fff
	s_delay_alu instid0(VALU_DEP_1) | instskip(NEXT) | instid1(VALU_DEP_1)
	v_lshrrev_b32_e32 v5, 16, v5
	v_cndmask_b32_e32 v4, 0x7fc0, v5, vcc_lo
	global_store_b16 v[0:1], v4, off offset:256
	s_or_b32 exec_lo, exec_lo, s0
	s_and_saveexec_b32 s0, s2
	s_cbranch_execz .LBB636_21
.LBB636_30:
	v_fma_f32 v4, -v3, v16, v10
	s_delay_alu instid0(VALU_DEP_1) | instskip(SKIP_1) | instid1(VALU_DEP_2)
	v_bfe_u32 v5, v4, 16, 1
	v_cmp_o_f32_e32 vcc_lo, v4, v4
	v_add3_u32 v5, v4, v5, 0x7fff
	s_delay_alu instid0(VALU_DEP_1) | instskip(NEXT) | instid1(VALU_DEP_1)
	v_lshrrev_b32_e32 v5, 16, v5
	v_cndmask_b32_e32 v4, 0x7fc0, v5, vcc_lo
	global_store_b16 v[0:1], v4, off offset:384
	s_or_b32 exec_lo, exec_lo, s0
	s_and_saveexec_b32 s0, s3
	s_cbranch_execz .LBB636_22
.LBB636_31:
	v_fma_f32 v4, -v3, v19, v17
	s_delay_alu instid0(VALU_DEP_1) | instskip(SKIP_1) | instid1(VALU_DEP_2)
	v_bfe_u32 v5, v4, 16, 1
	v_cmp_o_f32_e32 vcc_lo, v4, v4
	v_add3_u32 v5, v4, v5, 0x7fff
	s_delay_alu instid0(VALU_DEP_1) | instskip(NEXT) | instid1(VALU_DEP_1)
	v_lshrrev_b32_e32 v5, 16, v5
	v_cndmask_b32_e32 v4, 0x7fc0, v5, vcc_lo
	global_store_b16 v[0:1], v4, off offset:512
	s_or_b32 exec_lo, exec_lo, s0
	s_and_saveexec_b32 s0, s4
	s_cbranch_execz .LBB636_23
.LBB636_32:
	v_fma_f32 v4, -v3, v20, v14
	s_delay_alu instid0(VALU_DEP_1) | instskip(SKIP_1) | instid1(VALU_DEP_2)
	v_bfe_u32 v5, v4, 16, 1
	v_cmp_o_f32_e32 vcc_lo, v4, v4
	v_add3_u32 v5, v4, v5, 0x7fff
	s_delay_alu instid0(VALU_DEP_1) | instskip(NEXT) | instid1(VALU_DEP_1)
	v_lshrrev_b32_e32 v5, 16, v5
	v_cndmask_b32_e32 v4, 0x7fc0, v5, vcc_lo
	global_store_b16 v[0:1], v4, off offset:640
	s_or_b32 exec_lo, exec_lo, s0
	s_and_saveexec_b32 s0, s5
	s_cbranch_execz .LBB636_24
.LBB636_33:
	v_fma_f32 v4, -v3, v22, v21
	s_delay_alu instid0(VALU_DEP_1) | instskip(SKIP_1) | instid1(VALU_DEP_2)
	v_bfe_u32 v5, v4, 16, 1
	v_cmp_o_f32_e32 vcc_lo, v4, v4
	v_add3_u32 v5, v4, v5, 0x7fff
	s_delay_alu instid0(VALU_DEP_1) | instskip(NEXT) | instid1(VALU_DEP_1)
	v_lshrrev_b32_e32 v5, 16, v5
	v_cndmask_b32_e32 v4, 0x7fc0, v5, vcc_lo
	global_store_b16 v[0:1], v4, off offset:768
	s_or_b32 exec_lo, exec_lo, s0
	s_delay_alu instid0(SALU_CYCLE_1)
	s_and_b32 exec_lo, exec_lo, s6
	s_cbranch_execnz .LBB636_25
	s_branch .LBB636_26
	.section	.rodata,"a",@progbits
	.p2align	6, 0x0
	.amdhsa_kernel _ZN12_GLOBAL__N_121softmax_warp_backwardIN3c108BFloat16ES2_fLi9ELb0ELb0ELi64EEEvPT0_PKT_S7_iiiPKb
		.amdhsa_group_segment_fixed_size 0
		.amdhsa_private_segment_fixed_size 0
		.amdhsa_kernarg_size 304
		.amdhsa_user_sgpr_count 15
		.amdhsa_user_sgpr_dispatch_ptr 0
		.amdhsa_user_sgpr_queue_ptr 0
		.amdhsa_user_sgpr_kernarg_segment_ptr 1
		.amdhsa_user_sgpr_dispatch_id 0
		.amdhsa_user_sgpr_private_segment_size 0
		.amdhsa_wavefront_size32 1
		.amdhsa_uses_dynamic_stack 0
		.amdhsa_enable_private_segment 0
		.amdhsa_system_sgpr_workgroup_id_x 1
		.amdhsa_system_sgpr_workgroup_id_y 0
		.amdhsa_system_sgpr_workgroup_id_z 0
		.amdhsa_system_sgpr_workgroup_info 0
		.amdhsa_system_vgpr_workitem_id 1
		.amdhsa_next_free_vgpr 23
		.amdhsa_next_free_sgpr 16
		.amdhsa_reserve_vcc 1
		.amdhsa_float_round_mode_32 0
		.amdhsa_float_round_mode_16_64 0
		.amdhsa_float_denorm_mode_32 3
		.amdhsa_float_denorm_mode_16_64 3
		.amdhsa_dx10_clamp 1
		.amdhsa_ieee_mode 1
		.amdhsa_fp16_overflow 0
		.amdhsa_workgroup_processor_mode 1
		.amdhsa_memory_ordered 1
		.amdhsa_forward_progress 0
		.amdhsa_shared_vgpr_count 0
		.amdhsa_exception_fp_ieee_invalid_op 0
		.amdhsa_exception_fp_denorm_src 0
		.amdhsa_exception_fp_ieee_div_zero 0
		.amdhsa_exception_fp_ieee_overflow 0
		.amdhsa_exception_fp_ieee_underflow 0
		.amdhsa_exception_fp_ieee_inexact 0
		.amdhsa_exception_int_div_zero 0
	.end_amdhsa_kernel
	.section	.text._ZN12_GLOBAL__N_121softmax_warp_backwardIN3c108BFloat16ES2_fLi9ELb0ELb0ELi64EEEvPT0_PKT_S7_iiiPKb,"axG",@progbits,_ZN12_GLOBAL__N_121softmax_warp_backwardIN3c108BFloat16ES2_fLi9ELb0ELb0ELi64EEEvPT0_PKT_S7_iiiPKb,comdat
.Lfunc_end636:
	.size	_ZN12_GLOBAL__N_121softmax_warp_backwardIN3c108BFloat16ES2_fLi9ELb0ELb0ELi64EEEvPT0_PKT_S7_iiiPKb, .Lfunc_end636-_ZN12_GLOBAL__N_121softmax_warp_backwardIN3c108BFloat16ES2_fLi9ELb0ELb0ELi64EEEvPT0_PKT_S7_iiiPKb
                                        ; -- End function
	.section	.AMDGPU.csdata,"",@progbits
; Kernel info:
; codeLenInByte = 1816
; NumSgprs: 18
; NumVgprs: 23
; ScratchSize: 0
; MemoryBound: 0
; FloatMode: 240
; IeeeMode: 1
; LDSByteSize: 0 bytes/workgroup (compile time only)
; SGPRBlocks: 2
; VGPRBlocks: 2
; NumSGPRsForWavesPerEU: 18
; NumVGPRsForWavesPerEU: 23
; Occupancy: 16
; WaveLimiterHint : 0
; COMPUTE_PGM_RSRC2:SCRATCH_EN: 0
; COMPUTE_PGM_RSRC2:USER_SGPR: 15
; COMPUTE_PGM_RSRC2:TRAP_HANDLER: 0
; COMPUTE_PGM_RSRC2:TGID_X_EN: 1
; COMPUTE_PGM_RSRC2:TGID_Y_EN: 0
; COMPUTE_PGM_RSRC2:TGID_Z_EN: 0
; COMPUTE_PGM_RSRC2:TIDIG_COMP_CNT: 1
	.section	.text._ZN12_GLOBAL__N_121softmax_warp_backwardIN3c108BFloat16ES2_fLi9ELb0ELb0ELi32EEEvPT0_PKT_S7_iiiPKb,"axG",@progbits,_ZN12_GLOBAL__N_121softmax_warp_backwardIN3c108BFloat16ES2_fLi9ELb0ELb0ELi32EEEvPT0_PKT_S7_iiiPKb,comdat
	.globl	_ZN12_GLOBAL__N_121softmax_warp_backwardIN3c108BFloat16ES2_fLi9ELb0ELb0ELi32EEEvPT0_PKT_S7_iiiPKb ; -- Begin function _ZN12_GLOBAL__N_121softmax_warp_backwardIN3c108BFloat16ES2_fLi9ELb0ELb0ELi32EEEvPT0_PKT_S7_iiiPKb
	.p2align	8
	.type	_ZN12_GLOBAL__N_121softmax_warp_backwardIN3c108BFloat16ES2_fLi9ELb0ELb0ELi32EEEvPT0_PKT_S7_iiiPKb,@function
_ZN12_GLOBAL__N_121softmax_warp_backwardIN3c108BFloat16ES2_fLi9ELb0ELb0ELi32EEEvPT0_PKT_S7_iiiPKb: ; @_ZN12_GLOBAL__N_121softmax_warp_backwardIN3c108BFloat16ES2_fLi9ELb0ELb0ELi32EEEvPT0_PKT_S7_iiiPKb
; %bb.0:
	s_clause 0x1
	s_load_b32 s2, s[0:1], 0x3c
	s_load_b128 s[20:23], s[0:1], 0x18
	v_bfe_u32 v1, v0, 10, 10
	s_load_b128 s[16:19], s[0:1], 0x0
	v_mov_b32_e32 v9, 0
	v_mov_b32_e32 v11, 0
	;; [unrolled: 1-line block ×3, first 2 shown]
	s_waitcnt lgkmcnt(0)
	s_lshr_b32 s2, s2, 16
	s_delay_alu instid0(SALU_CYCLE_1) | instskip(SKIP_2) | instid1(VALU_DEP_1)
	v_mad_u64_u32 v[3:4], null, s15, s2, v[1:2]
	s_load_b64 s[2:3], s[0:1], 0x10
	v_and_b32_e32 v2, 31, v0
	v_cmp_gt_i32_e32 vcc_lo, s22, v2
	s_delay_alu instid0(VALU_DEP_3) | instskip(SKIP_1) | instid1(VALU_DEP_1)
	v_mad_u64_u32 v[0:1], null, v3, s21, v[2:3]
	v_sub_nc_u32_e32 v8, s20, v3
	v_cmp_lt_i32_e64 s9, 0, v8
	s_delay_alu instid0(VALU_DEP_3) | instskip(NEXT) | instid1(VALU_DEP_2)
	v_ashrrev_i32_e32 v1, 31, v0
	s_and_b32 s1, s9, vcc_lo
	s_delay_alu instid0(VALU_DEP_1) | instskip(NEXT) | instid1(VALU_DEP_1)
	v_lshlrev_b64 v[0:1], 1, v[0:1]
	v_add_co_u32 v3, s0, s18, v0
	s_delay_alu instid0(VALU_DEP_1) | instskip(SKIP_2) | instid1(VALU_DEP_1)
	v_add_co_ci_u32_e64 v4, s0, s19, v1, s0
	s_waitcnt lgkmcnt(0)
	v_add_co_u32 v5, s0, s2, v0
	v_add_co_ci_u32_e64 v6, s0, s3, v1, s0
	s_and_saveexec_b32 s0, s1
	s_cbranch_execz .LBB637_2
; %bb.1:
	global_load_u16 v9, v[3:4], off
	global_load_u16 v10, v[5:6], off
	s_waitcnt vmcnt(1)
	v_lshlrev_b32_e32 v9, 16, v9
	s_waitcnt vmcnt(0)
	v_lshlrev_b32_e32 v11, 16, v10
.LBB637_2:
	s_or_b32 exec_lo, exec_lo, s0
	v_or_b32_e32 v10, 32, v2
	v_mov_b32_e32 v12, 0
	s_delay_alu instid0(VALU_DEP_2) | instskip(NEXT) | instid1(VALU_DEP_1)
	v_cmp_gt_i32_e64 s0, s22, v10
	s_and_b32 s2, s9, s0
	s_delay_alu instid0(SALU_CYCLE_1)
	s_and_saveexec_b32 s1, s2
	s_cbranch_execz .LBB637_4
; %bb.3:
	global_load_u16 v7, v[3:4], off offset:64
	global_load_u16 v10, v[5:6], off offset:64
	s_waitcnt vmcnt(1)
	v_lshlrev_b32_e32 v7, 16, v7
	s_waitcnt vmcnt(0)
	v_lshlrev_b32_e32 v12, 16, v10
.LBB637_4:
	s_or_b32 exec_lo, exec_lo, s1
	v_or_b32_e32 v10, 64, v2
	v_mov_b32_e32 v15, 0
	v_mov_b32_e32 v13, 0
	s_delay_alu instid0(VALU_DEP_3) | instskip(SKIP_1) | instid1(VALU_DEP_2)
	v_cmp_gt_i32_e64 s1, s22, v10
	v_mov_b32_e32 v10, 0
	s_and_b32 s3, s9, s1
	s_delay_alu instid0(SALU_CYCLE_1)
	s_and_saveexec_b32 s2, s3
	s_cbranch_execz .LBB637_6
; %bb.5:
	global_load_u16 v13, v[3:4], off offset:128
	global_load_u16 v14, v[5:6], off offset:128
	s_waitcnt vmcnt(1)
	v_lshlrev_b32_e32 v13, 16, v13
	s_waitcnt vmcnt(0)
	v_lshlrev_b32_e32 v15, 16, v14
.LBB637_6:
	s_or_b32 exec_lo, exec_lo, s2
	v_or_b32_e32 v14, 0x60, v2
	v_mov_b32_e32 v16, 0
	s_delay_alu instid0(VALU_DEP_2) | instskip(NEXT) | instid1(VALU_DEP_1)
	v_cmp_gt_i32_e64 s2, s22, v14
	s_and_b32 s4, s9, s2
	s_delay_alu instid0(SALU_CYCLE_1)
	s_and_saveexec_b32 s3, s4
	s_cbranch_execz .LBB637_8
; %bb.7:
	global_load_u16 v10, v[3:4], off offset:192
	global_load_u16 v14, v[5:6], off offset:192
	s_waitcnt vmcnt(1)
	v_lshlrev_b32_e32 v10, 16, v10
	s_waitcnt vmcnt(0)
	v_lshlrev_b32_e32 v16, 16, v14
.LBB637_8:
	s_or_b32 exec_lo, exec_lo, s3
	v_or_b32_e32 v14, 0x80, v2
	v_mov_b32_e32 v19, 0
	v_mov_b32_e32 v17, 0
	s_delay_alu instid0(VALU_DEP_3) | instskip(SKIP_1) | instid1(VALU_DEP_2)
	v_cmp_gt_i32_e64 s3, s22, v14
	v_mov_b32_e32 v14, 0
	s_and_b32 s5, s9, s3
	s_delay_alu instid0(SALU_CYCLE_1)
	s_and_saveexec_b32 s4, s5
	s_cbranch_execz .LBB637_10
; %bb.9:
	global_load_u16 v17, v[3:4], off offset:256
	global_load_u16 v18, v[5:6], off offset:256
	s_waitcnt vmcnt(1)
	v_lshlrev_b32_e32 v17, 16, v17
	s_waitcnt vmcnt(0)
	v_lshlrev_b32_e32 v19, 16, v18
.LBB637_10:
	;; [unrolled: 36-line block ×6, first 2 shown]
	s_or_b32 exec_lo, exec_lo, s13
	v_or_b32_e32 v34, 0x1a0, v2
	v_mov_b32_e32 v36, 0
	s_delay_alu instid0(VALU_DEP_2) | instskip(NEXT) | instid1(VALU_DEP_1)
	v_cmp_gt_i32_e64 s13, s22, v34
	s_and_b32 s15, s9, s13
	s_delay_alu instid0(SALU_CYCLE_1)
	s_and_saveexec_b32 s14, s15
	s_cbranch_execz .LBB637_28
; %bb.27:
	global_load_u16 v30, v[3:4], off offset:832
	global_load_u16 v34, v[5:6], off offset:832
	s_waitcnt vmcnt(1)
	v_lshlrev_b32_e32 v30, 16, v30
	s_waitcnt vmcnt(0)
	v_lshlrev_b32_e32 v36, 16, v34
.LBB637_28:
	s_or_b32 exec_lo, exec_lo, s14
	v_or_b32_e32 v34, 0x1c0, v2
	v_dual_mov_b32 v38, 0 :: v_dual_mov_b32 v37, 0
	s_delay_alu instid0(VALU_DEP_2) | instskip(SKIP_1) | instid1(VALU_DEP_2)
	v_cmp_gt_i32_e64 s14, s22, v34
	v_mov_b32_e32 v34, 0
	s_and_b32 s18, s9, s14
	s_delay_alu instid0(SALU_CYCLE_1)
	s_and_saveexec_b32 s15, s18
	s_cbranch_execz .LBB637_30
; %bb.29:
	global_load_u16 v37, v[3:4], off offset:896
	global_load_u16 v38, v[5:6], off offset:896
	s_waitcnt vmcnt(1)
	v_lshlrev_b32_e32 v37, 16, v37
	s_waitcnt vmcnt(0)
	v_lshlrev_b32_e32 v38, 16, v38
.LBB637_30:
	s_or_b32 exec_lo, exec_lo, s15
	v_or_b32_e32 v2, 0x1e0, v2
	s_delay_alu instid0(VALU_DEP_1) | instskip(SKIP_1) | instid1(VALU_DEP_2)
	v_cmp_gt_i32_e64 s15, s22, v2
	v_mov_b32_e32 v2, 0
	s_and_b32 s18, s9, s15
	s_delay_alu instid0(SALU_CYCLE_1)
	s_and_saveexec_b32 s9, s18
	s_cbranch_execz .LBB637_32
; %bb.31:
	global_load_u16 v2, v[3:4], off offset:960
	global_load_u16 v3, v[5:6], off offset:960
	s_waitcnt vmcnt(1)
	v_lshlrev_b32_e32 v34, 16, v2
	s_waitcnt vmcnt(0)
	v_lshlrev_b32_e32 v2, 16, v3
.LBB637_32:
	s_or_b32 exec_lo, exec_lo, s9
	v_mbcnt_lo_u32_b32 v4, -1, 0
	s_mov_b32 s18, exec_lo
	s_delay_alu instid0(VALU_DEP_1) | instskip(SKIP_1) | instid1(VALU_DEP_2)
	v_xor_b32_e32 v5, 16, v4
	v_xor_b32_e32 v6, 8, v4
	v_cmp_gt_i32_e64 s9, 32, v5
	s_delay_alu instid0(VALU_DEP_1) | instskip(NEXT) | instid1(VALU_DEP_3)
	v_cndmask_b32_e64 v5, v4, v5, s9
	v_cmp_gt_i32_e64 s9, 32, v6
	s_delay_alu instid0(VALU_DEP_2) | instskip(NEXT) | instid1(VALU_DEP_2)
	v_lshlrev_b32_e32 v5, 2, v5
	v_cndmask_b32_e64 v6, v4, v6, s9
	s_delay_alu instid0(VALU_DEP_1) | instskip(NEXT) | instid1(VALU_DEP_1)
	v_dual_add_f32 v3, 0, v9 :: v_dual_lshlrev_b32 v6, 2, v6
	v_add_f32_e32 v3, v3, v7
	s_delay_alu instid0(VALU_DEP_1) | instskip(NEXT) | instid1(VALU_DEP_1)
	v_add_f32_e32 v3, v3, v13
	v_add_f32_e32 v3, v3, v10
	s_delay_alu instid0(VALU_DEP_1) | instskip(NEXT) | instid1(VALU_DEP_1)
	v_add_f32_e32 v3, v3, v17
	;; [unrolled: 3-line block ×7, first 2 shown]
	v_add_f32_e32 v3, v3, v34
	ds_bpermute_b32 v5, v5, v3
	s_waitcnt lgkmcnt(0)
	v_add_f32_e32 v3, v3, v5
	ds_bpermute_b32 v5, v6, v3
	v_xor_b32_e32 v6, 4, v4
	s_delay_alu instid0(VALU_DEP_1) | instskip(NEXT) | instid1(VALU_DEP_1)
	v_cmp_gt_i32_e64 s9, 32, v6
	v_cndmask_b32_e64 v6, v4, v6, s9
	s_waitcnt lgkmcnt(0)
	s_delay_alu instid0(VALU_DEP_1) | instskip(SKIP_2) | instid1(VALU_DEP_1)
	v_dual_add_f32 v3, v3, v5 :: v_dual_lshlrev_b32 v6, 2, v6
	ds_bpermute_b32 v5, v6, v3
	v_xor_b32_e32 v6, 2, v4
	v_cmp_gt_i32_e64 s9, 32, v6
	s_delay_alu instid0(VALU_DEP_1) | instskip(SKIP_1) | instid1(VALU_DEP_1)
	v_cndmask_b32_e64 v6, v4, v6, s9
	s_waitcnt lgkmcnt(0)
	v_dual_add_f32 v3, v3, v5 :: v_dual_lshlrev_b32 v6, 2, v6
	ds_bpermute_b32 v5, v6, v3
	v_xor_b32_e32 v6, 1, v4
	s_delay_alu instid0(VALU_DEP_1) | instskip(NEXT) | instid1(VALU_DEP_1)
	v_cmp_gt_i32_e64 s9, 32, v6
	v_cndmask_b32_e64 v4, v4, v6, s9
	s_waitcnt lgkmcnt(0)
	s_delay_alu instid0(VALU_DEP_1)
	v_dual_add_f32 v3, v3, v5 :: v_dual_lshlrev_b32 v4, 2, v4
	ds_bpermute_b32 v4, v4, v3
	v_cmpx_lt_i32_e32 0, v8
	s_cbranch_execz .LBB637_50
; %bb.33:
	v_add_co_u32 v0, s9, s16, v0
	s_delay_alu instid0(VALU_DEP_1)
	v_add_co_ci_u32_e64 v1, s9, s17, v1, s9
	s_waitcnt lgkmcnt(0)
	v_add_f32_e32 v3, v3, v4
	s_and_saveexec_b32 s9, vcc_lo
	s_cbranch_execnz .LBB637_51
; %bb.34:
	s_or_b32 exec_lo, exec_lo, s9
	s_and_saveexec_b32 s9, s0
	s_cbranch_execnz .LBB637_52
.LBB637_35:
	s_or_b32 exec_lo, exec_lo, s9
	s_and_saveexec_b32 s0, s1
	s_cbranch_execnz .LBB637_53
.LBB637_36:
	s_or_b32 exec_lo, exec_lo, s0
	s_and_saveexec_b32 s0, s2
	s_cbranch_execnz .LBB637_54
.LBB637_37:
	s_or_b32 exec_lo, exec_lo, s0
	s_and_saveexec_b32 s0, s3
	s_cbranch_execnz .LBB637_55
.LBB637_38:
	s_or_b32 exec_lo, exec_lo, s0
	s_and_saveexec_b32 s0, s4
	s_cbranch_execnz .LBB637_56
.LBB637_39:
	s_or_b32 exec_lo, exec_lo, s0
	s_and_saveexec_b32 s0, s5
	s_cbranch_execnz .LBB637_57
.LBB637_40:
	s_or_b32 exec_lo, exec_lo, s0
	s_and_saveexec_b32 s0, s6
	s_cbranch_execnz .LBB637_58
.LBB637_41:
	s_or_b32 exec_lo, exec_lo, s0
	s_and_saveexec_b32 s0, s7
	s_cbranch_execnz .LBB637_59
.LBB637_42:
	s_or_b32 exec_lo, exec_lo, s0
	s_and_saveexec_b32 s0, s8
	s_cbranch_execnz .LBB637_60
.LBB637_43:
	s_or_b32 exec_lo, exec_lo, s0
	s_and_saveexec_b32 s0, s10
	s_cbranch_execnz .LBB637_61
.LBB637_44:
	s_or_b32 exec_lo, exec_lo, s0
	s_and_saveexec_b32 s0, s11
	s_cbranch_execnz .LBB637_62
.LBB637_45:
	s_or_b32 exec_lo, exec_lo, s0
	s_and_saveexec_b32 s0, s12
	s_cbranch_execnz .LBB637_63
.LBB637_46:
	s_or_b32 exec_lo, exec_lo, s0
	s_and_saveexec_b32 s0, s13
	s_cbranch_execnz .LBB637_64
.LBB637_47:
	s_or_b32 exec_lo, exec_lo, s0
	s_and_saveexec_b32 s0, s14
	s_cbranch_execnz .LBB637_65
.LBB637_48:
	s_or_b32 exec_lo, exec_lo, s0
	s_delay_alu instid0(SALU_CYCLE_1)
	s_and_b32 exec_lo, exec_lo, s15
	s_cbranch_execz .LBB637_50
.LBB637_49:
	v_fma_f32 v2, -v3, v2, v34
	s_delay_alu instid0(VALU_DEP_1) | instskip(SKIP_1) | instid1(VALU_DEP_2)
	v_bfe_u32 v3, v2, 16, 1
	v_cmp_o_f32_e32 vcc_lo, v2, v2
	v_add3_u32 v3, v2, v3, 0x7fff
	s_delay_alu instid0(VALU_DEP_1) | instskip(NEXT) | instid1(VALU_DEP_1)
	v_lshrrev_b32_e32 v3, 16, v3
	v_cndmask_b32_e32 v2, 0x7fc0, v3, vcc_lo
	global_store_b16 v[0:1], v2, off offset:960
.LBB637_50:
	s_nop 0
	s_sendmsg sendmsg(MSG_DEALLOC_VGPRS)
	s_endpgm
.LBB637_51:
	s_delay_alu instid0(VALU_DEP_1) | instskip(NEXT) | instid1(VALU_DEP_1)
	v_fma_f32 v4, -v3, v11, v9
	v_bfe_u32 v5, v4, 16, 1
	v_cmp_o_f32_e32 vcc_lo, v4, v4
	s_delay_alu instid0(VALU_DEP_2) | instskip(NEXT) | instid1(VALU_DEP_1)
	v_add3_u32 v5, v4, v5, 0x7fff
	v_lshrrev_b32_e32 v5, 16, v5
	s_delay_alu instid0(VALU_DEP_1)
	v_cndmask_b32_e32 v4, 0x7fc0, v5, vcc_lo
	global_store_b16 v[0:1], v4, off
	s_or_b32 exec_lo, exec_lo, s9
	s_and_saveexec_b32 s9, s0
	s_cbranch_execz .LBB637_35
.LBB637_52:
	v_fma_f32 v4, -v3, v12, v7
	s_delay_alu instid0(VALU_DEP_1) | instskip(SKIP_1) | instid1(VALU_DEP_2)
	v_bfe_u32 v5, v4, 16, 1
	v_cmp_o_f32_e32 vcc_lo, v4, v4
	v_add3_u32 v5, v4, v5, 0x7fff
	s_delay_alu instid0(VALU_DEP_1) | instskip(NEXT) | instid1(VALU_DEP_1)
	v_lshrrev_b32_e32 v5, 16, v5
	v_cndmask_b32_e32 v4, 0x7fc0, v5, vcc_lo
	global_store_b16 v[0:1], v4, off offset:64
	s_or_b32 exec_lo, exec_lo, s9
	s_and_saveexec_b32 s0, s1
	s_cbranch_execz .LBB637_36
.LBB637_53:
	v_fma_f32 v4, -v3, v15, v13
	s_delay_alu instid0(VALU_DEP_1) | instskip(SKIP_1) | instid1(VALU_DEP_2)
	v_bfe_u32 v5, v4, 16, 1
	v_cmp_o_f32_e32 vcc_lo, v4, v4
	v_add3_u32 v5, v4, v5, 0x7fff
	s_delay_alu instid0(VALU_DEP_1) | instskip(NEXT) | instid1(VALU_DEP_1)
	v_lshrrev_b32_e32 v5, 16, v5
	v_cndmask_b32_e32 v4, 0x7fc0, v5, vcc_lo
	global_store_b16 v[0:1], v4, off offset:128
	s_or_b32 exec_lo, exec_lo, s0
	s_and_saveexec_b32 s0, s2
	s_cbranch_execz .LBB637_37
.LBB637_54:
	v_fma_f32 v4, -v3, v16, v10
	s_delay_alu instid0(VALU_DEP_1) | instskip(SKIP_1) | instid1(VALU_DEP_2)
	v_bfe_u32 v5, v4, 16, 1
	v_cmp_o_f32_e32 vcc_lo, v4, v4
	v_add3_u32 v5, v4, v5, 0x7fff
	s_delay_alu instid0(VALU_DEP_1) | instskip(NEXT) | instid1(VALU_DEP_1)
	v_lshrrev_b32_e32 v5, 16, v5
	v_cndmask_b32_e32 v4, 0x7fc0, v5, vcc_lo
	global_store_b16 v[0:1], v4, off offset:192
	s_or_b32 exec_lo, exec_lo, s0
	s_and_saveexec_b32 s0, s3
	s_cbranch_execz .LBB637_38
.LBB637_55:
	v_fma_f32 v4, -v3, v19, v17
	s_delay_alu instid0(VALU_DEP_1) | instskip(SKIP_1) | instid1(VALU_DEP_2)
	v_bfe_u32 v5, v4, 16, 1
	v_cmp_o_f32_e32 vcc_lo, v4, v4
	v_add3_u32 v5, v4, v5, 0x7fff
	s_delay_alu instid0(VALU_DEP_1) | instskip(NEXT) | instid1(VALU_DEP_1)
	v_lshrrev_b32_e32 v5, 16, v5
	v_cndmask_b32_e32 v4, 0x7fc0, v5, vcc_lo
	global_store_b16 v[0:1], v4, off offset:256
	s_or_b32 exec_lo, exec_lo, s0
	s_and_saveexec_b32 s0, s4
	s_cbranch_execz .LBB637_39
.LBB637_56:
	v_fma_f32 v4, -v3, v20, v14
	s_delay_alu instid0(VALU_DEP_1) | instskip(SKIP_1) | instid1(VALU_DEP_2)
	v_bfe_u32 v5, v4, 16, 1
	v_cmp_o_f32_e32 vcc_lo, v4, v4
	v_add3_u32 v5, v4, v5, 0x7fff
	s_delay_alu instid0(VALU_DEP_1) | instskip(NEXT) | instid1(VALU_DEP_1)
	v_lshrrev_b32_e32 v5, 16, v5
	v_cndmask_b32_e32 v4, 0x7fc0, v5, vcc_lo
	global_store_b16 v[0:1], v4, off offset:320
	s_or_b32 exec_lo, exec_lo, s0
	s_and_saveexec_b32 s0, s5
	s_cbranch_execz .LBB637_40
.LBB637_57:
	v_fma_f32 v4, -v3, v23, v21
	s_delay_alu instid0(VALU_DEP_1) | instskip(SKIP_1) | instid1(VALU_DEP_2)
	v_bfe_u32 v5, v4, 16, 1
	v_cmp_o_f32_e32 vcc_lo, v4, v4
	v_add3_u32 v5, v4, v5, 0x7fff
	s_delay_alu instid0(VALU_DEP_1) | instskip(NEXT) | instid1(VALU_DEP_1)
	v_lshrrev_b32_e32 v5, 16, v5
	v_cndmask_b32_e32 v4, 0x7fc0, v5, vcc_lo
	global_store_b16 v[0:1], v4, off offset:384
	s_or_b32 exec_lo, exec_lo, s0
	s_and_saveexec_b32 s0, s6
	s_cbranch_execz .LBB637_41
.LBB637_58:
	v_fma_f32 v4, -v3, v24, v18
	s_delay_alu instid0(VALU_DEP_1) | instskip(SKIP_1) | instid1(VALU_DEP_2)
	v_bfe_u32 v5, v4, 16, 1
	v_cmp_o_f32_e32 vcc_lo, v4, v4
	v_add3_u32 v5, v4, v5, 0x7fff
	s_delay_alu instid0(VALU_DEP_1) | instskip(NEXT) | instid1(VALU_DEP_1)
	v_lshrrev_b32_e32 v5, 16, v5
	v_cndmask_b32_e32 v4, 0x7fc0, v5, vcc_lo
	global_store_b16 v[0:1], v4, off offset:448
	s_or_b32 exec_lo, exec_lo, s0
	s_and_saveexec_b32 s0, s7
	s_cbranch_execz .LBB637_42
.LBB637_59:
	v_fma_f32 v4, -v3, v27, v25
	s_delay_alu instid0(VALU_DEP_1) | instskip(SKIP_1) | instid1(VALU_DEP_2)
	v_bfe_u32 v5, v4, 16, 1
	v_cmp_o_f32_e32 vcc_lo, v4, v4
	v_add3_u32 v5, v4, v5, 0x7fff
	s_delay_alu instid0(VALU_DEP_1) | instskip(NEXT) | instid1(VALU_DEP_1)
	v_lshrrev_b32_e32 v5, 16, v5
	v_cndmask_b32_e32 v4, 0x7fc0, v5, vcc_lo
	global_store_b16 v[0:1], v4, off offset:512
	s_or_b32 exec_lo, exec_lo, s0
	s_and_saveexec_b32 s0, s8
	s_cbranch_execz .LBB637_43
.LBB637_60:
	v_fma_f32 v4, -v3, v28, v22
	s_delay_alu instid0(VALU_DEP_1) | instskip(SKIP_1) | instid1(VALU_DEP_2)
	v_bfe_u32 v5, v4, 16, 1
	v_cmp_o_f32_e32 vcc_lo, v4, v4
	v_add3_u32 v5, v4, v5, 0x7fff
	s_delay_alu instid0(VALU_DEP_1) | instskip(NEXT) | instid1(VALU_DEP_1)
	v_lshrrev_b32_e32 v5, 16, v5
	v_cndmask_b32_e32 v4, 0x7fc0, v5, vcc_lo
	global_store_b16 v[0:1], v4, off offset:576
	s_or_b32 exec_lo, exec_lo, s0
	s_and_saveexec_b32 s0, s10
	s_cbranch_execz .LBB637_44
.LBB637_61:
	v_fma_f32 v4, -v3, v31, v29
	s_delay_alu instid0(VALU_DEP_1) | instskip(SKIP_1) | instid1(VALU_DEP_2)
	v_bfe_u32 v5, v4, 16, 1
	v_cmp_o_f32_e32 vcc_lo, v4, v4
	v_add3_u32 v5, v4, v5, 0x7fff
	s_delay_alu instid0(VALU_DEP_1) | instskip(NEXT) | instid1(VALU_DEP_1)
	v_lshrrev_b32_e32 v5, 16, v5
	v_cndmask_b32_e32 v4, 0x7fc0, v5, vcc_lo
	global_store_b16 v[0:1], v4, off offset:640
	s_or_b32 exec_lo, exec_lo, s0
	s_and_saveexec_b32 s0, s11
	s_cbranch_execz .LBB637_45
.LBB637_62:
	v_fma_f32 v4, -v3, v32, v26
	s_delay_alu instid0(VALU_DEP_1) | instskip(SKIP_1) | instid1(VALU_DEP_2)
	v_bfe_u32 v5, v4, 16, 1
	v_cmp_o_f32_e32 vcc_lo, v4, v4
	v_add3_u32 v5, v4, v5, 0x7fff
	s_delay_alu instid0(VALU_DEP_1) | instskip(NEXT) | instid1(VALU_DEP_1)
	v_lshrrev_b32_e32 v5, 16, v5
	v_cndmask_b32_e32 v4, 0x7fc0, v5, vcc_lo
	global_store_b16 v[0:1], v4, off offset:704
	s_or_b32 exec_lo, exec_lo, s0
	s_and_saveexec_b32 s0, s12
	s_cbranch_execz .LBB637_46
.LBB637_63:
	v_fma_f32 v4, -v3, v35, v33
	s_delay_alu instid0(VALU_DEP_1) | instskip(SKIP_1) | instid1(VALU_DEP_2)
	v_bfe_u32 v5, v4, 16, 1
	v_cmp_o_f32_e32 vcc_lo, v4, v4
	v_add3_u32 v5, v4, v5, 0x7fff
	s_delay_alu instid0(VALU_DEP_1) | instskip(NEXT) | instid1(VALU_DEP_1)
	v_lshrrev_b32_e32 v5, 16, v5
	v_cndmask_b32_e32 v4, 0x7fc0, v5, vcc_lo
	global_store_b16 v[0:1], v4, off offset:768
	s_or_b32 exec_lo, exec_lo, s0
	s_and_saveexec_b32 s0, s13
	s_cbranch_execz .LBB637_47
.LBB637_64:
	v_fma_f32 v4, -v3, v36, v30
	s_delay_alu instid0(VALU_DEP_1) | instskip(SKIP_1) | instid1(VALU_DEP_2)
	v_bfe_u32 v5, v4, 16, 1
	v_cmp_o_f32_e32 vcc_lo, v4, v4
	v_add3_u32 v5, v4, v5, 0x7fff
	s_delay_alu instid0(VALU_DEP_1) | instskip(NEXT) | instid1(VALU_DEP_1)
	v_lshrrev_b32_e32 v5, 16, v5
	v_cndmask_b32_e32 v4, 0x7fc0, v5, vcc_lo
	global_store_b16 v[0:1], v4, off offset:832
	s_or_b32 exec_lo, exec_lo, s0
	s_and_saveexec_b32 s0, s14
	s_cbranch_execz .LBB637_48
.LBB637_65:
	v_fma_f32 v4, -v3, v38, v37
	s_delay_alu instid0(VALU_DEP_1) | instskip(SKIP_1) | instid1(VALU_DEP_2)
	v_bfe_u32 v5, v4, 16, 1
	v_cmp_o_f32_e32 vcc_lo, v4, v4
	v_add3_u32 v5, v4, v5, 0x7fff
	s_delay_alu instid0(VALU_DEP_1) | instskip(NEXT) | instid1(VALU_DEP_1)
	v_lshrrev_b32_e32 v5, 16, v5
	v_cndmask_b32_e32 v4, 0x7fc0, v5, vcc_lo
	global_store_b16 v[0:1], v4, off offset:896
	s_or_b32 exec_lo, exec_lo, s0
	s_delay_alu instid0(SALU_CYCLE_1)
	s_and_b32 exec_lo, exec_lo, s15
	s_cbranch_execnz .LBB637_49
	s_branch .LBB637_50
	.section	.rodata,"a",@progbits
	.p2align	6, 0x0
	.amdhsa_kernel _ZN12_GLOBAL__N_121softmax_warp_backwardIN3c108BFloat16ES2_fLi9ELb0ELb0ELi32EEEvPT0_PKT_S7_iiiPKb
		.amdhsa_group_segment_fixed_size 0
		.amdhsa_private_segment_fixed_size 0
		.amdhsa_kernarg_size 304
		.amdhsa_user_sgpr_count 15
		.amdhsa_user_sgpr_dispatch_ptr 0
		.amdhsa_user_sgpr_queue_ptr 0
		.amdhsa_user_sgpr_kernarg_segment_ptr 1
		.amdhsa_user_sgpr_dispatch_id 0
		.amdhsa_user_sgpr_private_segment_size 0
		.amdhsa_wavefront_size32 1
		.amdhsa_uses_dynamic_stack 0
		.amdhsa_enable_private_segment 0
		.amdhsa_system_sgpr_workgroup_id_x 1
		.amdhsa_system_sgpr_workgroup_id_y 0
		.amdhsa_system_sgpr_workgroup_id_z 0
		.amdhsa_system_sgpr_workgroup_info 0
		.amdhsa_system_vgpr_workitem_id 1
		.amdhsa_next_free_vgpr 39
		.amdhsa_next_free_sgpr 24
		.amdhsa_reserve_vcc 1
		.amdhsa_float_round_mode_32 0
		.amdhsa_float_round_mode_16_64 0
		.amdhsa_float_denorm_mode_32 3
		.amdhsa_float_denorm_mode_16_64 3
		.amdhsa_dx10_clamp 1
		.amdhsa_ieee_mode 1
		.amdhsa_fp16_overflow 0
		.amdhsa_workgroup_processor_mode 1
		.amdhsa_memory_ordered 1
		.amdhsa_forward_progress 0
		.amdhsa_shared_vgpr_count 0
		.amdhsa_exception_fp_ieee_invalid_op 0
		.amdhsa_exception_fp_denorm_src 0
		.amdhsa_exception_fp_ieee_div_zero 0
		.amdhsa_exception_fp_ieee_overflow 0
		.amdhsa_exception_fp_ieee_underflow 0
		.amdhsa_exception_fp_ieee_inexact 0
		.amdhsa_exception_int_div_zero 0
	.end_amdhsa_kernel
	.section	.text._ZN12_GLOBAL__N_121softmax_warp_backwardIN3c108BFloat16ES2_fLi9ELb0ELb0ELi32EEEvPT0_PKT_S7_iiiPKb,"axG",@progbits,_ZN12_GLOBAL__N_121softmax_warp_backwardIN3c108BFloat16ES2_fLi9ELb0ELb0ELi32EEEvPT0_PKT_S7_iiiPKb,comdat
.Lfunc_end637:
	.size	_ZN12_GLOBAL__N_121softmax_warp_backwardIN3c108BFloat16ES2_fLi9ELb0ELb0ELi32EEEvPT0_PKT_S7_iiiPKb, .Lfunc_end637-_ZN12_GLOBAL__N_121softmax_warp_backwardIN3c108BFloat16ES2_fLi9ELb0ELb0ELi32EEEvPT0_PKT_S7_iiiPKb
                                        ; -- End function
	.section	.AMDGPU.csdata,"",@progbits
; Kernel info:
; codeLenInByte = 3128
; NumSgprs: 26
; NumVgprs: 39
; ScratchSize: 0
; MemoryBound: 0
; FloatMode: 240
; IeeeMode: 1
; LDSByteSize: 0 bytes/workgroup (compile time only)
; SGPRBlocks: 3
; VGPRBlocks: 4
; NumSGPRsForWavesPerEU: 26
; NumVGPRsForWavesPerEU: 39
; Occupancy: 16
; WaveLimiterHint : 0
; COMPUTE_PGM_RSRC2:SCRATCH_EN: 0
; COMPUTE_PGM_RSRC2:USER_SGPR: 15
; COMPUTE_PGM_RSRC2:TRAP_HANDLER: 0
; COMPUTE_PGM_RSRC2:TGID_X_EN: 1
; COMPUTE_PGM_RSRC2:TGID_Y_EN: 0
; COMPUTE_PGM_RSRC2:TGID_Z_EN: 0
; COMPUTE_PGM_RSRC2:TIDIG_COMP_CNT: 1
	.section	.text._ZN12_GLOBAL__N_121softmax_warp_backwardIN3c108BFloat16ES2_fLi10ELb0ELb0ELi64EEEvPT0_PKT_S7_iiiPKb,"axG",@progbits,_ZN12_GLOBAL__N_121softmax_warp_backwardIN3c108BFloat16ES2_fLi10ELb0ELb0ELi64EEEvPT0_PKT_S7_iiiPKb,comdat
	.globl	_ZN12_GLOBAL__N_121softmax_warp_backwardIN3c108BFloat16ES2_fLi10ELb0ELb0ELi64EEEvPT0_PKT_S7_iiiPKb ; -- Begin function _ZN12_GLOBAL__N_121softmax_warp_backwardIN3c108BFloat16ES2_fLi10ELb0ELb0ELi64EEEvPT0_PKT_S7_iiiPKb
	.p2align	8
	.type	_ZN12_GLOBAL__N_121softmax_warp_backwardIN3c108BFloat16ES2_fLi10ELb0ELb0ELi64EEEvPT0_PKT_S7_iiiPKb,@function
_ZN12_GLOBAL__N_121softmax_warp_backwardIN3c108BFloat16ES2_fLi10ELb0ELb0ELi64EEEvPT0_PKT_S7_iiiPKb: ; @_ZN12_GLOBAL__N_121softmax_warp_backwardIN3c108BFloat16ES2_fLi10ELb0ELb0ELi64EEEvPT0_PKT_S7_iiiPKb
; %bb.0:
	s_clause 0x1
	s_load_b32 s2, s[0:1], 0x3c
	s_load_b128 s[20:23], s[0:1], 0x18
	v_bfe_u32 v1, v0, 10, 10
	v_and_b32_e32 v25, 0x3ff, v0
	s_load_b128 s[16:19], s[0:1], 0x0
	v_mov_b32_e32 v9, 0
	s_delay_alu instid0(VALU_DEP_2) | instskip(SKIP_2) | instid1(SALU_CYCLE_1)
	v_dual_mov_b32 v11, 0 :: v_dual_and_b32 v6, 63, v25
	s_waitcnt lgkmcnt(0)
	s_lshr_b32 s2, s2, 16
	v_mad_u64_u32 v[2:3], null, s15, s2, v[1:2]
	s_load_b64 s[2:3], s[0:1], 0x10
	s_delay_alu instid0(VALU_DEP_1) | instskip(SKIP_3) | instid1(VALU_DEP_2)
	v_mad_u64_u32 v[0:1], null, v2, s21, v[6:7]
	v_mov_b32_e32 v7, 0
	v_sub_nc_u32_e32 v8, s20, v2
	v_cmp_gt_i32_e32 vcc_lo, s22, v6
	v_cmp_lt_i32_e64 s10, 0, v8
	v_ashrrev_i32_e32 v1, 31, v0
	s_delay_alu instid0(VALU_DEP_2) | instskip(NEXT) | instid1(VALU_DEP_1)
	s_and_b32 s1, s10, vcc_lo
	v_lshlrev_b64 v[0:1], 1, v[0:1]
	s_delay_alu instid0(VALU_DEP_1) | instskip(NEXT) | instid1(VALU_DEP_1)
	v_add_co_u32 v2, s0, s18, v0
	v_add_co_ci_u32_e64 v3, s0, s19, v1, s0
	s_waitcnt lgkmcnt(0)
	v_add_co_u32 v4, s0, s2, v0
	s_delay_alu instid0(VALU_DEP_1)
	v_add_co_ci_u32_e64 v5, s0, s3, v1, s0
	s_and_saveexec_b32 s0, s1
	s_cbranch_execz .LBB638_2
; %bb.1:
	global_load_u16 v9, v[2:3], off
	global_load_u16 v10, v[4:5], off
	s_waitcnt vmcnt(1)
	v_lshlrev_b32_e32 v9, 16, v9
	s_waitcnt vmcnt(0)
	v_lshlrev_b32_e32 v11, 16, v10
.LBB638_2:
	s_or_b32 exec_lo, exec_lo, s0
	v_or_b32_e32 v10, 64, v6
	v_mov_b32_e32 v12, 0
	s_delay_alu instid0(VALU_DEP_2) | instskip(NEXT) | instid1(VALU_DEP_1)
	v_cmp_gt_i32_e64 s0, s22, v10
	s_and_b32 s2, s10, s0
	s_delay_alu instid0(SALU_CYCLE_1)
	s_and_saveexec_b32 s1, s2
	s_cbranch_execz .LBB638_4
; %bb.3:
	global_load_u16 v7, v[2:3], off offset:128
	global_load_u16 v10, v[4:5], off offset:128
	s_waitcnt vmcnt(1)
	v_lshlrev_b32_e32 v7, 16, v7
	s_waitcnt vmcnt(0)
	v_lshlrev_b32_e32 v12, 16, v10
.LBB638_4:
	s_or_b32 exec_lo, exec_lo, s1
	v_or_b32_e32 v10, 0x80, v6
	v_mov_b32_e32 v15, 0
	v_mov_b32_e32 v13, 0
	s_delay_alu instid0(VALU_DEP_3) | instskip(SKIP_1) | instid1(VALU_DEP_2)
	v_cmp_gt_i32_e64 s1, s22, v10
	v_mov_b32_e32 v10, 0
	s_and_b32 s3, s10, s1
	s_delay_alu instid0(SALU_CYCLE_1)
	s_and_saveexec_b32 s2, s3
	s_cbranch_execz .LBB638_6
; %bb.5:
	global_load_u16 v13, v[2:3], off offset:256
	global_load_u16 v14, v[4:5], off offset:256
	s_waitcnt vmcnt(1)
	v_lshlrev_b32_e32 v13, 16, v13
	s_waitcnt vmcnt(0)
	v_lshlrev_b32_e32 v15, 16, v14
.LBB638_6:
	s_or_b32 exec_lo, exec_lo, s2
	v_or_b32_e32 v14, 0xc0, v6
	v_mov_b32_e32 v16, 0
	s_delay_alu instid0(VALU_DEP_2) | instskip(NEXT) | instid1(VALU_DEP_1)
	v_cmp_gt_i32_e64 s2, s22, v14
	s_and_b32 s4, s10, s2
	s_delay_alu instid0(SALU_CYCLE_1)
	s_and_saveexec_b32 s3, s4
	s_cbranch_execz .LBB638_8
; %bb.7:
	global_load_u16 v10, v[2:3], off offset:384
	global_load_u16 v14, v[4:5], off offset:384
	s_waitcnt vmcnt(1)
	v_lshlrev_b32_e32 v10, 16, v10
	s_waitcnt vmcnt(0)
	v_lshlrev_b32_e32 v16, 16, v14
.LBB638_8:
	s_or_b32 exec_lo, exec_lo, s3
	v_or_b32_e32 v14, 0x100, v6
	v_mov_b32_e32 v19, 0
	v_mov_b32_e32 v17, 0
	s_delay_alu instid0(VALU_DEP_3) | instskip(SKIP_1) | instid1(VALU_DEP_2)
	v_cmp_gt_i32_e64 s3, s22, v14
	v_mov_b32_e32 v14, 0
	s_and_b32 s5, s10, s3
	s_delay_alu instid0(SALU_CYCLE_1)
	s_and_saveexec_b32 s4, s5
	s_cbranch_execz .LBB638_10
; %bb.9:
	global_load_u16 v17, v[2:3], off offset:512
	global_load_u16 v18, v[4:5], off offset:512
	s_waitcnt vmcnt(1)
	v_lshlrev_b32_e32 v17, 16, v17
	s_waitcnt vmcnt(0)
	v_lshlrev_b32_e32 v19, 16, v18
.LBB638_10:
	;; [unrolled: 36-line block ×5, first 2 shown]
	s_or_b32 exec_lo, exec_lo, s11
	v_or_b32_e32 v31, 0x2c0, v6
	v_mov_b32_e32 v33, 0
	s_delay_alu instid0(VALU_DEP_2) | instskip(NEXT) | instid1(VALU_DEP_1)
	v_cmp_gt_i32_e64 s11, s22, v31
	s_and_b32 s13, s10, s11
	s_delay_alu instid0(SALU_CYCLE_1)
	s_and_saveexec_b32 s12, s13
	s_cbranch_execz .LBB638_24
; %bb.23:
	global_load_u16 v27, v[2:3], off offset:1408
	global_load_u16 v31, v[4:5], off offset:1408
	s_waitcnt vmcnt(1)
	v_lshlrev_b32_e32 v27, 16, v27
	s_waitcnt vmcnt(0)
	v_lshlrev_b32_e32 v33, 16, v31
.LBB638_24:
	s_or_b32 exec_lo, exec_lo, s12
	v_or_b32_e32 v31, 0x300, v6
	v_dual_mov_b32 v35, 0 :: v_dual_mov_b32 v34, 0
	s_delay_alu instid0(VALU_DEP_2) | instskip(SKIP_1) | instid1(VALU_DEP_2)
	v_cmp_gt_i32_e64 s12, s22, v31
	v_mov_b32_e32 v31, 0
	s_and_b32 s14, s10, s12
	s_delay_alu instid0(SALU_CYCLE_1)
	s_and_saveexec_b32 s13, s14
	s_cbranch_execz .LBB638_26
; %bb.25:
	global_load_u16 v34, v[2:3], off offset:1536
	global_load_u16 v35, v[4:5], off offset:1536
	s_waitcnt vmcnt(1)
	v_lshlrev_b32_e32 v34, 16, v34
	s_waitcnt vmcnt(0)
	v_lshlrev_b32_e32 v35, 16, v35
.LBB638_26:
	s_or_b32 exec_lo, exec_lo, s13
	v_or_b32_e32 v36, 0x340, v6
	s_delay_alu instid0(VALU_DEP_1) | instskip(SKIP_1) | instid1(VALU_DEP_2)
	v_cmp_gt_i32_e64 s13, s22, v36
	v_mov_b32_e32 v36, 0
	s_and_b32 s15, s10, s13
	s_delay_alu instid0(SALU_CYCLE_1)
	s_and_saveexec_b32 s14, s15
	s_cbranch_execz .LBB638_28
; %bb.27:
	global_load_u16 v31, v[2:3], off offset:1664
	global_load_u16 v36, v[4:5], off offset:1664
	s_waitcnt vmcnt(1)
	v_lshlrev_b32_e32 v31, 16, v31
	s_waitcnt vmcnt(0)
	v_lshlrev_b32_e32 v36, 16, v36
.LBB638_28:
	s_or_b32 exec_lo, exec_lo, s14
	v_or_b32_e32 v6, 0x380, v6
	v_dual_mov_b32 v38, 0 :: v_dual_mov_b32 v37, 0
	s_delay_alu instid0(VALU_DEP_2) | instskip(SKIP_1) | instid1(VALU_DEP_2)
	v_cmp_gt_i32_e64 s14, s22, v6
	v_mov_b32_e32 v6, 0
	s_and_b32 s18, s10, s14
	s_delay_alu instid0(SALU_CYCLE_1)
	s_and_saveexec_b32 s15, s18
	s_cbranch_execz .LBB638_30
; %bb.29:
	global_load_u16 v37, v[2:3], off offset:1792
	global_load_u16 v38, v[4:5], off offset:1792
	s_waitcnt vmcnt(1)
	v_lshlrev_b32_e32 v37, 16, v37
	s_waitcnt vmcnt(0)
	v_lshlrev_b32_e32 v38, 16, v38
.LBB638_30:
	s_or_b32 exec_lo, exec_lo, s15
	v_or_b32_e32 v25, 0x3c0, v25
	s_delay_alu instid0(VALU_DEP_1) | instskip(SKIP_1) | instid1(VALU_DEP_2)
	v_cmp_gt_i32_e64 s15, s22, v25
	v_mov_b32_e32 v25, 0
	s_and_b32 s18, s10, s15
	s_delay_alu instid0(SALU_CYCLE_1)
	s_and_saveexec_b32 s10, s18
	s_cbranch_execz .LBB638_32
; %bb.31:
	global_load_u16 v2, v[2:3], off offset:1920
	global_load_u16 v3, v[4:5], off offset:1920
	s_waitcnt vmcnt(1)
	v_lshlrev_b32_e32 v6, 16, v2
	s_waitcnt vmcnt(0)
	v_lshlrev_b32_e32 v25, 16, v3
.LBB638_32:
	s_or_b32 exec_lo, exec_lo, s10
	v_mbcnt_lo_u32_b32 v3, -1, 0
	v_add_f32_e32 v2, 0, v9
	s_mov_b32 s18, exec_lo
	s_delay_alu instid0(VALU_DEP_2) | instskip(SKIP_1) | instid1(VALU_DEP_2)
	v_or_b32_e32 v4, 32, v3
	v_xor_b32_e32 v5, 16, v3
	v_cmp_gt_i32_e64 s10, 64, v4
	s_delay_alu instid0(VALU_DEP_1) | instskip(NEXT) | instid1(VALU_DEP_3)
	v_cndmask_b32_e64 v4, v3, v4, s10
	v_cmp_gt_i32_e64 s10, 64, v5
	s_delay_alu instid0(VALU_DEP_2) | instskip(NEXT) | instid1(VALU_DEP_2)
	v_lshlrev_b32_e32 v4, 2, v4
	v_cndmask_b32_e64 v5, v3, v5, s10
	s_delay_alu instid0(VALU_DEP_1) | instskip(NEXT) | instid1(VALU_DEP_1)
	v_dual_add_f32 v2, v2, v7 :: v_dual_lshlrev_b32 v5, 2, v5
	v_add_f32_e32 v2, v2, v13
	s_delay_alu instid0(VALU_DEP_1) | instskip(NEXT) | instid1(VALU_DEP_1)
	v_add_f32_e32 v2, v2, v10
	v_add_f32_e32 v2, v2, v17
	s_delay_alu instid0(VALU_DEP_1) | instskip(NEXT) | instid1(VALU_DEP_1)
	v_add_f32_e32 v2, v2, v14
	;; [unrolled: 3-line block ×6, first 2 shown]
	v_add_f32_e32 v2, v2, v37
	s_delay_alu instid0(VALU_DEP_1)
	v_add_f32_e32 v2, v2, v6
	ds_bpermute_b32 v4, v4, v2
	s_waitcnt lgkmcnt(0)
	v_add_f32_e32 v2, v2, v4
	ds_bpermute_b32 v4, v5, v2
	v_xor_b32_e32 v5, 8, v3
	s_delay_alu instid0(VALU_DEP_1) | instskip(NEXT) | instid1(VALU_DEP_1)
	v_cmp_gt_i32_e64 s10, 64, v5
	v_cndmask_b32_e64 v5, v3, v5, s10
	s_waitcnt lgkmcnt(0)
	s_delay_alu instid0(VALU_DEP_1) | instskip(SKIP_2) | instid1(VALU_DEP_1)
	v_dual_add_f32 v2, v2, v4 :: v_dual_lshlrev_b32 v5, 2, v5
	ds_bpermute_b32 v4, v5, v2
	v_xor_b32_e32 v5, 4, v3
	v_cmp_gt_i32_e64 s10, 64, v5
	s_delay_alu instid0(VALU_DEP_1) | instskip(SKIP_1) | instid1(VALU_DEP_1)
	v_cndmask_b32_e64 v5, v3, v5, s10
	s_waitcnt lgkmcnt(0)
	v_dual_add_f32 v2, v2, v4 :: v_dual_lshlrev_b32 v5, 2, v5
	ds_bpermute_b32 v4, v5, v2
	v_xor_b32_e32 v5, 2, v3
	s_delay_alu instid0(VALU_DEP_1) | instskip(NEXT) | instid1(VALU_DEP_1)
	v_cmp_gt_i32_e64 s10, 64, v5
	v_cndmask_b32_e64 v5, v3, v5, s10
	s_waitcnt lgkmcnt(0)
	s_delay_alu instid0(VALU_DEP_1) | instskip(SKIP_2) | instid1(VALU_DEP_1)
	v_dual_add_f32 v2, v2, v4 :: v_dual_lshlrev_b32 v5, 2, v5
	ds_bpermute_b32 v4, v5, v2
	v_xor_b32_e32 v5, 1, v3
	v_cmp_gt_i32_e64 s10, 64, v5
	s_delay_alu instid0(VALU_DEP_1) | instskip(SKIP_1) | instid1(VALU_DEP_1)
	v_cndmask_b32_e64 v3, v3, v5, s10
	s_waitcnt lgkmcnt(0)
	v_dual_add_f32 v2, v2, v4 :: v_dual_lshlrev_b32 v3, 2, v3
	ds_bpermute_b32 v3, v3, v2
	v_cmpx_lt_i32_e32 0, v8
	s_cbranch_execz .LBB638_50
; %bb.33:
	v_add_co_u32 v0, s10, s16, v0
	s_delay_alu instid0(VALU_DEP_1)
	v_add_co_ci_u32_e64 v1, s10, s17, v1, s10
	s_waitcnt lgkmcnt(0)
	v_add_f32_e32 v2, v2, v3
	s_and_saveexec_b32 s10, vcc_lo
	s_cbranch_execnz .LBB638_51
; %bb.34:
	s_or_b32 exec_lo, exec_lo, s10
	s_and_saveexec_b32 s10, s0
	s_cbranch_execnz .LBB638_52
.LBB638_35:
	s_or_b32 exec_lo, exec_lo, s10
	s_and_saveexec_b32 s0, s1
	s_cbranch_execnz .LBB638_53
.LBB638_36:
	s_or_b32 exec_lo, exec_lo, s0
	s_and_saveexec_b32 s0, s2
	s_cbranch_execnz .LBB638_54
.LBB638_37:
	s_or_b32 exec_lo, exec_lo, s0
	s_and_saveexec_b32 s0, s3
	s_cbranch_execnz .LBB638_55
.LBB638_38:
	s_or_b32 exec_lo, exec_lo, s0
	s_and_saveexec_b32 s0, s4
	s_cbranch_execnz .LBB638_56
.LBB638_39:
	s_or_b32 exec_lo, exec_lo, s0
	s_and_saveexec_b32 s0, s5
	s_cbranch_execnz .LBB638_57
.LBB638_40:
	s_or_b32 exec_lo, exec_lo, s0
	s_and_saveexec_b32 s0, s6
	s_cbranch_execnz .LBB638_58
.LBB638_41:
	s_or_b32 exec_lo, exec_lo, s0
	s_and_saveexec_b32 s0, s7
	s_cbranch_execnz .LBB638_59
.LBB638_42:
	s_or_b32 exec_lo, exec_lo, s0
	s_and_saveexec_b32 s0, s8
	s_cbranch_execnz .LBB638_60
.LBB638_43:
	s_or_b32 exec_lo, exec_lo, s0
	s_and_saveexec_b32 s0, s9
	s_cbranch_execnz .LBB638_61
.LBB638_44:
	s_or_b32 exec_lo, exec_lo, s0
	s_and_saveexec_b32 s0, s11
	s_cbranch_execnz .LBB638_62
.LBB638_45:
	s_or_b32 exec_lo, exec_lo, s0
	s_and_saveexec_b32 s0, s12
	s_cbranch_execnz .LBB638_63
.LBB638_46:
	s_or_b32 exec_lo, exec_lo, s0
	s_and_saveexec_b32 s0, s13
	s_cbranch_execnz .LBB638_64
.LBB638_47:
	s_or_b32 exec_lo, exec_lo, s0
	s_and_saveexec_b32 s0, s14
	s_cbranch_execnz .LBB638_65
.LBB638_48:
	s_or_b32 exec_lo, exec_lo, s0
	s_delay_alu instid0(SALU_CYCLE_1)
	s_and_b32 exec_lo, exec_lo, s15
	s_cbranch_execz .LBB638_50
.LBB638_49:
	v_fma_f32 v2, -v2, v25, v6
	s_delay_alu instid0(VALU_DEP_1) | instskip(SKIP_1) | instid1(VALU_DEP_2)
	v_bfe_u32 v3, v2, 16, 1
	v_cmp_o_f32_e32 vcc_lo, v2, v2
	v_add3_u32 v3, v2, v3, 0x7fff
	s_delay_alu instid0(VALU_DEP_1) | instskip(NEXT) | instid1(VALU_DEP_1)
	v_lshrrev_b32_e32 v3, 16, v3
	v_cndmask_b32_e32 v2, 0x7fc0, v3, vcc_lo
	global_store_b16 v[0:1], v2, off offset:1920
.LBB638_50:
	s_nop 0
	s_sendmsg sendmsg(MSG_DEALLOC_VGPRS)
	s_endpgm
.LBB638_51:
	s_delay_alu instid0(VALU_DEP_1) | instskip(NEXT) | instid1(VALU_DEP_1)
	v_fma_f32 v3, -v2, v11, v9
	v_bfe_u32 v4, v3, 16, 1
	v_cmp_o_f32_e32 vcc_lo, v3, v3
	s_delay_alu instid0(VALU_DEP_2) | instskip(NEXT) | instid1(VALU_DEP_1)
	v_add3_u32 v4, v3, v4, 0x7fff
	v_lshrrev_b32_e32 v4, 16, v4
	s_delay_alu instid0(VALU_DEP_1)
	v_cndmask_b32_e32 v3, 0x7fc0, v4, vcc_lo
	global_store_b16 v[0:1], v3, off
	s_or_b32 exec_lo, exec_lo, s10
	s_and_saveexec_b32 s10, s0
	s_cbranch_execz .LBB638_35
.LBB638_52:
	v_fma_f32 v3, -v2, v12, v7
	s_delay_alu instid0(VALU_DEP_1) | instskip(SKIP_1) | instid1(VALU_DEP_2)
	v_bfe_u32 v4, v3, 16, 1
	v_cmp_o_f32_e32 vcc_lo, v3, v3
	v_add3_u32 v4, v3, v4, 0x7fff
	s_delay_alu instid0(VALU_DEP_1) | instskip(NEXT) | instid1(VALU_DEP_1)
	v_lshrrev_b32_e32 v4, 16, v4
	v_cndmask_b32_e32 v3, 0x7fc0, v4, vcc_lo
	global_store_b16 v[0:1], v3, off offset:128
	s_or_b32 exec_lo, exec_lo, s10
	s_and_saveexec_b32 s0, s1
	s_cbranch_execz .LBB638_36
.LBB638_53:
	v_fma_f32 v3, -v2, v15, v13
	s_delay_alu instid0(VALU_DEP_1) | instskip(SKIP_1) | instid1(VALU_DEP_2)
	v_bfe_u32 v4, v3, 16, 1
	v_cmp_o_f32_e32 vcc_lo, v3, v3
	v_add3_u32 v4, v3, v4, 0x7fff
	s_delay_alu instid0(VALU_DEP_1) | instskip(NEXT) | instid1(VALU_DEP_1)
	v_lshrrev_b32_e32 v4, 16, v4
	v_cndmask_b32_e32 v3, 0x7fc0, v4, vcc_lo
	global_store_b16 v[0:1], v3, off offset:256
	s_or_b32 exec_lo, exec_lo, s0
	s_and_saveexec_b32 s0, s2
	s_cbranch_execz .LBB638_37
.LBB638_54:
	v_fma_f32 v3, -v2, v16, v10
	s_delay_alu instid0(VALU_DEP_1) | instskip(SKIP_1) | instid1(VALU_DEP_2)
	v_bfe_u32 v4, v3, 16, 1
	v_cmp_o_f32_e32 vcc_lo, v3, v3
	v_add3_u32 v4, v3, v4, 0x7fff
	s_delay_alu instid0(VALU_DEP_1) | instskip(NEXT) | instid1(VALU_DEP_1)
	v_lshrrev_b32_e32 v4, 16, v4
	v_cndmask_b32_e32 v3, 0x7fc0, v4, vcc_lo
	global_store_b16 v[0:1], v3, off offset:384
	s_or_b32 exec_lo, exec_lo, s0
	s_and_saveexec_b32 s0, s3
	s_cbranch_execz .LBB638_38
.LBB638_55:
	v_fma_f32 v3, -v2, v19, v17
	s_delay_alu instid0(VALU_DEP_1) | instskip(SKIP_1) | instid1(VALU_DEP_2)
	v_bfe_u32 v4, v3, 16, 1
	v_cmp_o_f32_e32 vcc_lo, v3, v3
	v_add3_u32 v4, v3, v4, 0x7fff
	s_delay_alu instid0(VALU_DEP_1) | instskip(NEXT) | instid1(VALU_DEP_1)
	v_lshrrev_b32_e32 v4, 16, v4
	v_cndmask_b32_e32 v3, 0x7fc0, v4, vcc_lo
	global_store_b16 v[0:1], v3, off offset:512
	s_or_b32 exec_lo, exec_lo, s0
	s_and_saveexec_b32 s0, s4
	s_cbranch_execz .LBB638_39
.LBB638_56:
	v_fma_f32 v3, -v2, v20, v14
	s_delay_alu instid0(VALU_DEP_1) | instskip(SKIP_1) | instid1(VALU_DEP_2)
	v_bfe_u32 v4, v3, 16, 1
	v_cmp_o_f32_e32 vcc_lo, v3, v3
	v_add3_u32 v4, v3, v4, 0x7fff
	s_delay_alu instid0(VALU_DEP_1) | instskip(NEXT) | instid1(VALU_DEP_1)
	v_lshrrev_b32_e32 v4, 16, v4
	v_cndmask_b32_e32 v3, 0x7fc0, v4, vcc_lo
	global_store_b16 v[0:1], v3, off offset:640
	s_or_b32 exec_lo, exec_lo, s0
	s_and_saveexec_b32 s0, s5
	s_cbranch_execz .LBB638_40
.LBB638_57:
	v_fma_f32 v3, -v2, v23, v21
	s_delay_alu instid0(VALU_DEP_1) | instskip(SKIP_1) | instid1(VALU_DEP_2)
	v_bfe_u32 v4, v3, 16, 1
	v_cmp_o_f32_e32 vcc_lo, v3, v3
	v_add3_u32 v4, v3, v4, 0x7fff
	s_delay_alu instid0(VALU_DEP_1) | instskip(NEXT) | instid1(VALU_DEP_1)
	v_lshrrev_b32_e32 v4, 16, v4
	v_cndmask_b32_e32 v3, 0x7fc0, v4, vcc_lo
	global_store_b16 v[0:1], v3, off offset:768
	s_or_b32 exec_lo, exec_lo, s0
	s_and_saveexec_b32 s0, s6
	s_cbranch_execz .LBB638_41
.LBB638_58:
	v_fma_f32 v3, -v2, v24, v18
	s_delay_alu instid0(VALU_DEP_1) | instskip(SKIP_1) | instid1(VALU_DEP_2)
	v_bfe_u32 v4, v3, 16, 1
	v_cmp_o_f32_e32 vcc_lo, v3, v3
	v_add3_u32 v4, v3, v4, 0x7fff
	s_delay_alu instid0(VALU_DEP_1) | instskip(NEXT) | instid1(VALU_DEP_1)
	v_lshrrev_b32_e32 v4, 16, v4
	v_cndmask_b32_e32 v3, 0x7fc0, v4, vcc_lo
	global_store_b16 v[0:1], v3, off offset:896
	s_or_b32 exec_lo, exec_lo, s0
	s_and_saveexec_b32 s0, s7
	s_cbranch_execz .LBB638_42
.LBB638_59:
	v_fma_f32 v3, -v2, v28, v26
	s_delay_alu instid0(VALU_DEP_1) | instskip(SKIP_1) | instid1(VALU_DEP_2)
	v_bfe_u32 v4, v3, 16, 1
	v_cmp_o_f32_e32 vcc_lo, v3, v3
	v_add3_u32 v4, v3, v4, 0x7fff
	s_delay_alu instid0(VALU_DEP_1) | instskip(NEXT) | instid1(VALU_DEP_1)
	v_lshrrev_b32_e32 v4, 16, v4
	v_cndmask_b32_e32 v3, 0x7fc0, v4, vcc_lo
	global_store_b16 v[0:1], v3, off offset:1024
	s_or_b32 exec_lo, exec_lo, s0
	s_and_saveexec_b32 s0, s8
	s_cbranch_execz .LBB638_43
.LBB638_60:
	v_fma_f32 v3, -v2, v29, v22
	s_delay_alu instid0(VALU_DEP_1) | instskip(SKIP_1) | instid1(VALU_DEP_2)
	v_bfe_u32 v4, v3, 16, 1
	v_cmp_o_f32_e32 vcc_lo, v3, v3
	v_add3_u32 v4, v3, v4, 0x7fff
	s_delay_alu instid0(VALU_DEP_1) | instskip(NEXT) | instid1(VALU_DEP_1)
	v_lshrrev_b32_e32 v4, 16, v4
	v_cndmask_b32_e32 v3, 0x7fc0, v4, vcc_lo
	global_store_b16 v[0:1], v3, off offset:1152
	s_or_b32 exec_lo, exec_lo, s0
	s_and_saveexec_b32 s0, s9
	s_cbranch_execz .LBB638_44
.LBB638_61:
	v_fma_f32 v3, -v2, v32, v30
	s_delay_alu instid0(VALU_DEP_1) | instskip(SKIP_1) | instid1(VALU_DEP_2)
	v_bfe_u32 v4, v3, 16, 1
	v_cmp_o_f32_e32 vcc_lo, v3, v3
	v_add3_u32 v4, v3, v4, 0x7fff
	s_delay_alu instid0(VALU_DEP_1) | instskip(NEXT) | instid1(VALU_DEP_1)
	v_lshrrev_b32_e32 v4, 16, v4
	v_cndmask_b32_e32 v3, 0x7fc0, v4, vcc_lo
	global_store_b16 v[0:1], v3, off offset:1280
	s_or_b32 exec_lo, exec_lo, s0
	s_and_saveexec_b32 s0, s11
	s_cbranch_execz .LBB638_45
.LBB638_62:
	v_fma_f32 v3, -v2, v33, v27
	s_delay_alu instid0(VALU_DEP_1) | instskip(SKIP_1) | instid1(VALU_DEP_2)
	v_bfe_u32 v4, v3, 16, 1
	v_cmp_o_f32_e32 vcc_lo, v3, v3
	v_add3_u32 v4, v3, v4, 0x7fff
	s_delay_alu instid0(VALU_DEP_1) | instskip(NEXT) | instid1(VALU_DEP_1)
	v_lshrrev_b32_e32 v4, 16, v4
	v_cndmask_b32_e32 v3, 0x7fc0, v4, vcc_lo
	global_store_b16 v[0:1], v3, off offset:1408
	s_or_b32 exec_lo, exec_lo, s0
	s_and_saveexec_b32 s0, s12
	s_cbranch_execz .LBB638_46
.LBB638_63:
	v_fma_f32 v3, -v2, v35, v34
	s_delay_alu instid0(VALU_DEP_1) | instskip(SKIP_1) | instid1(VALU_DEP_2)
	v_bfe_u32 v4, v3, 16, 1
	v_cmp_o_f32_e32 vcc_lo, v3, v3
	v_add3_u32 v4, v3, v4, 0x7fff
	s_delay_alu instid0(VALU_DEP_1) | instskip(NEXT) | instid1(VALU_DEP_1)
	v_lshrrev_b32_e32 v4, 16, v4
	v_cndmask_b32_e32 v3, 0x7fc0, v4, vcc_lo
	global_store_b16 v[0:1], v3, off offset:1536
	s_or_b32 exec_lo, exec_lo, s0
	s_and_saveexec_b32 s0, s13
	s_cbranch_execz .LBB638_47
.LBB638_64:
	v_fma_f32 v3, -v2, v36, v31
	s_delay_alu instid0(VALU_DEP_1) | instskip(SKIP_1) | instid1(VALU_DEP_2)
	v_bfe_u32 v4, v3, 16, 1
	v_cmp_o_f32_e32 vcc_lo, v3, v3
	v_add3_u32 v4, v3, v4, 0x7fff
	s_delay_alu instid0(VALU_DEP_1) | instskip(NEXT) | instid1(VALU_DEP_1)
	v_lshrrev_b32_e32 v4, 16, v4
	v_cndmask_b32_e32 v3, 0x7fc0, v4, vcc_lo
	global_store_b16 v[0:1], v3, off offset:1664
	s_or_b32 exec_lo, exec_lo, s0
	s_and_saveexec_b32 s0, s14
	s_cbranch_execz .LBB638_48
.LBB638_65:
	v_fma_f32 v3, -v2, v38, v37
	s_delay_alu instid0(VALU_DEP_1) | instskip(SKIP_1) | instid1(VALU_DEP_2)
	v_bfe_u32 v4, v3, 16, 1
	v_cmp_o_f32_e32 vcc_lo, v3, v3
	v_add3_u32 v4, v3, v4, 0x7fff
	s_delay_alu instid0(VALU_DEP_1) | instskip(NEXT) | instid1(VALU_DEP_1)
	v_lshrrev_b32_e32 v4, 16, v4
	v_cndmask_b32_e32 v3, 0x7fc0, v4, vcc_lo
	global_store_b16 v[0:1], v3, off offset:1792
	s_or_b32 exec_lo, exec_lo, s0
	s_delay_alu instid0(SALU_CYCLE_1)
	s_and_b32 exec_lo, exec_lo, s15
	s_cbranch_execnz .LBB638_49
	s_branch .LBB638_50
	.section	.rodata,"a",@progbits
	.p2align	6, 0x0
	.amdhsa_kernel _ZN12_GLOBAL__N_121softmax_warp_backwardIN3c108BFloat16ES2_fLi10ELb0ELb0ELi64EEEvPT0_PKT_S7_iiiPKb
		.amdhsa_group_segment_fixed_size 0
		.amdhsa_private_segment_fixed_size 0
		.amdhsa_kernarg_size 304
		.amdhsa_user_sgpr_count 15
		.amdhsa_user_sgpr_dispatch_ptr 0
		.amdhsa_user_sgpr_queue_ptr 0
		.amdhsa_user_sgpr_kernarg_segment_ptr 1
		.amdhsa_user_sgpr_dispatch_id 0
		.amdhsa_user_sgpr_private_segment_size 0
		.amdhsa_wavefront_size32 1
		.amdhsa_uses_dynamic_stack 0
		.amdhsa_enable_private_segment 0
		.amdhsa_system_sgpr_workgroup_id_x 1
		.amdhsa_system_sgpr_workgroup_id_y 0
		.amdhsa_system_sgpr_workgroup_id_z 0
		.amdhsa_system_sgpr_workgroup_info 0
		.amdhsa_system_vgpr_workitem_id 1
		.amdhsa_next_free_vgpr 39
		.amdhsa_next_free_sgpr 24
		.amdhsa_reserve_vcc 1
		.amdhsa_float_round_mode_32 0
		.amdhsa_float_round_mode_16_64 0
		.amdhsa_float_denorm_mode_32 3
		.amdhsa_float_denorm_mode_16_64 3
		.amdhsa_dx10_clamp 1
		.amdhsa_ieee_mode 1
		.amdhsa_fp16_overflow 0
		.amdhsa_workgroup_processor_mode 1
		.amdhsa_memory_ordered 1
		.amdhsa_forward_progress 0
		.amdhsa_shared_vgpr_count 0
		.amdhsa_exception_fp_ieee_invalid_op 0
		.amdhsa_exception_fp_denorm_src 0
		.amdhsa_exception_fp_ieee_div_zero 0
		.amdhsa_exception_fp_ieee_overflow 0
		.amdhsa_exception_fp_ieee_underflow 0
		.amdhsa_exception_fp_ieee_inexact 0
		.amdhsa_exception_int_div_zero 0
	.end_amdhsa_kernel
	.section	.text._ZN12_GLOBAL__N_121softmax_warp_backwardIN3c108BFloat16ES2_fLi10ELb0ELb0ELi64EEEvPT0_PKT_S7_iiiPKb,"axG",@progbits,_ZN12_GLOBAL__N_121softmax_warp_backwardIN3c108BFloat16ES2_fLi10ELb0ELb0ELi64EEEvPT0_PKT_S7_iiiPKb,comdat
.Lfunc_end638:
	.size	_ZN12_GLOBAL__N_121softmax_warp_backwardIN3c108BFloat16ES2_fLi10ELb0ELb0ELi64EEEvPT0_PKT_S7_iiiPKb, .Lfunc_end638-_ZN12_GLOBAL__N_121softmax_warp_backwardIN3c108BFloat16ES2_fLi10ELb0ELb0ELi64EEEvPT0_PKT_S7_iiiPKb
                                        ; -- End function
	.section	.AMDGPU.csdata,"",@progbits
; Kernel info:
; codeLenInByte = 3184
; NumSgprs: 26
; NumVgprs: 39
; ScratchSize: 0
; MemoryBound: 0
; FloatMode: 240
; IeeeMode: 1
; LDSByteSize: 0 bytes/workgroup (compile time only)
; SGPRBlocks: 3
; VGPRBlocks: 4
; NumSGPRsForWavesPerEU: 26
; NumVGPRsForWavesPerEU: 39
; Occupancy: 16
; WaveLimiterHint : 0
; COMPUTE_PGM_RSRC2:SCRATCH_EN: 0
; COMPUTE_PGM_RSRC2:USER_SGPR: 15
; COMPUTE_PGM_RSRC2:TRAP_HANDLER: 0
; COMPUTE_PGM_RSRC2:TGID_X_EN: 1
; COMPUTE_PGM_RSRC2:TGID_Y_EN: 0
; COMPUTE_PGM_RSRC2:TGID_Z_EN: 0
; COMPUTE_PGM_RSRC2:TIDIG_COMP_CNT: 1
	.section	.text._ZN12_GLOBAL__N_121softmax_warp_backwardIN3c108BFloat16ES2_fLi10ELb0ELb0ELi32EEEvPT0_PKT_S7_iiiPKb,"axG",@progbits,_ZN12_GLOBAL__N_121softmax_warp_backwardIN3c108BFloat16ES2_fLi10ELb0ELb0ELi32EEEvPT0_PKT_S7_iiiPKb,comdat
	.globl	_ZN12_GLOBAL__N_121softmax_warp_backwardIN3c108BFloat16ES2_fLi10ELb0ELb0ELi32EEEvPT0_PKT_S7_iiiPKb ; -- Begin function _ZN12_GLOBAL__N_121softmax_warp_backwardIN3c108BFloat16ES2_fLi10ELb0ELb0ELi32EEEvPT0_PKT_S7_iiiPKb
	.p2align	8
	.type	_ZN12_GLOBAL__N_121softmax_warp_backwardIN3c108BFloat16ES2_fLi10ELb0ELb0ELi32EEEvPT0_PKT_S7_iiiPKb,@function
_ZN12_GLOBAL__N_121softmax_warp_backwardIN3c108BFloat16ES2_fLi10ELb0ELb0ELi32EEEvPT0_PKT_S7_iiiPKb: ; @_ZN12_GLOBAL__N_121softmax_warp_backwardIN3c108BFloat16ES2_fLi10ELb0ELb0ELi32EEEvPT0_PKT_S7_iiiPKb
; %bb.0:
	s_clause 0x1
	s_load_b32 s2, s[0:1], 0x3c
	s_load_b128 s[40:43], s[0:1], 0x18
	v_bfe_u32 v1, v0, 10, 10
	v_and_b32_e32 v28, 0x3ff, v0
	s_load_b128 s[36:39], s[0:1], 0x0
	v_mov_b32_e32 v11, 0
	s_delay_alu instid0(VALU_DEP_2) | instskip(SKIP_2) | instid1(VALU_DEP_1)
	v_dual_mov_b32 v9, 0 :: v_dual_and_b32 v6, 31, v28
	s_waitcnt lgkmcnt(0)
	s_lshr_b32 s2, s2, 16
	v_cmp_gt_i32_e32 vcc_lo, s42, v6
	v_mad_u64_u32 v[2:3], null, s15, s2, v[1:2]
	s_load_b64 s[2:3], s[0:1], 0x10
	s_delay_alu instid0(VALU_DEP_1) | instskip(SKIP_2) | instid1(VALU_DEP_2)
	v_mad_u64_u32 v[0:1], null, v2, s41, v[6:7]
	v_sub_nc_u32_e32 v8, s40, v2
	v_mov_b32_e32 v7, 0
	v_cmp_lt_i32_e64 s11, 0, v8
	s_delay_alu instid0(VALU_DEP_4) | instskip(NEXT) | instid1(VALU_DEP_2)
	v_ashrrev_i32_e32 v1, 31, v0
	s_and_b32 s1, s11, vcc_lo
	s_delay_alu instid0(VALU_DEP_1) | instskip(NEXT) | instid1(VALU_DEP_1)
	v_lshlrev_b64 v[0:1], 1, v[0:1]
	v_add_co_u32 v2, s0, s38, v0
	s_delay_alu instid0(VALU_DEP_1) | instskip(SKIP_2) | instid1(VALU_DEP_1)
	v_add_co_ci_u32_e64 v3, s0, s39, v1, s0
	s_waitcnt lgkmcnt(0)
	v_add_co_u32 v4, s0, s2, v0
	v_add_co_ci_u32_e64 v5, s0, s3, v1, s0
	s_and_saveexec_b32 s0, s1
	s_cbranch_execz .LBB639_2
; %bb.1:
	global_load_u16 v9, v[2:3], off
	global_load_u16 v10, v[4:5], off
	s_waitcnt vmcnt(1)
	v_lshlrev_b32_e32 v9, 16, v9
	s_waitcnt vmcnt(0)
	v_lshlrev_b32_e32 v11, 16, v10
.LBB639_2:
	s_or_b32 exec_lo, exec_lo, s0
	v_or_b32_e32 v10, 32, v6
	v_mov_b32_e32 v12, 0
	s_delay_alu instid0(VALU_DEP_2) | instskip(NEXT) | instid1(VALU_DEP_1)
	v_cmp_gt_i32_e64 s0, s42, v10
	s_and_b32 s2, s11, s0
	s_delay_alu instid0(SALU_CYCLE_1)
	s_and_saveexec_b32 s1, s2
	s_cbranch_execz .LBB639_4
; %bb.3:
	global_load_u16 v7, v[2:3], off offset:64
	global_load_u16 v10, v[4:5], off offset:64
	s_waitcnt vmcnt(1)
	v_lshlrev_b32_e32 v7, 16, v7
	s_waitcnt vmcnt(0)
	v_lshlrev_b32_e32 v12, 16, v10
.LBB639_4:
	s_or_b32 exec_lo, exec_lo, s1
	v_or_b32_e32 v10, 64, v6
	v_mov_b32_e32 v15, 0
	v_mov_b32_e32 v13, 0
	s_delay_alu instid0(VALU_DEP_3) | instskip(SKIP_1) | instid1(VALU_DEP_2)
	v_cmp_gt_i32_e64 s1, s42, v10
	v_mov_b32_e32 v10, 0
	s_and_b32 s3, s11, s1
	s_delay_alu instid0(SALU_CYCLE_1)
	s_and_saveexec_b32 s2, s3
	s_cbranch_execz .LBB639_6
; %bb.5:
	global_load_u16 v13, v[2:3], off offset:128
	global_load_u16 v14, v[4:5], off offset:128
	s_waitcnt vmcnt(1)
	v_lshlrev_b32_e32 v13, 16, v13
	s_waitcnt vmcnt(0)
	v_lshlrev_b32_e32 v15, 16, v14
.LBB639_6:
	s_or_b32 exec_lo, exec_lo, s2
	v_or_b32_e32 v14, 0x60, v6
	v_mov_b32_e32 v16, 0
	s_delay_alu instid0(VALU_DEP_2) | instskip(NEXT) | instid1(VALU_DEP_1)
	v_cmp_gt_i32_e64 s2, s42, v14
	s_and_b32 s4, s11, s2
	s_delay_alu instid0(SALU_CYCLE_1)
	s_and_saveexec_b32 s3, s4
	s_cbranch_execz .LBB639_8
; %bb.7:
	global_load_u16 v10, v[2:3], off offset:192
	global_load_u16 v14, v[4:5], off offset:192
	s_waitcnt vmcnt(1)
	v_lshlrev_b32_e32 v10, 16, v10
	s_waitcnt vmcnt(0)
	v_lshlrev_b32_e32 v16, 16, v14
.LBB639_8:
	s_or_b32 exec_lo, exec_lo, s3
	v_or_b32_e32 v14, 0x80, v6
	v_mov_b32_e32 v19, 0
	v_mov_b32_e32 v17, 0
	s_delay_alu instid0(VALU_DEP_3) | instskip(SKIP_1) | instid1(VALU_DEP_2)
	v_cmp_gt_i32_e64 s3, s42, v14
	v_mov_b32_e32 v14, 0
	s_and_b32 s5, s11, s3
	s_delay_alu instid0(SALU_CYCLE_1)
	s_and_saveexec_b32 s4, s5
	s_cbranch_execz .LBB639_10
; %bb.9:
	global_load_u16 v17, v[2:3], off offset:256
	global_load_u16 v18, v[4:5], off offset:256
	s_waitcnt vmcnt(1)
	v_lshlrev_b32_e32 v17, 16, v17
	s_waitcnt vmcnt(0)
	v_lshlrev_b32_e32 v19, 16, v18
.LBB639_10:
	;; [unrolled: 36-line block ×13, first 2 shown]
	s_or_b32 exec_lo, exec_lo, s27
	v_or_b32_e32 v63, 0x360, v6
	v_mov_b32_e32 v65, 0
	s_delay_alu instid0(VALU_DEP_2) | instskip(NEXT) | instid1(VALU_DEP_1)
	v_cmp_gt_i32_e64 s27, s42, v63
	s_and_b32 s29, s11, s27
	s_delay_alu instid0(SALU_CYCLE_1)
	s_and_saveexec_b32 s28, s29
	s_cbranch_execz .LBB639_56
; %bb.55:
	global_load_u16 v59, v[2:3], off offset:1728
	global_load_u16 v63, v[4:5], off offset:1728
	s_waitcnt vmcnt(1)
	v_lshlrev_b32_e32 v59, 16, v59
	s_waitcnt vmcnt(0)
	v_lshlrev_b32_e32 v65, 16, v63
.LBB639_56:
	s_or_b32 exec_lo, exec_lo, s28
	v_or_b32_e32 v63, 0x380, v6
	v_dual_mov_b32 v67, 0 :: v_dual_mov_b32 v66, 0
	s_delay_alu instid0(VALU_DEP_2) | instskip(SKIP_1) | instid1(VALU_DEP_2)
	v_cmp_gt_i32_e64 s28, s42, v63
	v_mov_b32_e32 v63, 0
	s_and_b32 s30, s11, s28
	s_delay_alu instid0(SALU_CYCLE_1)
	s_and_saveexec_b32 s29, s30
	s_cbranch_execz .LBB639_58
; %bb.57:
	global_load_u16 v66, v[2:3], off offset:1792
	global_load_u16 v67, v[4:5], off offset:1792
	s_waitcnt vmcnt(1)
	v_lshlrev_b32_e32 v66, 16, v66
	s_waitcnt vmcnt(0)
	v_lshlrev_b32_e32 v67, 16, v67
.LBB639_58:
	s_or_b32 exec_lo, exec_lo, s29
	v_or_b32_e32 v68, 0x3a0, v6
	s_delay_alu instid0(VALU_DEP_1) | instskip(SKIP_1) | instid1(VALU_DEP_2)
	v_cmp_gt_i32_e64 s29, s42, v68
	v_mov_b32_e32 v68, 0
	s_and_b32 s31, s11, s29
	s_delay_alu instid0(SALU_CYCLE_1)
	s_and_saveexec_b32 s30, s31
	s_cbranch_execz .LBB639_60
; %bb.59:
	global_load_u16 v63, v[2:3], off offset:1856
	global_load_u16 v68, v[4:5], off offset:1856
	s_waitcnt vmcnt(1)
	v_lshlrev_b32_e32 v63, 16, v63
	s_waitcnt vmcnt(0)
	v_lshlrev_b32_e32 v68, 16, v68
.LBB639_60:
	s_or_b32 exec_lo, exec_lo, s30
	v_or_b32_e32 v6, 0x3c0, v6
	v_dual_mov_b32 v70, 0 :: v_dual_mov_b32 v69, 0
	s_delay_alu instid0(VALU_DEP_2) | instskip(SKIP_1) | instid1(VALU_DEP_2)
	v_cmp_gt_i32_e64 s30, s42, v6
	v_mov_b32_e32 v6, 0
	s_and_b32 s33, s11, s30
	s_delay_alu instid0(SALU_CYCLE_1)
	s_and_saveexec_b32 s31, s33
	s_cbranch_execz .LBB639_62
; %bb.61:
	global_load_u16 v69, v[2:3], off offset:1920
	global_load_u16 v70, v[4:5], off offset:1920
	s_waitcnt vmcnt(1)
	v_lshlrev_b32_e32 v69, 16, v69
	s_waitcnt vmcnt(0)
	v_lshlrev_b32_e32 v70, 16, v70
.LBB639_62:
	s_or_b32 exec_lo, exec_lo, s31
	v_or_b32_e32 v28, 0x3e0, v28
	s_delay_alu instid0(VALU_DEP_1) | instskip(SKIP_1) | instid1(VALU_DEP_2)
	v_cmp_gt_i32_e64 s31, s42, v28
	v_mov_b32_e32 v28, 0
	s_and_b32 s33, s11, s31
	s_delay_alu instid0(SALU_CYCLE_1)
	s_and_saveexec_b32 s11, s33
	s_cbranch_execz .LBB639_64
; %bb.63:
	global_load_u16 v2, v[2:3], off offset:1984
	global_load_u16 v3, v[4:5], off offset:1984
	s_waitcnt vmcnt(1)
	v_lshlrev_b32_e32 v6, 16, v2
	s_waitcnt vmcnt(0)
	v_lshlrev_b32_e32 v28, 16, v3
.LBB639_64:
	s_or_b32 exec_lo, exec_lo, s11
	v_mbcnt_lo_u32_b32 v3, -1, 0
	v_add_f32_e32 v2, 0, v9
	s_mov_b32 s33, exec_lo
	s_delay_alu instid0(VALU_DEP_2) | instskip(SKIP_1) | instid1(VALU_DEP_2)
	v_xor_b32_e32 v4, 16, v3
	v_xor_b32_e32 v5, 8, v3
	v_cmp_gt_i32_e64 s11, 32, v4
	s_delay_alu instid0(VALU_DEP_1) | instskip(NEXT) | instid1(VALU_DEP_3)
	v_cndmask_b32_e64 v4, v3, v4, s11
	v_cmp_gt_i32_e64 s11, 32, v5
	s_delay_alu instid0(VALU_DEP_2) | instskip(NEXT) | instid1(VALU_DEP_2)
	v_lshlrev_b32_e32 v4, 2, v4
	v_cndmask_b32_e64 v5, v3, v5, s11
	s_delay_alu instid0(VALU_DEP_1) | instskip(NEXT) | instid1(VALU_DEP_1)
	v_dual_add_f32 v2, v2, v7 :: v_dual_lshlrev_b32 v5, 2, v5
	v_add_f32_e32 v2, v2, v13
	s_delay_alu instid0(VALU_DEP_1) | instskip(NEXT) | instid1(VALU_DEP_1)
	v_add_f32_e32 v2, v2, v10
	v_add_f32_e32 v2, v2, v17
	s_delay_alu instid0(VALU_DEP_1) | instskip(NEXT) | instid1(VALU_DEP_1)
	v_add_f32_e32 v2, v2, v14
	;; [unrolled: 3-line block ×14, first 2 shown]
	v_add_f32_e32 v2, v2, v69
	s_delay_alu instid0(VALU_DEP_1)
	v_add_f32_e32 v2, v2, v6
	ds_bpermute_b32 v4, v4, v2
	s_waitcnt lgkmcnt(0)
	v_add_f32_e32 v2, v2, v4
	ds_bpermute_b32 v4, v5, v2
	v_xor_b32_e32 v5, 4, v3
	s_delay_alu instid0(VALU_DEP_1) | instskip(NEXT) | instid1(VALU_DEP_1)
	v_cmp_gt_i32_e64 s11, 32, v5
	v_cndmask_b32_e64 v5, v3, v5, s11
	s_waitcnt lgkmcnt(0)
	s_delay_alu instid0(VALU_DEP_1) | instskip(SKIP_2) | instid1(VALU_DEP_1)
	v_dual_add_f32 v2, v2, v4 :: v_dual_lshlrev_b32 v5, 2, v5
	ds_bpermute_b32 v4, v5, v2
	v_xor_b32_e32 v5, 2, v3
	v_cmp_gt_i32_e64 s11, 32, v5
	s_delay_alu instid0(VALU_DEP_1) | instskip(SKIP_1) | instid1(VALU_DEP_1)
	v_cndmask_b32_e64 v5, v3, v5, s11
	s_waitcnt lgkmcnt(0)
	v_dual_add_f32 v2, v2, v4 :: v_dual_lshlrev_b32 v5, 2, v5
	ds_bpermute_b32 v4, v5, v2
	v_xor_b32_e32 v5, 1, v3
	s_delay_alu instid0(VALU_DEP_1) | instskip(NEXT) | instid1(VALU_DEP_1)
	v_cmp_gt_i32_e64 s11, 32, v5
	v_cndmask_b32_e64 v3, v3, v5, s11
	s_waitcnt lgkmcnt(0)
	s_delay_alu instid0(VALU_DEP_1)
	v_dual_add_f32 v2, v2, v4 :: v_dual_lshlrev_b32 v3, 2, v3
	ds_bpermute_b32 v3, v3, v2
	v_cmpx_lt_i32_e32 0, v8
	s_cbranch_execz .LBB639_98
; %bb.65:
	v_add_co_u32 v0, s11, s36, v0
	s_delay_alu instid0(VALU_DEP_1)
	v_add_co_ci_u32_e64 v1, s11, s37, v1, s11
	s_waitcnt lgkmcnt(0)
	v_add_f32_e32 v2, v2, v3
	s_and_saveexec_b32 s11, vcc_lo
	s_cbranch_execnz .LBB639_99
; %bb.66:
	s_or_b32 exec_lo, exec_lo, s11
	s_and_saveexec_b32 s11, s0
	s_cbranch_execnz .LBB639_100
.LBB639_67:
	s_or_b32 exec_lo, exec_lo, s11
	s_and_saveexec_b32 s0, s1
	s_cbranch_execnz .LBB639_101
.LBB639_68:
	s_or_b32 exec_lo, exec_lo, s0
	s_and_saveexec_b32 s0, s2
	s_cbranch_execnz .LBB639_102
.LBB639_69:
	s_or_b32 exec_lo, exec_lo, s0
	s_and_saveexec_b32 s0, s3
	s_cbranch_execnz .LBB639_103
.LBB639_70:
	s_or_b32 exec_lo, exec_lo, s0
	s_and_saveexec_b32 s0, s4
	s_cbranch_execnz .LBB639_104
.LBB639_71:
	s_or_b32 exec_lo, exec_lo, s0
	s_and_saveexec_b32 s0, s5
	s_cbranch_execnz .LBB639_105
.LBB639_72:
	s_or_b32 exec_lo, exec_lo, s0
	s_and_saveexec_b32 s0, s6
	s_cbranch_execnz .LBB639_106
.LBB639_73:
	s_or_b32 exec_lo, exec_lo, s0
	s_and_saveexec_b32 s0, s7
	s_cbranch_execnz .LBB639_107
.LBB639_74:
	s_or_b32 exec_lo, exec_lo, s0
	s_and_saveexec_b32 s0, s8
	s_cbranch_execnz .LBB639_108
.LBB639_75:
	s_or_b32 exec_lo, exec_lo, s0
	s_and_saveexec_b32 s0, s9
	s_cbranch_execnz .LBB639_109
.LBB639_76:
	s_or_b32 exec_lo, exec_lo, s0
	s_and_saveexec_b32 s0, s10
	s_cbranch_execnz .LBB639_110
.LBB639_77:
	s_or_b32 exec_lo, exec_lo, s0
	s_and_saveexec_b32 s0, s12
	s_cbranch_execnz .LBB639_111
.LBB639_78:
	s_or_b32 exec_lo, exec_lo, s0
	s_and_saveexec_b32 s0, s13
	s_cbranch_execnz .LBB639_112
.LBB639_79:
	s_or_b32 exec_lo, exec_lo, s0
	s_and_saveexec_b32 s0, s14
	s_cbranch_execnz .LBB639_113
.LBB639_80:
	s_or_b32 exec_lo, exec_lo, s0
	s_and_saveexec_b32 s0, s15
	s_cbranch_execnz .LBB639_114
.LBB639_81:
	s_or_b32 exec_lo, exec_lo, s0
	s_and_saveexec_b32 s0, s16
	s_cbranch_execnz .LBB639_115
.LBB639_82:
	s_or_b32 exec_lo, exec_lo, s0
	s_and_saveexec_b32 s0, s17
	s_cbranch_execnz .LBB639_116
.LBB639_83:
	s_or_b32 exec_lo, exec_lo, s0
	s_and_saveexec_b32 s0, s18
	s_cbranch_execnz .LBB639_117
.LBB639_84:
	s_or_b32 exec_lo, exec_lo, s0
	s_and_saveexec_b32 s0, s19
	s_cbranch_execnz .LBB639_118
.LBB639_85:
	s_or_b32 exec_lo, exec_lo, s0
	s_and_saveexec_b32 s0, s20
	s_cbranch_execnz .LBB639_119
.LBB639_86:
	s_or_b32 exec_lo, exec_lo, s0
	s_and_saveexec_b32 s0, s21
	s_cbranch_execnz .LBB639_120
.LBB639_87:
	s_or_b32 exec_lo, exec_lo, s0
	s_and_saveexec_b32 s0, s22
	s_cbranch_execnz .LBB639_121
.LBB639_88:
	s_or_b32 exec_lo, exec_lo, s0
	s_and_saveexec_b32 s0, s23
	s_cbranch_execnz .LBB639_122
.LBB639_89:
	s_or_b32 exec_lo, exec_lo, s0
	s_and_saveexec_b32 s0, s24
	s_cbranch_execnz .LBB639_123
.LBB639_90:
	s_or_b32 exec_lo, exec_lo, s0
	s_and_saveexec_b32 s0, s25
	s_cbranch_execnz .LBB639_124
.LBB639_91:
	s_or_b32 exec_lo, exec_lo, s0
	s_and_saveexec_b32 s0, s26
	s_cbranch_execnz .LBB639_125
.LBB639_92:
	s_or_b32 exec_lo, exec_lo, s0
	s_and_saveexec_b32 s0, s27
	s_cbranch_execnz .LBB639_126
.LBB639_93:
	s_or_b32 exec_lo, exec_lo, s0
	s_and_saveexec_b32 s0, s28
	s_cbranch_execnz .LBB639_127
.LBB639_94:
	s_or_b32 exec_lo, exec_lo, s0
	s_and_saveexec_b32 s0, s29
	s_cbranch_execnz .LBB639_128
.LBB639_95:
	s_or_b32 exec_lo, exec_lo, s0
	s_and_saveexec_b32 s0, s30
	s_cbranch_execnz .LBB639_129
.LBB639_96:
	s_or_b32 exec_lo, exec_lo, s0
	s_delay_alu instid0(SALU_CYCLE_1)
	s_and_b32 exec_lo, exec_lo, s31
	s_cbranch_execz .LBB639_98
.LBB639_97:
	v_fma_f32 v2, -v2, v28, v6
	s_delay_alu instid0(VALU_DEP_1) | instskip(SKIP_1) | instid1(VALU_DEP_2)
	v_bfe_u32 v3, v2, 16, 1
	v_cmp_o_f32_e32 vcc_lo, v2, v2
	v_add3_u32 v3, v2, v3, 0x7fff
	s_delay_alu instid0(VALU_DEP_1) | instskip(NEXT) | instid1(VALU_DEP_1)
	v_lshrrev_b32_e32 v3, 16, v3
	v_cndmask_b32_e32 v2, 0x7fc0, v3, vcc_lo
	global_store_b16 v[0:1], v2, off offset:1984
.LBB639_98:
	s_nop 0
	s_sendmsg sendmsg(MSG_DEALLOC_VGPRS)
	s_endpgm
.LBB639_99:
	s_delay_alu instid0(VALU_DEP_1) | instskip(NEXT) | instid1(VALU_DEP_1)
	v_fma_f32 v3, -v2, v11, v9
	v_bfe_u32 v4, v3, 16, 1
	v_cmp_o_f32_e32 vcc_lo, v3, v3
	s_delay_alu instid0(VALU_DEP_2) | instskip(NEXT) | instid1(VALU_DEP_1)
	v_add3_u32 v4, v3, v4, 0x7fff
	v_lshrrev_b32_e32 v4, 16, v4
	s_delay_alu instid0(VALU_DEP_1)
	v_cndmask_b32_e32 v3, 0x7fc0, v4, vcc_lo
	global_store_b16 v[0:1], v3, off
	s_or_b32 exec_lo, exec_lo, s11
	s_and_saveexec_b32 s11, s0
	s_cbranch_execz .LBB639_67
.LBB639_100:
	v_fma_f32 v3, -v2, v12, v7
	s_delay_alu instid0(VALU_DEP_1) | instskip(SKIP_1) | instid1(VALU_DEP_2)
	v_bfe_u32 v4, v3, 16, 1
	v_cmp_o_f32_e32 vcc_lo, v3, v3
	v_add3_u32 v4, v3, v4, 0x7fff
	s_delay_alu instid0(VALU_DEP_1) | instskip(NEXT) | instid1(VALU_DEP_1)
	v_lshrrev_b32_e32 v4, 16, v4
	v_cndmask_b32_e32 v3, 0x7fc0, v4, vcc_lo
	global_store_b16 v[0:1], v3, off offset:64
	s_or_b32 exec_lo, exec_lo, s11
	s_and_saveexec_b32 s0, s1
	s_cbranch_execz .LBB639_68
.LBB639_101:
	v_fma_f32 v3, -v2, v15, v13
	s_delay_alu instid0(VALU_DEP_1) | instskip(SKIP_1) | instid1(VALU_DEP_2)
	v_bfe_u32 v4, v3, 16, 1
	v_cmp_o_f32_e32 vcc_lo, v3, v3
	v_add3_u32 v4, v3, v4, 0x7fff
	s_delay_alu instid0(VALU_DEP_1) | instskip(NEXT) | instid1(VALU_DEP_1)
	v_lshrrev_b32_e32 v4, 16, v4
	v_cndmask_b32_e32 v3, 0x7fc0, v4, vcc_lo
	global_store_b16 v[0:1], v3, off offset:128
	s_or_b32 exec_lo, exec_lo, s0
	s_and_saveexec_b32 s0, s2
	s_cbranch_execz .LBB639_69
.LBB639_102:
	v_fma_f32 v3, -v2, v16, v10
	s_delay_alu instid0(VALU_DEP_1) | instskip(SKIP_1) | instid1(VALU_DEP_2)
	v_bfe_u32 v4, v3, 16, 1
	v_cmp_o_f32_e32 vcc_lo, v3, v3
	v_add3_u32 v4, v3, v4, 0x7fff
	s_delay_alu instid0(VALU_DEP_1) | instskip(NEXT) | instid1(VALU_DEP_1)
	v_lshrrev_b32_e32 v4, 16, v4
	v_cndmask_b32_e32 v3, 0x7fc0, v4, vcc_lo
	global_store_b16 v[0:1], v3, off offset:192
	s_or_b32 exec_lo, exec_lo, s0
	s_and_saveexec_b32 s0, s3
	s_cbranch_execz .LBB639_70
.LBB639_103:
	v_fma_f32 v3, -v2, v19, v17
	s_delay_alu instid0(VALU_DEP_1) | instskip(SKIP_1) | instid1(VALU_DEP_2)
	v_bfe_u32 v4, v3, 16, 1
	v_cmp_o_f32_e32 vcc_lo, v3, v3
	v_add3_u32 v4, v3, v4, 0x7fff
	s_delay_alu instid0(VALU_DEP_1) | instskip(NEXT) | instid1(VALU_DEP_1)
	v_lshrrev_b32_e32 v4, 16, v4
	v_cndmask_b32_e32 v3, 0x7fc0, v4, vcc_lo
	global_store_b16 v[0:1], v3, off offset:256
	s_or_b32 exec_lo, exec_lo, s0
	s_and_saveexec_b32 s0, s4
	s_cbranch_execz .LBB639_71
.LBB639_104:
	v_fma_f32 v3, -v2, v20, v14
	s_delay_alu instid0(VALU_DEP_1) | instskip(SKIP_1) | instid1(VALU_DEP_2)
	v_bfe_u32 v4, v3, 16, 1
	v_cmp_o_f32_e32 vcc_lo, v3, v3
	v_add3_u32 v4, v3, v4, 0x7fff
	s_delay_alu instid0(VALU_DEP_1) | instskip(NEXT) | instid1(VALU_DEP_1)
	v_lshrrev_b32_e32 v4, 16, v4
	v_cndmask_b32_e32 v3, 0x7fc0, v4, vcc_lo
	global_store_b16 v[0:1], v3, off offset:320
	s_or_b32 exec_lo, exec_lo, s0
	s_and_saveexec_b32 s0, s5
	s_cbranch_execz .LBB639_72
.LBB639_105:
	v_fma_f32 v3, -v2, v23, v21
	s_delay_alu instid0(VALU_DEP_1) | instskip(SKIP_1) | instid1(VALU_DEP_2)
	v_bfe_u32 v4, v3, 16, 1
	v_cmp_o_f32_e32 vcc_lo, v3, v3
	v_add3_u32 v4, v3, v4, 0x7fff
	s_delay_alu instid0(VALU_DEP_1) | instskip(NEXT) | instid1(VALU_DEP_1)
	v_lshrrev_b32_e32 v4, 16, v4
	v_cndmask_b32_e32 v3, 0x7fc0, v4, vcc_lo
	global_store_b16 v[0:1], v3, off offset:384
	s_or_b32 exec_lo, exec_lo, s0
	s_and_saveexec_b32 s0, s6
	s_cbranch_execz .LBB639_73
.LBB639_106:
	v_fma_f32 v3, -v2, v24, v18
	s_delay_alu instid0(VALU_DEP_1) | instskip(SKIP_1) | instid1(VALU_DEP_2)
	v_bfe_u32 v4, v3, 16, 1
	v_cmp_o_f32_e32 vcc_lo, v3, v3
	v_add3_u32 v4, v3, v4, 0x7fff
	s_delay_alu instid0(VALU_DEP_1) | instskip(NEXT) | instid1(VALU_DEP_1)
	v_lshrrev_b32_e32 v4, 16, v4
	v_cndmask_b32_e32 v3, 0x7fc0, v4, vcc_lo
	global_store_b16 v[0:1], v3, off offset:448
	s_or_b32 exec_lo, exec_lo, s0
	s_and_saveexec_b32 s0, s7
	s_cbranch_execz .LBB639_74
.LBB639_107:
	v_fma_f32 v3, -v2, v27, v25
	s_delay_alu instid0(VALU_DEP_1) | instskip(SKIP_1) | instid1(VALU_DEP_2)
	v_bfe_u32 v4, v3, 16, 1
	v_cmp_o_f32_e32 vcc_lo, v3, v3
	v_add3_u32 v4, v3, v4, 0x7fff
	s_delay_alu instid0(VALU_DEP_1) | instskip(NEXT) | instid1(VALU_DEP_1)
	v_lshrrev_b32_e32 v4, 16, v4
	v_cndmask_b32_e32 v3, 0x7fc0, v4, vcc_lo
	global_store_b16 v[0:1], v3, off offset:512
	s_or_b32 exec_lo, exec_lo, s0
	s_and_saveexec_b32 s0, s8
	s_cbranch_execz .LBB639_75
.LBB639_108:
	v_fma_f32 v3, -v2, v29, v22
	s_delay_alu instid0(VALU_DEP_1) | instskip(SKIP_1) | instid1(VALU_DEP_2)
	v_bfe_u32 v4, v3, 16, 1
	v_cmp_o_f32_e32 vcc_lo, v3, v3
	v_add3_u32 v4, v3, v4, 0x7fff
	s_delay_alu instid0(VALU_DEP_1) | instskip(NEXT) | instid1(VALU_DEP_1)
	v_lshrrev_b32_e32 v4, 16, v4
	v_cndmask_b32_e32 v3, 0x7fc0, v4, vcc_lo
	global_store_b16 v[0:1], v3, off offset:576
	s_or_b32 exec_lo, exec_lo, s0
	s_and_saveexec_b32 s0, s9
	s_cbranch_execz .LBB639_76
.LBB639_109:
	v_fma_f32 v3, -v2, v32, v30
	s_delay_alu instid0(VALU_DEP_1) | instskip(SKIP_1) | instid1(VALU_DEP_2)
	v_bfe_u32 v4, v3, 16, 1
	v_cmp_o_f32_e32 vcc_lo, v3, v3
	v_add3_u32 v4, v3, v4, 0x7fff
	s_delay_alu instid0(VALU_DEP_1) | instskip(NEXT) | instid1(VALU_DEP_1)
	v_lshrrev_b32_e32 v4, 16, v4
	v_cndmask_b32_e32 v3, 0x7fc0, v4, vcc_lo
	global_store_b16 v[0:1], v3, off offset:640
	s_or_b32 exec_lo, exec_lo, s0
	s_and_saveexec_b32 s0, s10
	s_cbranch_execz .LBB639_77
.LBB639_110:
	v_fma_f32 v3, -v2, v33, v26
	s_delay_alu instid0(VALU_DEP_1) | instskip(SKIP_1) | instid1(VALU_DEP_2)
	v_bfe_u32 v4, v3, 16, 1
	v_cmp_o_f32_e32 vcc_lo, v3, v3
	v_add3_u32 v4, v3, v4, 0x7fff
	s_delay_alu instid0(VALU_DEP_1) | instskip(NEXT) | instid1(VALU_DEP_1)
	v_lshrrev_b32_e32 v4, 16, v4
	v_cndmask_b32_e32 v3, 0x7fc0, v4, vcc_lo
	global_store_b16 v[0:1], v3, off offset:704
	s_or_b32 exec_lo, exec_lo, s0
	s_and_saveexec_b32 s0, s12
	s_cbranch_execz .LBB639_78
.LBB639_111:
	v_fma_f32 v3, -v2, v36, v34
	s_delay_alu instid0(VALU_DEP_1) | instskip(SKIP_1) | instid1(VALU_DEP_2)
	v_bfe_u32 v4, v3, 16, 1
	v_cmp_o_f32_e32 vcc_lo, v3, v3
	v_add3_u32 v4, v3, v4, 0x7fff
	s_delay_alu instid0(VALU_DEP_1) | instskip(NEXT) | instid1(VALU_DEP_1)
	v_lshrrev_b32_e32 v4, 16, v4
	v_cndmask_b32_e32 v3, 0x7fc0, v4, vcc_lo
	global_store_b16 v[0:1], v3, off offset:768
	s_or_b32 exec_lo, exec_lo, s0
	s_and_saveexec_b32 s0, s13
	s_cbranch_execz .LBB639_79
.LBB639_112:
	v_fma_f32 v3, -v2, v37, v31
	s_delay_alu instid0(VALU_DEP_1) | instskip(SKIP_1) | instid1(VALU_DEP_2)
	v_bfe_u32 v4, v3, 16, 1
	v_cmp_o_f32_e32 vcc_lo, v3, v3
	v_add3_u32 v4, v3, v4, 0x7fff
	s_delay_alu instid0(VALU_DEP_1) | instskip(NEXT) | instid1(VALU_DEP_1)
	v_lshrrev_b32_e32 v4, 16, v4
	v_cndmask_b32_e32 v3, 0x7fc0, v4, vcc_lo
	global_store_b16 v[0:1], v3, off offset:832
	s_or_b32 exec_lo, exec_lo, s0
	s_and_saveexec_b32 s0, s14
	s_cbranch_execz .LBB639_80
.LBB639_113:
	v_fma_f32 v3, -v2, v40, v38
	s_delay_alu instid0(VALU_DEP_1) | instskip(SKIP_1) | instid1(VALU_DEP_2)
	v_bfe_u32 v4, v3, 16, 1
	v_cmp_o_f32_e32 vcc_lo, v3, v3
	v_add3_u32 v4, v3, v4, 0x7fff
	s_delay_alu instid0(VALU_DEP_1) | instskip(NEXT) | instid1(VALU_DEP_1)
	v_lshrrev_b32_e32 v4, 16, v4
	v_cndmask_b32_e32 v3, 0x7fc0, v4, vcc_lo
	global_store_b16 v[0:1], v3, off offset:896
	s_or_b32 exec_lo, exec_lo, s0
	s_and_saveexec_b32 s0, s15
	s_cbranch_execz .LBB639_81
.LBB639_114:
	v_fma_f32 v3, -v2, v41, v35
	s_delay_alu instid0(VALU_DEP_1) | instskip(SKIP_1) | instid1(VALU_DEP_2)
	v_bfe_u32 v4, v3, 16, 1
	v_cmp_o_f32_e32 vcc_lo, v3, v3
	v_add3_u32 v4, v3, v4, 0x7fff
	s_delay_alu instid0(VALU_DEP_1) | instskip(NEXT) | instid1(VALU_DEP_1)
	v_lshrrev_b32_e32 v4, 16, v4
	v_cndmask_b32_e32 v3, 0x7fc0, v4, vcc_lo
	global_store_b16 v[0:1], v3, off offset:960
	s_or_b32 exec_lo, exec_lo, s0
	s_and_saveexec_b32 s0, s16
	s_cbranch_execz .LBB639_82
.LBB639_115:
	v_fma_f32 v3, -v2, v44, v42
	s_delay_alu instid0(VALU_DEP_1) | instskip(SKIP_1) | instid1(VALU_DEP_2)
	v_bfe_u32 v4, v3, 16, 1
	v_cmp_o_f32_e32 vcc_lo, v3, v3
	v_add3_u32 v4, v3, v4, 0x7fff
	s_delay_alu instid0(VALU_DEP_1) | instskip(NEXT) | instid1(VALU_DEP_1)
	v_lshrrev_b32_e32 v4, 16, v4
	v_cndmask_b32_e32 v3, 0x7fc0, v4, vcc_lo
	global_store_b16 v[0:1], v3, off offset:1024
	s_or_b32 exec_lo, exec_lo, s0
	s_and_saveexec_b32 s0, s17
	s_cbranch_execz .LBB639_83
.LBB639_116:
	v_fma_f32 v3, -v2, v45, v39
	s_delay_alu instid0(VALU_DEP_1) | instskip(SKIP_1) | instid1(VALU_DEP_2)
	v_bfe_u32 v4, v3, 16, 1
	v_cmp_o_f32_e32 vcc_lo, v3, v3
	v_add3_u32 v4, v3, v4, 0x7fff
	s_delay_alu instid0(VALU_DEP_1) | instskip(NEXT) | instid1(VALU_DEP_1)
	v_lshrrev_b32_e32 v4, 16, v4
	v_cndmask_b32_e32 v3, 0x7fc0, v4, vcc_lo
	global_store_b16 v[0:1], v3, off offset:1088
	s_or_b32 exec_lo, exec_lo, s0
	s_and_saveexec_b32 s0, s18
	s_cbranch_execz .LBB639_84
.LBB639_117:
	v_fma_f32 v3, -v2, v48, v46
	s_delay_alu instid0(VALU_DEP_1) | instskip(SKIP_1) | instid1(VALU_DEP_2)
	v_bfe_u32 v4, v3, 16, 1
	v_cmp_o_f32_e32 vcc_lo, v3, v3
	v_add3_u32 v4, v3, v4, 0x7fff
	s_delay_alu instid0(VALU_DEP_1) | instskip(NEXT) | instid1(VALU_DEP_1)
	v_lshrrev_b32_e32 v4, 16, v4
	v_cndmask_b32_e32 v3, 0x7fc0, v4, vcc_lo
	global_store_b16 v[0:1], v3, off offset:1152
	s_or_b32 exec_lo, exec_lo, s0
	s_and_saveexec_b32 s0, s19
	s_cbranch_execz .LBB639_85
.LBB639_118:
	v_fma_f32 v3, -v2, v49, v43
	s_delay_alu instid0(VALU_DEP_1) | instskip(SKIP_1) | instid1(VALU_DEP_2)
	v_bfe_u32 v4, v3, 16, 1
	v_cmp_o_f32_e32 vcc_lo, v3, v3
	v_add3_u32 v4, v3, v4, 0x7fff
	s_delay_alu instid0(VALU_DEP_1) | instskip(NEXT) | instid1(VALU_DEP_1)
	v_lshrrev_b32_e32 v4, 16, v4
	v_cndmask_b32_e32 v3, 0x7fc0, v4, vcc_lo
	global_store_b16 v[0:1], v3, off offset:1216
	s_or_b32 exec_lo, exec_lo, s0
	s_and_saveexec_b32 s0, s20
	s_cbranch_execz .LBB639_86
.LBB639_119:
	v_fma_f32 v3, -v2, v52, v50
	s_delay_alu instid0(VALU_DEP_1) | instskip(SKIP_1) | instid1(VALU_DEP_2)
	v_bfe_u32 v4, v3, 16, 1
	v_cmp_o_f32_e32 vcc_lo, v3, v3
	v_add3_u32 v4, v3, v4, 0x7fff
	s_delay_alu instid0(VALU_DEP_1) | instskip(NEXT) | instid1(VALU_DEP_1)
	v_lshrrev_b32_e32 v4, 16, v4
	v_cndmask_b32_e32 v3, 0x7fc0, v4, vcc_lo
	global_store_b16 v[0:1], v3, off offset:1280
	s_or_b32 exec_lo, exec_lo, s0
	s_and_saveexec_b32 s0, s21
	s_cbranch_execz .LBB639_87
.LBB639_120:
	v_fma_f32 v3, -v2, v53, v47
	s_delay_alu instid0(VALU_DEP_1) | instskip(SKIP_1) | instid1(VALU_DEP_2)
	v_bfe_u32 v4, v3, 16, 1
	v_cmp_o_f32_e32 vcc_lo, v3, v3
	v_add3_u32 v4, v3, v4, 0x7fff
	s_delay_alu instid0(VALU_DEP_1) | instskip(NEXT) | instid1(VALU_DEP_1)
	v_lshrrev_b32_e32 v4, 16, v4
	v_cndmask_b32_e32 v3, 0x7fc0, v4, vcc_lo
	global_store_b16 v[0:1], v3, off offset:1344
	s_or_b32 exec_lo, exec_lo, s0
	s_and_saveexec_b32 s0, s22
	s_cbranch_execz .LBB639_88
.LBB639_121:
	v_fma_f32 v3, -v2, v56, v54
	s_delay_alu instid0(VALU_DEP_1) | instskip(SKIP_1) | instid1(VALU_DEP_2)
	v_bfe_u32 v4, v3, 16, 1
	v_cmp_o_f32_e32 vcc_lo, v3, v3
	v_add3_u32 v4, v3, v4, 0x7fff
	s_delay_alu instid0(VALU_DEP_1) | instskip(NEXT) | instid1(VALU_DEP_1)
	v_lshrrev_b32_e32 v4, 16, v4
	v_cndmask_b32_e32 v3, 0x7fc0, v4, vcc_lo
	global_store_b16 v[0:1], v3, off offset:1408
	s_or_b32 exec_lo, exec_lo, s0
	s_and_saveexec_b32 s0, s23
	s_cbranch_execz .LBB639_89
.LBB639_122:
	v_fma_f32 v3, -v2, v57, v51
	s_delay_alu instid0(VALU_DEP_1) | instskip(SKIP_1) | instid1(VALU_DEP_2)
	v_bfe_u32 v4, v3, 16, 1
	v_cmp_o_f32_e32 vcc_lo, v3, v3
	v_add3_u32 v4, v3, v4, 0x7fff
	s_delay_alu instid0(VALU_DEP_1) | instskip(NEXT) | instid1(VALU_DEP_1)
	v_lshrrev_b32_e32 v4, 16, v4
	v_cndmask_b32_e32 v3, 0x7fc0, v4, vcc_lo
	global_store_b16 v[0:1], v3, off offset:1472
	s_or_b32 exec_lo, exec_lo, s0
	s_and_saveexec_b32 s0, s24
	s_cbranch_execz .LBB639_90
.LBB639_123:
	v_fma_f32 v3, -v2, v60, v58
	s_delay_alu instid0(VALU_DEP_1) | instskip(SKIP_1) | instid1(VALU_DEP_2)
	v_bfe_u32 v4, v3, 16, 1
	v_cmp_o_f32_e32 vcc_lo, v3, v3
	v_add3_u32 v4, v3, v4, 0x7fff
	s_delay_alu instid0(VALU_DEP_1) | instskip(NEXT) | instid1(VALU_DEP_1)
	v_lshrrev_b32_e32 v4, 16, v4
	v_cndmask_b32_e32 v3, 0x7fc0, v4, vcc_lo
	global_store_b16 v[0:1], v3, off offset:1536
	s_or_b32 exec_lo, exec_lo, s0
	s_and_saveexec_b32 s0, s25
	s_cbranch_execz .LBB639_91
.LBB639_124:
	v_fma_f32 v3, -v2, v61, v55
	s_delay_alu instid0(VALU_DEP_1) | instskip(SKIP_1) | instid1(VALU_DEP_2)
	v_bfe_u32 v4, v3, 16, 1
	v_cmp_o_f32_e32 vcc_lo, v3, v3
	v_add3_u32 v4, v3, v4, 0x7fff
	s_delay_alu instid0(VALU_DEP_1) | instskip(NEXT) | instid1(VALU_DEP_1)
	v_lshrrev_b32_e32 v4, 16, v4
	v_cndmask_b32_e32 v3, 0x7fc0, v4, vcc_lo
	global_store_b16 v[0:1], v3, off offset:1600
	s_or_b32 exec_lo, exec_lo, s0
	s_and_saveexec_b32 s0, s26
	s_cbranch_execz .LBB639_92
.LBB639_125:
	v_fma_f32 v3, -v2, v64, v62
	s_delay_alu instid0(VALU_DEP_1) | instskip(SKIP_1) | instid1(VALU_DEP_2)
	v_bfe_u32 v4, v3, 16, 1
	v_cmp_o_f32_e32 vcc_lo, v3, v3
	v_add3_u32 v4, v3, v4, 0x7fff
	s_delay_alu instid0(VALU_DEP_1) | instskip(NEXT) | instid1(VALU_DEP_1)
	v_lshrrev_b32_e32 v4, 16, v4
	v_cndmask_b32_e32 v3, 0x7fc0, v4, vcc_lo
	global_store_b16 v[0:1], v3, off offset:1664
	s_or_b32 exec_lo, exec_lo, s0
	s_and_saveexec_b32 s0, s27
	s_cbranch_execz .LBB639_93
.LBB639_126:
	v_fma_f32 v3, -v2, v65, v59
	s_delay_alu instid0(VALU_DEP_1) | instskip(SKIP_1) | instid1(VALU_DEP_2)
	v_bfe_u32 v4, v3, 16, 1
	v_cmp_o_f32_e32 vcc_lo, v3, v3
	v_add3_u32 v4, v3, v4, 0x7fff
	s_delay_alu instid0(VALU_DEP_1) | instskip(NEXT) | instid1(VALU_DEP_1)
	v_lshrrev_b32_e32 v4, 16, v4
	v_cndmask_b32_e32 v3, 0x7fc0, v4, vcc_lo
	global_store_b16 v[0:1], v3, off offset:1728
	s_or_b32 exec_lo, exec_lo, s0
	s_and_saveexec_b32 s0, s28
	s_cbranch_execz .LBB639_94
.LBB639_127:
	v_fma_f32 v3, -v2, v67, v66
	s_delay_alu instid0(VALU_DEP_1) | instskip(SKIP_1) | instid1(VALU_DEP_2)
	v_bfe_u32 v4, v3, 16, 1
	v_cmp_o_f32_e32 vcc_lo, v3, v3
	v_add3_u32 v4, v3, v4, 0x7fff
	s_delay_alu instid0(VALU_DEP_1) | instskip(NEXT) | instid1(VALU_DEP_1)
	v_lshrrev_b32_e32 v4, 16, v4
	v_cndmask_b32_e32 v3, 0x7fc0, v4, vcc_lo
	global_store_b16 v[0:1], v3, off offset:1792
	s_or_b32 exec_lo, exec_lo, s0
	s_and_saveexec_b32 s0, s29
	s_cbranch_execz .LBB639_95
.LBB639_128:
	v_fma_f32 v3, -v2, v68, v63
	s_delay_alu instid0(VALU_DEP_1) | instskip(SKIP_1) | instid1(VALU_DEP_2)
	v_bfe_u32 v4, v3, 16, 1
	v_cmp_o_f32_e32 vcc_lo, v3, v3
	v_add3_u32 v4, v3, v4, 0x7fff
	s_delay_alu instid0(VALU_DEP_1) | instskip(NEXT) | instid1(VALU_DEP_1)
	v_lshrrev_b32_e32 v4, 16, v4
	v_cndmask_b32_e32 v3, 0x7fc0, v4, vcc_lo
	global_store_b16 v[0:1], v3, off offset:1856
	s_or_b32 exec_lo, exec_lo, s0
	s_and_saveexec_b32 s0, s30
	s_cbranch_execz .LBB639_96
.LBB639_129:
	v_fma_f32 v3, -v2, v70, v69
	s_delay_alu instid0(VALU_DEP_1) | instskip(SKIP_1) | instid1(VALU_DEP_2)
	v_bfe_u32 v4, v3, 16, 1
	v_cmp_o_f32_e32 vcc_lo, v3, v3
	v_add3_u32 v4, v3, v4, 0x7fff
	s_delay_alu instid0(VALU_DEP_1) | instskip(NEXT) | instid1(VALU_DEP_1)
	v_lshrrev_b32_e32 v4, 16, v4
	v_cndmask_b32_e32 v3, 0x7fc0, v4, vcc_lo
	global_store_b16 v[0:1], v3, off offset:1920
	s_or_b32 exec_lo, exec_lo, s0
	s_delay_alu instid0(SALU_CYCLE_1)
	s_and_b32 exec_lo, exec_lo, s31
	s_cbranch_execnz .LBB639_97
	s_branch .LBB639_98
	.section	.rodata,"a",@progbits
	.p2align	6, 0x0
	.amdhsa_kernel _ZN12_GLOBAL__N_121softmax_warp_backwardIN3c108BFloat16ES2_fLi10ELb0ELb0ELi32EEEvPT0_PKT_S7_iiiPKb
		.amdhsa_group_segment_fixed_size 0
		.amdhsa_private_segment_fixed_size 0
		.amdhsa_kernarg_size 304
		.amdhsa_user_sgpr_count 15
		.amdhsa_user_sgpr_dispatch_ptr 0
		.amdhsa_user_sgpr_queue_ptr 0
		.amdhsa_user_sgpr_kernarg_segment_ptr 1
		.amdhsa_user_sgpr_dispatch_id 0
		.amdhsa_user_sgpr_private_segment_size 0
		.amdhsa_wavefront_size32 1
		.amdhsa_uses_dynamic_stack 0
		.amdhsa_enable_private_segment 0
		.amdhsa_system_sgpr_workgroup_id_x 1
		.amdhsa_system_sgpr_workgroup_id_y 0
		.amdhsa_system_sgpr_workgroup_id_z 0
		.amdhsa_system_sgpr_workgroup_info 0
		.amdhsa_system_vgpr_workitem_id 1
		.amdhsa_next_free_vgpr 71
		.amdhsa_next_free_sgpr 44
		.amdhsa_reserve_vcc 1
		.amdhsa_float_round_mode_32 0
		.amdhsa_float_round_mode_16_64 0
		.amdhsa_float_denorm_mode_32 3
		.amdhsa_float_denorm_mode_16_64 3
		.amdhsa_dx10_clamp 1
		.amdhsa_ieee_mode 1
		.amdhsa_fp16_overflow 0
		.amdhsa_workgroup_processor_mode 1
		.amdhsa_memory_ordered 1
		.amdhsa_forward_progress 0
		.amdhsa_shared_vgpr_count 0
		.amdhsa_exception_fp_ieee_invalid_op 0
		.amdhsa_exception_fp_denorm_src 0
		.amdhsa_exception_fp_ieee_div_zero 0
		.amdhsa_exception_fp_ieee_overflow 0
		.amdhsa_exception_fp_ieee_underflow 0
		.amdhsa_exception_fp_ieee_inexact 0
		.amdhsa_exception_int_div_zero 0
	.end_amdhsa_kernel
	.section	.text._ZN12_GLOBAL__N_121softmax_warp_backwardIN3c108BFloat16ES2_fLi10ELb0ELb0ELi32EEEvPT0_PKT_S7_iiiPKb,"axG",@progbits,_ZN12_GLOBAL__N_121softmax_warp_backwardIN3c108BFloat16ES2_fLi10ELb0ELb0ELi32EEEvPT0_PKT_S7_iiiPKb,comdat
.Lfunc_end639:
	.size	_ZN12_GLOBAL__N_121softmax_warp_backwardIN3c108BFloat16ES2_fLi10ELb0ELb0ELi32EEEvPT0_PKT_S7_iiiPKb, .Lfunc_end639-_ZN12_GLOBAL__N_121softmax_warp_backwardIN3c108BFloat16ES2_fLi10ELb0ELb0ELi32EEEvPT0_PKT_S7_iiiPKb
                                        ; -- End function
	.section	.AMDGPU.csdata,"",@progbits
; Kernel info:
; codeLenInByte = 5856
; NumSgprs: 46
; NumVgprs: 71
; ScratchSize: 0
; MemoryBound: 0
; FloatMode: 240
; IeeeMode: 1
; LDSByteSize: 0 bytes/workgroup (compile time only)
; SGPRBlocks: 5
; VGPRBlocks: 8
; NumSGPRsForWavesPerEU: 46
; NumVGPRsForWavesPerEU: 71
; Occupancy: 16
; WaveLimiterHint : 0
; COMPUTE_PGM_RSRC2:SCRATCH_EN: 0
; COMPUTE_PGM_RSRC2:USER_SGPR: 15
; COMPUTE_PGM_RSRC2:TRAP_HANDLER: 0
; COMPUTE_PGM_RSRC2:TGID_X_EN: 1
; COMPUTE_PGM_RSRC2:TGID_Y_EN: 0
; COMPUTE_PGM_RSRC2:TGID_Z_EN: 0
; COMPUTE_PGM_RSRC2:TIDIG_COMP_CNT: 1
	.section	.text._ZN2at6native12_GLOBAL__N_124cunn_SoftMaxBackwardSmemILi8EN3c108BFloat16EfS4_NS1_23SoftMaxBackwardEpilogueEEEvPT0_PKT2_SA_l,"axG",@progbits,_ZN2at6native12_GLOBAL__N_124cunn_SoftMaxBackwardSmemILi8EN3c108BFloat16EfS4_NS1_23SoftMaxBackwardEpilogueEEEvPT0_PKT2_SA_l,comdat
	.globl	_ZN2at6native12_GLOBAL__N_124cunn_SoftMaxBackwardSmemILi8EN3c108BFloat16EfS4_NS1_23SoftMaxBackwardEpilogueEEEvPT0_PKT2_SA_l ; -- Begin function _ZN2at6native12_GLOBAL__N_124cunn_SoftMaxBackwardSmemILi8EN3c108BFloat16EfS4_NS1_23SoftMaxBackwardEpilogueEEEvPT0_PKT2_SA_l
	.p2align	8
	.type	_ZN2at6native12_GLOBAL__N_124cunn_SoftMaxBackwardSmemILi8EN3c108BFloat16EfS4_NS1_23SoftMaxBackwardEpilogueEEEvPT0_PKT2_SA_l,@function
_ZN2at6native12_GLOBAL__N_124cunn_SoftMaxBackwardSmemILi8EN3c108BFloat16EfS4_NS1_23SoftMaxBackwardEpilogueEEEvPT0_PKT2_SA_l: ; @_ZN2at6native12_GLOBAL__N_124cunn_SoftMaxBackwardSmemILi8EN3c108BFloat16EfS4_NS1_23SoftMaxBackwardEpilogueEEEvPT0_PKT2_SA_l
; %bb.0:
	s_load_b256 s[4:11], s[0:1], 0x0
	v_dual_mov_b32 v2, 0 :: v_dual_lshlrev_b32 v1, 3, v0
	v_lshl_add_u32 v5, v0, 4, 0
	s_waitcnt lgkmcnt(0)
	s_delay_alu instid0(VALU_DEP_2)
	v_cmp_gt_i64_e32 vcc_lo, s[10:11], v[1:2]
	s_mul_i32 s2, s15, s11
	s_mul_hi_u32 s3, s15, s10
	s_mul_i32 s12, s15, s10
	s_add_i32 s13, s3, s2
	s_and_saveexec_b32 s3, vcc_lo
	s_cbranch_execz .LBB640_4
; %bb.1:
	s_load_b32 s2, s[0:1], 0x2c
	s_lshl_b64 s[14:15], s[12:13], 1
	v_lshl_add_u32 v6, v0, 4, 0
	s_add_u32 s8, s8, s14
	s_addc_u32 s9, s9, s15
	v_dual_mov_b32 v2, 0 :: v_dual_mov_b32 v3, v0
	s_mov_b32 s15, 0
	s_waitcnt lgkmcnt(0)
	s_and_b32 s14, s2, 0xffff
	s_delay_alu instid0(SALU_CYCLE_1)
	v_add_lshl_u32 v1, v0, s14, 3
	s_lshl_b32 s16, s14, 3
	s_lshl_b32 s17, s14, 4
	s_set_inst_prefetch_distance 0x1
	.p2align	6
.LBB640_2:                              ; =>This Inner Loop Header: Depth=1
	v_ashrrev_i32_e32 v4, 31, v3
	s_delay_alu instid0(VALU_DEP_1) | instskip(SKIP_1) | instid1(VALU_DEP_2)
	v_lshlrev_b64 v[7:8], 4, v[3:4]
	v_add_nc_u32_e32 v3, s14, v3
	v_add_co_u32 v7, s2, s8, v7
	s_delay_alu instid0(VALU_DEP_1)
	v_add_co_ci_u32_e64 v8, s2, s9, v8, s2
	global_load_b128 v[7:10], v[7:8], off
	s_waitcnt vmcnt(0)
	v_lshlrev_b32_e32 v4, 16, v7
	v_and_b32_e32 v11, 0xffff0000, v7
	v_and_b32_e32 v12, 0xffff0000, v10
	ds_store_b128 v6, v[7:10]
	v_add_nc_u32_e32 v6, s17, v6
	v_add_f32_e32 v2, v2, v4
	v_lshlrev_b32_e32 v4, 16, v8
	s_delay_alu instid0(VALU_DEP_2) | instskip(NEXT) | instid1(VALU_DEP_1)
	v_dual_add_f32 v2, v2, v11 :: v_dual_and_b32 v11, 0xffff0000, v8
	v_add_f32_e32 v2, v2, v4
	v_lshlrev_b32_e32 v4, 16, v9
	s_delay_alu instid0(VALU_DEP_2) | instskip(NEXT) | instid1(VALU_DEP_1)
	v_dual_add_f32 v2, v2, v11 :: v_dual_and_b32 v11, 0xffff0000, v9
	v_add_f32_e32 v2, v2, v4
	s_delay_alu instid0(VALU_DEP_1) | instskip(SKIP_1) | instid1(VALU_DEP_2)
	v_dual_add_f32 v11, v2, v11 :: v_dual_lshlrev_b32 v4, 16, v10
	v_ashrrev_i32_e32 v2, 31, v1
	v_add_f32_e32 v4, v11, v4
	s_delay_alu instid0(VALU_DEP_2) | instskip(NEXT) | instid1(VALU_DEP_2)
	v_cmp_le_i64_e64 s2, s[10:11], v[1:2]
	v_dual_add_f32 v2, v4, v12 :: v_dual_add_nc_u32 v1, s16, v1
	s_delay_alu instid0(VALU_DEP_2) | instskip(NEXT) | instid1(SALU_CYCLE_1)
	s_or_b32 s15, s2, s15
	s_and_not1_b32 exec_lo, exec_lo, s15
	s_cbranch_execnz .LBB640_2
; %bb.3:
	s_set_inst_prefetch_distance 0x2
	s_or_b32 exec_lo, exec_lo, s15
.LBB640_4:
	s_delay_alu instid0(SALU_CYCLE_1)
	s_or_b32 exec_lo, exec_lo, s3
	v_mbcnt_lo_u32_b32 v6, -1, 0
	s_lshl_b32 s3, s10, 1
	s_mov_b32 s8, exec_lo
	s_add_i32 s3, s3, 0
	s_waitcnt lgkmcnt(0)
	v_cmp_gt_u32_e64 s2, 16, v6
	s_barrier
	buffer_gl0_inv
	v_cndmask_b32_e64 v1, 0, 1, s2
	v_cmp_gt_u32_e64 s2, 24, v6
	s_delay_alu instid0(VALU_DEP_2) | instskip(NEXT) | instid1(VALU_DEP_2)
	v_lshlrev_b32_e32 v1, 4, v1
	v_cndmask_b32_e64 v3, 0, 1, s2
	v_cmp_gt_u32_e64 s2, 28, v6
	s_delay_alu instid0(VALU_DEP_3) | instskip(NEXT) | instid1(VALU_DEP_3)
	v_add_lshl_u32 v1, v1, v6, 2
	v_lshlrev_b32_e32 v3, 3, v3
	ds_bpermute_b32 v4, v1, v2
	v_add_lshl_u32 v3, v3, v6, 2
	s_waitcnt lgkmcnt(0)
	v_add_f32_e32 v4, v2, v4
	v_cndmask_b32_e64 v2, 0, 1, s2
	v_cmp_gt_u32_e64 s2, 30, v6
	ds_bpermute_b32 v7, v3, v4
	s_waitcnt lgkmcnt(0)
	v_dual_add_f32 v7, v4, v7 :: v_dual_lshlrev_b32 v2, 2, v2
	s_delay_alu instid0(VALU_DEP_1) | instskip(SKIP_4) | instid1(VALU_DEP_1)
	v_add_lshl_u32 v2, v2, v6, 2
	v_cndmask_b32_e64 v4, 0, 1, s2
	v_cmp_ne_u32_e64 s2, 31, v6
	ds_bpermute_b32 v8, v2, v7
	v_lshlrev_b32_e32 v4, 1, v4
	v_add_lshl_u32 v4, v4, v6, 2
	v_add_co_ci_u32_e64 v6, s2, 0, v6, s2
	s_waitcnt lgkmcnt(0)
	s_delay_alu instid0(VALU_DEP_1)
	v_dual_add_f32 v7, v7, v8 :: v_dual_lshlrev_b32 v6, 2, v6
	ds_bpermute_b32 v8, v4, v7
	s_waitcnt lgkmcnt(0)
	v_add_f32_e32 v8, v7, v8
	v_and_b32_e32 v7, 31, v0
	ds_bpermute_b32 v9, v6, v8
	v_cmpx_eq_u32_e32 0, v7
	s_cbranch_execz .LBB640_6
; %bb.5:
	v_lshrrev_b32_e32 v10, 3, v0
	s_waitcnt lgkmcnt(0)
	v_add_f32_e32 v8, v8, v9
	s_delay_alu instid0(VALU_DEP_2)
	v_add_nc_u32_e32 v10, s3, v10
	ds_store_b32 v10, v8
.LBB640_6:
	s_or_b32 exec_lo, exec_lo, s8
	s_waitcnt lgkmcnt(0)
	s_barrier
	buffer_gl0_inv
	s_load_b32 s1, s[0:1], 0x2c
	v_mov_b32_e32 v8, 0
	s_mov_b32 s2, exec_lo
	s_waitcnt lgkmcnt(0)
	s_bfe_u32 s0, s1, 0xb0005
	s_delay_alu instid0(SALU_CYCLE_1)
	v_cmpx_gt_u32_e64 s0, v0
	s_cbranch_execz .LBB640_8
; %bb.7:
	v_lshl_add_u32 v7, v7, 2, s3
	ds_load_b32 v8, v7
.LBB640_8:
	s_or_b32 exec_lo, exec_lo, s2
	s_delay_alu instid0(SALU_CYCLE_1)
	s_mov_b32 s2, exec_lo
	v_cmpx_gt_u32_e32 32, v0
	s_cbranch_execz .LBB640_10
; %bb.9:
	s_waitcnt lgkmcnt(0)
	ds_bpermute_b32 v1, v1, v8
	s_waitcnt lgkmcnt(0)
	v_add_f32_e32 v1, v8, v1
	ds_bpermute_b32 v3, v3, v1
	s_waitcnt lgkmcnt(0)
	v_add_f32_e32 v1, v1, v3
	;; [unrolled: 3-line block ×5, first 2 shown]
.LBB640_10:
	s_or_b32 exec_lo, exec_lo, s2
	s_delay_alu instid0(SALU_CYCLE_1)
	s_mov_b32 s2, exec_lo
	v_cmpx_eq_u32_e32 0, v0
	s_cbranch_execz .LBB640_12
; %bb.11:
	v_mov_b32_e32 v1, s3
	s_waitcnt lgkmcnt(0)
	ds_store_b32 v1, v8
.LBB640_12:
	s_or_b32 exec_lo, exec_lo, s2
	s_waitcnt lgkmcnt(0)
	s_barrier
	buffer_gl0_inv
	s_and_saveexec_b32 s0, vcc_lo
	s_cbranch_execz .LBB640_15
; %bb.13:
	v_mov_b32_e32 v1, s3
	s_lshl_b64 s[2:3], s[12:13], 1
	s_and_b32 s9, s1, 0xffff
	s_add_u32 s12, s4, s2
	v_add_lshl_u32 v2, v0, s9, 3
	ds_load_b32 v4, v1
	s_addc_u32 s13, s5, s3
	s_add_u32 s14, s6, s2
	s_addc_u32 s15, s7, s3
	s_lshl_b32 s16, s9, 3
	s_mov_b32 s17, 0
	s_lshl_b32 s18, s9, 4
.LBB640_14:                             ; =>This Inner Loop Header: Depth=1
	v_ashrrev_i32_e32 v1, 31, v0
	ds_load_b128 v[10:13], v5
	v_ashrrev_i32_e32 v3, 31, v2
	v_add_nc_u32_e32 v5, s18, v5
	v_lshlrev_b64 v[14:15], 4, v[0:1]
	v_add_nc_u32_e32 v0, s9, v0
	s_delay_alu instid0(VALU_DEP_2) | instskip(NEXT) | instid1(VALU_DEP_3)
	v_add_co_u32 v6, vcc_lo, s14, v14
	v_add_co_ci_u32_e32 v7, vcc_lo, s15, v15, vcc_lo
	v_cmp_le_i64_e32 vcc_lo, s[10:11], v[2:3]
	v_add_co_u32 v14, s0, s12, v14
	global_load_b128 v[6:9], v[6:7], off
	v_add_co_ci_u32_e64 v15, s0, s13, v15, s0
	s_waitcnt lgkmcnt(0)
	v_and_b32_e32 v1, 0xffff0000, v10
	v_lshlrev_b32_e32 v3, 16, v10
	v_and_b32_e32 v10, 0xffff0000, v11
	v_lshlrev_b32_e32 v11, 16, v11
	;; [unrolled: 2-line block ×4, first 2 shown]
	v_add_nc_u32_e32 v2, s16, v2
	s_or_b32 s17, vcc_lo, s17
	s_waitcnt vmcnt(0)
	v_lshlrev_b32_e32 v18, 16, v6
	v_and_b32_e32 v6, 0xffff0000, v6
	v_lshlrev_b32_e32 v19, 16, v7
	v_and_b32_e32 v7, 0xffff0000, v7
	;; [unrolled: 2-line block ×4, first 2 shown]
	v_fma_f32 v1, -v4, v6, v1
	v_fma_f32 v3, -v4, v18, v3
	;; [unrolled: 1-line block ×8, first 2 shown]
	v_bfe_u32 v12, v1, 16, 1
	v_bfe_u32 v13, v3, 16, 1
	;; [unrolled: 1-line block ×8, first 2 shown]
	v_add3_u32 v12, v1, v12, 0x7fff
	v_add3_u32 v13, v3, v13, 0x7fff
	;; [unrolled: 1-line block ×8, first 2 shown]
	v_lshrrev_b32_e32 v12, 16, v12
	v_lshrrev_b32_e32 v13, 16, v13
	v_cmp_o_f32_e64 s1, v3, v3
	v_lshrrev_b32_e32 v3, 16, v16
	v_lshrrev_b32_e32 v16, 16, v17
	v_cmp_o_f32_e64 s2, v6, v6
	v_cmp_o_f32_e64 s3, v7, v7
	v_lshrrev_b32_e32 v6, 16, v18
	v_lshrrev_b32_e32 v7, 16, v19
	v_cmp_o_f32_e64 s4, v8, v8
	;; [unrolled: 4-line block ×3, first 2 shown]
	v_cmp_o_f32_e64 s7, v11, v11
	v_cmp_o_f32_e64 s8, v1, v1
	v_cndmask_b32_e64 v11, 0x7fc0, v13, s1
	v_cndmask_b32_e64 v3, 0x7fc0, v3, s2
	;; [unrolled: 1-line block ×8, first 2 shown]
	s_delay_alu instid0(VALU_DEP_3) | instskip(NEXT) | instid1(VALU_DEP_3)
	v_perm_b32 v9, v8, v9, 0x5040100
	v_perm_b32 v8, v6, v7, 0x5040100
	s_delay_alu instid0(VALU_DEP_3)
	v_perm_b32 v7, v3, v10, 0x5040100
	v_perm_b32 v6, v1, v11, 0x5040100
	global_store_b128 v[14:15], v[6:9], off
	s_and_not1_b32 exec_lo, exec_lo, s17
	s_cbranch_execnz .LBB640_14
.LBB640_15:
	s_nop 0
	s_sendmsg sendmsg(MSG_DEALLOC_VGPRS)
	s_endpgm
	.section	.rodata,"a",@progbits
	.p2align	6, 0x0
	.amdhsa_kernel _ZN2at6native12_GLOBAL__N_124cunn_SoftMaxBackwardSmemILi8EN3c108BFloat16EfS4_NS1_23SoftMaxBackwardEpilogueEEEvPT0_PKT2_SA_l
		.amdhsa_group_segment_fixed_size 0
		.amdhsa_private_segment_fixed_size 0
		.amdhsa_kernarg_size 288
		.amdhsa_user_sgpr_count 15
		.amdhsa_user_sgpr_dispatch_ptr 0
		.amdhsa_user_sgpr_queue_ptr 0
		.amdhsa_user_sgpr_kernarg_segment_ptr 1
		.amdhsa_user_sgpr_dispatch_id 0
		.amdhsa_user_sgpr_private_segment_size 0
		.amdhsa_wavefront_size32 1
		.amdhsa_uses_dynamic_stack 0
		.amdhsa_enable_private_segment 0
		.amdhsa_system_sgpr_workgroup_id_x 1
		.amdhsa_system_sgpr_workgroup_id_y 0
		.amdhsa_system_sgpr_workgroup_id_z 0
		.amdhsa_system_sgpr_workgroup_info 0
		.amdhsa_system_vgpr_workitem_id 0
		.amdhsa_next_free_vgpr 22
		.amdhsa_next_free_sgpr 19
		.amdhsa_reserve_vcc 1
		.amdhsa_float_round_mode_32 0
		.amdhsa_float_round_mode_16_64 0
		.amdhsa_float_denorm_mode_32 3
		.amdhsa_float_denorm_mode_16_64 3
		.amdhsa_dx10_clamp 1
		.amdhsa_ieee_mode 1
		.amdhsa_fp16_overflow 0
		.amdhsa_workgroup_processor_mode 1
		.amdhsa_memory_ordered 1
		.amdhsa_forward_progress 0
		.amdhsa_shared_vgpr_count 0
		.amdhsa_exception_fp_ieee_invalid_op 0
		.amdhsa_exception_fp_denorm_src 0
		.amdhsa_exception_fp_ieee_div_zero 0
		.amdhsa_exception_fp_ieee_overflow 0
		.amdhsa_exception_fp_ieee_underflow 0
		.amdhsa_exception_fp_ieee_inexact 0
		.amdhsa_exception_int_div_zero 0
	.end_amdhsa_kernel
	.section	.text._ZN2at6native12_GLOBAL__N_124cunn_SoftMaxBackwardSmemILi8EN3c108BFloat16EfS4_NS1_23SoftMaxBackwardEpilogueEEEvPT0_PKT2_SA_l,"axG",@progbits,_ZN2at6native12_GLOBAL__N_124cunn_SoftMaxBackwardSmemILi8EN3c108BFloat16EfS4_NS1_23SoftMaxBackwardEpilogueEEEvPT0_PKT2_SA_l,comdat
.Lfunc_end640:
	.size	_ZN2at6native12_GLOBAL__N_124cunn_SoftMaxBackwardSmemILi8EN3c108BFloat16EfS4_NS1_23SoftMaxBackwardEpilogueEEEvPT0_PKT2_SA_l, .Lfunc_end640-_ZN2at6native12_GLOBAL__N_124cunn_SoftMaxBackwardSmemILi8EN3c108BFloat16EfS4_NS1_23SoftMaxBackwardEpilogueEEEvPT0_PKT2_SA_l
                                        ; -- End function
	.section	.AMDGPU.csdata,"",@progbits
; Kernel info:
; codeLenInByte = 1636
; NumSgprs: 21
; NumVgprs: 22
; ScratchSize: 0
; MemoryBound: 0
; FloatMode: 240
; IeeeMode: 1
; LDSByteSize: 0 bytes/workgroup (compile time only)
; SGPRBlocks: 2
; VGPRBlocks: 2
; NumSGPRsForWavesPerEU: 21
; NumVGPRsForWavesPerEU: 22
; Occupancy: 16
; WaveLimiterHint : 0
; COMPUTE_PGM_RSRC2:SCRATCH_EN: 0
; COMPUTE_PGM_RSRC2:USER_SGPR: 15
; COMPUTE_PGM_RSRC2:TRAP_HANDLER: 0
; COMPUTE_PGM_RSRC2:TGID_X_EN: 1
; COMPUTE_PGM_RSRC2:TGID_Y_EN: 0
; COMPUTE_PGM_RSRC2:TGID_Z_EN: 0
; COMPUTE_PGM_RSRC2:TIDIG_COMP_CNT: 0
	.section	.text._ZN2at6native12_GLOBAL__N_120cunn_SoftMaxBackwardILi8EN3c108BFloat16EfS4_NS1_23SoftMaxBackwardEpilogueEEEvPT0_PKT2_SA_l,"axG",@progbits,_ZN2at6native12_GLOBAL__N_120cunn_SoftMaxBackwardILi8EN3c108BFloat16EfS4_NS1_23SoftMaxBackwardEpilogueEEEvPT0_PKT2_SA_l,comdat
	.globl	_ZN2at6native12_GLOBAL__N_120cunn_SoftMaxBackwardILi8EN3c108BFloat16EfS4_NS1_23SoftMaxBackwardEpilogueEEEvPT0_PKT2_SA_l ; -- Begin function _ZN2at6native12_GLOBAL__N_120cunn_SoftMaxBackwardILi8EN3c108BFloat16EfS4_NS1_23SoftMaxBackwardEpilogueEEEvPT0_PKT2_SA_l
	.p2align	8
	.type	_ZN2at6native12_GLOBAL__N_120cunn_SoftMaxBackwardILi8EN3c108BFloat16EfS4_NS1_23SoftMaxBackwardEpilogueEEEvPT0_PKT2_SA_l,@function
_ZN2at6native12_GLOBAL__N_120cunn_SoftMaxBackwardILi8EN3c108BFloat16EfS4_NS1_23SoftMaxBackwardEpilogueEEEvPT0_PKT2_SA_l: ; @_ZN2at6native12_GLOBAL__N_120cunn_SoftMaxBackwardILi8EN3c108BFloat16EfS4_NS1_23SoftMaxBackwardEpilogueEEEvPT0_PKT2_SA_l
; %bb.0:
	s_load_b256 s[4:11], s[0:1], 0x0
	s_mov_b32 s29, 0
	s_waitcnt lgkmcnt(0)
	s_mul_i32 s3, s15, s11
	s_mul_hi_u32 s12, s15, s10
	s_mul_i32 s2, s15, s10
	s_add_i32 s3, s12, s3
	v_cmp_lt_i64_e64 s14, 0x7ffffffe, s[10:11]
	s_lshl_b64 s[26:27], s[2:3], 1
	s_delay_alu instid0(SALU_CYCLE_1) | instskip(SKIP_2) | instid1(SALU_CYCLE_1)
	s_add_u32 s12, s8, s26
	s_addc_u32 s13, s9, s27
	s_bfe_u32 s28, s12, 0x30001
	s_cmp_lg_u32 s28, 0
	s_cselect_b32 s22, -1, 0
	s_and_b32 vcc_lo, exec_lo, s14
	s_cbranch_vccz .LBB641_16
; %bb.1:
	v_mov_b32_e32 v1, 0
	s_and_b32 vcc_lo, exec_lo, s22
	s_cbranch_vccz .LBB641_39
; %bb.2:
	s_lshl_b32 s2, s28, 1
	s_delay_alu instid0(VALU_DEP_1)
	v_mov_b32_e32 v8, v1
	s_sub_u32 s18, s12, s2
	s_mov_b32 s20, 0
	s_subb_u32 s19, s13, 0
	s_mov_b32 s2, exec_lo
	v_cmpx_le_u64_e64 s[28:29], v[0:1]
	s_cbranch_execz .LBB641_4
; %bb.3:
	v_lshlrev_b32_e32 v2, 1, v0
	global_load_u16 v2, v2, s[18:19]
	s_waitcnt vmcnt(0)
	v_lshlrev_b32_e32 v2, 16, v2
	s_delay_alu instid0(VALU_DEP_1)
	v_add_f32_e32 v8, 0, v2
.LBB641_4:
	s_or_b32 exec_lo, exec_lo, s2
	s_load_b32 s16, s[0:1], 0x2c
	s_add_u32 s17, s28, s10
	s_addc_u32 s21, 0, s11
	s_add_u32 s2, s0, 32
	s_addc_u32 s3, s1, 0
	s_waitcnt lgkmcnt(0)
	s_and_b32 s23, s16, 0xffff
	s_delay_alu instid0(SALU_CYCLE_1) | instskip(SKIP_2) | instid1(SALU_CYCLE_1)
	s_sub_u32 s16, s17, s23
	s_subb_u32 s17, s21, 0
	s_lshl_b32 s21, s23, 1
	s_add_u32 s18, s18, s21
	s_addc_u32 s19, s19, 0
	s_and_b32 vcc_lo, exec_lo, s20
	s_cbranch_vccz .LBB641_6
.LBB641_5:
	v_mov_b32_e32 v8, 0
	s_add_u32 s2, s0, 32
	s_addc_u32 s3, s1, 0
	s_mov_b64 s[16:17], s[10:11]
	s_mov_b64 s[18:19], s[12:13]
.LBB641_6:
	s_load_b32 s20, s[2:3], 0x0
	v_mov_b32_e32 v2, 0
	s_mov_b32 s21, s17
	s_waitcnt lgkmcnt(0)
	s_cmp_lt_u32 s15, s20
	s_cselect_b32 s20, 12, 18
	s_delay_alu instid0(SALU_CYCLE_1)
	s_add_u32 s2, s2, s20
	s_addc_u32 s3, s3, 0
	s_mov_b32 s20, 0
	global_load_u16 v2, v2, s[2:3]
	s_waitcnt vmcnt(0)
	v_readfirstlane_b32 s2, v2
	v_and_b32_e32 v9, 0xffff, v2
	s_delay_alu instid0(VALU_DEP_2) | instskip(NEXT) | instid1(SALU_CYCLE_1)
	s_and_b32 s2, 0xffff, s2
	s_lshl_b32 s3, s2, 3
	s_cmp_lg_u64 s[20:21], 0
	s_cbranch_scc0 .LBB641_40
; %bb.7:
	v_cvt_f32_u32_e32 v2, s3
	s_sub_u32 s23, 0, s3
	s_subb_u32 s24, 0, 0
	s_delay_alu instid0(VALU_DEP_1) | instskip(NEXT) | instid1(VALU_DEP_1)
	v_fmamk_f32 v2, 0, 0x4f800000, v2
	v_rcp_f32_e32 v2, v2
	s_waitcnt_depctr 0xfff
	v_mul_f32_e32 v2, 0x5f7ffffc, v2
	s_delay_alu instid0(VALU_DEP_1) | instskip(NEXT) | instid1(VALU_DEP_1)
	v_mul_f32_e32 v3, 0x2f800000, v2
	v_trunc_f32_e32 v3, v3
	s_delay_alu instid0(VALU_DEP_1) | instskip(SKIP_1) | instid1(VALU_DEP_2)
	v_fmamk_f32 v2, v3, 0xcf800000, v2
	v_cvt_u32_f32_e32 v3, v3
	v_cvt_u32_f32_e32 v2, v2
	s_delay_alu instid0(VALU_DEP_2) | instskip(NEXT) | instid1(VALU_DEP_2)
	v_readfirstlane_b32 s2, v3
	v_readfirstlane_b32 s21, v2
	s_delay_alu instid0(VALU_DEP_2) | instskip(NEXT) | instid1(VALU_DEP_1)
	s_mul_i32 s25, s23, s2
	s_mul_hi_u32 s31, s23, s21
	s_mul_i32 s30, s24, s21
	s_add_i32 s25, s31, s25
	s_mul_i32 s33, s23, s21
	s_add_i32 s25, s25, s30
	s_mul_hi_u32 s31, s21, s33
	s_mul_hi_u32 s34, s2, s33
	s_mul_i32 s30, s2, s33
	s_mul_hi_u32 s33, s21, s25
	s_mul_i32 s21, s21, s25
	s_mul_hi_u32 s35, s2, s25
	s_add_u32 s21, s31, s21
	s_addc_u32 s31, 0, s33
	s_add_u32 s21, s21, s30
	s_mul_i32 s25, s2, s25
	s_addc_u32 s21, s31, s34
	s_addc_u32 s30, s35, 0
	s_add_u32 s21, s21, s25
	s_addc_u32 s25, 0, s30
	v_add_co_u32 v2, s21, v2, s21
	s_delay_alu instid0(VALU_DEP_1) | instskip(SKIP_1) | instid1(VALU_DEP_1)
	s_cmp_lg_u32 s21, 0
	s_addc_u32 s2, s2, s25
	v_readfirstlane_b32 s21, v2
	s_mul_i32 s25, s23, s2
	s_delay_alu instid0(VALU_DEP_1)
	s_mul_hi_u32 s30, s23, s21
	s_mul_i32 s24, s24, s21
	s_add_i32 s25, s30, s25
	s_mul_i32 s23, s23, s21
	s_add_i32 s25, s25, s24
	s_mul_hi_u32 s30, s2, s23
	s_mul_i32 s31, s2, s23
	s_mul_hi_u32 s23, s21, s23
	s_mul_hi_u32 s33, s21, s25
	s_mul_i32 s21, s21, s25
	s_mul_hi_u32 s24, s2, s25
	s_add_u32 s21, s23, s21
	s_addc_u32 s23, 0, s33
	s_add_u32 s21, s21, s31
	s_mul_i32 s25, s2, s25
	s_addc_u32 s21, s23, s30
	s_addc_u32 s23, s24, 0
	s_add_u32 s21, s21, s25
	s_addc_u32 s23, 0, s23
	v_add_co_u32 v2, s21, v2, s21
	s_delay_alu instid0(VALU_DEP_1) | instskip(SKIP_1) | instid1(VALU_DEP_1)
	s_cmp_lg_u32 s21, 0
	s_addc_u32 s2, s2, s23
	v_readfirstlane_b32 s21, v2
	s_mul_i32 s24, s16, s2
	s_mul_hi_u32 s23, s16, s2
	s_mul_hi_u32 s25, s17, s2
	s_mul_i32 s2, s17, s2
	s_mul_hi_u32 s30, s16, s21
	s_mul_hi_u32 s31, s17, s21
	s_mul_i32 s21, s17, s21
	s_add_u32 s24, s30, s24
	s_addc_u32 s23, 0, s23
	s_add_u32 s21, s24, s21
	s_addc_u32 s21, s23, s31
	s_addc_u32 s23, s25, 0
	s_add_u32 s2, s21, s2
	s_addc_u32 s21, 0, s23
	s_mul_hi_u32 s23, s3, s2
	s_mul_i32 s2, s3, s2
	s_mul_i32 s21, s3, s21
	v_sub_co_u32 v2, s2, s16, s2
	s_add_i32 s23, s23, s21
	s_cmp_lg_u32 s2, 0
	s_delay_alu instid0(VALU_DEP_1) | instskip(SKIP_2) | instid1(VALU_DEP_1)
	v_sub_co_u32 v3, s2, v2, s3
	s_subb_u32 s21, s17, s23
	s_cmp_lg_u32 s2, 0
	v_cmp_le_u32_e32 vcc_lo, s3, v3
	v_sub_co_u32 v4, s2, v3, s3
	s_subb_u32 s23, s21, 0
	s_cmp_lg_u32 s2, 0
	v_cndmask_b32_e64 v5, 0, -1, vcc_lo
	s_subb_u32 s2, s23, 0
	s_cmp_eq_u32 s23, 0
	v_mov_b32_e32 v7, s2
	s_cselect_b32 vcc_lo, -1, 0
	s_cmp_eq_u32 s21, 0
	v_cndmask_b32_e32 v5, -1, v5, vcc_lo
	v_cmp_le_u32_e32 vcc_lo, s3, v2
	s_cselect_b32 s2, -1, 0
	v_cndmask_b32_e64 v6, 0, -1, vcc_lo
	s_delay_alu instid0(VALU_DEP_3) | instskip(NEXT) | instid1(VALU_DEP_2)
	v_cmp_ne_u32_e32 vcc_lo, 0, v5
	v_cndmask_b32_e64 v5, -1, v6, s2
	v_cndmask_b32_e32 v6, s23, v7, vcc_lo
	v_cndmask_b32_e32 v4, v3, v4, vcc_lo
	s_delay_alu instid0(VALU_DEP_3) | instskip(NEXT) | instid1(VALU_DEP_2)
	v_cmp_ne_u32_e32 vcc_lo, 0, v5
	v_cndmask_b32_e32 v2, v2, v4, vcc_lo
	s_delay_alu instid0(VALU_DEP_4)
	v_cndmask_b32_e32 v3, s21, v6, vcc_lo
	s_and_not1_b32 vcc_lo, exec_lo, s20
	s_cbranch_vccnz .LBB641_9
.LBB641_8:
	v_cvt_f32_u32_e32 v2, s3
	s_sub_i32 s2, 0, s3
	s_delay_alu instid0(VALU_DEP_1) | instskip(SKIP_2) | instid1(VALU_DEP_1)
	v_rcp_iflag_f32_e32 v2, v2
	s_waitcnt_depctr 0xfff
	v_mul_f32_e32 v2, 0x4f7ffffe, v2
	v_cvt_u32_f32_e32 v2, v2
	s_delay_alu instid0(VALU_DEP_1) | instskip(NEXT) | instid1(VALU_DEP_1)
	v_mul_lo_u32 v3, s2, v2
	v_mul_hi_u32 v3, v2, v3
	s_delay_alu instid0(VALU_DEP_1) | instskip(NEXT) | instid1(VALU_DEP_1)
	v_add_nc_u32_e32 v2, v2, v3
	v_mul_hi_u32 v2, s16, v2
	s_delay_alu instid0(VALU_DEP_1) | instskip(NEXT) | instid1(VALU_DEP_1)
	v_mul_lo_u32 v2, v2, s3
	v_sub_nc_u32_e32 v2, s16, v2
	s_delay_alu instid0(VALU_DEP_1) | instskip(SKIP_1) | instid1(VALU_DEP_2)
	v_subrev_nc_u32_e32 v3, s3, v2
	v_cmp_le_u32_e32 vcc_lo, s3, v2
	v_cndmask_b32_e32 v2, v2, v3, vcc_lo
	s_delay_alu instid0(VALU_DEP_1) | instskip(SKIP_1) | instid1(VALU_DEP_2)
	v_subrev_nc_u32_e32 v3, s3, v2
	v_cmp_le_u32_e32 vcc_lo, s3, v2
	v_dual_cndmask_b32 v2, v2, v3 :: v_dual_mov_b32 v3, 0
.LBB641_9:
	v_dual_mov_b32 v7, v1 :: v_dual_lshlrev_b32 v4, 4, v0
	s_delay_alu instid0(VALU_DEP_2) | instskip(NEXT) | instid1(VALU_DEP_3)
	v_sub_co_u32 v2, vcc_lo, s16, v2
	v_sub_co_ci_u32_e32 v3, vcc_lo, s17, v3, vcc_lo
	s_delay_alu instid0(VALU_DEP_3) | instskip(NEXT) | instid1(VALU_DEP_1)
	v_add_co_u32 v4, s2, s18, v4
	v_add_co_ci_u32_e64 v5, null, s19, 0, s2
	v_lshlrev_b32_e32 v10, 4, v9
	v_mov_b32_e32 v6, v0
	s_mov_b32 s3, 0
	s_set_inst_prefetch_distance 0x1
	.p2align	6
.LBB641_10:                             ; =>This Inner Loop Header: Depth=1
	global_load_b128 v[11:14], v[4:5], off
	v_add_co_u32 v6, vcc_lo, v6, v9
	v_add_co_ci_u32_e32 v7, vcc_lo, 0, v7, vcc_lo
	v_add_co_u32 v4, s2, v4, v10
	s_delay_alu instid0(VALU_DEP_1) | instskip(SKIP_3) | instid1(VALU_DEP_2)
	v_add_co_ci_u32_e64 v5, s2, 0, v5, s2
	s_waitcnt vmcnt(0)
	v_lshlrev_b32_e32 v1, 16, v11
	v_and_b32_e32 v11, 0xffff0000, v11
	v_dual_add_f32 v1, v8, v1 :: v_dual_lshlrev_b32 v8, 16, v12
	s_delay_alu instid0(VALU_DEP_1) | instskip(SKIP_1) | instid1(VALU_DEP_2)
	v_add_f32_e32 v1, v1, v11
	v_and_b32_e32 v11, 0xffff0000, v12
	v_dual_add_f32 v1, v1, v8 :: v_dual_lshlrev_b32 v8, 16, v13
	s_delay_alu instid0(VALU_DEP_1) | instskip(SKIP_1) | instid1(VALU_DEP_2)
	v_add_f32_e32 v1, v1, v11
	v_lshlrev_b64 v[11:12], 3, v[6:7]
	v_dual_add_f32 v1, v1, v8 :: v_dual_lshlrev_b32 v8, 16, v14
	s_delay_alu instid0(VALU_DEP_2) | instskip(SKIP_3) | instid1(VALU_DEP_1)
	v_cmp_ge_i64_e32 vcc_lo, v[11:12], v[2:3]
	v_and_b32_e32 v11, 0xffff0000, v14
	v_and_b32_e32 v13, 0xffff0000, v13
	s_or_b32 s3, vcc_lo, s3
	v_add_f32_e32 v1, v1, v13
	s_delay_alu instid0(VALU_DEP_1) | instskip(NEXT) | instid1(VALU_DEP_1)
	v_add_f32_e32 v1, v1, v8
	v_add_f32_e32 v8, v1, v11
	s_and_not1_b32 exec_lo, exec_lo, s3
	s_cbranch_execnz .LBB641_10
; %bb.11:
	s_set_inst_prefetch_distance 0x2
	s_or_b32 exec_lo, exec_lo, s3
	v_add_co_u32 v1, vcc_lo, v2, v0
	v_add_co_ci_u32_e32 v2, vcc_lo, 0, v3, vcc_lo
	s_mov_b32 s2, exec_lo
	s_delay_alu instid0(VALU_DEP_1)
	v_cmpx_gt_i64_e64 s[16:17], v[1:2]
	s_cbranch_execz .LBB641_15
; %bb.12:
	s_mov_b32 s3, 0
.LBB641_13:                             ; =>This Inner Loop Header: Depth=1
	v_lshlrev_b64 v[3:4], 1, v[1:2]
	s_delay_alu instid0(VALU_DEP_1) | instskip(NEXT) | instid1(VALU_DEP_2)
	v_add_co_u32 v3, vcc_lo, s18, v3
	v_add_co_ci_u32_e32 v4, vcc_lo, s19, v4, vcc_lo
	v_add_co_u32 v1, vcc_lo, v1, v9
	v_add_co_ci_u32_e32 v2, vcc_lo, 0, v2, vcc_lo
	global_load_u16 v3, v[3:4], off
	v_cmp_le_i64_e32 vcc_lo, s[16:17], v[1:2]
	s_or_b32 s3, vcc_lo, s3
	s_waitcnt vmcnt(0)
	v_lshlrev_b32_e32 v3, 16, v3
	s_delay_alu instid0(VALU_DEP_1)
	v_add_f32_e32 v8, v8, v3
	s_and_not1_b32 exec_lo, exec_lo, s3
	s_cbranch_execnz .LBB641_13
; %bb.14:
	s_or_b32 exec_lo, exec_lo, s3
.LBB641_15:
	s_delay_alu instid0(SALU_CYCLE_1)
	s_or_b32 exec_lo, exec_lo, s2
	s_branch .LBB641_31
.LBB641_16:
                                        ; implicit-def: $vgpr8
	s_cbranch_execz .LBB641_31
; %bb.17:
	s_and_b32 vcc_lo, exec_lo, s22
	s_cbranch_vccz .LBB641_41
; %bb.18:
	s_lshl_b64 s[2:3], s[28:29], 1
	v_cmp_le_u32_e32 vcc_lo, s28, v0
	s_sub_u32 s18, s12, s2
	s_subb_u32 s19, s13, s3
	s_add_i32 s3, s28, s10
	v_mov_b32_e32 v8, 0
	v_cmp_gt_i32_e64 s2, s3, v0
	s_delay_alu instid0(VALU_DEP_1) | instskip(NEXT) | instid1(SALU_CYCLE_1)
	s_and_b32 s16, vcc_lo, s2
	s_and_saveexec_b32 s2, s16
	s_cbranch_execz .LBB641_20
; %bb.19:
	v_lshlrev_b32_e32 v1, 1, v0
	global_load_u16 v1, v1, s[18:19]
	s_waitcnt vmcnt(0)
	v_lshlrev_b32_e32 v1, 16, v1
	s_delay_alu instid0(VALU_DEP_1)
	v_add_f32_e32 v8, 0, v1
.LBB641_20:
	s_or_b32 exec_lo, exec_lo, s2
	s_load_b32 s2, s[0:1], 0x2c
	s_add_u32 s16, s0, 32
	s_addc_u32 s17, s1, 0
	s_waitcnt lgkmcnt(0)
	s_and_b32 s2, s2, 0xffff
	s_delay_alu instid0(SALU_CYCLE_1) | instskip(SKIP_1) | instid1(SALU_CYCLE_1)
	v_sub_nc_u32_e64 v1, s3, s2 clamp
	s_lshl_b32 s2, s2, 1
	s_add_u32 s2, s18, s2
	s_addc_u32 s3, s19, 0
	s_delay_alu instid0(VALU_DEP_1)
	v_readfirstlane_b32 s20, v1
	s_branch .LBB641_22
.LBB641_21:
	v_mov_b32_e32 v8, 0
	s_add_u32 s16, s0, 32
	s_addc_u32 s17, s1, 0
	s_mov_b32 s20, s10
	s_mov_b64 s[2:3], s[12:13]
.LBB641_22:
	s_load_b32 s18, s[16:17], 0x0
	v_mov_b32_e32 v1, 0
	s_waitcnt lgkmcnt(0)
	s_cmp_lt_u32 s15, s18
	s_cselect_b32 s18, 12, 18
	s_delay_alu instid0(SALU_CYCLE_1) | instskip(SKIP_4) | instid1(VALU_DEP_1)
	s_add_u32 s16, s16, s18
	s_addc_u32 s17, s17, 0
	global_load_u16 v3, v1, s[16:17]
	s_waitcnt vmcnt(0)
	v_readfirstlane_b32 s16, v3
	s_lshl_b32 s16, s16, 3
	s_delay_alu instid0(SALU_CYCLE_1) | instskip(SKIP_1) | instid1(VALU_DEP_1)
	v_cvt_f32_u32_e32 v1, s16
	s_sub_i32 s18, 0, s16
	v_rcp_iflag_f32_e32 v1, v1
	s_waitcnt_depctr 0xfff
	v_mul_f32_e32 v1, 0x4f7ffffe, v1
	s_delay_alu instid0(VALU_DEP_1) | instskip(NEXT) | instid1(VALU_DEP_1)
	v_cvt_u32_f32_e32 v1, v1
	v_readfirstlane_b32 s17, v1
	v_lshlrev_b32_e32 v1, 3, v0
	s_delay_alu instid0(VALU_DEP_2) | instskip(NEXT) | instid1(SALU_CYCLE_1)
	s_mul_i32 s18, s18, s17
	s_mul_hi_u32 s18, s17, s18
	s_delay_alu instid0(SALU_CYCLE_1) | instskip(NEXT) | instid1(SALU_CYCLE_1)
	s_add_i32 s17, s17, s18
	s_mul_hi_u32 s17, s20, s17
	s_delay_alu instid0(SALU_CYCLE_1) | instskip(NEXT) | instid1(SALU_CYCLE_1)
	s_mul_i32 s17, s17, s16
	s_sub_i32 s17, s20, s17
	s_delay_alu instid0(SALU_CYCLE_1) | instskip(SKIP_2) | instid1(SALU_CYCLE_1)
	s_sub_i32 s18, s17, s16
	s_cmp_ge_u32 s17, s16
	s_cselect_b32 s17, s18, s17
	s_sub_i32 s18, s17, s16
	s_cmp_ge_u32 s17, s16
	s_cselect_b32 s16, s18, s17
	s_mov_b32 s18, 0
	s_sub_i32 s16, s20, s16
	s_mov_b32 s17, exec_lo
	v_cmpx_gt_i32_e64 s16, v1
	s_cbranch_execz .LBB641_26
; %bb.23:
	v_mov_b32_e32 v1, v0
	s_set_inst_prefetch_distance 0x1
	.p2align	6
.LBB641_24:                             ; =>This Inner Loop Header: Depth=1
	s_delay_alu instid0(VALU_DEP_1) | instskip(NEXT) | instid1(VALU_DEP_1)
	v_ashrrev_i32_e32 v2, 31, v1
	v_lshlrev_b64 v[4:5], 4, v[1:2]
	v_add_nc_u32_e32 v1, v1, v3
	s_delay_alu instid0(VALU_DEP_2) | instskip(NEXT) | instid1(VALU_DEP_3)
	v_add_co_u32 v4, vcc_lo, s2, v4
	v_add_co_ci_u32_e32 v5, vcc_lo, s3, v5, vcc_lo
	global_load_b128 v[4:7], v[4:5], off
	s_waitcnt vmcnt(0)
	v_lshlrev_b32_e32 v2, 16, v4
	v_and_b32_e32 v4, 0xffff0000, v4
	s_delay_alu instid0(VALU_DEP_2) | instskip(SKIP_1) | instid1(VALU_DEP_2)
	v_add_f32_e32 v2, v8, v2
	v_lshlrev_b32_e32 v8, 16, v5
	v_add_f32_e32 v2, v2, v4
	v_and_b32_e32 v4, 0xffff0000, v5
	s_delay_alu instid0(VALU_DEP_2) | instskip(NEXT) | instid1(VALU_DEP_1)
	v_dual_add_f32 v2, v2, v8 :: v_dual_lshlrev_b32 v5, 16, v6
	v_add_f32_e32 v2, v2, v4
	v_and_b32_e32 v4, 0xffff0000, v6
	v_and_b32_e32 v6, 0xffff0000, v7
	s_delay_alu instid0(VALU_DEP_3) | instskip(NEXT) | instid1(VALU_DEP_1)
	v_dual_add_f32 v2, v2, v5 :: v_dual_lshlrev_b32 v5, 16, v7
	v_add_f32_e32 v2, v2, v4
	v_lshlrev_b32_e32 v4, 3, v1
	s_delay_alu instid0(VALU_DEP_2) | instskip(NEXT) | instid1(VALU_DEP_2)
	v_add_f32_e32 v2, v2, v5
	v_cmp_le_i32_e32 vcc_lo, s16, v4
	s_delay_alu instid0(VALU_DEP_2) | instskip(SKIP_1) | instid1(SALU_CYCLE_1)
	v_add_f32_e32 v8, v2, v6
	s_or_b32 s18, vcc_lo, s18
	s_and_not1_b32 exec_lo, exec_lo, s18
	s_cbranch_execnz .LBB641_24
; %bb.25:
	s_set_inst_prefetch_distance 0x2
	s_or_b32 exec_lo, exec_lo, s18
.LBB641_26:
	s_delay_alu instid0(SALU_CYCLE_1) | instskip(SKIP_2) | instid1(VALU_DEP_1)
	s_or_b32 exec_lo, exec_lo, s17
	v_add_nc_u32_e32 v1, s16, v0
	s_mov_b32 s16, exec_lo
	v_cmpx_gt_i32_e64 s20, v1
	s_cbranch_execz .LBB641_30
; %bb.27:
	s_mov_b32 s17, 0
.LBB641_28:                             ; =>This Inner Loop Header: Depth=1
	v_ashrrev_i32_e32 v2, 31, v1
	s_delay_alu instid0(VALU_DEP_1) | instskip(NEXT) | instid1(VALU_DEP_1)
	v_lshlrev_b64 v[4:5], 1, v[1:2]
	v_add_co_u32 v4, vcc_lo, s2, v4
	s_delay_alu instid0(VALU_DEP_2) | instskip(SKIP_3) | instid1(VALU_DEP_1)
	v_add_co_ci_u32_e32 v5, vcc_lo, s3, v5, vcc_lo
	global_load_u16 v2, v[4:5], off
	s_waitcnt vmcnt(0)
	v_lshlrev_b32_e32 v2, 16, v2
	v_dual_add_f32 v8, v8, v2 :: v_dual_add_nc_u32 v1, v1, v3
	s_delay_alu instid0(VALU_DEP_1) | instskip(SKIP_1) | instid1(SALU_CYCLE_1)
	v_cmp_le_i32_e32 vcc_lo, s20, v1
	s_or_b32 s17, vcc_lo, s17
	s_and_not1_b32 exec_lo, exec_lo, s17
	s_cbranch_execnz .LBB641_28
; %bb.29:
	s_or_b32 exec_lo, exec_lo, s17
.LBB641_30:
	s_delay_alu instid0(SALU_CYCLE_1)
	s_or_b32 exec_lo, exec_lo, s16
.LBB641_31:
	v_lshl_add_u32 v1, v0, 2, 0
	s_barrier
	buffer_gl0_inv
	s_add_u32 s16, s0, 32
	ds_store_b32 v1, v8
	s_waitcnt lgkmcnt(0)
	s_barrier
	buffer_gl0_inv
	s_load_b32 s2, s[0:1], 0x2c
	s_addc_u32 s17, s1, 0
	s_waitcnt lgkmcnt(0)
	s_bfe_u32 s0, s2, 0xb0005
	s_delay_alu instid0(SALU_CYCLE_1) | instskip(NEXT) | instid1(SALU_CYCLE_1)
	s_min_u32 s1, s0, 32
	v_cmp_gt_u32_e32 vcc_lo, s1, v0
	s_and_saveexec_b32 s1, vcc_lo
	s_cbranch_execz .LBB641_33
; %bb.32:
	v_mad_u32_u24 v10, 0x7c, v0, v1
	ds_load_2addr_b32 v[2:3], v10 offset1:1
	ds_load_2addr_b32 v[4:5], v10 offset0:2 offset1:3
	ds_load_2addr_b32 v[6:7], v10 offset0:4 offset1:5
	ds_load_2addr_b32 v[8:9], v10 offset0:6 offset1:7
	s_waitcnt lgkmcnt(3)
	v_add_f32_e32 v2, 0, v2
	s_delay_alu instid0(VALU_DEP_1) | instskip(SKIP_1) | instid1(VALU_DEP_1)
	v_add_f32_e32 v2, v2, v3
	s_waitcnt lgkmcnt(2)
	v_add_f32_e32 v2, v2, v4
	s_delay_alu instid0(VALU_DEP_1) | instskip(SKIP_1) | instid1(VALU_DEP_1)
	v_add_f32_e32 v2, v2, v5
	s_waitcnt lgkmcnt(1)
	v_add_f32_e32 v4, v2, v6
	ds_load_2addr_b32 v[2:3], v10 offset0:8 offset1:9
	v_add_f32_e32 v4, v4, v7
	s_waitcnt lgkmcnt(1)
	s_delay_alu instid0(VALU_DEP_1)
	v_add_f32_e32 v6, v4, v8
	ds_load_2addr_b32 v[4:5], v10 offset0:10 offset1:11
	v_add_f32_e32 v11, v6, v9
	ds_load_2addr_b32 v[6:7], v10 offset0:12 offset1:13
	ds_load_2addr_b32 v[8:9], v10 offset0:14 offset1:15
	s_waitcnt lgkmcnt(3)
	v_add_f32_e32 v2, v11, v2
	s_delay_alu instid0(VALU_DEP_1) | instskip(SKIP_1) | instid1(VALU_DEP_1)
	v_add_f32_e32 v2, v2, v3
	s_waitcnt lgkmcnt(2)
	v_add_f32_e32 v2, v2, v4
	s_delay_alu instid0(VALU_DEP_1) | instskip(SKIP_1) | instid1(VALU_DEP_1)
	v_add_f32_e32 v2, v2, v5
	s_waitcnt lgkmcnt(1)
	v_add_f32_e32 v4, v2, v6
	ds_load_2addr_b32 v[2:3], v10 offset0:16 offset1:17
	v_add_f32_e32 v4, v4, v7
	s_waitcnt lgkmcnt(1)
	s_delay_alu instid0(VALU_DEP_1)
	v_add_f32_e32 v6, v4, v8
	ds_load_2addr_b32 v[4:5], v10 offset0:18 offset1:19
	v_add_f32_e32 v11, v6, v9
	ds_load_2addr_b32 v[6:7], v10 offset0:20 offset1:21
	ds_load_2addr_b32 v[8:9], v10 offset0:22 offset1:23
	;; [unrolled: 19-line block ×3, first 2 shown]
	s_waitcnt lgkmcnt(3)
	v_add_f32_e32 v2, v11, v2
	s_delay_alu instid0(VALU_DEP_1) | instskip(SKIP_1) | instid1(VALU_DEP_1)
	v_add_f32_e32 v2, v2, v3
	s_waitcnt lgkmcnt(2)
	v_add_f32_e32 v2, v2, v4
	s_delay_alu instid0(VALU_DEP_1) | instskip(SKIP_1) | instid1(VALU_DEP_1)
	v_add_f32_e32 v2, v2, v5
	;; [unrolled: 4-line block ×3, first 2 shown]
	s_waitcnt lgkmcnt(0)
	v_add_f32_e32 v2, v2, v8
	s_delay_alu instid0(VALU_DEP_1)
	v_add_f32_e32 v2, v2, v9
	ds_store_b32 v1, v2
.LBB641_33:
	s_or_b32 exec_lo, exec_lo, s1
	s_and_b32 s22, s2, 0xffff
	s_mov_b32 s1, exec_lo
	s_waitcnt lgkmcnt(0)
	s_barrier
	buffer_gl0_inv
	v_cmpx_eq_u32_e32 0, v0
	s_cbranch_execz .LBB641_46
; %bb.34:
	v_mov_b32_e32 v1, 0
	s_cmp_lt_u32 s22, 32
	s_cbranch_scc1 .LBB641_45
; %bb.35:
	v_mov_b32_e32 v1, 0
	s_add_i32 s2, s0, -1
	s_delay_alu instid0(SALU_CYCLE_1)
	s_cmp_lt_u32 s2, 7
	s_cbranch_scc1 .LBB641_42
; %bb.36:
	s_and_b32 s2, s0, 0x7f8
	s_mov_b32 s3, 0
	s_mov_b32 s18, 0
	.p2align	6
.LBB641_37:                             ; =>This Inner Loop Header: Depth=1
	s_delay_alu instid0(SALU_CYCLE_1)
	v_mov_b32_e32 v8, s18
	s_add_i32 s3, s3, 8
	s_add_i32 s18, s18, 32
	s_cmp_eq_u32 s2, s3
	ds_load_2addr_b32 v[2:3], v8 offset1:1
	ds_load_2addr_b32 v[4:5], v8 offset0:2 offset1:3
	ds_load_2addr_b32 v[6:7], v8 offset0:4 offset1:5
	;; [unrolled: 1-line block ×3, first 2 shown]
	s_waitcnt lgkmcnt(3)
	v_add_f32_e32 v1, v1, v2
	s_delay_alu instid0(VALU_DEP_1) | instskip(SKIP_1) | instid1(VALU_DEP_1)
	v_add_f32_e32 v1, v1, v3
	s_waitcnt lgkmcnt(2)
	v_add_f32_e32 v1, v1, v4
	s_delay_alu instid0(VALU_DEP_1) | instskip(SKIP_1) | instid1(VALU_DEP_1)
	v_add_f32_e32 v1, v1, v5
	;; [unrolled: 4-line block ×3, first 2 shown]
	s_waitcnt lgkmcnt(0)
	v_add_f32_e32 v1, v1, v8
	s_delay_alu instid0(VALU_DEP_1)
	v_add_f32_e32 v1, v1, v9
	s_cbranch_scc0 .LBB641_37
; %bb.38:
	s_and_b32 s0, s0, 7
	s_delay_alu instid0(SALU_CYCLE_1)
	s_cmp_eq_u32 s0, 0
	s_cbranch_scc0 .LBB641_43
	s_branch .LBB641_45
.LBB641_39:
                                        ; implicit-def: $sgpr18_sgpr19
                                        ; implicit-def: $sgpr16_sgpr17
                                        ; implicit-def: $vgpr8
                                        ; implicit-def: $sgpr2_sgpr3
	s_cbranch_execnz .LBB641_5
	s_branch .LBB641_6
.LBB641_40:
                                        ; implicit-def: $vgpr2_vgpr3
	s_branch .LBB641_8
.LBB641_41:
                                        ; implicit-def: $sgpr2_sgpr3
                                        ; implicit-def: $sgpr20
                                        ; implicit-def: $vgpr8
                                        ; implicit-def: $sgpr16_sgpr17
	s_cbranch_execnz .LBB641_21
	s_branch .LBB641_22
.LBB641_42:
	s_mov_b32 s2, 0
	s_and_b32 s0, s0, 7
	s_delay_alu instid0(SALU_CYCLE_1)
	s_cmp_eq_u32 s0, 0
	s_cbranch_scc1 .LBB641_45
.LBB641_43:
	s_lshl_b32 s2, s2, 2
	s_delay_alu instid0(SALU_CYCLE_1)
	s_add_i32 s2, s2, 0
.LBB641_44:                             ; =>This Inner Loop Header: Depth=1
	s_delay_alu instid0(SALU_CYCLE_1)
	v_mov_b32_e32 v2, s2
	s_add_i32 s0, s0, -1
	s_add_i32 s2, s2, 4
	s_cmp_lg_u32 s0, 0
	ds_load_b32 v2, v2
	s_waitcnt lgkmcnt(0)
	v_add_f32_e32 v1, v1, v2
	s_cbranch_scc1 .LBB641_44
.LBB641_45:
	v_mov_b32_e32 v2, 0
	ds_store_b32 v2, v1
.LBB641_46:
	s_or_b32 exec_lo, exec_lo, s1
	v_mov_b32_e32 v1, 0
	s_waitcnt lgkmcnt(0)
	s_barrier
	buffer_gl0_inv
	s_add_u32 s18, s4, s26
	ds_load_b32 v8, v1
	s_addc_u32 s19, s5, s27
	s_add_u32 s20, s6, s26
	s_mov_b32 s25, 0
	s_addc_u32 s21, s7, s27
	s_bfe_u32 s24, s18, 0x30001
	s_bfe_u32 s0, s20, 0x30001
	s_mov_b32 s1, s25
	s_delay_alu instid0(SALU_CYCLE_1) | instskip(SKIP_3) | instid1(SALU_CYCLE_1)
	s_cmp_eq_u64 s[24:25], s[0:1]
	s_cselect_b32 s0, -1, 0
	s_cmp_eq_u64 s[24:25], s[28:29]
	s_cselect_b32 s1, -1, 0
	s_and_b32 s0, s0, s1
	s_delay_alu instid0(SALU_CYCLE_1)
	s_and_not1_b32 vcc_lo, exec_lo, s0
	s_mov_b32 s0, -1
	s_cbranch_vccz .LBB641_65
; %bb.47:
	s_and_b32 vcc_lo, exec_lo, s14
	s_cbranch_vccz .LBB641_56
; %bb.48:
	s_lshl_b32 s1, s22, 3
	s_mov_b32 s30, 0
	v_cvt_f32_u32_e32 v1, s1
	s_sub_i32 s2, 0, s1
	s_mov_b32 s23, exec_lo
	s_delay_alu instid0(VALU_DEP_1) | instskip(SKIP_2) | instid1(VALU_DEP_1)
	v_rcp_iflag_f32_e32 v1, v1
	s_waitcnt_depctr 0xfff
	v_mul_f32_e32 v1, 0x4f7ffffe, v1
	v_cvt_u32_f32_e32 v1, v1
	s_delay_alu instid0(VALU_DEP_1) | instskip(SKIP_1) | instid1(VALU_DEP_2)
	v_readfirstlane_b32 s0, v1
	v_mov_b32_e32 v1, 0
	s_mul_i32 s2, s2, s0
	s_delay_alu instid0(VALU_DEP_1) | instskip(SKIP_1) | instid1(SALU_CYCLE_1)
	v_dual_mov_b32 v3, v1 :: v_dual_mov_b32 v2, v0
	s_mul_hi_u32 s2, s0, s2
	s_add_i32 s0, s0, s2
	s_delay_alu instid0(SALU_CYCLE_1) | instskip(NEXT) | instid1(SALU_CYCLE_1)
	s_mul_hi_u32 s0, s10, s0
	s_mul_i32 s0, s0, s1
	s_delay_alu instid0(SALU_CYCLE_1) | instskip(NEXT) | instid1(SALU_CYCLE_1)
	s_sub_i32 s0, s10, s0
	s_sub_i32 s2, s0, s1
	s_cmp_ge_u32 s0, s1
	s_cselect_b32 s0, s2, s0
	s_delay_alu instid0(SALU_CYCLE_1) | instskip(SKIP_3) | instid1(SALU_CYCLE_1)
	s_sub_i32 s2, s0, s1
	s_cmp_ge_u32 s0, s1
	s_cselect_b32 s0, s2, s0
	s_bfe_i64 s[2:3], s[10:11], 0x200000
	s_sub_u32 s28, s2, s0
	s_subb_u32 s29, s3, 0
	s_delay_alu instid0(SALU_CYCLE_1)
	v_cmpx_gt_i64_e64 s[28:29], v[0:1]
	s_cbranch_execz .LBB641_52
; %bb.49:
	v_lshlrev_b64 v[2:3], 1, v[0:1]
	s_lshl_b32 s31, s22, 1
	s_lshl_b32 s33, s22, 4
	s_delay_alu instid0(VALU_DEP_1) | instskip(NEXT) | instid1(VALU_DEP_2)
	v_add_co_u32 v4, vcc_lo, s26, v2
	v_add_co_ci_u32_e32 v5, vcc_lo, s27, v3, vcc_lo
	v_dual_mov_b32 v3, v1 :: v_dual_mov_b32 v2, v0
.LBB641_50:                             ; =>This Inner Loop Header: Depth=1
	s_delay_alu instid0(VALU_DEP_3) | instskip(NEXT) | instid1(VALU_DEP_3)
	v_add_co_u32 v6, vcc_lo, s6, v4
	v_add_co_ci_u32_e32 v7, vcc_lo, s7, v5, vcc_lo
	v_add_co_u32 v9, vcc_lo, s8, v4
	v_add_co_ci_u32_e32 v10, vcc_lo, s9, v5, vcc_lo
	s_delay_alu instid0(VALU_DEP_4)
	v_add_co_u32 v11, vcc_lo, v6, s31
	global_load_u16 v1, v[6:7], off
	global_load_u16 v23, v[9:10], off
	v_add_co_ci_u32_e32 v12, vcc_lo, 0, v7, vcc_lo
	v_add_co_u32 v13, vcc_lo, v9, s31
	v_add_co_ci_u32_e32 v14, vcc_lo, 0, v10, vcc_lo
	global_load_u16 v24, v[11:12], off
	global_load_u16 v25, v[13:14], off
	v_add_co_u32 v6, vcc_lo, v11, s31
	v_add_co_ci_u32_e32 v7, vcc_lo, 0, v12, vcc_lo
	v_add_co_u32 v9, vcc_lo, v13, s31
	v_add_co_ci_u32_e32 v10, vcc_lo, 0, v14, vcc_lo
	global_load_u16 v26, v[6:7], off
	global_load_u16 v27, v[9:10], off
	v_add_co_u32 v11, vcc_lo, v6, s31
	v_add_co_ci_u32_e32 v12, vcc_lo, 0, v7, vcc_lo
	v_add_co_u32 v13, vcc_lo, v9, s31
	v_add_co_ci_u32_e32 v14, vcc_lo, 0, v10, vcc_lo
	s_delay_alu instid0(VALU_DEP_4) | instskip(NEXT) | instid1(VALU_DEP_4)
	v_add_co_u32 v6, vcc_lo, v11, s31
	v_add_co_ci_u32_e32 v7, vcc_lo, 0, v12, vcc_lo
	s_delay_alu instid0(VALU_DEP_4) | instskip(NEXT) | instid1(VALU_DEP_4)
	v_add_co_u32 v9, vcc_lo, v13, s31
	v_add_co_ci_u32_e32 v10, vcc_lo, 0, v14, vcc_lo
	global_load_u16 v28, v[11:12], off
	global_load_u16 v29, v[13:14], off
	v_add_co_u32 v11, vcc_lo, v6, s31
	v_add_co_ci_u32_e32 v12, vcc_lo, 0, v7, vcc_lo
	v_add_co_u32 v13, vcc_lo, v9, s31
	v_add_co_ci_u32_e32 v14, vcc_lo, 0, v10, vcc_lo
	global_load_u16 v30, v[6:7], off
	global_load_u16 v31, v[9:10], off
	v_add_co_u32 v6, vcc_lo, v11, s31
	v_add_co_ci_u32_e32 v7, vcc_lo, 0, v12, vcc_lo
	;; [unrolled: 6-line block ×3, first 2 shown]
	v_add_co_u32 v13, vcc_lo, v9, s31
	v_add_co_ci_u32_e32 v14, vcc_lo, 0, v10, vcc_lo
	global_load_u16 v34, v[6:7], off
	global_load_u16 v35, v[9:10], off
	;; [unrolled: 1-line block ×4, first 2 shown]
	v_add_co_u32 v6, vcc_lo, s4, v4
	v_add_co_ci_u32_e32 v7, vcc_lo, s5, v5, vcc_lo
	v_add_co_u32 v2, vcc_lo, v2, s1
	v_add_co_ci_u32_e32 v3, vcc_lo, 0, v3, vcc_lo
	;; [unrolled: 2-line block ×4, first 2 shown]
	v_cmp_le_i64_e32 vcc_lo, s[28:29], v[2:3]
	s_delay_alu instid0(VALU_DEP_3) | instskip(NEXT) | instid1(VALU_DEP_1)
	v_add_co_u32 v11, s0, v9, s31
	v_add_co_ci_u32_e64 v12, s0, 0, v10, s0
	s_or_b32 s30, vcc_lo, s30
	s_delay_alu instid0(VALU_DEP_2) | instskip(NEXT) | instid1(VALU_DEP_2)
	v_add_co_u32 v13, vcc_lo, v11, s31
	v_add_co_ci_u32_e32 v14, vcc_lo, 0, v12, vcc_lo
	s_delay_alu instid0(VALU_DEP_2) | instskip(NEXT) | instid1(VALU_DEP_2)
	v_add_co_u32 v15, vcc_lo, v13, s31
	v_add_co_ci_u32_e32 v16, vcc_lo, 0, v14, vcc_lo
	;; [unrolled: 3-line block ×5, first 2 shown]
	s_waitcnt vmcnt(15)
	v_lshlrev_b32_e32 v1, 16, v1
	s_waitcnt vmcnt(14)
	v_lshlrev_b32_e32 v23, 16, v23
	s_waitcnt lgkmcnt(0)
	s_delay_alu instid0(VALU_DEP_1)
	v_fma_f32 v1, -v8, v1, v23
	s_waitcnt vmcnt(13)
	v_lshlrev_b32_e32 v23, 16, v24
	s_waitcnt vmcnt(12)
	v_lshlrev_b32_e32 v24, 16, v25
	v_bfe_u32 v25, v1, 16, 1
	v_cmp_o_f32_e32 vcc_lo, v1, v1
	s_delay_alu instid0(VALU_DEP_3) | instskip(NEXT) | instid1(VALU_DEP_3)
	v_fma_f32 v23, -v8, v23, v24
	v_add3_u32 v25, v1, v25, 0x7fff
	s_delay_alu instid0(VALU_DEP_1) | instskip(SKIP_1) | instid1(VALU_DEP_1)
	v_lshrrev_b32_e32 v25, 16, v25
	s_waitcnt vmcnt(11)
	v_dual_cndmask_b32 v1, 0x7fc0, v25 :: v_dual_lshlrev_b32 v24, 16, v26
	v_cmp_o_f32_e32 vcc_lo, v23, v23
	s_waitcnt vmcnt(10)
	v_lshlrev_b32_e32 v26, 16, v27
	v_bfe_u32 v27, v23, 16, 1
	global_store_b16 v[6:7], v1, off
	v_add3_u32 v27, v23, v27, 0x7fff
	s_delay_alu instid0(VALU_DEP_1) | instskip(NEXT) | instid1(VALU_DEP_1)
	v_lshrrev_b32_e32 v25, 16, v27
	v_cndmask_b32_e32 v1, 0x7fc0, v25, vcc_lo
	v_fma_f32 v24, -v8, v24, v26
	s_waitcnt vmcnt(9)
	v_lshlrev_b32_e32 v26, 16, v28
	s_waitcnt vmcnt(8)
	v_lshlrev_b32_e32 v28, 16, v29
	global_store_b16 v[9:10], v1, off
	v_bfe_u32 v29, v24, 16, 1
	v_cmp_o_f32_e32 vcc_lo, v24, v24
	v_fma_f32 v26, -v8, v26, v28
	s_waitcnt vmcnt(7)
	v_lshlrev_b32_e32 v28, 16, v30
	s_waitcnt vmcnt(6)
	v_lshlrev_b32_e32 v30, 16, v31
	v_add3_u32 v27, v24, v29, 0x7fff
	s_waitcnt vmcnt(4)
	v_lshlrev_b32_e32 v31, 16, v33
	v_bfe_u32 v29, v26, 16, 1
	v_fma_f32 v28, -v8, v28, v30
	v_lshlrev_b32_e32 v30, 16, v32
	v_lshrrev_b32_e32 v6, 16, v27
	s_delay_alu instid0(VALU_DEP_4)
	v_add3_u32 v7, v26, v29, 0x7fff
	s_waitcnt vmcnt(3)
	v_lshlrev_b32_e32 v27, 16, v34
	v_bfe_u32 v23, v28, 16, 1
	v_fma_f32 v25, -v8, v30, v31
	s_waitcnt vmcnt(2)
	v_lshlrev_b32_e32 v29, 16, v35
	v_cndmask_b32_e32 v1, 0x7fc0, v6, vcc_lo
	v_lshrrev_b32_e32 v6, 16, v7
	s_waitcnt vmcnt(1)
	v_lshlrev_b32_e32 v7, 16, v36
	s_waitcnt vmcnt(0)
	v_lshlrev_b32_e32 v9, 16, v37
	v_add3_u32 v10, v28, v23, 0x7fff
	v_bfe_u32 v23, v25, 16, 1
	v_fma_f32 v24, -v8, v27, v29
	v_cmp_o_f32_e32 vcc_lo, v26, v26
	v_fma_f32 v7, -v8, v7, v9
	global_store_b16 v[11:12], v1, off
	v_lshrrev_b32_e32 v9, 16, v10
	v_add3_u32 v11, v25, v23, 0x7fff
	v_cndmask_b32_e32 v1, 0x7fc0, v6, vcc_lo
	v_bfe_u32 v6, v24, 16, 1
	v_cmp_o_f32_e32 vcc_lo, v28, v28
	v_bfe_u32 v10, v7, 16, 1
	v_lshrrev_b32_e32 v11, 16, v11
	s_delay_alu instid0(VALU_DEP_4) | instskip(SKIP_3) | instid1(VALU_DEP_4)
	v_add3_u32 v6, v24, v6, 0x7fff
	v_cndmask_b32_e32 v9, 0x7fc0, v9, vcc_lo
	v_cmp_o_f32_e32 vcc_lo, v25, v25
	v_add3_u32 v10, v7, v10, 0x7fff
	v_lshrrev_b32_e32 v6, 16, v6
	v_cndmask_b32_e32 v11, 0x7fc0, v11, vcc_lo
	v_cmp_o_f32_e32 vcc_lo, v24, v24
	s_delay_alu instid0(VALU_DEP_4) | instskip(NEXT) | instid1(VALU_DEP_4)
	v_lshrrev_b32_e32 v10, 16, v10
	v_cndmask_b32_e32 v6, 0x7fc0, v6, vcc_lo
	v_cmp_o_f32_e32 vcc_lo, v7, v7
	s_delay_alu instid0(VALU_DEP_3)
	v_cndmask_b32_e32 v7, 0x7fc0, v10, vcc_lo
	s_clause 0x2
	global_store_b16 v[13:14], v1, off
	global_store_b16 v[15:16], v9, off
	;; [unrolled: 1-line block ×5, first 2 shown]
	s_and_not1_b32 exec_lo, exec_lo, s30
	s_cbranch_execnz .LBB641_50
; %bb.51:
	s_or_b32 exec_lo, exec_lo, s30
.LBB641_52:
	s_delay_alu instid0(SALU_CYCLE_1) | instskip(NEXT) | instid1(SALU_CYCLE_1)
	s_or_b32 exec_lo, exec_lo, s23
	s_mov_b32 s23, exec_lo
	v_cmpx_gt_i64_e64 s[2:3], v[2:3]
	s_cbranch_execz .LBB641_55
; %bb.53:
	v_lshlrev_b64 v[4:5], 1, v[2:3]
	s_delay_alu instid0(VALU_DEP_1) | instskip(NEXT) | instid1(VALU_DEP_2)
	v_add_co_u32 v1, vcc_lo, s26, v4
	v_add_co_ci_u32_e32 v4, vcc_lo, s27, v5, vcc_lo
	s_mov_b32 s26, 0
	s_lshl_b32 s27, s22, 1
	s_set_inst_prefetch_distance 0x1
	.p2align	6
.LBB641_54:                             ; =>This Inner Loop Header: Depth=1
	v_add_co_u32 v5, vcc_lo, s6, v1
	v_add_co_ci_u32_e32 v6, vcc_lo, s7, v4, vcc_lo
	v_add_co_u32 v9, vcc_lo, s8, v1
	v_add_co_ci_u32_e32 v10, vcc_lo, s9, v4, vcc_lo
	v_add_co_u32 v2, vcc_lo, v2, s22
	global_load_u16 v5, v[5:6], off
	global_load_u16 v6, v[9:10], off
	v_add_co_ci_u32_e32 v3, vcc_lo, 0, v3, vcc_lo
	s_delay_alu instid0(VALU_DEP_1) | instskip(NEXT) | instid1(VALU_DEP_1)
	v_cmp_le_i64_e64 s0, s[2:3], v[2:3]
	s_or_b32 s26, s0, s26
	s_waitcnt vmcnt(1)
	v_lshlrev_b32_e32 v5, 16, v5
	s_waitcnt vmcnt(0)
	v_lshlrev_b32_e32 v6, 16, v6
	s_waitcnt lgkmcnt(0)
	s_delay_alu instid0(VALU_DEP_1) | instskip(NEXT) | instid1(VALU_DEP_1)
	v_fma_f32 v7, -v8, v5, v6
	v_bfe_u32 v5, v7, 16, 1
	v_cmp_o_f32_e64 s1, v7, v7
	s_delay_alu instid0(VALU_DEP_2) | instskip(SKIP_2) | instid1(VALU_DEP_3)
	v_add3_u32 v9, v7, v5, 0x7fff
	v_add_co_u32 v5, vcc_lo, s4, v1
	v_add_co_ci_u32_e32 v6, vcc_lo, s5, v4, vcc_lo
	v_lshrrev_b32_e32 v9, 16, v9
	v_add_co_u32 v1, vcc_lo, v1, s27
	v_add_co_ci_u32_e32 v4, vcc_lo, 0, v4, vcc_lo
	s_delay_alu instid0(VALU_DEP_3)
	v_cndmask_b32_e64 v7, 0x7fc0, v9, s1
	global_store_b16 v[5:6], v7, off
	s_and_not1_b32 exec_lo, exec_lo, s26
	s_cbranch_execnz .LBB641_54
.LBB641_55:
	s_set_inst_prefetch_distance 0x2
	s_or_b32 exec_lo, exec_lo, s23
	s_mov_b32 s0, 0
.LBB641_56:
	s_delay_alu instid0(SALU_CYCLE_1)
	s_and_b32 vcc_lo, exec_lo, s0
	s_cbranch_vccz .LBB641_92
; %bb.57:
	s_lshl_b32 s0, s22, 3
	s_mov_b32 s8, 0
	v_cvt_f32_u32_e32 v1, s0
	s_sub_i32 s2, 0, s0
	s_mov_b32 s6, exec_lo
	s_delay_alu instid0(VALU_DEP_1) | instskip(SKIP_2) | instid1(VALU_DEP_1)
	v_rcp_iflag_f32_e32 v1, v1
	s_waitcnt_depctr 0xfff
	v_mul_f32_e32 v1, 0x4f7ffffe, v1
	v_cvt_u32_f32_e32 v1, v1
	s_delay_alu instid0(VALU_DEP_1) | instskip(SKIP_1) | instid1(VALU_DEP_2)
	v_readfirstlane_b32 s1, v1
	v_mov_b32_e32 v1, v0
	s_mul_i32 s2, s2, s1
	s_delay_alu instid0(SALU_CYCLE_1) | instskip(NEXT) | instid1(SALU_CYCLE_1)
	s_mul_hi_u32 s2, s1, s2
	s_add_i32 s1, s1, s2
	s_delay_alu instid0(SALU_CYCLE_1) | instskip(NEXT) | instid1(SALU_CYCLE_1)
	s_mul_hi_u32 s1, s10, s1
	s_mul_i32 s1, s1, s0
	s_delay_alu instid0(SALU_CYCLE_1) | instskip(NEXT) | instid1(SALU_CYCLE_1)
	s_sub_i32 s1, s10, s1
	s_sub_i32 s2, s1, s0
	s_cmp_ge_u32 s1, s0
	s_cselect_b32 s1, s2, s1
	s_delay_alu instid0(SALU_CYCLE_1) | instskip(SKIP_2) | instid1(SALU_CYCLE_1)
	s_sub_i32 s2, s1, s0
	s_cmp_ge_u32 s1, s0
	s_cselect_b32 s0, s2, s1
	s_sub_i32 s7, s10, s0
	s_delay_alu instid0(SALU_CYCLE_1)
	v_cmpx_gt_i32_e64 s7, v0
	s_cbranch_execz .LBB641_61
; %bb.58:
	s_add_i32 s29, s22, s22
	v_dual_mov_b32 v2, 0 :: v_dual_mov_b32 v1, v0
	s_add_i32 s0, s29, s22
	s_lshl_b32 s9, s22, 1
	s_mul_i32 s23, s22, 3
	s_lshl_b32 s26, s22, 2
	s_mul_i32 s27, s22, 5
	s_mul_i32 s28, s22, 6
	;; [unrolled: 1-line block ×3, first 2 shown]
	s_add_i32 s31, s29, s0
.LBB641_59:                             ; =>This Inner Loop Header: Depth=1
	v_lshlrev_b64 v[3:4], 1, v[1:2]
	v_dual_mov_b32 v6, v2 :: v_dual_add_nc_u32 v5, s22, v1
	v_dual_mov_b32 v10, v2 :: v_dual_add_nc_u32 v9, s9, v1
	;; [unrolled: 1-line block ×3, first 2 shown]
	s_delay_alu instid0(VALU_DEP_3)
	v_lshlrev_b64 v[6:7], 1, v[5:6]
	v_add_co_u32 v21, vcc_lo, s20, v3
	v_add_co_ci_u32_e32 v22, vcc_lo, s21, v4, vcc_lo
	v_add_co_u32 v23, vcc_lo, s12, v3
	v_add_co_ci_u32_e32 v24, vcc_lo, s13, v4, vcc_lo
	v_lshlrev_b64 v[9:10], 1, v[9:10]
	v_add_co_u32 v25, vcc_lo, s20, v6
	v_add_co_ci_u32_e32 v26, vcc_lo, s21, v7, vcc_lo
	v_add_co_u32 v27, vcc_lo, s12, v6
	v_add_co_ci_u32_e32 v28, vcc_lo, s13, v7, vcc_lo
	v_lshlrev_b64 v[11:12], 1, v[11:12]
	v_add_co_u32 v29, vcc_lo, s20, v9
	v_dual_mov_b32 v14, v2 :: v_dual_add_nc_u32 v13, s26, v1
	v_add_co_ci_u32_e32 v30, vcc_lo, s21, v10, vcc_lo
	v_add_co_u32 v31, vcc_lo, s12, v9
	v_add_co_ci_u32_e32 v32, vcc_lo, s13, v10, vcc_lo
	s_delay_alu instid0(VALU_DEP_4)
	v_lshlrev_b64 v[13:14], 1, v[13:14]
	v_add_co_u32 v33, vcc_lo, s20, v11
	v_dual_mov_b32 v16, v2 :: v_dual_add_nc_u32 v15, s27, v1
	v_add_co_ci_u32_e32 v34, vcc_lo, s21, v12, vcc_lo
	v_add_co_u32 v35, vcc_lo, s12, v11
	v_add_co_ci_u32_e32 v36, vcc_lo, s13, v12, vcc_lo
	s_delay_alu instid0(VALU_DEP_4)
	;; [unrolled: 7-line block ×3, first 2 shown]
	v_lshlrev_b64 v[17:18], 1, v[17:18]
	v_add_co_u32 v41, vcc_lo, s20, v15
	v_add_nc_u32_e32 v1, s30, v1
	v_add_co_ci_u32_e32 v42, vcc_lo, s21, v16, vcc_lo
	v_add_co_u32 v43, vcc_lo, s12, v15
	v_add_co_ci_u32_e32 v44, vcc_lo, s13, v16, vcc_lo
	s_delay_alu instid0(VALU_DEP_4)
	v_lshlrev_b64 v[19:20], 1, v[1:2]
	v_add_co_u32 v45, vcc_lo, s20, v17
	global_load_u16 v49, v[21:22], off
	global_load_u16 v50, v[23:24], off
	v_add_co_ci_u32_e32 v46, vcc_lo, s21, v18, vcc_lo
	v_add_co_u32 v47, vcc_lo, s12, v17
	v_add_co_ci_u32_e32 v48, vcc_lo, s13, v18, vcc_lo
	v_add_co_u32 v21, vcc_lo, s20, v19
	;; [unrolled: 2-line block ×3, first 2 shown]
	v_add_co_ci_u32_e32 v24, vcc_lo, s13, v20, vcc_lo
	global_load_u16 v25, v[25:26], off
	global_load_u16 v26, v[27:28], off
	;; [unrolled: 1-line block ×14, first 2 shown]
	v_add3_u32 v1, s29, s31, v5
	v_add_co_u32 v5, s0, s18, v6
	s_delay_alu instid0(VALU_DEP_1) | instskip(SKIP_4) | instid1(VALU_DEP_1)
	v_add_co_ci_u32_e64 v6, s0, s19, v7, s0
	v_add_co_u32 v3, vcc_lo, s18, v3
	v_add_co_ci_u32_e32 v4, vcc_lo, s19, v4, vcc_lo
	v_cmp_le_i32_e32 vcc_lo, s7, v1
	v_add_co_u32 v9, s0, s18, v9
	v_add_co_ci_u32_e64 v10, s0, s19, v10, s0
	s_or_b32 s8, vcc_lo, s8
	v_add_co_u32 v11, s0, s18, v11
	s_delay_alu instid0(VALU_DEP_1) | instskip(SKIP_1) | instid1(VALU_DEP_1)
	v_add_co_ci_u32_e64 v12, s0, s19, v12, s0
	v_add_co_u32 v13, s0, s18, v13
	v_add_co_ci_u32_e64 v14, s0, s19, v14, s0
	v_add_co_u32 v15, s0, s18, v15
	s_delay_alu instid0(VALU_DEP_1) | instskip(SKIP_1) | instid1(VALU_DEP_1)
	v_add_co_ci_u32_e64 v16, s0, s19, v16, s0
	v_add_co_u32 v17, s0, s18, v17
	v_add_co_ci_u32_e64 v18, s0, s19, v18, s0
	v_add_co_u32 v19, s0, s18, v19
	s_delay_alu instid0(VALU_DEP_1)
	v_add_co_ci_u32_e64 v20, s0, s19, v20, s0
	s_waitcnt vmcnt(15)
	v_lshlrev_b32_e32 v7, 16, v49
	s_waitcnt vmcnt(14)
	v_lshlrev_b32_e32 v23, 16, v50
	;; [unrolled: 2-line block ×3, first 2 shown]
	s_waitcnt lgkmcnt(0)
	s_delay_alu instid0(VALU_DEP_2)
	v_fma_f32 v7, -v8, v7, v23
	v_lshlrev_b32_e32 v23, 16, v25
	s_waitcnt vmcnt(11)
	v_lshlrev_b32_e32 v25, 16, v27
	s_waitcnt vmcnt(9)
	;; [unrolled: 2-line block ×4, first 2 shown]
	v_lshlrev_b32_e32 v31, 16, v33
	v_cmp_o_f32_e32 vcc_lo, v7, v7
	s_waitcnt vmcnt(3)
	v_lshlrev_b32_e32 v33, 16, v35
	v_bfe_u32 v35, v7, 16, 1
	s_waitcnt vmcnt(1)
	v_lshlrev_b32_e32 v21, 16, v21
	s_waitcnt vmcnt(0)
	v_lshlrev_b32_e32 v22, 16, v22
	v_fma_f32 v23, -v8, v23, v24
	s_delay_alu instid0(VALU_DEP_2) | instskip(SKIP_1) | instid1(VALU_DEP_3)
	v_fma_f32 v21, -v8, v21, v22
	v_add3_u32 v22, v7, v35, 0x7fff
	v_cmp_o_f32_e64 s5, v23, v23
	s_delay_alu instid0(VALU_DEP_3) | instskip(NEXT) | instid1(VALU_DEP_3)
	v_bfe_u32 v35, v21, 16, 1
	v_lshrrev_b32_e32 v22, 16, v22
	v_lshlrev_b32_e32 v26, 16, v28
	v_lshlrev_b32_e32 v28, 16, v30
	;; [unrolled: 1-line block ×4, first 2 shown]
	v_dual_cndmask_b32 v7, 0x7fc0, v22 :: v_dual_lshlrev_b32 v34, 16, v36
	v_fma_f32 v24, -v8, v25, v26
	v_fma_f32 v25, -v8, v27, v28
	;; [unrolled: 1-line block ×5, first 2 shown]
	v_bfe_u32 v29, v23, 16, 1
	v_bfe_u32 v30, v24, 16, 1
	;; [unrolled: 1-line block ×6, first 2 shown]
	v_add3_u32 v29, v23, v29, 0x7fff
	v_add3_u32 v30, v24, v30, 0x7fff
	;; [unrolled: 1-line block ×7, first 2 shown]
	v_lshrrev_b32_e32 v22, 16, v29
	v_lshrrev_b32_e32 v29, 16, v30
	v_cmp_o_f32_e32 vcc_lo, v24, v24
	v_lshrrev_b32_e32 v24, 16, v31
	v_cmp_o_f32_e64 s0, v25, v25
	v_lshrrev_b32_e32 v25, 16, v32
	v_cmp_o_f32_e64 s1, v26, v26
	;; [unrolled: 2-line block ×5, first 2 shown]
	global_store_b16 v[3:4], v7, off
	v_cndmask_b32_e64 v3, 0x7fc0, v22, s5
	v_cndmask_b32_e32 v4, 0x7fc0, v29, vcc_lo
	v_cndmask_b32_e64 v7, 0x7fc0, v24, s0
	v_cndmask_b32_e64 v21, 0x7fc0, v25, s1
	;; [unrolled: 1-line block ×5, first 2 shown]
	s_clause 0x6
	global_store_b16 v[5:6], v3, off
	global_store_b16 v[9:10], v4, off
	;; [unrolled: 1-line block ×7, first 2 shown]
	s_and_not1_b32 exec_lo, exec_lo, s8
	s_cbranch_execnz .LBB641_59
; %bb.60:
	s_or_b32 exec_lo, exec_lo, s8
.LBB641_61:
	s_delay_alu instid0(SALU_CYCLE_1) | instskip(NEXT) | instid1(SALU_CYCLE_1)
	s_or_b32 exec_lo, exec_lo, s6
	s_mov_b32 s1, exec_lo
	v_cmpx_gt_i32_e64 s10, v1
	s_cbranch_execz .LBB641_64
; %bb.62:
	s_mov_b32 s2, 0
	s_set_inst_prefetch_distance 0x1
	.p2align	6
.LBB641_63:                             ; =>This Inner Loop Header: Depth=1
	v_ashrrev_i32_e32 v2, 31, v1
	s_delay_alu instid0(VALU_DEP_1) | instskip(SKIP_1) | instid1(VALU_DEP_2)
	v_lshlrev_b64 v[2:3], 1, v[1:2]
	v_add_nc_u32_e32 v1, s22, v1
	v_add_co_u32 v4, vcc_lo, s20, v2
	s_delay_alu instid0(VALU_DEP_3)
	v_add_co_ci_u32_e32 v5, vcc_lo, s21, v3, vcc_lo
	v_add_co_u32 v6, vcc_lo, s12, v2
	v_add_co_ci_u32_e32 v7, vcc_lo, s13, v3, vcc_lo
	v_cmp_le_i32_e32 vcc_lo, s10, v1
	global_load_u16 v4, v[4:5], off
	global_load_u16 v5, v[6:7], off
	s_or_b32 s2, vcc_lo, s2
	s_waitcnt vmcnt(1)
	v_lshlrev_b32_e32 v4, 16, v4
	s_waitcnt vmcnt(0)
	v_lshlrev_b32_e32 v5, 16, v5
	s_waitcnt lgkmcnt(0)
	s_delay_alu instid0(VALU_DEP_1) | instskip(NEXT) | instid1(VALU_DEP_1)
	v_fma_f32 v4, -v8, v4, v5
	v_bfe_u32 v5, v4, 16, 1
	v_cmp_o_f32_e64 s0, v4, v4
	s_delay_alu instid0(VALU_DEP_2) | instskip(NEXT) | instid1(VALU_DEP_1)
	v_add3_u32 v5, v4, v5, 0x7fff
	v_lshrrev_b32_e32 v5, 16, v5
	s_delay_alu instid0(VALU_DEP_1) | instskip(SKIP_1) | instid1(VALU_DEP_1)
	v_cndmask_b32_e64 v4, 0x7fc0, v5, s0
	v_add_co_u32 v2, s0, s18, v2
	v_add_co_ci_u32_e64 v3, s0, s19, v3, s0
	global_store_b16 v[2:3], v4, off
	s_and_not1_b32 exec_lo, exec_lo, s2
	s_cbranch_execnz .LBB641_63
.LBB641_64:
	s_set_inst_prefetch_distance 0x2
	s_or_b32 exec_lo, exec_lo, s1
	s_mov_b32 s0, 0
.LBB641_65:
	s_delay_alu instid0(SALU_CYCLE_1)
	s_and_not1_b32 vcc_lo, exec_lo, s0
	s_cbranch_vccnz .LBB641_93
.LBB641_66:
	s_cmp_lg_u64 s[24:25], 0
	s_mov_b32 s1, -1
	s_cselect_b32 s7, -1, 0
	s_and_b32 vcc_lo, exec_lo, s14
	v_cndmask_b32_e64 v1, 0, 1, s7
	s_delay_alu instid0(VALU_DEP_1)
	v_cmp_ne_u32_e64 s0, 1, v1
	s_cbranch_vccz .LBB641_81
; %bb.67:
	v_mov_b32_e32 v1, 0
	s_delay_alu instid0(VALU_DEP_2)
	s_and_b32 vcc_lo, exec_lo, s0
	s_mov_b64 s[8:9], s[10:11]
	s_mov_b64 s[26:27], s[18:19]
	;; [unrolled: 1-line block ×4, first 2 shown]
	s_cbranch_vccnz .LBB641_71
; %bb.68:
	s_lshl_b32 s2, s24, 1
	s_mov_b32 s23, 0
	s_sub_u32 s0, s18, s2
	s_subb_u32 s1, s19, 0
	s_sub_u32 s4, s20, s2
	s_subb_u32 s5, s21, 0
	;; [unrolled: 2-line block ×3, first 2 shown]
	s_mov_b32 s6, exec_lo
	v_cmpx_le_u64_e64 s[24:25], v[0:1]
	s_cbranch_execz .LBB641_70
; %bb.69:
	v_lshlrev_b64 v[2:3], 1, v[0:1]
	s_delay_alu instid0(VALU_DEP_1) | instskip(NEXT) | instid1(VALU_DEP_2)
	v_add_co_u32 v4, vcc_lo, s4, v2
	v_add_co_ci_u32_e32 v5, vcc_lo, s5, v3, vcc_lo
	v_add_co_u32 v6, vcc_lo, s2, v2
	v_add_co_ci_u32_e32 v7, vcc_lo, s3, v3, vcc_lo
	global_load_u16 v4, v[4:5], off
	global_load_u16 v5, v[6:7], off
	s_waitcnt vmcnt(1)
	v_lshlrev_b32_e32 v4, 16, v4
	s_waitcnt vmcnt(0)
	v_lshlrev_b32_e32 v5, 16, v5
	s_waitcnt lgkmcnt(0)
	s_delay_alu instid0(VALU_DEP_1) | instskip(NEXT) | instid1(VALU_DEP_1)
	v_fma_f32 v4, -v8, v4, v5
	v_bfe_u32 v5, v4, 16, 1
	v_cmp_o_f32_e32 vcc_lo, v4, v4
	s_delay_alu instid0(VALU_DEP_2) | instskip(NEXT) | instid1(VALU_DEP_1)
	v_add3_u32 v5, v4, v5, 0x7fff
	v_lshrrev_b32_e32 v5, 16, v5
	s_delay_alu instid0(VALU_DEP_1)
	v_cndmask_b32_e32 v4, 0x7fc0, v5, vcc_lo
	v_add_co_u32 v2, vcc_lo, s0, v2
	v_add_co_ci_u32_e32 v3, vcc_lo, s1, v3, vcc_lo
	global_store_b16 v[2:3], v4, off
.LBB641_70:
	s_or_b32 exec_lo, exec_lo, s6
	s_add_u32 s8, s24, s10
	s_addc_u32 s9, 0, s11
	s_delay_alu instid0(SALU_CYCLE_1) | instskip(NEXT) | instid1(VALU_DEP_1)
	v_cmp_lt_i64_e64 s6, s[8:9], s[22:23]
	s_and_b32 s6, s6, exec_lo
	s_cselect_b32 s6, s8, s22
	s_cselect_b32 s11, s9, 0
	s_sub_u32 s8, s8, s6
	s_subb_u32 s9, s9, s11
	s_lshl_b32 s6, s22, 1
	s_delay_alu instid0(SALU_CYCLE_1)
	s_add_u32 s26, s0, s6
	s_addc_u32 s27, s1, 0
	s_add_u32 s28, s4, s6
	s_addc_u32 s29, s5, 0
	;; [unrolled: 2-line block ×3, first 2 shown]
.LBB641_71:
	s_load_b32 s0, s[16:17], 0x0
	v_mov_b32_e32 v2, 0
	s_mov_b32 s2, 0
	s_mov_b32 s3, s9
	s_waitcnt lgkmcnt(0)
	s_cmp_lt_u32 s15, s0
	s_cselect_b32 s0, 12, 18
	s_delay_alu instid0(SALU_CYCLE_1) | instskip(SKIP_4) | instid1(VALU_DEP_1)
	s_add_u32 s0, s16, s0
	s_addc_u32 s1, s17, 0
	global_load_u16 v2, v2, s[0:1]
	s_waitcnt vmcnt(0)
	v_readfirstlane_b32 s0, v2
	s_and_b32 s11, s0, 0xffff
	s_delay_alu instid0(SALU_CYCLE_1)
	s_lshl_b32 s1, s11, 3
	s_cmp_lg_u64 s[2:3], 0
	s_cbranch_scc0 .LBB641_94
; %bb.72:
	v_cvt_f32_ubyte0_e32 v2, 0
	v_cvt_f32_u32_e32 v3, s1
	s_sub_u32 s4, 0, s1
	s_subb_u32 s5, 0, 0
	s_delay_alu instid0(VALU_DEP_1) | instskip(NEXT) | instid1(VALU_DEP_1)
	v_fmamk_f32 v2, v2, 0x4f800000, v3
	v_rcp_f32_e32 v2, v2
	s_waitcnt_depctr 0xfff
	v_mul_f32_e32 v2, 0x5f7ffffc, v2
	s_delay_alu instid0(VALU_DEP_1) | instskip(NEXT) | instid1(VALU_DEP_1)
	v_mul_f32_e32 v3, 0x2f800000, v2
	v_trunc_f32_e32 v3, v3
	s_delay_alu instid0(VALU_DEP_1) | instskip(SKIP_1) | instid1(VALU_DEP_2)
	v_fmamk_f32 v2, v3, 0xcf800000, v2
	v_cvt_u32_f32_e32 v3, v3
	v_cvt_u32_f32_e32 v2, v2
	s_delay_alu instid0(VALU_DEP_2) | instskip(NEXT) | instid1(VALU_DEP_2)
	v_readfirstlane_b32 s0, v3
	v_readfirstlane_b32 s3, v2
	s_delay_alu instid0(VALU_DEP_2) | instskip(NEXT) | instid1(VALU_DEP_1)
	s_mul_i32 s6, s4, s0
	s_mul_hi_u32 s23, s4, s3
	s_mul_i32 s14, s5, s3
	s_add_i32 s6, s23, s6
	s_mul_i32 s25, s4, s3
	s_add_i32 s6, s6, s14
	s_mul_hi_u32 s23, s3, s25
	s_mul_hi_u32 s33, s0, s25
	s_mul_i32 s14, s0, s25
	s_mul_hi_u32 s25, s3, s6
	s_mul_i32 s3, s3, s6
	s_mul_hi_u32 s34, s0, s6
	s_add_u32 s3, s23, s3
	s_addc_u32 s23, 0, s25
	s_add_u32 s3, s3, s14
	s_mul_i32 s6, s0, s6
	s_addc_u32 s3, s23, s33
	s_addc_u32 s14, s34, 0
	s_add_u32 s3, s3, s6
	s_addc_u32 s6, 0, s14
	v_add_co_u32 v2, s3, v2, s3
	s_delay_alu instid0(VALU_DEP_1) | instskip(SKIP_1) | instid1(VALU_DEP_1)
	s_cmp_lg_u32 s3, 0
	s_addc_u32 s0, s0, s6
	v_readfirstlane_b32 s3, v2
	s_mul_i32 s6, s4, s0
	s_delay_alu instid0(VALU_DEP_1)
	s_mul_hi_u32 s14, s4, s3
	s_mul_i32 s5, s5, s3
	s_add_i32 s6, s14, s6
	s_mul_i32 s4, s4, s3
	s_add_i32 s6, s6, s5
	s_mul_hi_u32 s14, s0, s4
	s_mul_i32 s23, s0, s4
	s_mul_hi_u32 s4, s3, s4
	s_mul_hi_u32 s25, s3, s6
	s_mul_i32 s3, s3, s6
	s_mul_hi_u32 s5, s0, s6
	s_add_u32 s3, s4, s3
	s_addc_u32 s4, 0, s25
	s_add_u32 s3, s3, s23
	s_mul_i32 s6, s0, s6
	s_addc_u32 s3, s4, s14
	s_addc_u32 s4, s5, 0
	s_add_u32 s3, s3, s6
	s_addc_u32 s4, 0, s4
	v_add_co_u32 v2, s3, v2, s3
	s_delay_alu instid0(VALU_DEP_1) | instskip(SKIP_2) | instid1(VALU_DEP_1)
	s_cmp_lg_u32 s3, 0
	s_addc_u32 s0, s0, s4
	s_ashr_i32 s4, s9, 31
	v_readfirstlane_b32 s3, v2
	s_add_u32 s34, s8, s4
	s_mov_b32 s5, s4
	s_addc_u32 s35, s9, s4
	s_delay_alu instid0(SALU_CYCLE_1) | instskip(NEXT) | instid1(SALU_CYCLE_1)
	s_xor_b64 s[34:35], s[34:35], s[4:5]
	s_mul_i32 s6, s34, s0
	s_mul_hi_u32 s14, s34, s3
	s_mul_hi_u32 s5, s34, s0
	;; [unrolled: 1-line block ×3, first 2 shown]
	s_mul_i32 s3, s35, s3
	s_add_u32 s6, s14, s6
	s_addc_u32 s5, 0, s5
	s_mul_hi_u32 s23, s35, s0
	s_add_u32 s3, s6, s3
	s_mul_i32 s0, s35, s0
	s_addc_u32 s3, s5, s25
	s_addc_u32 s5, s23, 0
	s_add_u32 s0, s3, s0
	s_addc_u32 s3, 0, s5
	s_mul_hi_u32 s5, s1, s0
	s_mul_i32 s0, s1, s0
	s_mul_i32 s3, s1, s3
	v_sub_co_u32 v2, s0, s34, s0
	s_add_i32 s5, s5, s3
	s_cmp_lg_u32 s0, 0
	s_delay_alu instid0(VALU_DEP_1) | instskip(SKIP_2) | instid1(VALU_DEP_1)
	v_sub_co_u32 v3, s0, v2, s1
	s_subb_u32 s3, s35, s5
	s_cmp_lg_u32 s0, 0
	v_cmp_le_u32_e32 vcc_lo, s1, v3
	v_sub_co_u32 v4, s0, v3, s1
	s_subb_u32 s5, s3, 0
	s_cmp_lg_u32 s0, 0
	v_cndmask_b32_e64 v5, 0, -1, vcc_lo
	s_subb_u32 s0, s5, 0
	s_cmp_eq_u32 s5, 0
	v_mov_b32_e32 v7, s0
	s_cselect_b32 vcc_lo, -1, 0
	s_cmp_eq_u32 s3, 0
	v_cndmask_b32_e32 v5, -1, v5, vcc_lo
	v_cmp_le_u32_e32 vcc_lo, s1, v2
	s_cselect_b32 s0, -1, 0
	v_cndmask_b32_e64 v6, 0, -1, vcc_lo
	s_delay_alu instid0(VALU_DEP_3) | instskip(NEXT) | instid1(VALU_DEP_2)
	v_cmp_ne_u32_e32 vcc_lo, 0, v5
	v_cndmask_b32_e64 v5, -1, v6, s0
	v_cndmask_b32_e32 v6, s5, v7, vcc_lo
	v_cndmask_b32_e32 v3, v3, v4, vcc_lo
	s_delay_alu instid0(VALU_DEP_3) | instskip(NEXT) | instid1(VALU_DEP_2)
	v_cmp_ne_u32_e32 vcc_lo, 0, v5
	v_cndmask_b32_e32 v2, v2, v3, vcc_lo
	s_delay_alu instid0(VALU_DEP_4) | instskip(NEXT) | instid1(VALU_DEP_2)
	v_cndmask_b32_e32 v4, s3, v6, vcc_lo
	v_xor_b32_e32 v2, s4, v2
	s_delay_alu instid0(VALU_DEP_2) | instskip(NEXT) | instid1(VALU_DEP_2)
	v_xor_b32_e32 v3, s4, v4
	v_sub_co_u32 v2, vcc_lo, v2, s4
	s_delay_alu instid0(VALU_DEP_2)
	v_subrev_co_ci_u32_e32 v3, vcc_lo, s4, v3, vcc_lo
	s_and_not1_b32 vcc_lo, exec_lo, s2
	s_cbranch_vccnz .LBB641_74
.LBB641_73:
	v_cvt_f32_u32_e32 v2, s1
	s_sub_i32 s0, 0, s1
	s_delay_alu instid0(VALU_DEP_1) | instskip(SKIP_2) | instid1(VALU_DEP_1)
	v_rcp_iflag_f32_e32 v2, v2
	s_waitcnt_depctr 0xfff
	v_mul_f32_e32 v2, 0x4f7ffffe, v2
	v_cvt_u32_f32_e32 v2, v2
	s_delay_alu instid0(VALU_DEP_1) | instskip(NEXT) | instid1(VALU_DEP_1)
	v_mul_lo_u32 v3, s0, v2
	v_mul_hi_u32 v3, v2, v3
	s_delay_alu instid0(VALU_DEP_1) | instskip(NEXT) | instid1(VALU_DEP_1)
	v_add_nc_u32_e32 v2, v2, v3
	v_mul_hi_u32 v2, s8, v2
	s_delay_alu instid0(VALU_DEP_1) | instskip(NEXT) | instid1(VALU_DEP_1)
	v_mul_lo_u32 v2, v2, s1
	v_sub_nc_u32_e32 v2, s8, v2
	s_delay_alu instid0(VALU_DEP_1) | instskip(SKIP_1) | instid1(VALU_DEP_2)
	v_subrev_nc_u32_e32 v3, s1, v2
	v_cmp_le_u32_e32 vcc_lo, s1, v2
	v_cndmask_b32_e32 v2, v2, v3, vcc_lo
	s_delay_alu instid0(VALU_DEP_1) | instskip(SKIP_1) | instid1(VALU_DEP_2)
	v_subrev_nc_u32_e32 v3, s1, v2
	v_cmp_le_u32_e32 vcc_lo, s1, v2
	v_dual_cndmask_b32 v2, v2, v3 :: v_dual_mov_b32 v3, 0
.LBB641_74:
	s_delay_alu instid0(VALU_DEP_1) | instskip(SKIP_1) | instid1(VALU_DEP_3)
	v_sub_co_u32 v2, vcc_lo, s8, v2
	v_lshlrev_b64 v[4:5], 3, v[0:1]
	v_sub_co_ci_u32_e32 v3, vcc_lo, s9, v3, vcc_lo
	s_mov_b32 s14, exec_lo
	s_delay_alu instid0(VALU_DEP_1)
	v_cmpx_lt_i64_e64 v[4:5], v[2:3]
	s_cbranch_execz .LBB641_77
; %bb.75:
	v_lshlrev_b64 v[4:5], 4, v[0:1]
	v_dual_mov_b32 v7, v1 :: v_dual_mov_b32 v6, v0
	s_lshl_b32 s23, s11, 4
	s_mov_b32 s25, 0
	s_mov_b64 s[34:35], s[30:31]
	s_mov_b64 s[36:37], s[28:29]
	;; [unrolled: 1-line block ×3, first 2 shown]
.LBB641_76:                             ; =>This Inner Loop Header: Depth=1
	v_add_co_u32 v9, vcc_lo, s36, v4
	v_add_co_ci_u32_e32 v10, vcc_lo, s37, v5, vcc_lo
	v_add_co_u32 v13, vcc_lo, s34, v4
	v_add_co_ci_u32_e32 v14, vcc_lo, s35, v5, vcc_lo
	v_add_co_u32 v17, vcc_lo, s38, v4
	global_load_b128 v[9:12], v[9:10], off
	global_load_b128 v[13:16], v[13:14], off
	v_add_co_ci_u32_e32 v18, vcc_lo, s39, v5, vcc_lo
	v_add_co_u32 v6, vcc_lo, v6, s11
	v_add_co_ci_u32_e32 v7, vcc_lo, 0, v7, vcc_lo
	s_add_u32 s38, s38, s23
	s_addc_u32 s39, s39, 0
	s_add_u32 s36, s36, s23
	s_delay_alu instid0(VALU_DEP_1)
	v_lshlrev_b64 v[19:20], 3, v[6:7]
	s_addc_u32 s37, s37, 0
	s_add_u32 s34, s34, s23
	s_addc_u32 s35, s35, 0
	s_waitcnt vmcnt(1)
	v_and_b32_e32 v1, 0xffff0000, v9
	v_lshlrev_b32_e32 v9, 16, v9
	s_waitcnt vmcnt(0)
	v_and_b32_e32 v21, 0xffff0000, v13
	v_lshlrev_b32_e32 v13, 16, v13
	v_and_b32_e32 v24, 0xffff0000, v11
	v_lshlrev_b32_e32 v11, 16, v11
	;; [unrolled: 2-line block ×3, first 2 shown]
	v_fma_f32 v9, -v8, v9, v13
	v_and_b32_e32 v26, 0xffff0000, v12
	v_and_b32_e32 v27, 0xffff0000, v16
	v_fma_f32 v1, -v8, v1, v21
	v_fma_f32 v11, -v8, v11, v15
	v_bfe_u32 v21, v9, 16, 1
	v_and_b32_e32 v22, 0xffff0000, v10
	v_fma_f32 v15, -v8, v26, v27
	v_and_b32_e32 v23, 0xffff0000, v14
	v_lshlrev_b32_e32 v14, 16, v14
	v_add3_u32 v21, v9, v21, 0x7fff
	v_lshlrev_b32_e32 v12, 16, v12
	v_lshlrev_b32_e32 v16, 16, v16
	v_bfe_u32 v26, v15, 16, 1
	v_cmp_o_f32_e32 vcc_lo, v9, v9
	v_lshrrev_b32_e32 v21, 16, v21
	v_lshlrev_b32_e32 v10, 16, v10
	v_fma_f32 v13, -v8, v22, v23
	v_fma_f32 v12, -v8, v12, v16
	v_add3_u32 v26, v15, v26, 0x7fff
	v_cmp_o_f32_e64 s4, v15, v15
	v_cndmask_b32_e32 v15, 0x7fc0, v21, vcc_lo
	v_fma_f32 v10, -v8, v10, v14
	v_fma_f32 v14, -v8, v24, v25
	v_bfe_u32 v16, v1, 16, 1
	v_bfe_u32 v22, v13, 16, 1
	;; [unrolled: 1-line block ×6, first 2 shown]
	v_add3_u32 v16, v1, v16, 0x7fff
	v_add3_u32 v22, v13, v22, 0x7fff
	;; [unrolled: 1-line block ×6, first 2 shown]
	v_lshrrev_b32_e32 v16, 16, v16
	v_lshrrev_b32_e32 v9, 16, v22
	;; [unrolled: 1-line block ×3, first 2 shown]
	v_cmp_o_f32_e64 s0, v13, v13
	v_cmp_o_f32_e64 s1, v10, v10
	v_lshrrev_b32_e32 v10, 16, v24
	v_lshrrev_b32_e32 v13, 16, v25
	v_cmp_o_f32_e64 s2, v14, v14
	v_cmp_o_f32_e64 s3, v11, v11
	v_lshrrev_b32_e32 v11, 16, v26
	v_lshrrev_b32_e32 v14, 16, v27
	v_cmp_o_f32_e64 s5, v12, v12
	v_cmp_o_f32_e64 s6, v1, v1
	v_cndmask_b32_e64 v9, 0x7fc0, v9, s0
	v_cndmask_b32_e64 v10, 0x7fc0, v10, s2
	;; [unrolled: 1-line block ×7, first 2 shown]
	v_cmp_ge_i64_e32 vcc_lo, v[19:20], v[2:3]
	v_perm_b32 v12, v11, v12, 0x5040100
	s_delay_alu instid0(VALU_DEP_4) | instskip(NEXT) | instid1(VALU_DEP_4)
	v_perm_b32 v11, v10, v13, 0x5040100
	v_perm_b32 v10, v9, v14, 0x5040100
	;; [unrolled: 1-line block ×3, first 2 shown]
	s_or_b32 s25, vcc_lo, s25
	global_store_b128 v[17:18], v[9:12], off
	s_and_not1_b32 exec_lo, exec_lo, s25
	s_cbranch_execnz .LBB641_76
.LBB641_77:
	s_or_b32 exec_lo, exec_lo, s14
	v_add_co_u32 v1, vcc_lo, v2, v0
	v_add_co_ci_u32_e32 v2, vcc_lo, 0, v3, vcc_lo
	s_mov_b32 s2, exec_lo
	s_delay_alu instid0(VALU_DEP_1)
	v_cmpx_gt_i64_e64 s[8:9], v[1:2]
	s_cbranch_execz .LBB641_80
; %bb.78:
	v_lshlrev_b64 v[3:4], 1, v[1:2]
	s_lshl_b32 s3, s11, 1
	s_mov_b32 s4, 0
	s_set_inst_prefetch_distance 0x1
	.p2align	6
.LBB641_79:                             ; =>This Inner Loop Header: Depth=1
	s_delay_alu instid0(VALU_DEP_1) | instskip(NEXT) | instid1(VALU_DEP_2)
	v_add_co_u32 v5, vcc_lo, s28, v3
	v_add_co_ci_u32_e32 v6, vcc_lo, s29, v4, vcc_lo
	v_add_co_u32 v9, vcc_lo, s30, v3
	v_add_co_ci_u32_e32 v10, vcc_lo, s31, v4, vcc_lo
	v_add_co_u32 v1, vcc_lo, v1, s11
	global_load_u16 v5, v[5:6], off
	global_load_u16 v6, v[9:10], off
	v_add_co_ci_u32_e32 v2, vcc_lo, 0, v2, vcc_lo
	s_delay_alu instid0(VALU_DEP_1) | instskip(NEXT) | instid1(VALU_DEP_1)
	v_cmp_le_i64_e64 s0, s[8:9], v[1:2]
	s_or_b32 s4, s0, s4
	s_waitcnt vmcnt(1)
	v_lshlrev_b32_e32 v5, 16, v5
	s_waitcnt vmcnt(0)
	v_lshlrev_b32_e32 v6, 16, v6
	s_delay_alu instid0(VALU_DEP_1) | instskip(NEXT) | instid1(VALU_DEP_1)
	v_fma_f32 v7, -v8, v5, v6
	v_bfe_u32 v5, v7, 16, 1
	v_cmp_o_f32_e64 s1, v7, v7
	s_delay_alu instid0(VALU_DEP_2) | instskip(SKIP_2) | instid1(VALU_DEP_3)
	v_add3_u32 v9, v7, v5, 0x7fff
	v_add_co_u32 v5, vcc_lo, s26, v3
	v_add_co_ci_u32_e32 v6, vcc_lo, s27, v4, vcc_lo
	v_lshrrev_b32_e32 v9, 16, v9
	v_add_co_u32 v3, vcc_lo, v3, s3
	v_add_co_ci_u32_e32 v4, vcc_lo, 0, v4, vcc_lo
	s_delay_alu instid0(VALU_DEP_3)
	v_cndmask_b32_e64 v7, 0x7fc0, v9, s1
	global_store_b16 v[5:6], v7, off
	s_and_not1_b32 exec_lo, exec_lo, s4
	s_cbranch_execnz .LBB641_79
.LBB641_80:
	s_set_inst_prefetch_distance 0x2
	s_or_b32 exec_lo, exec_lo, s2
	s_mov_b32 s1, 0
.LBB641_81:
	s_delay_alu instid0(SALU_CYCLE_1)
	s_and_b32 vcc_lo, exec_lo, s1
	s_cbranch_vccz .LBB641_93
; %bb.82:
	s_and_not1_b32 vcc_lo, exec_lo, s7
	s_cbranch_vccnz .LBB641_86
; %bb.83:
	s_lshl_b32 s1, s24, 1
	s_mov_b32 s6, exec_lo
	s_sub_u32 s3, s18, s1
	s_subb_u32 s4, s19, 0
	s_sub_u32 s0, s20, s1
	s_subb_u32 s5, s21, 0
	;; [unrolled: 2-line block ×3, first 2 shown]
	v_cmpx_le_u32_e64 s24, v0
	s_cbranch_execz .LBB641_85
; %bb.84:
	v_mov_b32_e32 v1, 0
	s_delay_alu instid0(VALU_DEP_1) | instskip(NEXT) | instid1(VALU_DEP_1)
	v_lshlrev_b64 v[1:2], 1, v[0:1]
	v_add_co_u32 v3, vcc_lo, s0, v1
	s_delay_alu instid0(VALU_DEP_2)
	v_add_co_ci_u32_e32 v4, vcc_lo, s5, v2, vcc_lo
	v_add_co_u32 v5, vcc_lo, s1, v1
	v_add_co_ci_u32_e32 v6, vcc_lo, s2, v2, vcc_lo
	global_load_u16 v3, v[3:4], off
	global_load_u16 v4, v[5:6], off
	s_waitcnt vmcnt(1)
	v_lshlrev_b32_e32 v3, 16, v3
	s_waitcnt vmcnt(0)
	v_lshlrev_b32_e32 v4, 16, v4
	s_waitcnt lgkmcnt(0)
	s_delay_alu instid0(VALU_DEP_1) | instskip(NEXT) | instid1(VALU_DEP_1)
	v_fma_f32 v3, -v8, v3, v4
	v_bfe_u32 v4, v3, 16, 1
	v_cmp_o_f32_e32 vcc_lo, v3, v3
	s_delay_alu instid0(VALU_DEP_2) | instskip(NEXT) | instid1(VALU_DEP_1)
	v_add3_u32 v4, v3, v4, 0x7fff
	v_lshrrev_b32_e32 v4, 16, v4
	s_delay_alu instid0(VALU_DEP_1)
	v_cndmask_b32_e32 v3, 0x7fc0, v4, vcc_lo
	v_add_co_u32 v1, vcc_lo, s3, v1
	v_add_co_ci_u32_e32 v2, vcc_lo, s4, v2, vcc_lo
	global_store_b16 v[1:2], v3, off
.LBB641_85:
	s_or_b32 exec_lo, exec_lo, s6
	s_add_i32 s6, s24, s10
	s_delay_alu instid0(SALU_CYCLE_1) | instskip(SKIP_1) | instid1(SALU_CYCLE_1)
	v_sub_nc_u32_e64 v1, s6, s22 clamp
	s_lshl_b32 s6, s22, 1
	s_add_u32 s18, s3, s6
	s_addc_u32 s19, s4, 0
	s_delay_alu instid0(VALU_DEP_1)
	v_readfirstlane_b32 s10, v1
	s_add_u32 s20, s0, s6
	s_addc_u32 s21, s5, 0
	s_add_u32 s12, s1, s6
	s_addc_u32 s13, s2, 0
.LBB641_86:
	s_load_b32 s0, s[16:17], 0x0
	v_mov_b32_e32 v1, 0
	s_waitcnt lgkmcnt(0)
	s_cmp_lt_u32 s15, s0
	s_cselect_b32 s0, 12, 18
	s_delay_alu instid0(SALU_CYCLE_1) | instskip(SKIP_4) | instid1(VALU_DEP_1)
	s_add_u32 s0, s16, s0
	s_addc_u32 s1, s17, 0
	global_load_u16 v3, v1, s[0:1]
	s_waitcnt vmcnt(0)
	v_readfirstlane_b32 s0, v3
	s_lshl_b32 s0, s0, 3
	s_delay_alu instid0(SALU_CYCLE_1) | instskip(SKIP_1) | instid1(VALU_DEP_1)
	v_cvt_f32_u32_e32 v1, s0
	s_sub_i32 s2, 0, s0
	v_rcp_iflag_f32_e32 v1, v1
	s_waitcnt_depctr 0xfff
	v_mul_f32_e32 v1, 0x4f7ffffe, v1
	s_delay_alu instid0(VALU_DEP_1) | instskip(NEXT) | instid1(VALU_DEP_1)
	v_cvt_u32_f32_e32 v1, v1
	v_readfirstlane_b32 s1, v1
	v_lshlrev_b32_e32 v1, 3, v0
	s_delay_alu instid0(VALU_DEP_2) | instskip(NEXT) | instid1(SALU_CYCLE_1)
	s_mul_i32 s2, s2, s1
	s_mul_hi_u32 s2, s1, s2
	s_delay_alu instid0(SALU_CYCLE_1) | instskip(NEXT) | instid1(SALU_CYCLE_1)
	s_add_i32 s1, s1, s2
	s_mul_hi_u32 s1, s10, s1
	s_delay_alu instid0(SALU_CYCLE_1) | instskip(NEXT) | instid1(SALU_CYCLE_1)
	s_mul_i32 s1, s1, s0
	s_sub_i32 s1, s10, s1
	s_delay_alu instid0(SALU_CYCLE_1) | instskip(SKIP_2) | instid1(SALU_CYCLE_1)
	s_sub_i32 s2, s1, s0
	s_cmp_ge_u32 s1, s0
	s_cselect_b32 s1, s2, s1
	s_sub_i32 s2, s1, s0
	s_cmp_ge_u32 s1, s0
	s_cselect_b32 s0, s2, s1
	s_mov_b32 s2, 0
	s_sub_i32 s0, s10, s0
	s_mov_b32 s1, exec_lo
	v_cmpx_gt_i32_e64 s0, v1
	s_cbranch_execz .LBB641_89
; %bb.87:
	v_mov_b32_e32 v1, v0
.LBB641_88:                             ; =>This Inner Loop Header: Depth=1
	s_delay_alu instid0(VALU_DEP_1) | instskip(NEXT) | instid1(VALU_DEP_1)
	v_ashrrev_i32_e32 v2, 31, v1
	v_lshlrev_b64 v[13:14], 4, v[1:2]
	s_delay_alu instid0(VALU_DEP_1) | instskip(NEXT) | instid1(VALU_DEP_2)
	v_add_co_u32 v4, vcc_lo, s20, v13
	v_add_co_ci_u32_e32 v5, vcc_lo, s21, v14, vcc_lo
	v_add_co_u32 v9, vcc_lo, s12, v13
	v_add_co_ci_u32_e32 v10, vcc_lo, s13, v14, vcc_lo
	v_add_co_u32 v13, vcc_lo, s18, v13
	global_load_b128 v[4:7], v[4:5], off
	global_load_b128 v[9:12], v[9:10], off
	v_add_co_ci_u32_e32 v14, vcc_lo, s19, v14, vcc_lo
	s_waitcnt vmcnt(1)
	v_and_b32_e32 v21, 0xffff0000, v7
	v_lshlrev_b32_e32 v7, 16, v7
	s_waitcnt vmcnt(0)
	v_and_b32_e32 v22, 0xffff0000, v12
	v_lshlrev_b32_e32 v12, 16, v12
	v_and_b32_e32 v19, 0xffff0000, v6
	v_lshlrev_b32_e32 v6, 16, v6
	v_and_b32_e32 v20, 0xffff0000, v11
	v_and_b32_e32 v15, 0xffff0000, v4
	v_fma_f32 v7, -v8, v7, v12
	v_fma_f32 v12, -v8, v21, v22
	v_lshlrev_b32_e32 v4, 16, v4
	v_and_b32_e32 v16, 0xffff0000, v9
	v_and_b32_e32 v17, 0xffff0000, v5
	;; [unrolled: 1-line block ×3, first 2 shown]
	v_bfe_u32 v21, v12, 16, 1
	v_bfe_u32 v22, v7, 16, 1
	s_delay_alu instid0(VALU_DEP_2) | instskip(NEXT) | instid1(VALU_DEP_2)
	v_add3_u32 v21, v12, v21, 0x7fff
	v_add3_u32 v22, v7, v22, 0x7fff
	s_delay_alu instid0(VALU_DEP_2) | instskip(SKIP_1) | instid1(VALU_DEP_3)
	v_lshrrev_b32_e32 v21, 16, v21
	v_lshlrev_b32_e32 v11, 16, v11
	v_lshrrev_b32_e32 v22, 16, v22
	s_delay_alu instid0(VALU_DEP_2) | instskip(SKIP_1) | instid1(VALU_DEP_2)
	v_fma_f32 v6, -v8, v6, v11
	v_fma_f32 v11, -v8, v19, v20
	v_bfe_u32 v20, v6, 16, 1
	s_delay_alu instid0(VALU_DEP_2) | instskip(NEXT) | instid1(VALU_DEP_2)
	v_bfe_u32 v19, v11, 16, 1
	v_add3_u32 v20, v6, v20, 0x7fff
	s_delay_alu instid0(VALU_DEP_2) | instskip(NEXT) | instid1(VALU_DEP_2)
	v_add3_u32 v19, v11, v19, 0x7fff
	v_lshrrev_b32_e32 v20, 16, v20
	v_lshlrev_b32_e32 v9, 16, v9
	s_delay_alu instid0(VALU_DEP_3) | instskip(SKIP_1) | instid1(VALU_DEP_3)
	v_lshrrev_b32_e32 v19, 16, v19
	v_lshlrev_b32_e32 v10, 16, v10
	v_fma_f32 v4, -v8, v4, v9
	v_fma_f32 v9, -v8, v15, v16
	s_delay_alu instid0(VALU_DEP_2) | instskip(NEXT) | instid1(VALU_DEP_2)
	v_bfe_u32 v16, v4, 16, 1
	v_bfe_u32 v15, v9, 16, 1
	v_cmp_o_f32_e32 vcc_lo, v9, v9
	s_delay_alu instid0(VALU_DEP_3) | instskip(NEXT) | instid1(VALU_DEP_3)
	v_add3_u32 v16, v4, v16, 0x7fff
	v_add3_u32 v15, v9, v15, 0x7fff
	s_delay_alu instid0(VALU_DEP_2) | instskip(SKIP_1) | instid1(VALU_DEP_3)
	v_lshrrev_b32_e32 v16, 16, v16
	v_lshlrev_b32_e32 v5, 16, v5
	v_lshrrev_b32_e32 v15, 16, v15
	s_delay_alu instid0(VALU_DEP_2) | instskip(SKIP_1) | instid1(VALU_DEP_3)
	v_fma_f32 v5, -v8, v5, v10
	v_fma_f32 v10, -v8, v17, v18
	v_cndmask_b32_e32 v9, 0x7fc0, v15, vcc_lo
	s_delay_alu instid0(VALU_DEP_3) | instskip(NEXT) | instid1(VALU_DEP_3)
	v_bfe_u32 v18, v5, 16, 1
	v_bfe_u32 v17, v10, 16, 1
	v_cmp_o_f32_e32 vcc_lo, v10, v10
	s_delay_alu instid0(VALU_DEP_3) | instskip(NEXT) | instid1(VALU_DEP_3)
	v_add3_u32 v18, v5, v18, 0x7fff
	v_add3_u32 v17, v10, v17, 0x7fff
	s_delay_alu instid0(VALU_DEP_2) | instskip(NEXT) | instid1(VALU_DEP_2)
	v_lshrrev_b32_e32 v18, 16, v18
	v_lshrrev_b32_e32 v17, 16, v17
	s_delay_alu instid0(VALU_DEP_1) | instskip(SKIP_1) | instid1(VALU_DEP_2)
	v_dual_cndmask_b32 v10, 0x7fc0, v17 :: v_dual_add_nc_u32 v1, v1, v3
	v_cmp_o_f32_e32 vcc_lo, v5, v5
	v_dual_cndmask_b32 v5, 0x7fc0, v18 :: v_dual_lshlrev_b32 v2, 3, v1
	v_cmp_o_f32_e32 vcc_lo, v11, v11
	s_delay_alu instid0(VALU_DEP_2)
	v_perm_b32 v5, v10, v5, 0x5040100
	v_cndmask_b32_e32 v11, 0x7fc0, v19, vcc_lo
	v_cmp_o_f32_e32 vcc_lo, v12, v12
	v_cndmask_b32_e32 v12, 0x7fc0, v21, vcc_lo
	v_cmp_o_f32_e32 vcc_lo, v7, v7
	;; [unrolled: 2-line block ×3, first 2 shown]
	s_delay_alu instid0(VALU_DEP_2) | instskip(SKIP_2) | instid1(VALU_DEP_2)
	v_perm_b32 v7, v12, v7, 0x5040100
	v_cndmask_b32_e32 v6, 0x7fc0, v20, vcc_lo
	v_cmp_o_f32_e32 vcc_lo, v4, v4
	v_perm_b32 v6, v11, v6, 0x5040100
	v_cndmask_b32_e32 v4, 0x7fc0, v16, vcc_lo
	v_cmp_le_i32_e32 vcc_lo, s0, v2
	s_delay_alu instid0(VALU_DEP_2)
	v_perm_b32 v4, v9, v4, 0x5040100
	s_or_b32 s2, vcc_lo, s2
	global_store_b128 v[13:14], v[4:7], off
	s_and_not1_b32 exec_lo, exec_lo, s2
	s_cbranch_execnz .LBB641_88
.LBB641_89:
	s_or_b32 exec_lo, exec_lo, s1
	v_add_nc_u32_e32 v0, s0, v0
	s_mov_b32 s0, exec_lo
	s_delay_alu instid0(VALU_DEP_1)
	v_cmpx_gt_i32_e64 s10, v0
	s_cbranch_execz .LBB641_93
; %bb.90:
	s_mov_b32 s1, 0
	s_set_inst_prefetch_distance 0x1
	.p2align	6
.LBB641_91:                             ; =>This Inner Loop Header: Depth=1
	v_ashrrev_i32_e32 v1, 31, v0
	s_delay_alu instid0(VALU_DEP_1) | instskip(SKIP_1) | instid1(VALU_DEP_2)
	v_lshlrev_b64 v[1:2], 1, v[0:1]
	v_add_nc_u32_e32 v0, v0, v3
	v_add_co_u32 v4, vcc_lo, s20, v1
	s_delay_alu instid0(VALU_DEP_3)
	v_add_co_ci_u32_e32 v5, vcc_lo, s21, v2, vcc_lo
	v_add_co_u32 v6, vcc_lo, s12, v1
	v_add_co_ci_u32_e32 v7, vcc_lo, s13, v2, vcc_lo
	v_cmp_le_i32_e32 vcc_lo, s10, v0
	global_load_u16 v4, v[4:5], off
	global_load_u16 v5, v[6:7], off
	s_or_b32 s1, vcc_lo, s1
	s_waitcnt vmcnt(1)
	v_lshlrev_b32_e32 v4, 16, v4
	s_waitcnt vmcnt(0)
	v_lshlrev_b32_e32 v5, 16, v5
	s_delay_alu instid0(VALU_DEP_1) | instskip(NEXT) | instid1(VALU_DEP_1)
	v_fma_f32 v4, -v8, v4, v5
	v_bfe_u32 v5, v4, 16, 1
	v_cmp_o_f32_e64 s0, v4, v4
	s_delay_alu instid0(VALU_DEP_2) | instskip(NEXT) | instid1(VALU_DEP_1)
	v_add3_u32 v5, v4, v5, 0x7fff
	v_lshrrev_b32_e32 v5, 16, v5
	s_delay_alu instid0(VALU_DEP_1) | instskip(SKIP_1) | instid1(VALU_DEP_1)
	v_cndmask_b32_e64 v4, 0x7fc0, v5, s0
	v_add_co_u32 v1, s0, s18, v1
	v_add_co_ci_u32_e64 v2, s0, s19, v2, s0
	global_store_b16 v[1:2], v4, off
	s_and_not1_b32 exec_lo, exec_lo, s1
	s_cbranch_execnz .LBB641_91
	s_branch .LBB641_93
.LBB641_92:
	s_cbranch_execz .LBB641_66
.LBB641_93:
	s_set_inst_prefetch_distance 0x2
	s_nop 0
	s_sendmsg sendmsg(MSG_DEALLOC_VGPRS)
	s_endpgm
.LBB641_94:
                                        ; implicit-def: $vgpr2_vgpr3
	s_branch .LBB641_73
	.section	.rodata,"a",@progbits
	.p2align	6, 0x0
	.amdhsa_kernel _ZN2at6native12_GLOBAL__N_120cunn_SoftMaxBackwardILi8EN3c108BFloat16EfS4_NS1_23SoftMaxBackwardEpilogueEEEvPT0_PKT2_SA_l
		.amdhsa_group_segment_fixed_size 0
		.amdhsa_private_segment_fixed_size 0
		.amdhsa_kernarg_size 288
		.amdhsa_user_sgpr_count 15
		.amdhsa_user_sgpr_dispatch_ptr 0
		.amdhsa_user_sgpr_queue_ptr 0
		.amdhsa_user_sgpr_kernarg_segment_ptr 1
		.amdhsa_user_sgpr_dispatch_id 0
		.amdhsa_user_sgpr_private_segment_size 0
		.amdhsa_wavefront_size32 1
		.amdhsa_uses_dynamic_stack 0
		.amdhsa_enable_private_segment 0
		.amdhsa_system_sgpr_workgroup_id_x 1
		.amdhsa_system_sgpr_workgroup_id_y 0
		.amdhsa_system_sgpr_workgroup_id_z 0
		.amdhsa_system_sgpr_workgroup_info 0
		.amdhsa_system_vgpr_workitem_id 0
		.amdhsa_next_free_vgpr 51
		.amdhsa_next_free_sgpr 40
		.amdhsa_reserve_vcc 1
		.amdhsa_float_round_mode_32 0
		.amdhsa_float_round_mode_16_64 0
		.amdhsa_float_denorm_mode_32 3
		.amdhsa_float_denorm_mode_16_64 3
		.amdhsa_dx10_clamp 1
		.amdhsa_ieee_mode 1
		.amdhsa_fp16_overflow 0
		.amdhsa_workgroup_processor_mode 1
		.amdhsa_memory_ordered 1
		.amdhsa_forward_progress 0
		.amdhsa_shared_vgpr_count 0
		.amdhsa_exception_fp_ieee_invalid_op 0
		.amdhsa_exception_fp_denorm_src 0
		.amdhsa_exception_fp_ieee_div_zero 0
		.amdhsa_exception_fp_ieee_overflow 0
		.amdhsa_exception_fp_ieee_underflow 0
		.amdhsa_exception_fp_ieee_inexact 0
		.amdhsa_exception_int_div_zero 0
	.end_amdhsa_kernel
	.section	.text._ZN2at6native12_GLOBAL__N_120cunn_SoftMaxBackwardILi8EN3c108BFloat16EfS4_NS1_23SoftMaxBackwardEpilogueEEEvPT0_PKT2_SA_l,"axG",@progbits,_ZN2at6native12_GLOBAL__N_120cunn_SoftMaxBackwardILi8EN3c108BFloat16EfS4_NS1_23SoftMaxBackwardEpilogueEEEvPT0_PKT2_SA_l,comdat
.Lfunc_end641:
	.size	_ZN2at6native12_GLOBAL__N_120cunn_SoftMaxBackwardILi8EN3c108BFloat16EfS4_NS1_23SoftMaxBackwardEpilogueEEEvPT0_PKT2_SA_l, .Lfunc_end641-_ZN2at6native12_GLOBAL__N_120cunn_SoftMaxBackwardILi8EN3c108BFloat16EfS4_NS1_23SoftMaxBackwardEpilogueEEEvPT0_PKT2_SA_l
                                        ; -- End function
	.section	.AMDGPU.csdata,"",@progbits
; Kernel info:
; codeLenInByte = 9712
; NumSgprs: 42
; NumVgprs: 51
; ScratchSize: 0
; MemoryBound: 0
; FloatMode: 240
; IeeeMode: 1
; LDSByteSize: 0 bytes/workgroup (compile time only)
; SGPRBlocks: 5
; VGPRBlocks: 6
; NumSGPRsForWavesPerEU: 42
; NumVGPRsForWavesPerEU: 51
; Occupancy: 16
; WaveLimiterHint : 0
; COMPUTE_PGM_RSRC2:SCRATCH_EN: 0
; COMPUTE_PGM_RSRC2:USER_SGPR: 15
; COMPUTE_PGM_RSRC2:TRAP_HANDLER: 0
; COMPUTE_PGM_RSRC2:TGID_X_EN: 1
; COMPUTE_PGM_RSRC2:TGID_Y_EN: 0
; COMPUTE_PGM_RSRC2:TGID_Z_EN: 0
; COMPUTE_PGM_RSRC2:TIDIG_COMP_CNT: 0
	.section	.text._ZN12_GLOBAL__N_121softmax_warp_backwardIfN3c108BFloat16EfLi0ELb0ELb0ELi64EEEvPT0_PKT_S7_iiiPKb,"axG",@progbits,_ZN12_GLOBAL__N_121softmax_warp_backwardIfN3c108BFloat16EfLi0ELb0ELb0ELi64EEEvPT0_PKT_S7_iiiPKb,comdat
	.globl	_ZN12_GLOBAL__N_121softmax_warp_backwardIfN3c108BFloat16EfLi0ELb0ELb0ELi64EEEvPT0_PKT_S7_iiiPKb ; -- Begin function _ZN12_GLOBAL__N_121softmax_warp_backwardIfN3c108BFloat16EfLi0ELb0ELb0ELi64EEEvPT0_PKT_S7_iiiPKb
	.p2align	8
	.type	_ZN12_GLOBAL__N_121softmax_warp_backwardIfN3c108BFloat16EfLi0ELb0ELb0ELi64EEEvPT0_PKT_S7_iiiPKb,@function
_ZN12_GLOBAL__N_121softmax_warp_backwardIfN3c108BFloat16EfLi0ELb0ELb0ELi64EEEvPT0_PKT_S7_iiiPKb: ; @_ZN12_GLOBAL__N_121softmax_warp_backwardIfN3c108BFloat16EfLi0ELb0ELb0ELi64EEEvPT0_PKT_S7_iiiPKb
; %bb.0:
	s_clause 0x1
	s_load_b32 s2, s[0:1], 0x3c
	s_load_b128 s[4:7], s[0:1], 0x18
	v_bfe_u32 v0, v0, 10, 10
	s_load_b128 s[8:11], s[0:1], 0x0
	v_dual_mov_b32 v7, 0 :: v_dual_mov_b32 v8, 0
	v_mov_b32_e32 v9, 0
	s_waitcnt lgkmcnt(0)
	s_lshr_b32 s2, s2, 16
	s_cmp_gt_i32 s6, 0
	s_mul_i32 s15, s15, s2
	s_load_b64 s[2:3], s[0:1], 0x10
	v_add_lshl_u32 v2, s15, v0, 1
	s_cselect_b32 s1, -1, 0
	s_delay_alu instid0(VALU_DEP_1) | instskip(SKIP_1) | instid1(VALU_DEP_1)
	v_mul_lo_u32 v0, v2, s5
	v_sub_nc_u32_e32 v6, s4, v2
	v_cmp_lt_i32_e32 vcc_lo, 0, v6
	s_delay_alu instid0(VALU_DEP_3) | instskip(NEXT) | instid1(VALU_DEP_1)
	v_ashrrev_i32_e32 v1, 31, v0
	v_lshlrev_b64 v[2:3], 2, v[0:1]
	s_delay_alu instid0(VALU_DEP_1) | instskip(NEXT) | instid1(VALU_DEP_1)
	v_add_co_u32 v4, s0, s10, v2
	v_add_co_ci_u32_e64 v5, s0, s11, v3, s0
	s_waitcnt lgkmcnt(0)
	v_add_co_u32 v2, s0, s2, v2
	s_delay_alu instid0(VALU_DEP_1) | instskip(SKIP_1) | instid1(SALU_CYCLE_1)
	v_add_co_ci_u32_e64 v3, s0, s3, v3, s0
	s_and_b32 s2, s1, vcc_lo
	s_and_saveexec_b32 s0, s2
	s_cbranch_execz .LBB642_2
; %bb.1:
	global_load_b32 v8, v[4:5], off
	global_load_b32 v9, v[2:3], off
.LBB642_2:
	s_or_b32 exec_lo, exec_lo, s0
	v_cmp_lt_i32_e64 s0, 1, v6
	v_mov_b32_e32 v10, 0
	s_mov_b32 s7, 0
	s_delay_alu instid0(VALU_DEP_2) | instskip(NEXT) | instid1(SALU_CYCLE_1)
	s_and_b32 s0, s1, s0
	s_and_saveexec_b32 s2, s0
	s_cbranch_execz .LBB642_4
; %bb.3:
	s_lshl_b64 s[4:5], s[6:7], 2
	s_delay_alu instid0(SALU_CYCLE_1) | instskip(NEXT) | instid1(VALU_DEP_1)
	v_add_co_u32 v4, s0, v4, s4
	v_add_co_ci_u32_e64 v5, s0, s5, v5, s0
	v_add_co_u32 v2, s0, v2, s4
	s_delay_alu instid0(VALU_DEP_1)
	v_add_co_ci_u32_e64 v3, s0, s5, v3, s0
	global_load_b32 v7, v[4:5], off
	global_load_b32 v10, v[2:3], off
.LBB642_4:
	s_or_b32 exec_lo, exec_lo, s2
	s_and_saveexec_b32 s0, vcc_lo
	s_cbranch_execz .LBB642_10
; %bb.5:
	v_lshlrev_b64 v[0:1], 1, v[0:1]
	v_cndmask_b32_e64 v2, 0, 1, s1
	s_delay_alu instid0(VALU_DEP_2) | instskip(NEXT) | instid1(VALU_DEP_3)
	v_add_co_u32 v0, vcc_lo, s8, v0
	v_add_co_ci_u32_e32 v1, vcc_lo, s9, v1, vcc_lo
	s_and_not1_b32 vcc_lo, exec_lo, s1
	s_cbranch_vccnz .LBB642_7
; %bb.6:
	s_waitcnt vmcnt(1)
	v_add_f32_e32 v3, 0, v8
	s_waitcnt vmcnt(0)
	s_delay_alu instid0(VALU_DEP_1) | instskip(NEXT) | instid1(VALU_DEP_1)
	v_fma_f32 v3, -v3, v9, v8
	v_bfe_u32 v4, v3, 16, 1
	v_cmp_o_f32_e32 vcc_lo, v3, v3
	s_delay_alu instid0(VALU_DEP_2) | instskip(NEXT) | instid1(VALU_DEP_1)
	v_add3_u32 v4, v3, v4, 0x7fff
	v_lshrrev_b32_e32 v4, 16, v4
	s_delay_alu instid0(VALU_DEP_1)
	v_cndmask_b32_e32 v3, 0x7fc0, v4, vcc_lo
	global_store_b16 v[0:1], v3, off
.LBB642_7:
	v_cmp_ne_u32_e32 vcc_lo, 1, v6
	s_and_b32 exec_lo, exec_lo, vcc_lo
	s_cbranch_execz .LBB642_10
; %bb.8:
	v_cmp_ne_u32_e32 vcc_lo, 1, v2
	s_cbranch_vccnz .LBB642_10
; %bb.9:
	s_waitcnt vmcnt(1)
	v_add_f32_e32 v2, 0, v7
	s_lshl_b64 s[0:1], s[6:7], 1
	s_waitcnt vmcnt(0)
	s_delay_alu instid0(VALU_DEP_1) | instskip(NEXT) | instid1(VALU_DEP_1)
	v_fma_f32 v2, -v2, v10, v7
	v_bfe_u32 v3, v2, 16, 1
	v_cmp_o_f32_e32 vcc_lo, v2, v2
	s_delay_alu instid0(VALU_DEP_2) | instskip(NEXT) | instid1(VALU_DEP_1)
	v_add3_u32 v3, v2, v3, 0x7fff
	v_lshrrev_b32_e32 v3, 16, v3
	s_delay_alu instid0(VALU_DEP_1)
	v_cndmask_b32_e32 v2, 0x7fc0, v3, vcc_lo
	v_add_co_u32 v0, vcc_lo, v0, s0
	v_add_co_ci_u32_e32 v1, vcc_lo, s1, v1, vcc_lo
	global_store_b16 v[0:1], v2, off
.LBB642_10:
	s_nop 0
	s_sendmsg sendmsg(MSG_DEALLOC_VGPRS)
	s_endpgm
	.section	.rodata,"a",@progbits
	.p2align	6, 0x0
	.amdhsa_kernel _ZN12_GLOBAL__N_121softmax_warp_backwardIfN3c108BFloat16EfLi0ELb0ELb0ELi64EEEvPT0_PKT_S7_iiiPKb
		.amdhsa_group_segment_fixed_size 0
		.amdhsa_private_segment_fixed_size 0
		.amdhsa_kernarg_size 304
		.amdhsa_user_sgpr_count 15
		.amdhsa_user_sgpr_dispatch_ptr 0
		.amdhsa_user_sgpr_queue_ptr 0
		.amdhsa_user_sgpr_kernarg_segment_ptr 1
		.amdhsa_user_sgpr_dispatch_id 0
		.amdhsa_user_sgpr_private_segment_size 0
		.amdhsa_wavefront_size32 1
		.amdhsa_uses_dynamic_stack 0
		.amdhsa_enable_private_segment 0
		.amdhsa_system_sgpr_workgroup_id_x 1
		.amdhsa_system_sgpr_workgroup_id_y 0
		.amdhsa_system_sgpr_workgroup_id_z 0
		.amdhsa_system_sgpr_workgroup_info 0
		.amdhsa_system_vgpr_workitem_id 1
		.amdhsa_next_free_vgpr 11
		.amdhsa_next_free_sgpr 16
		.amdhsa_reserve_vcc 1
		.amdhsa_float_round_mode_32 0
		.amdhsa_float_round_mode_16_64 0
		.amdhsa_float_denorm_mode_32 3
		.amdhsa_float_denorm_mode_16_64 3
		.amdhsa_dx10_clamp 1
		.amdhsa_ieee_mode 1
		.amdhsa_fp16_overflow 0
		.amdhsa_workgroup_processor_mode 1
		.amdhsa_memory_ordered 1
		.amdhsa_forward_progress 0
		.amdhsa_shared_vgpr_count 0
		.amdhsa_exception_fp_ieee_invalid_op 0
		.amdhsa_exception_fp_denorm_src 0
		.amdhsa_exception_fp_ieee_div_zero 0
		.amdhsa_exception_fp_ieee_overflow 0
		.amdhsa_exception_fp_ieee_underflow 0
		.amdhsa_exception_fp_ieee_inexact 0
		.amdhsa_exception_int_div_zero 0
	.end_amdhsa_kernel
	.section	.text._ZN12_GLOBAL__N_121softmax_warp_backwardIfN3c108BFloat16EfLi0ELb0ELb0ELi64EEEvPT0_PKT_S7_iiiPKb,"axG",@progbits,_ZN12_GLOBAL__N_121softmax_warp_backwardIfN3c108BFloat16EfLi0ELb0ELb0ELi64EEEvPT0_PKT_S7_iiiPKb,comdat
.Lfunc_end642:
	.size	_ZN12_GLOBAL__N_121softmax_warp_backwardIfN3c108BFloat16EfLi0ELb0ELb0ELi64EEEvPT0_PKT_S7_iiiPKb, .Lfunc_end642-_ZN12_GLOBAL__N_121softmax_warp_backwardIfN3c108BFloat16EfLi0ELb0ELb0ELi64EEEvPT0_PKT_S7_iiiPKb
                                        ; -- End function
	.section	.AMDGPU.csdata,"",@progbits
; Kernel info:
; codeLenInByte = 540
; NumSgprs: 18
; NumVgprs: 11
; ScratchSize: 0
; MemoryBound: 0
; FloatMode: 240
; IeeeMode: 1
; LDSByteSize: 0 bytes/workgroup (compile time only)
; SGPRBlocks: 2
; VGPRBlocks: 1
; NumSGPRsForWavesPerEU: 18
; NumVGPRsForWavesPerEU: 11
; Occupancy: 16
; WaveLimiterHint : 0
; COMPUTE_PGM_RSRC2:SCRATCH_EN: 0
; COMPUTE_PGM_RSRC2:USER_SGPR: 15
; COMPUTE_PGM_RSRC2:TRAP_HANDLER: 0
; COMPUTE_PGM_RSRC2:TGID_X_EN: 1
; COMPUTE_PGM_RSRC2:TGID_Y_EN: 0
; COMPUTE_PGM_RSRC2:TGID_Z_EN: 0
; COMPUTE_PGM_RSRC2:TIDIG_COMP_CNT: 1
	.section	.text._ZN12_GLOBAL__N_121softmax_warp_backwardIfN3c108BFloat16EfLi0ELb0ELb0ELi32EEEvPT0_PKT_S7_iiiPKb,"axG",@progbits,_ZN12_GLOBAL__N_121softmax_warp_backwardIfN3c108BFloat16EfLi0ELb0ELb0ELi32EEEvPT0_PKT_S7_iiiPKb,comdat
	.globl	_ZN12_GLOBAL__N_121softmax_warp_backwardIfN3c108BFloat16EfLi0ELb0ELb0ELi32EEEvPT0_PKT_S7_iiiPKb ; -- Begin function _ZN12_GLOBAL__N_121softmax_warp_backwardIfN3c108BFloat16EfLi0ELb0ELb0ELi32EEEvPT0_PKT_S7_iiiPKb
	.p2align	8
	.type	_ZN12_GLOBAL__N_121softmax_warp_backwardIfN3c108BFloat16EfLi0ELb0ELb0ELi32EEEvPT0_PKT_S7_iiiPKb,@function
_ZN12_GLOBAL__N_121softmax_warp_backwardIfN3c108BFloat16EfLi0ELb0ELb0ELi32EEEvPT0_PKT_S7_iiiPKb: ; @_ZN12_GLOBAL__N_121softmax_warp_backwardIfN3c108BFloat16EfLi0ELb0ELb0ELi32EEEvPT0_PKT_S7_iiiPKb
; %bb.0:
	s_clause 0x1
	s_load_b32 s2, s[0:1], 0x3c
	s_load_b128 s[4:7], s[0:1], 0x18
	v_bfe_u32 v0, v0, 10, 10
	s_load_b128 s[8:11], s[0:1], 0x0
	v_dual_mov_b32 v7, 0 :: v_dual_mov_b32 v8, 0
	v_mov_b32_e32 v9, 0
	s_waitcnt lgkmcnt(0)
	s_lshr_b32 s2, s2, 16
	s_cmp_gt_i32 s6, 0
	s_mul_i32 s15, s15, s2
	s_load_b64 s[2:3], s[0:1], 0x10
	v_add_lshl_u32 v2, s15, v0, 1
	s_cselect_b32 s1, -1, 0
	s_delay_alu instid0(VALU_DEP_1) | instskip(SKIP_1) | instid1(VALU_DEP_1)
	v_mul_lo_u32 v0, v2, s5
	v_sub_nc_u32_e32 v6, s4, v2
	v_cmp_lt_i32_e32 vcc_lo, 0, v6
	s_delay_alu instid0(VALU_DEP_3) | instskip(NEXT) | instid1(VALU_DEP_1)
	v_ashrrev_i32_e32 v1, 31, v0
	v_lshlrev_b64 v[2:3], 2, v[0:1]
	s_delay_alu instid0(VALU_DEP_1) | instskip(NEXT) | instid1(VALU_DEP_1)
	v_add_co_u32 v4, s0, s10, v2
	v_add_co_ci_u32_e64 v5, s0, s11, v3, s0
	s_waitcnt lgkmcnt(0)
	v_add_co_u32 v2, s0, s2, v2
	s_delay_alu instid0(VALU_DEP_1) | instskip(SKIP_1) | instid1(SALU_CYCLE_1)
	v_add_co_ci_u32_e64 v3, s0, s3, v3, s0
	s_and_b32 s2, s1, vcc_lo
	s_and_saveexec_b32 s0, s2
	s_cbranch_execz .LBB643_2
; %bb.1:
	global_load_b32 v8, v[4:5], off
	global_load_b32 v9, v[2:3], off
.LBB643_2:
	s_or_b32 exec_lo, exec_lo, s0
	v_cmp_lt_i32_e64 s0, 1, v6
	v_mov_b32_e32 v10, 0
	s_mov_b32 s7, 0
	s_delay_alu instid0(VALU_DEP_2) | instskip(NEXT) | instid1(SALU_CYCLE_1)
	s_and_b32 s0, s1, s0
	s_and_saveexec_b32 s2, s0
	s_cbranch_execz .LBB643_4
; %bb.3:
	s_lshl_b64 s[4:5], s[6:7], 2
	s_delay_alu instid0(SALU_CYCLE_1) | instskip(NEXT) | instid1(VALU_DEP_1)
	v_add_co_u32 v4, s0, v4, s4
	v_add_co_ci_u32_e64 v5, s0, s5, v5, s0
	v_add_co_u32 v2, s0, v2, s4
	s_delay_alu instid0(VALU_DEP_1)
	v_add_co_ci_u32_e64 v3, s0, s5, v3, s0
	global_load_b32 v7, v[4:5], off
	global_load_b32 v10, v[2:3], off
.LBB643_4:
	s_or_b32 exec_lo, exec_lo, s2
	s_and_saveexec_b32 s0, vcc_lo
	s_cbranch_execz .LBB643_10
; %bb.5:
	v_lshlrev_b64 v[0:1], 1, v[0:1]
	v_cndmask_b32_e64 v2, 0, 1, s1
	s_delay_alu instid0(VALU_DEP_2) | instskip(NEXT) | instid1(VALU_DEP_3)
	v_add_co_u32 v0, vcc_lo, s8, v0
	v_add_co_ci_u32_e32 v1, vcc_lo, s9, v1, vcc_lo
	s_and_not1_b32 vcc_lo, exec_lo, s1
	s_cbranch_vccnz .LBB643_7
; %bb.6:
	s_waitcnt vmcnt(1)
	v_add_f32_e32 v3, 0, v8
	s_waitcnt vmcnt(0)
	s_delay_alu instid0(VALU_DEP_1) | instskip(NEXT) | instid1(VALU_DEP_1)
	v_fma_f32 v3, -v3, v9, v8
	v_bfe_u32 v4, v3, 16, 1
	v_cmp_o_f32_e32 vcc_lo, v3, v3
	s_delay_alu instid0(VALU_DEP_2) | instskip(NEXT) | instid1(VALU_DEP_1)
	v_add3_u32 v4, v3, v4, 0x7fff
	v_lshrrev_b32_e32 v4, 16, v4
	s_delay_alu instid0(VALU_DEP_1)
	v_cndmask_b32_e32 v3, 0x7fc0, v4, vcc_lo
	global_store_b16 v[0:1], v3, off
.LBB643_7:
	v_cmp_ne_u32_e32 vcc_lo, 1, v6
	s_and_b32 exec_lo, exec_lo, vcc_lo
	s_cbranch_execz .LBB643_10
; %bb.8:
	v_cmp_ne_u32_e32 vcc_lo, 1, v2
	s_cbranch_vccnz .LBB643_10
; %bb.9:
	s_waitcnt vmcnt(1)
	v_add_f32_e32 v2, 0, v7
	s_lshl_b64 s[0:1], s[6:7], 1
	s_waitcnt vmcnt(0)
	s_delay_alu instid0(VALU_DEP_1) | instskip(NEXT) | instid1(VALU_DEP_1)
	v_fma_f32 v2, -v2, v10, v7
	v_bfe_u32 v3, v2, 16, 1
	v_cmp_o_f32_e32 vcc_lo, v2, v2
	s_delay_alu instid0(VALU_DEP_2) | instskip(NEXT) | instid1(VALU_DEP_1)
	v_add3_u32 v3, v2, v3, 0x7fff
	v_lshrrev_b32_e32 v3, 16, v3
	s_delay_alu instid0(VALU_DEP_1)
	v_cndmask_b32_e32 v2, 0x7fc0, v3, vcc_lo
	v_add_co_u32 v0, vcc_lo, v0, s0
	v_add_co_ci_u32_e32 v1, vcc_lo, s1, v1, vcc_lo
	global_store_b16 v[0:1], v2, off
.LBB643_10:
	s_nop 0
	s_sendmsg sendmsg(MSG_DEALLOC_VGPRS)
	s_endpgm
	.section	.rodata,"a",@progbits
	.p2align	6, 0x0
	.amdhsa_kernel _ZN12_GLOBAL__N_121softmax_warp_backwardIfN3c108BFloat16EfLi0ELb0ELb0ELi32EEEvPT0_PKT_S7_iiiPKb
		.amdhsa_group_segment_fixed_size 0
		.amdhsa_private_segment_fixed_size 0
		.amdhsa_kernarg_size 304
		.amdhsa_user_sgpr_count 15
		.amdhsa_user_sgpr_dispatch_ptr 0
		.amdhsa_user_sgpr_queue_ptr 0
		.amdhsa_user_sgpr_kernarg_segment_ptr 1
		.amdhsa_user_sgpr_dispatch_id 0
		.amdhsa_user_sgpr_private_segment_size 0
		.amdhsa_wavefront_size32 1
		.amdhsa_uses_dynamic_stack 0
		.amdhsa_enable_private_segment 0
		.amdhsa_system_sgpr_workgroup_id_x 1
		.amdhsa_system_sgpr_workgroup_id_y 0
		.amdhsa_system_sgpr_workgroup_id_z 0
		.amdhsa_system_sgpr_workgroup_info 0
		.amdhsa_system_vgpr_workitem_id 1
		.amdhsa_next_free_vgpr 11
		.amdhsa_next_free_sgpr 16
		.amdhsa_reserve_vcc 1
		.amdhsa_float_round_mode_32 0
		.amdhsa_float_round_mode_16_64 0
		.amdhsa_float_denorm_mode_32 3
		.amdhsa_float_denorm_mode_16_64 3
		.amdhsa_dx10_clamp 1
		.amdhsa_ieee_mode 1
		.amdhsa_fp16_overflow 0
		.amdhsa_workgroup_processor_mode 1
		.amdhsa_memory_ordered 1
		.amdhsa_forward_progress 0
		.amdhsa_shared_vgpr_count 0
		.amdhsa_exception_fp_ieee_invalid_op 0
		.amdhsa_exception_fp_denorm_src 0
		.amdhsa_exception_fp_ieee_div_zero 0
		.amdhsa_exception_fp_ieee_overflow 0
		.amdhsa_exception_fp_ieee_underflow 0
		.amdhsa_exception_fp_ieee_inexact 0
		.amdhsa_exception_int_div_zero 0
	.end_amdhsa_kernel
	.section	.text._ZN12_GLOBAL__N_121softmax_warp_backwardIfN3c108BFloat16EfLi0ELb0ELb0ELi32EEEvPT0_PKT_S7_iiiPKb,"axG",@progbits,_ZN12_GLOBAL__N_121softmax_warp_backwardIfN3c108BFloat16EfLi0ELb0ELb0ELi32EEEvPT0_PKT_S7_iiiPKb,comdat
.Lfunc_end643:
	.size	_ZN12_GLOBAL__N_121softmax_warp_backwardIfN3c108BFloat16EfLi0ELb0ELb0ELi32EEEvPT0_PKT_S7_iiiPKb, .Lfunc_end643-_ZN12_GLOBAL__N_121softmax_warp_backwardIfN3c108BFloat16EfLi0ELb0ELb0ELi32EEEvPT0_PKT_S7_iiiPKb
                                        ; -- End function
	.section	.AMDGPU.csdata,"",@progbits
; Kernel info:
; codeLenInByte = 540
; NumSgprs: 18
; NumVgprs: 11
; ScratchSize: 0
; MemoryBound: 0
; FloatMode: 240
; IeeeMode: 1
; LDSByteSize: 0 bytes/workgroup (compile time only)
; SGPRBlocks: 2
; VGPRBlocks: 1
; NumSGPRsForWavesPerEU: 18
; NumVGPRsForWavesPerEU: 11
; Occupancy: 16
; WaveLimiterHint : 0
; COMPUTE_PGM_RSRC2:SCRATCH_EN: 0
; COMPUTE_PGM_RSRC2:USER_SGPR: 15
; COMPUTE_PGM_RSRC2:TRAP_HANDLER: 0
; COMPUTE_PGM_RSRC2:TGID_X_EN: 1
; COMPUTE_PGM_RSRC2:TGID_Y_EN: 0
; COMPUTE_PGM_RSRC2:TGID_Z_EN: 0
; COMPUTE_PGM_RSRC2:TIDIG_COMP_CNT: 1
	.section	.text._ZN12_GLOBAL__N_121softmax_warp_backwardIfN3c108BFloat16EfLi1ELb0ELb0ELi64EEEvPT0_PKT_S7_iiiPKb,"axG",@progbits,_ZN12_GLOBAL__N_121softmax_warp_backwardIfN3c108BFloat16EfLi1ELb0ELb0ELi64EEEvPT0_PKT_S7_iiiPKb,comdat
	.globl	_ZN12_GLOBAL__N_121softmax_warp_backwardIfN3c108BFloat16EfLi1ELb0ELb0ELi64EEEvPT0_PKT_S7_iiiPKb ; -- Begin function _ZN12_GLOBAL__N_121softmax_warp_backwardIfN3c108BFloat16EfLi1ELb0ELb0ELi64EEEvPT0_PKT_S7_iiiPKb
	.p2align	8
	.type	_ZN12_GLOBAL__N_121softmax_warp_backwardIfN3c108BFloat16EfLi1ELb0ELb0ELi64EEEvPT0_PKT_S7_iiiPKb,@function
_ZN12_GLOBAL__N_121softmax_warp_backwardIfN3c108BFloat16EfLi1ELb0ELb0ELi64EEEvPT0_PKT_S7_iiiPKb: ; @_ZN12_GLOBAL__N_121softmax_warp_backwardIfN3c108BFloat16EfLi1ELb0ELb0ELi64EEEvPT0_PKT_S7_iiiPKb
; %bb.0:
	s_clause 0x1
	s_load_b32 s2, s[0:1], 0x3c
	s_load_b128 s[4:7], s[0:1], 0x18
	v_bfe_u32 v1, v0, 10, 10
	v_dual_mov_b32 v7, 0 :: v_dual_and_b32 v4, 1, v0
	v_dual_mov_b32 v8, 0 :: v_dual_mov_b32 v9, 0
	s_waitcnt lgkmcnt(0)
	s_lshr_b32 s2, s2, 16
	s_delay_alu instid0(VALU_DEP_2)
	v_cmp_gt_i32_e32 vcc_lo, s6, v4
	s_mul_i32 s15, s15, s2
	s_clause 0x1
	s_load_b128 s[8:11], s[0:1], 0x0
	s_load_b64 s[2:3], s[0:1], 0x10
	v_add_lshl_u32 v2, s15, v1, 1
	s_delay_alu instid0(VALU_DEP_1) | instskip(SKIP_1) | instid1(VALU_DEP_1)
	v_mul_lo_u32 v1, v2, s5
	v_sub_nc_u32_e32 v6, s4, v2
	v_cmp_lt_i32_e64 s0, 0, v6
	s_delay_alu instid0(VALU_DEP_3) | instskip(NEXT) | instid1(VALU_DEP_1)
	v_or_b32_e32 v0, v1, v4
	v_ashrrev_i32_e32 v1, 31, v0
	s_delay_alu instid0(VALU_DEP_1) | instskip(SKIP_1) | instid1(VALU_DEP_1)
	v_lshlrev_b64 v[2:3], 2, v[0:1]
	s_waitcnt lgkmcnt(0)
	v_add_co_u32 v4, s1, s10, v2
	s_delay_alu instid0(VALU_DEP_1) | instskip(SKIP_1) | instid1(VALU_DEP_1)
	v_add_co_ci_u32_e64 v5, s1, s11, v3, s1
	v_add_co_u32 v2, s1, s2, v2
	v_add_co_ci_u32_e64 v3, s1, s3, v3, s1
	s_and_b32 s2, vcc_lo, s0
	s_delay_alu instid0(SALU_CYCLE_1)
	s_and_saveexec_b32 s1, s2
	s_cbranch_execz .LBB644_2
; %bb.1:
	global_load_b32 v8, v[4:5], off
	global_load_b32 v9, v[2:3], off
.LBB644_2:
	s_or_b32 exec_lo, exec_lo, s1
	v_cmp_lt_i32_e64 s1, 1, v6
	v_mov_b32_e32 v10, 0
	s_mov_b32 s7, 0
	s_delay_alu instid0(VALU_DEP_2) | instskip(NEXT) | instid1(SALU_CYCLE_1)
	s_and_b32 s1, vcc_lo, s1
	s_and_saveexec_b32 s2, s1
	s_cbranch_execz .LBB644_4
; %bb.3:
	s_lshl_b64 s[4:5], s[6:7], 2
	s_delay_alu instid0(SALU_CYCLE_1) | instskip(NEXT) | instid1(VALU_DEP_1)
	v_add_co_u32 v4, s1, v4, s4
	v_add_co_ci_u32_e64 v5, s1, s5, v5, s1
	v_add_co_u32 v2, s1, v2, s4
	s_delay_alu instid0(VALU_DEP_1)
	v_add_co_ci_u32_e64 v3, s1, s5, v3, s1
	global_load_b32 v7, v[4:5], off
	global_load_b32 v10, v[2:3], off
.LBB644_4:
	s_or_b32 exec_lo, exec_lo, s2
	v_mbcnt_lo_u32_b32 v2, -1, 0
	s_delay_alu instid0(VALU_DEP_1) | instskip(SKIP_1) | instid1(VALU_DEP_2)
	v_and_b32_e32 v3, 30, v2
	v_xor_b32_e32 v4, 1, v2
	v_add_nc_u32_e32 v3, 2, v3
	s_delay_alu instid0(VALU_DEP_1) | instskip(NEXT) | instid1(VALU_DEP_1)
	v_cmp_lt_i32_e64 s1, v4, v3
	v_cndmask_b32_e64 v2, v2, v4, s1
	s_waitcnt vmcnt(1)
	s_delay_alu instid0(VALU_DEP_1)
	v_dual_add_f32 v4, 0, v8 :: v_dual_lshlrev_b32 v3, 2, v2
	v_add_f32_e32 v2, 0, v7
	ds_bpermute_b32 v5, v3, v4
	ds_bpermute_b32 v3, v3, v2
	s_and_saveexec_b32 s1, s0
	s_cbranch_execz .LBB644_10
; %bb.5:
	v_lshlrev_b64 v[0:1], 1, v[0:1]
	s_delay_alu instid0(VALU_DEP_1) | instskip(NEXT) | instid1(VALU_DEP_1)
	v_add_co_u32 v0, s0, s8, v0
	v_add_co_ci_u32_e64 v1, s0, s9, v1, s0
	s_and_saveexec_b32 s1, vcc_lo
	s_cbranch_execz .LBB644_7
; %bb.6:
	s_waitcnt lgkmcnt(1)
	v_add_f32_e32 v4, v4, v5
	s_waitcnt vmcnt(0)
	s_delay_alu instid0(VALU_DEP_1) | instskip(NEXT) | instid1(VALU_DEP_1)
	v_fma_f32 v4, -v4, v9, v8
	v_bfe_u32 v5, v4, 16, 1
	v_cmp_o_f32_e64 s0, v4, v4
	s_delay_alu instid0(VALU_DEP_2) | instskip(NEXT) | instid1(VALU_DEP_1)
	v_add3_u32 v5, v4, v5, 0x7fff
	v_lshrrev_b32_e32 v5, 16, v5
	s_delay_alu instid0(VALU_DEP_1)
	v_cndmask_b32_e64 v4, 0x7fc0, v5, s0
	global_store_b16 v[0:1], v4, off
.LBB644_7:
	s_or_b32 exec_lo, exec_lo, s1
	v_cmp_ne_u32_e64 s0, 1, v6
	s_delay_alu instid0(VALU_DEP_1)
	s_and_b32 exec_lo, exec_lo, s0
	s_cbranch_execz .LBB644_10
; %bb.8:
	s_and_b32 exec_lo, exec_lo, vcc_lo
	s_cbranch_execz .LBB644_10
; %bb.9:
	s_waitcnt lgkmcnt(0)
	v_add_f32_e32 v2, v2, v3
	s_lshl_b64 s[0:1], s[6:7], 1
	s_waitcnt vmcnt(0)
	s_delay_alu instid0(VALU_DEP_1) | instskip(NEXT) | instid1(VALU_DEP_1)
	v_fma_f32 v2, -v2, v10, v7
	v_bfe_u32 v3, v2, 16, 1
	v_cmp_o_f32_e32 vcc_lo, v2, v2
	s_delay_alu instid0(VALU_DEP_2) | instskip(NEXT) | instid1(VALU_DEP_1)
	v_add3_u32 v3, v2, v3, 0x7fff
	v_lshrrev_b32_e32 v3, 16, v3
	s_delay_alu instid0(VALU_DEP_1)
	v_cndmask_b32_e32 v2, 0x7fc0, v3, vcc_lo
	v_add_co_u32 v0, vcc_lo, v0, s0
	v_add_co_ci_u32_e32 v1, vcc_lo, s1, v1, vcc_lo
	global_store_b16 v[0:1], v2, off
.LBB644_10:
	s_nop 0
	s_sendmsg sendmsg(MSG_DEALLOC_VGPRS)
	s_endpgm
	.section	.rodata,"a",@progbits
	.p2align	6, 0x0
	.amdhsa_kernel _ZN12_GLOBAL__N_121softmax_warp_backwardIfN3c108BFloat16EfLi1ELb0ELb0ELi64EEEvPT0_PKT_S7_iiiPKb
		.amdhsa_group_segment_fixed_size 0
		.amdhsa_private_segment_fixed_size 0
		.amdhsa_kernarg_size 304
		.amdhsa_user_sgpr_count 15
		.amdhsa_user_sgpr_dispatch_ptr 0
		.amdhsa_user_sgpr_queue_ptr 0
		.amdhsa_user_sgpr_kernarg_segment_ptr 1
		.amdhsa_user_sgpr_dispatch_id 0
		.amdhsa_user_sgpr_private_segment_size 0
		.amdhsa_wavefront_size32 1
		.amdhsa_uses_dynamic_stack 0
		.amdhsa_enable_private_segment 0
		.amdhsa_system_sgpr_workgroup_id_x 1
		.amdhsa_system_sgpr_workgroup_id_y 0
		.amdhsa_system_sgpr_workgroup_id_z 0
		.amdhsa_system_sgpr_workgroup_info 0
		.amdhsa_system_vgpr_workitem_id 1
		.amdhsa_next_free_vgpr 11
		.amdhsa_next_free_sgpr 16
		.amdhsa_reserve_vcc 1
		.amdhsa_float_round_mode_32 0
		.amdhsa_float_round_mode_16_64 0
		.amdhsa_float_denorm_mode_32 3
		.amdhsa_float_denorm_mode_16_64 3
		.amdhsa_dx10_clamp 1
		.amdhsa_ieee_mode 1
		.amdhsa_fp16_overflow 0
		.amdhsa_workgroup_processor_mode 1
		.amdhsa_memory_ordered 1
		.amdhsa_forward_progress 0
		.amdhsa_shared_vgpr_count 0
		.amdhsa_exception_fp_ieee_invalid_op 0
		.amdhsa_exception_fp_denorm_src 0
		.amdhsa_exception_fp_ieee_div_zero 0
		.amdhsa_exception_fp_ieee_overflow 0
		.amdhsa_exception_fp_ieee_underflow 0
		.amdhsa_exception_fp_ieee_inexact 0
		.amdhsa_exception_int_div_zero 0
	.end_amdhsa_kernel
	.section	.text._ZN12_GLOBAL__N_121softmax_warp_backwardIfN3c108BFloat16EfLi1ELb0ELb0ELi64EEEvPT0_PKT_S7_iiiPKb,"axG",@progbits,_ZN12_GLOBAL__N_121softmax_warp_backwardIfN3c108BFloat16EfLi1ELb0ELb0ELi64EEEvPT0_PKT_S7_iiiPKb,comdat
.Lfunc_end644:
	.size	_ZN12_GLOBAL__N_121softmax_warp_backwardIfN3c108BFloat16EfLi1ELb0ELb0ELi64EEEvPT0_PKT_S7_iiiPKb, .Lfunc_end644-_ZN12_GLOBAL__N_121softmax_warp_backwardIfN3c108BFloat16EfLi1ELb0ELb0ELi64EEEvPT0_PKT_S7_iiiPKb
                                        ; -- End function
	.section	.AMDGPU.csdata,"",@progbits
; Kernel info:
; codeLenInByte = 656
; NumSgprs: 18
; NumVgprs: 11
; ScratchSize: 0
; MemoryBound: 0
; FloatMode: 240
; IeeeMode: 1
; LDSByteSize: 0 bytes/workgroup (compile time only)
; SGPRBlocks: 2
; VGPRBlocks: 1
; NumSGPRsForWavesPerEU: 18
; NumVGPRsForWavesPerEU: 11
; Occupancy: 16
; WaveLimiterHint : 0
; COMPUTE_PGM_RSRC2:SCRATCH_EN: 0
; COMPUTE_PGM_RSRC2:USER_SGPR: 15
; COMPUTE_PGM_RSRC2:TRAP_HANDLER: 0
; COMPUTE_PGM_RSRC2:TGID_X_EN: 1
; COMPUTE_PGM_RSRC2:TGID_Y_EN: 0
; COMPUTE_PGM_RSRC2:TGID_Z_EN: 0
; COMPUTE_PGM_RSRC2:TIDIG_COMP_CNT: 1
	.section	.text._ZN12_GLOBAL__N_121softmax_warp_backwardIfN3c108BFloat16EfLi1ELb0ELb0ELi32EEEvPT0_PKT_S7_iiiPKb,"axG",@progbits,_ZN12_GLOBAL__N_121softmax_warp_backwardIfN3c108BFloat16EfLi1ELb0ELb0ELi32EEEvPT0_PKT_S7_iiiPKb,comdat
	.globl	_ZN12_GLOBAL__N_121softmax_warp_backwardIfN3c108BFloat16EfLi1ELb0ELb0ELi32EEEvPT0_PKT_S7_iiiPKb ; -- Begin function _ZN12_GLOBAL__N_121softmax_warp_backwardIfN3c108BFloat16EfLi1ELb0ELb0ELi32EEEvPT0_PKT_S7_iiiPKb
	.p2align	8
	.type	_ZN12_GLOBAL__N_121softmax_warp_backwardIfN3c108BFloat16EfLi1ELb0ELb0ELi32EEEvPT0_PKT_S7_iiiPKb,@function
_ZN12_GLOBAL__N_121softmax_warp_backwardIfN3c108BFloat16EfLi1ELb0ELb0ELi32EEEvPT0_PKT_S7_iiiPKb: ; @_ZN12_GLOBAL__N_121softmax_warp_backwardIfN3c108BFloat16EfLi1ELb0ELb0ELi32EEEvPT0_PKT_S7_iiiPKb
; %bb.0:
	s_clause 0x1
	s_load_b32 s2, s[0:1], 0x3c
	s_load_b128 s[4:7], s[0:1], 0x18
	v_bfe_u32 v1, v0, 10, 10
	v_dual_mov_b32 v7, 0 :: v_dual_and_b32 v4, 1, v0
	v_dual_mov_b32 v8, 0 :: v_dual_mov_b32 v9, 0
	s_waitcnt lgkmcnt(0)
	s_lshr_b32 s2, s2, 16
	s_delay_alu instid0(VALU_DEP_2)
	v_cmp_gt_i32_e32 vcc_lo, s6, v4
	s_mul_i32 s15, s15, s2
	s_clause 0x1
	s_load_b128 s[8:11], s[0:1], 0x0
	s_load_b64 s[2:3], s[0:1], 0x10
	v_add_lshl_u32 v2, s15, v1, 1
	s_delay_alu instid0(VALU_DEP_1) | instskip(SKIP_1) | instid1(VALU_DEP_1)
	v_mul_lo_u32 v1, v2, s5
	v_sub_nc_u32_e32 v6, s4, v2
	v_cmp_lt_i32_e64 s0, 0, v6
	s_delay_alu instid0(VALU_DEP_3) | instskip(NEXT) | instid1(VALU_DEP_1)
	v_or_b32_e32 v0, v1, v4
	v_ashrrev_i32_e32 v1, 31, v0
	s_delay_alu instid0(VALU_DEP_1) | instskip(SKIP_1) | instid1(VALU_DEP_1)
	v_lshlrev_b64 v[2:3], 2, v[0:1]
	s_waitcnt lgkmcnt(0)
	v_add_co_u32 v4, s1, s10, v2
	s_delay_alu instid0(VALU_DEP_1) | instskip(SKIP_1) | instid1(VALU_DEP_1)
	v_add_co_ci_u32_e64 v5, s1, s11, v3, s1
	v_add_co_u32 v2, s1, s2, v2
	v_add_co_ci_u32_e64 v3, s1, s3, v3, s1
	s_and_b32 s2, vcc_lo, s0
	s_delay_alu instid0(SALU_CYCLE_1)
	s_and_saveexec_b32 s1, s2
	s_cbranch_execz .LBB645_2
; %bb.1:
	global_load_b32 v8, v[4:5], off
	global_load_b32 v9, v[2:3], off
.LBB645_2:
	s_or_b32 exec_lo, exec_lo, s1
	v_cmp_lt_i32_e64 s1, 1, v6
	v_mov_b32_e32 v10, 0
	s_mov_b32 s7, 0
	s_delay_alu instid0(VALU_DEP_2) | instskip(NEXT) | instid1(SALU_CYCLE_1)
	s_and_b32 s1, vcc_lo, s1
	s_and_saveexec_b32 s2, s1
	s_cbranch_execz .LBB645_4
; %bb.3:
	s_lshl_b64 s[4:5], s[6:7], 2
	s_delay_alu instid0(SALU_CYCLE_1) | instskip(NEXT) | instid1(VALU_DEP_1)
	v_add_co_u32 v4, s1, v4, s4
	v_add_co_ci_u32_e64 v5, s1, s5, v5, s1
	v_add_co_u32 v2, s1, v2, s4
	s_delay_alu instid0(VALU_DEP_1)
	v_add_co_ci_u32_e64 v3, s1, s5, v3, s1
	global_load_b32 v7, v[4:5], off
	global_load_b32 v10, v[2:3], off
.LBB645_4:
	s_or_b32 exec_lo, exec_lo, s2
	v_mbcnt_lo_u32_b32 v2, -1, 0
	s_delay_alu instid0(VALU_DEP_1) | instskip(SKIP_1) | instid1(VALU_DEP_2)
	v_and_b32_e32 v3, 30, v2
	v_xor_b32_e32 v4, 1, v2
	v_add_nc_u32_e32 v3, 2, v3
	s_delay_alu instid0(VALU_DEP_1) | instskip(NEXT) | instid1(VALU_DEP_1)
	v_cmp_lt_i32_e64 s1, v4, v3
	v_cndmask_b32_e64 v2, v2, v4, s1
	s_waitcnt vmcnt(1)
	s_delay_alu instid0(VALU_DEP_1)
	v_dual_add_f32 v4, 0, v8 :: v_dual_lshlrev_b32 v3, 2, v2
	v_add_f32_e32 v2, 0, v7
	ds_bpermute_b32 v5, v3, v4
	ds_bpermute_b32 v3, v3, v2
	s_and_saveexec_b32 s1, s0
	s_cbranch_execz .LBB645_10
; %bb.5:
	v_lshlrev_b64 v[0:1], 1, v[0:1]
	s_delay_alu instid0(VALU_DEP_1) | instskip(NEXT) | instid1(VALU_DEP_1)
	v_add_co_u32 v0, s0, s8, v0
	v_add_co_ci_u32_e64 v1, s0, s9, v1, s0
	s_and_saveexec_b32 s1, vcc_lo
	s_cbranch_execz .LBB645_7
; %bb.6:
	s_waitcnt lgkmcnt(1)
	v_add_f32_e32 v4, v4, v5
	s_waitcnt vmcnt(0)
	s_delay_alu instid0(VALU_DEP_1) | instskip(NEXT) | instid1(VALU_DEP_1)
	v_fma_f32 v4, -v4, v9, v8
	v_bfe_u32 v5, v4, 16, 1
	v_cmp_o_f32_e64 s0, v4, v4
	s_delay_alu instid0(VALU_DEP_2) | instskip(NEXT) | instid1(VALU_DEP_1)
	v_add3_u32 v5, v4, v5, 0x7fff
	v_lshrrev_b32_e32 v5, 16, v5
	s_delay_alu instid0(VALU_DEP_1)
	v_cndmask_b32_e64 v4, 0x7fc0, v5, s0
	global_store_b16 v[0:1], v4, off
.LBB645_7:
	s_or_b32 exec_lo, exec_lo, s1
	v_cmp_ne_u32_e64 s0, 1, v6
	s_delay_alu instid0(VALU_DEP_1)
	s_and_b32 exec_lo, exec_lo, s0
	s_cbranch_execz .LBB645_10
; %bb.8:
	s_and_b32 exec_lo, exec_lo, vcc_lo
	s_cbranch_execz .LBB645_10
; %bb.9:
	s_waitcnt lgkmcnt(0)
	v_add_f32_e32 v2, v2, v3
	s_lshl_b64 s[0:1], s[6:7], 1
	s_waitcnt vmcnt(0)
	s_delay_alu instid0(VALU_DEP_1) | instskip(NEXT) | instid1(VALU_DEP_1)
	v_fma_f32 v2, -v2, v10, v7
	v_bfe_u32 v3, v2, 16, 1
	v_cmp_o_f32_e32 vcc_lo, v2, v2
	s_delay_alu instid0(VALU_DEP_2) | instskip(NEXT) | instid1(VALU_DEP_1)
	v_add3_u32 v3, v2, v3, 0x7fff
	v_lshrrev_b32_e32 v3, 16, v3
	s_delay_alu instid0(VALU_DEP_1)
	v_cndmask_b32_e32 v2, 0x7fc0, v3, vcc_lo
	v_add_co_u32 v0, vcc_lo, v0, s0
	v_add_co_ci_u32_e32 v1, vcc_lo, s1, v1, vcc_lo
	global_store_b16 v[0:1], v2, off
.LBB645_10:
	s_nop 0
	s_sendmsg sendmsg(MSG_DEALLOC_VGPRS)
	s_endpgm
	.section	.rodata,"a",@progbits
	.p2align	6, 0x0
	.amdhsa_kernel _ZN12_GLOBAL__N_121softmax_warp_backwardIfN3c108BFloat16EfLi1ELb0ELb0ELi32EEEvPT0_PKT_S7_iiiPKb
		.amdhsa_group_segment_fixed_size 0
		.amdhsa_private_segment_fixed_size 0
		.amdhsa_kernarg_size 304
		.amdhsa_user_sgpr_count 15
		.amdhsa_user_sgpr_dispatch_ptr 0
		.amdhsa_user_sgpr_queue_ptr 0
		.amdhsa_user_sgpr_kernarg_segment_ptr 1
		.amdhsa_user_sgpr_dispatch_id 0
		.amdhsa_user_sgpr_private_segment_size 0
		.amdhsa_wavefront_size32 1
		.amdhsa_uses_dynamic_stack 0
		.amdhsa_enable_private_segment 0
		.amdhsa_system_sgpr_workgroup_id_x 1
		.amdhsa_system_sgpr_workgroup_id_y 0
		.amdhsa_system_sgpr_workgroup_id_z 0
		.amdhsa_system_sgpr_workgroup_info 0
		.amdhsa_system_vgpr_workitem_id 1
		.amdhsa_next_free_vgpr 11
		.amdhsa_next_free_sgpr 16
		.amdhsa_reserve_vcc 1
		.amdhsa_float_round_mode_32 0
		.amdhsa_float_round_mode_16_64 0
		.amdhsa_float_denorm_mode_32 3
		.amdhsa_float_denorm_mode_16_64 3
		.amdhsa_dx10_clamp 1
		.amdhsa_ieee_mode 1
		.amdhsa_fp16_overflow 0
		.amdhsa_workgroup_processor_mode 1
		.amdhsa_memory_ordered 1
		.amdhsa_forward_progress 0
		.amdhsa_shared_vgpr_count 0
		.amdhsa_exception_fp_ieee_invalid_op 0
		.amdhsa_exception_fp_denorm_src 0
		.amdhsa_exception_fp_ieee_div_zero 0
		.amdhsa_exception_fp_ieee_overflow 0
		.amdhsa_exception_fp_ieee_underflow 0
		.amdhsa_exception_fp_ieee_inexact 0
		.amdhsa_exception_int_div_zero 0
	.end_amdhsa_kernel
	.section	.text._ZN12_GLOBAL__N_121softmax_warp_backwardIfN3c108BFloat16EfLi1ELb0ELb0ELi32EEEvPT0_PKT_S7_iiiPKb,"axG",@progbits,_ZN12_GLOBAL__N_121softmax_warp_backwardIfN3c108BFloat16EfLi1ELb0ELb0ELi32EEEvPT0_PKT_S7_iiiPKb,comdat
.Lfunc_end645:
	.size	_ZN12_GLOBAL__N_121softmax_warp_backwardIfN3c108BFloat16EfLi1ELb0ELb0ELi32EEEvPT0_PKT_S7_iiiPKb, .Lfunc_end645-_ZN12_GLOBAL__N_121softmax_warp_backwardIfN3c108BFloat16EfLi1ELb0ELb0ELi32EEEvPT0_PKT_S7_iiiPKb
                                        ; -- End function
	.section	.AMDGPU.csdata,"",@progbits
; Kernel info:
; codeLenInByte = 656
; NumSgprs: 18
; NumVgprs: 11
; ScratchSize: 0
; MemoryBound: 0
; FloatMode: 240
; IeeeMode: 1
; LDSByteSize: 0 bytes/workgroup (compile time only)
; SGPRBlocks: 2
; VGPRBlocks: 1
; NumSGPRsForWavesPerEU: 18
; NumVGPRsForWavesPerEU: 11
; Occupancy: 16
; WaveLimiterHint : 0
; COMPUTE_PGM_RSRC2:SCRATCH_EN: 0
; COMPUTE_PGM_RSRC2:USER_SGPR: 15
; COMPUTE_PGM_RSRC2:TRAP_HANDLER: 0
; COMPUTE_PGM_RSRC2:TGID_X_EN: 1
; COMPUTE_PGM_RSRC2:TGID_Y_EN: 0
; COMPUTE_PGM_RSRC2:TGID_Z_EN: 0
; COMPUTE_PGM_RSRC2:TIDIG_COMP_CNT: 1
	.section	.text._ZN12_GLOBAL__N_121softmax_warp_backwardIfN3c108BFloat16EfLi2ELb0ELb0ELi64EEEvPT0_PKT_S7_iiiPKb,"axG",@progbits,_ZN12_GLOBAL__N_121softmax_warp_backwardIfN3c108BFloat16EfLi2ELb0ELb0ELi64EEEvPT0_PKT_S7_iiiPKb,comdat
	.globl	_ZN12_GLOBAL__N_121softmax_warp_backwardIfN3c108BFloat16EfLi2ELb0ELb0ELi64EEEvPT0_PKT_S7_iiiPKb ; -- Begin function _ZN12_GLOBAL__N_121softmax_warp_backwardIfN3c108BFloat16EfLi2ELb0ELb0ELi64EEEvPT0_PKT_S7_iiiPKb
	.p2align	8
	.type	_ZN12_GLOBAL__N_121softmax_warp_backwardIfN3c108BFloat16EfLi2ELb0ELb0ELi64EEEvPT0_PKT_S7_iiiPKb,@function
_ZN12_GLOBAL__N_121softmax_warp_backwardIfN3c108BFloat16EfLi2ELb0ELb0ELi64EEEvPT0_PKT_S7_iiiPKb: ; @_ZN12_GLOBAL__N_121softmax_warp_backwardIfN3c108BFloat16EfLi2ELb0ELb0ELi64EEEvPT0_PKT_S7_iiiPKb
; %bb.0:
	s_clause 0x1
	s_load_b32 s2, s[0:1], 0x3c
	s_load_b128 s[4:7], s[0:1], 0x18
	v_bfe_u32 v1, v0, 10, 10
	v_dual_mov_b32 v7, 0 :: v_dual_and_b32 v2, 3, v0
	s_load_b128 s[8:11], s[0:1], 0x0
	v_mov_b32_e32 v8, 0
	s_waitcnt lgkmcnt(0)
	s_lshr_b32 s2, s2, 16
	v_cmp_gt_i32_e32 vcc_lo, s6, v2
	s_mul_i32 s15, s15, s2
	s_load_b64 s[2:3], s[0:1], 0x10
	v_add_lshl_u32 v3, s15, v1, 1
	s_delay_alu instid0(VALU_DEP_1) | instskip(SKIP_1) | instid1(VALU_DEP_1)
	v_mad_u64_u32 v[0:1], null, v3, s5, v[2:3]
	v_sub_nc_u32_e32 v6, s4, v3
	v_cmp_lt_i32_e64 s0, 0, v6
	s_delay_alu instid0(VALU_DEP_3) | instskip(NEXT) | instid1(VALU_DEP_1)
	v_ashrrev_i32_e32 v1, 31, v0
	v_lshlrev_b64 v[9:10], 2, v[0:1]
	s_delay_alu instid0(VALU_DEP_1) | instskip(NEXT) | instid1(VALU_DEP_1)
	v_add_co_u32 v4, s1, s10, v9
	v_add_co_ci_u32_e64 v5, s1, s11, v10, s1
	s_waitcnt lgkmcnt(0)
	v_add_co_u32 v2, s1, s2, v9
	v_mov_b32_e32 v9, 0
	v_add_co_ci_u32_e64 v3, s1, s3, v10, s1
	s_and_b32 s2, vcc_lo, s0
	s_delay_alu instid0(SALU_CYCLE_1)
	s_and_saveexec_b32 s1, s2
	s_cbranch_execz .LBB646_2
; %bb.1:
	global_load_b32 v8, v[4:5], off
	global_load_b32 v9, v[2:3], off
.LBB646_2:
	s_or_b32 exec_lo, exec_lo, s1
	v_cmp_lt_i32_e64 s1, 1, v6
	v_mov_b32_e32 v10, 0
	s_mov_b32 s7, 0
	s_delay_alu instid0(VALU_DEP_2) | instskip(NEXT) | instid1(SALU_CYCLE_1)
	s_and_b32 s1, vcc_lo, s1
	s_and_saveexec_b32 s2, s1
	s_cbranch_execz .LBB646_4
; %bb.3:
	s_lshl_b64 s[4:5], s[6:7], 2
	s_delay_alu instid0(SALU_CYCLE_1) | instskip(NEXT) | instid1(VALU_DEP_1)
	v_add_co_u32 v4, s1, v4, s4
	v_add_co_ci_u32_e64 v5, s1, s5, v5, s1
	v_add_co_u32 v2, s1, v2, s4
	s_delay_alu instid0(VALU_DEP_1)
	v_add_co_ci_u32_e64 v3, s1, s5, v3, s1
	global_load_b32 v7, v[4:5], off
	global_load_b32 v10, v[2:3], off
.LBB646_4:
	s_or_b32 exec_lo, exec_lo, s2
	v_mbcnt_lo_u32_b32 v2, -1, 0
	s_waitcnt vmcnt(1)
	v_add_f32_e32 v5, 0, v8
	v_add_f32_e32 v11, 0, v7
	s_delay_alu instid0(VALU_DEP_3) | instskip(SKIP_1) | instid1(VALU_DEP_2)
	v_and_b32_e32 v3, 28, v2
	v_xor_b32_e32 v4, 2, v2
	v_add_nc_u32_e32 v3, 4, v3
	s_delay_alu instid0(VALU_DEP_1) | instskip(NEXT) | instid1(VALU_DEP_1)
	v_cmp_lt_i32_e64 s1, v4, v3
	v_cndmask_b32_e64 v4, v2, v4, s1
	s_delay_alu instid0(VALU_DEP_1) | instskip(SKIP_3) | instid1(VALU_DEP_1)
	v_lshlrev_b32_e32 v4, 2, v4
	ds_bpermute_b32 v12, v4, v5
	ds_bpermute_b32 v13, v4, v11
	v_xor_b32_e32 v4, 1, v2
	v_cmp_lt_i32_e64 s1, v4, v3
	s_delay_alu instid0(VALU_DEP_1) | instskip(SKIP_1) | instid1(VALU_DEP_1)
	v_cndmask_b32_e64 v2, v2, v4, s1
	s_waitcnt lgkmcnt(1)
	v_dual_add_f32 v4, v5, v12 :: v_dual_lshlrev_b32 v3, 2, v2
	s_waitcnt lgkmcnt(0)
	v_add_f32_e32 v2, v11, v13
	ds_bpermute_b32 v5, v3, v4
	ds_bpermute_b32 v3, v3, v2
	s_and_saveexec_b32 s1, s0
	s_cbranch_execz .LBB646_10
; %bb.5:
	v_lshlrev_b64 v[0:1], 1, v[0:1]
	s_delay_alu instid0(VALU_DEP_1) | instskip(NEXT) | instid1(VALU_DEP_1)
	v_add_co_u32 v0, s0, s8, v0
	v_add_co_ci_u32_e64 v1, s0, s9, v1, s0
	s_and_saveexec_b32 s1, vcc_lo
	s_cbranch_execz .LBB646_7
; %bb.6:
	s_waitcnt lgkmcnt(1)
	v_add_f32_e32 v4, v4, v5
	s_waitcnt vmcnt(0)
	s_delay_alu instid0(VALU_DEP_1) | instskip(NEXT) | instid1(VALU_DEP_1)
	v_fma_f32 v4, -v4, v9, v8
	v_bfe_u32 v5, v4, 16, 1
	v_cmp_o_f32_e64 s0, v4, v4
	s_delay_alu instid0(VALU_DEP_2) | instskip(NEXT) | instid1(VALU_DEP_1)
	v_add3_u32 v5, v4, v5, 0x7fff
	v_lshrrev_b32_e32 v5, 16, v5
	s_delay_alu instid0(VALU_DEP_1)
	v_cndmask_b32_e64 v4, 0x7fc0, v5, s0
	global_store_b16 v[0:1], v4, off
.LBB646_7:
	s_or_b32 exec_lo, exec_lo, s1
	v_cmp_ne_u32_e64 s0, 1, v6
	s_delay_alu instid0(VALU_DEP_1)
	s_and_b32 exec_lo, exec_lo, s0
	s_cbranch_execz .LBB646_10
; %bb.8:
	s_and_b32 exec_lo, exec_lo, vcc_lo
	s_cbranch_execz .LBB646_10
; %bb.9:
	s_waitcnt lgkmcnt(0)
	v_add_f32_e32 v2, v2, v3
	s_lshl_b64 s[0:1], s[6:7], 1
	s_waitcnt vmcnt(0)
	s_delay_alu instid0(VALU_DEP_1) | instskip(NEXT) | instid1(VALU_DEP_1)
	v_fma_f32 v2, -v2, v10, v7
	v_bfe_u32 v3, v2, 16, 1
	v_cmp_o_f32_e32 vcc_lo, v2, v2
	s_delay_alu instid0(VALU_DEP_2) | instskip(NEXT) | instid1(VALU_DEP_1)
	v_add3_u32 v3, v2, v3, 0x7fff
	v_lshrrev_b32_e32 v3, 16, v3
	s_delay_alu instid0(VALU_DEP_1)
	v_cndmask_b32_e32 v2, 0x7fc0, v3, vcc_lo
	v_add_co_u32 v0, vcc_lo, v0, s0
	v_add_co_ci_u32_e32 v1, vcc_lo, s1, v1, vcc_lo
	global_store_b16 v[0:1], v2, off
.LBB646_10:
	s_nop 0
	s_sendmsg sendmsg(MSG_DEALLOC_VGPRS)
	s_endpgm
	.section	.rodata,"a",@progbits
	.p2align	6, 0x0
	.amdhsa_kernel _ZN12_GLOBAL__N_121softmax_warp_backwardIfN3c108BFloat16EfLi2ELb0ELb0ELi64EEEvPT0_PKT_S7_iiiPKb
		.amdhsa_group_segment_fixed_size 0
		.amdhsa_private_segment_fixed_size 0
		.amdhsa_kernarg_size 304
		.amdhsa_user_sgpr_count 15
		.amdhsa_user_sgpr_dispatch_ptr 0
		.amdhsa_user_sgpr_queue_ptr 0
		.amdhsa_user_sgpr_kernarg_segment_ptr 1
		.amdhsa_user_sgpr_dispatch_id 0
		.amdhsa_user_sgpr_private_segment_size 0
		.amdhsa_wavefront_size32 1
		.amdhsa_uses_dynamic_stack 0
		.amdhsa_enable_private_segment 0
		.amdhsa_system_sgpr_workgroup_id_x 1
		.amdhsa_system_sgpr_workgroup_id_y 0
		.amdhsa_system_sgpr_workgroup_id_z 0
		.amdhsa_system_sgpr_workgroup_info 0
		.amdhsa_system_vgpr_workitem_id 1
		.amdhsa_next_free_vgpr 14
		.amdhsa_next_free_sgpr 16
		.amdhsa_reserve_vcc 1
		.amdhsa_float_round_mode_32 0
		.amdhsa_float_round_mode_16_64 0
		.amdhsa_float_denorm_mode_32 3
		.amdhsa_float_denorm_mode_16_64 3
		.amdhsa_dx10_clamp 1
		.amdhsa_ieee_mode 1
		.amdhsa_fp16_overflow 0
		.amdhsa_workgroup_processor_mode 1
		.amdhsa_memory_ordered 1
		.amdhsa_forward_progress 0
		.amdhsa_shared_vgpr_count 0
		.amdhsa_exception_fp_ieee_invalid_op 0
		.amdhsa_exception_fp_denorm_src 0
		.amdhsa_exception_fp_ieee_div_zero 0
		.amdhsa_exception_fp_ieee_overflow 0
		.amdhsa_exception_fp_ieee_underflow 0
		.amdhsa_exception_fp_ieee_inexact 0
		.amdhsa_exception_int_div_zero 0
	.end_amdhsa_kernel
	.section	.text._ZN12_GLOBAL__N_121softmax_warp_backwardIfN3c108BFloat16EfLi2ELb0ELb0ELi64EEEvPT0_PKT_S7_iiiPKb,"axG",@progbits,_ZN12_GLOBAL__N_121softmax_warp_backwardIfN3c108BFloat16EfLi2ELb0ELb0ELi64EEEvPT0_PKT_S7_iiiPKb,comdat
.Lfunc_end646:
	.size	_ZN12_GLOBAL__N_121softmax_warp_backwardIfN3c108BFloat16EfLi2ELb0ELb0ELi64EEEvPT0_PKT_S7_iiiPKb, .Lfunc_end646-_ZN12_GLOBAL__N_121softmax_warp_backwardIfN3c108BFloat16EfLi2ELb0ELb0ELi64EEEvPT0_PKT_S7_iiiPKb
                                        ; -- End function
	.section	.AMDGPU.csdata,"",@progbits
; Kernel info:
; codeLenInByte = 700
; NumSgprs: 18
; NumVgprs: 14
; ScratchSize: 0
; MemoryBound: 0
; FloatMode: 240
; IeeeMode: 1
; LDSByteSize: 0 bytes/workgroup (compile time only)
; SGPRBlocks: 2
; VGPRBlocks: 1
; NumSGPRsForWavesPerEU: 18
; NumVGPRsForWavesPerEU: 14
; Occupancy: 16
; WaveLimiterHint : 0
; COMPUTE_PGM_RSRC2:SCRATCH_EN: 0
; COMPUTE_PGM_RSRC2:USER_SGPR: 15
; COMPUTE_PGM_RSRC2:TRAP_HANDLER: 0
; COMPUTE_PGM_RSRC2:TGID_X_EN: 1
; COMPUTE_PGM_RSRC2:TGID_Y_EN: 0
; COMPUTE_PGM_RSRC2:TGID_Z_EN: 0
; COMPUTE_PGM_RSRC2:TIDIG_COMP_CNT: 1
	.section	.text._ZN12_GLOBAL__N_121softmax_warp_backwardIfN3c108BFloat16EfLi2ELb0ELb0ELi32EEEvPT0_PKT_S7_iiiPKb,"axG",@progbits,_ZN12_GLOBAL__N_121softmax_warp_backwardIfN3c108BFloat16EfLi2ELb0ELb0ELi32EEEvPT0_PKT_S7_iiiPKb,comdat
	.globl	_ZN12_GLOBAL__N_121softmax_warp_backwardIfN3c108BFloat16EfLi2ELb0ELb0ELi32EEEvPT0_PKT_S7_iiiPKb ; -- Begin function _ZN12_GLOBAL__N_121softmax_warp_backwardIfN3c108BFloat16EfLi2ELb0ELb0ELi32EEEvPT0_PKT_S7_iiiPKb
	.p2align	8
	.type	_ZN12_GLOBAL__N_121softmax_warp_backwardIfN3c108BFloat16EfLi2ELb0ELb0ELi32EEEvPT0_PKT_S7_iiiPKb,@function
_ZN12_GLOBAL__N_121softmax_warp_backwardIfN3c108BFloat16EfLi2ELb0ELb0ELi32EEEvPT0_PKT_S7_iiiPKb: ; @_ZN12_GLOBAL__N_121softmax_warp_backwardIfN3c108BFloat16EfLi2ELb0ELb0ELi32EEEvPT0_PKT_S7_iiiPKb
; %bb.0:
	s_clause 0x1
	s_load_b32 s2, s[0:1], 0x3c
	s_load_b128 s[4:7], s[0:1], 0x18
	v_bfe_u32 v1, v0, 10, 10
	v_dual_mov_b32 v7, 0 :: v_dual_and_b32 v2, 3, v0
	s_load_b128 s[8:11], s[0:1], 0x0
	v_mov_b32_e32 v8, 0
	s_waitcnt lgkmcnt(0)
	s_lshr_b32 s2, s2, 16
	v_cmp_gt_i32_e32 vcc_lo, s6, v2
	s_mul_i32 s15, s15, s2
	s_load_b64 s[2:3], s[0:1], 0x10
	v_add_lshl_u32 v3, s15, v1, 1
	s_delay_alu instid0(VALU_DEP_1) | instskip(SKIP_1) | instid1(VALU_DEP_1)
	v_mad_u64_u32 v[0:1], null, v3, s5, v[2:3]
	v_sub_nc_u32_e32 v6, s4, v3
	v_cmp_lt_i32_e64 s0, 0, v6
	s_delay_alu instid0(VALU_DEP_3) | instskip(NEXT) | instid1(VALU_DEP_1)
	v_ashrrev_i32_e32 v1, 31, v0
	v_lshlrev_b64 v[9:10], 2, v[0:1]
	s_delay_alu instid0(VALU_DEP_1) | instskip(NEXT) | instid1(VALU_DEP_1)
	v_add_co_u32 v4, s1, s10, v9
	v_add_co_ci_u32_e64 v5, s1, s11, v10, s1
	s_waitcnt lgkmcnt(0)
	v_add_co_u32 v2, s1, s2, v9
	v_mov_b32_e32 v9, 0
	v_add_co_ci_u32_e64 v3, s1, s3, v10, s1
	s_and_b32 s2, vcc_lo, s0
	s_delay_alu instid0(SALU_CYCLE_1)
	s_and_saveexec_b32 s1, s2
	s_cbranch_execz .LBB647_2
; %bb.1:
	global_load_b32 v8, v[4:5], off
	global_load_b32 v9, v[2:3], off
.LBB647_2:
	s_or_b32 exec_lo, exec_lo, s1
	v_cmp_lt_i32_e64 s1, 1, v6
	v_mov_b32_e32 v10, 0
	s_mov_b32 s7, 0
	s_delay_alu instid0(VALU_DEP_2) | instskip(NEXT) | instid1(SALU_CYCLE_1)
	s_and_b32 s1, vcc_lo, s1
	s_and_saveexec_b32 s2, s1
	s_cbranch_execz .LBB647_4
; %bb.3:
	s_lshl_b64 s[4:5], s[6:7], 2
	s_delay_alu instid0(SALU_CYCLE_1) | instskip(NEXT) | instid1(VALU_DEP_1)
	v_add_co_u32 v4, s1, v4, s4
	v_add_co_ci_u32_e64 v5, s1, s5, v5, s1
	v_add_co_u32 v2, s1, v2, s4
	s_delay_alu instid0(VALU_DEP_1)
	v_add_co_ci_u32_e64 v3, s1, s5, v3, s1
	global_load_b32 v7, v[4:5], off
	global_load_b32 v10, v[2:3], off
.LBB647_4:
	s_or_b32 exec_lo, exec_lo, s2
	v_mbcnt_lo_u32_b32 v2, -1, 0
	s_waitcnt vmcnt(1)
	v_add_f32_e32 v5, 0, v8
	v_add_f32_e32 v11, 0, v7
	s_delay_alu instid0(VALU_DEP_3) | instskip(SKIP_1) | instid1(VALU_DEP_2)
	v_and_b32_e32 v3, 28, v2
	v_xor_b32_e32 v4, 2, v2
	v_add_nc_u32_e32 v3, 4, v3
	s_delay_alu instid0(VALU_DEP_1) | instskip(NEXT) | instid1(VALU_DEP_1)
	v_cmp_lt_i32_e64 s1, v4, v3
	v_cndmask_b32_e64 v4, v2, v4, s1
	s_delay_alu instid0(VALU_DEP_1) | instskip(SKIP_3) | instid1(VALU_DEP_1)
	v_lshlrev_b32_e32 v4, 2, v4
	ds_bpermute_b32 v12, v4, v5
	ds_bpermute_b32 v13, v4, v11
	v_xor_b32_e32 v4, 1, v2
	v_cmp_lt_i32_e64 s1, v4, v3
	s_delay_alu instid0(VALU_DEP_1) | instskip(SKIP_1) | instid1(VALU_DEP_1)
	v_cndmask_b32_e64 v2, v2, v4, s1
	s_waitcnt lgkmcnt(1)
	v_dual_add_f32 v4, v5, v12 :: v_dual_lshlrev_b32 v3, 2, v2
	s_waitcnt lgkmcnt(0)
	v_add_f32_e32 v2, v11, v13
	ds_bpermute_b32 v5, v3, v4
	ds_bpermute_b32 v3, v3, v2
	s_and_saveexec_b32 s1, s0
	s_cbranch_execz .LBB647_10
; %bb.5:
	v_lshlrev_b64 v[0:1], 1, v[0:1]
	s_delay_alu instid0(VALU_DEP_1) | instskip(NEXT) | instid1(VALU_DEP_1)
	v_add_co_u32 v0, s0, s8, v0
	v_add_co_ci_u32_e64 v1, s0, s9, v1, s0
	s_and_saveexec_b32 s1, vcc_lo
	s_cbranch_execz .LBB647_7
; %bb.6:
	s_waitcnt lgkmcnt(1)
	v_add_f32_e32 v4, v4, v5
	s_waitcnt vmcnt(0)
	s_delay_alu instid0(VALU_DEP_1) | instskip(NEXT) | instid1(VALU_DEP_1)
	v_fma_f32 v4, -v4, v9, v8
	v_bfe_u32 v5, v4, 16, 1
	v_cmp_o_f32_e64 s0, v4, v4
	s_delay_alu instid0(VALU_DEP_2) | instskip(NEXT) | instid1(VALU_DEP_1)
	v_add3_u32 v5, v4, v5, 0x7fff
	v_lshrrev_b32_e32 v5, 16, v5
	s_delay_alu instid0(VALU_DEP_1)
	v_cndmask_b32_e64 v4, 0x7fc0, v5, s0
	global_store_b16 v[0:1], v4, off
.LBB647_7:
	s_or_b32 exec_lo, exec_lo, s1
	v_cmp_ne_u32_e64 s0, 1, v6
	s_delay_alu instid0(VALU_DEP_1)
	s_and_b32 exec_lo, exec_lo, s0
	s_cbranch_execz .LBB647_10
; %bb.8:
	s_and_b32 exec_lo, exec_lo, vcc_lo
	s_cbranch_execz .LBB647_10
; %bb.9:
	s_waitcnt lgkmcnt(0)
	v_add_f32_e32 v2, v2, v3
	s_lshl_b64 s[0:1], s[6:7], 1
	s_waitcnt vmcnt(0)
	s_delay_alu instid0(VALU_DEP_1) | instskip(NEXT) | instid1(VALU_DEP_1)
	v_fma_f32 v2, -v2, v10, v7
	v_bfe_u32 v3, v2, 16, 1
	v_cmp_o_f32_e32 vcc_lo, v2, v2
	s_delay_alu instid0(VALU_DEP_2) | instskip(NEXT) | instid1(VALU_DEP_1)
	v_add3_u32 v3, v2, v3, 0x7fff
	v_lshrrev_b32_e32 v3, 16, v3
	s_delay_alu instid0(VALU_DEP_1)
	v_cndmask_b32_e32 v2, 0x7fc0, v3, vcc_lo
	v_add_co_u32 v0, vcc_lo, v0, s0
	v_add_co_ci_u32_e32 v1, vcc_lo, s1, v1, vcc_lo
	global_store_b16 v[0:1], v2, off
.LBB647_10:
	s_nop 0
	s_sendmsg sendmsg(MSG_DEALLOC_VGPRS)
	s_endpgm
	.section	.rodata,"a",@progbits
	.p2align	6, 0x0
	.amdhsa_kernel _ZN12_GLOBAL__N_121softmax_warp_backwardIfN3c108BFloat16EfLi2ELb0ELb0ELi32EEEvPT0_PKT_S7_iiiPKb
		.amdhsa_group_segment_fixed_size 0
		.amdhsa_private_segment_fixed_size 0
		.amdhsa_kernarg_size 304
		.amdhsa_user_sgpr_count 15
		.amdhsa_user_sgpr_dispatch_ptr 0
		.amdhsa_user_sgpr_queue_ptr 0
		.amdhsa_user_sgpr_kernarg_segment_ptr 1
		.amdhsa_user_sgpr_dispatch_id 0
		.amdhsa_user_sgpr_private_segment_size 0
		.amdhsa_wavefront_size32 1
		.amdhsa_uses_dynamic_stack 0
		.amdhsa_enable_private_segment 0
		.amdhsa_system_sgpr_workgroup_id_x 1
		.amdhsa_system_sgpr_workgroup_id_y 0
		.amdhsa_system_sgpr_workgroup_id_z 0
		.amdhsa_system_sgpr_workgroup_info 0
		.amdhsa_system_vgpr_workitem_id 1
		.amdhsa_next_free_vgpr 14
		.amdhsa_next_free_sgpr 16
		.amdhsa_reserve_vcc 1
		.amdhsa_float_round_mode_32 0
		.amdhsa_float_round_mode_16_64 0
		.amdhsa_float_denorm_mode_32 3
		.amdhsa_float_denorm_mode_16_64 3
		.amdhsa_dx10_clamp 1
		.amdhsa_ieee_mode 1
		.amdhsa_fp16_overflow 0
		.amdhsa_workgroup_processor_mode 1
		.amdhsa_memory_ordered 1
		.amdhsa_forward_progress 0
		.amdhsa_shared_vgpr_count 0
		.amdhsa_exception_fp_ieee_invalid_op 0
		.amdhsa_exception_fp_denorm_src 0
		.amdhsa_exception_fp_ieee_div_zero 0
		.amdhsa_exception_fp_ieee_overflow 0
		.amdhsa_exception_fp_ieee_underflow 0
		.amdhsa_exception_fp_ieee_inexact 0
		.amdhsa_exception_int_div_zero 0
	.end_amdhsa_kernel
	.section	.text._ZN12_GLOBAL__N_121softmax_warp_backwardIfN3c108BFloat16EfLi2ELb0ELb0ELi32EEEvPT0_PKT_S7_iiiPKb,"axG",@progbits,_ZN12_GLOBAL__N_121softmax_warp_backwardIfN3c108BFloat16EfLi2ELb0ELb0ELi32EEEvPT0_PKT_S7_iiiPKb,comdat
.Lfunc_end647:
	.size	_ZN12_GLOBAL__N_121softmax_warp_backwardIfN3c108BFloat16EfLi2ELb0ELb0ELi32EEEvPT0_PKT_S7_iiiPKb, .Lfunc_end647-_ZN12_GLOBAL__N_121softmax_warp_backwardIfN3c108BFloat16EfLi2ELb0ELb0ELi32EEEvPT0_PKT_S7_iiiPKb
                                        ; -- End function
	.section	.AMDGPU.csdata,"",@progbits
; Kernel info:
; codeLenInByte = 700
; NumSgprs: 18
; NumVgprs: 14
; ScratchSize: 0
; MemoryBound: 0
; FloatMode: 240
; IeeeMode: 1
; LDSByteSize: 0 bytes/workgroup (compile time only)
; SGPRBlocks: 2
; VGPRBlocks: 1
; NumSGPRsForWavesPerEU: 18
; NumVGPRsForWavesPerEU: 14
; Occupancy: 16
; WaveLimiterHint : 0
; COMPUTE_PGM_RSRC2:SCRATCH_EN: 0
; COMPUTE_PGM_RSRC2:USER_SGPR: 15
; COMPUTE_PGM_RSRC2:TRAP_HANDLER: 0
; COMPUTE_PGM_RSRC2:TGID_X_EN: 1
; COMPUTE_PGM_RSRC2:TGID_Y_EN: 0
; COMPUTE_PGM_RSRC2:TGID_Z_EN: 0
; COMPUTE_PGM_RSRC2:TIDIG_COMP_CNT: 1
	.section	.text._ZN12_GLOBAL__N_121softmax_warp_backwardIfN3c108BFloat16EfLi3ELb0ELb0ELi64EEEvPT0_PKT_S7_iiiPKb,"axG",@progbits,_ZN12_GLOBAL__N_121softmax_warp_backwardIfN3c108BFloat16EfLi3ELb0ELb0ELi64EEEvPT0_PKT_S7_iiiPKb,comdat
	.globl	_ZN12_GLOBAL__N_121softmax_warp_backwardIfN3c108BFloat16EfLi3ELb0ELb0ELi64EEEvPT0_PKT_S7_iiiPKb ; -- Begin function _ZN12_GLOBAL__N_121softmax_warp_backwardIfN3c108BFloat16EfLi3ELb0ELb0ELi64EEEvPT0_PKT_S7_iiiPKb
	.p2align	8
	.type	_ZN12_GLOBAL__N_121softmax_warp_backwardIfN3c108BFloat16EfLi3ELb0ELb0ELi64EEEvPT0_PKT_S7_iiiPKb,@function
_ZN12_GLOBAL__N_121softmax_warp_backwardIfN3c108BFloat16EfLi3ELb0ELb0ELi64EEEvPT0_PKT_S7_iiiPKb: ; @_ZN12_GLOBAL__N_121softmax_warp_backwardIfN3c108BFloat16EfLi3ELb0ELb0ELi64EEEvPT0_PKT_S7_iiiPKb
; %bb.0:
	s_clause 0x1
	s_load_b32 s2, s[0:1], 0x3c
	s_load_b128 s[4:7], s[0:1], 0x18
	v_bfe_u32 v1, v0, 10, 10
	v_dual_mov_b32 v7, 0 :: v_dual_and_b32 v2, 7, v0
	s_load_b128 s[8:11], s[0:1], 0x0
	v_mov_b32_e32 v8, 0
	s_waitcnt lgkmcnt(0)
	s_lshr_b32 s2, s2, 16
	v_cmp_gt_i32_e32 vcc_lo, s6, v2
	s_mul_i32 s15, s15, s2
	s_load_b64 s[2:3], s[0:1], 0x10
	v_add_lshl_u32 v3, s15, v1, 1
	s_delay_alu instid0(VALU_DEP_1) | instskip(SKIP_1) | instid1(VALU_DEP_1)
	v_mad_u64_u32 v[0:1], null, v3, s5, v[2:3]
	v_sub_nc_u32_e32 v6, s4, v3
	v_cmp_lt_i32_e64 s0, 0, v6
	s_delay_alu instid0(VALU_DEP_3) | instskip(NEXT) | instid1(VALU_DEP_1)
	v_ashrrev_i32_e32 v1, 31, v0
	v_lshlrev_b64 v[9:10], 2, v[0:1]
	s_delay_alu instid0(VALU_DEP_1) | instskip(NEXT) | instid1(VALU_DEP_1)
	v_add_co_u32 v4, s1, s10, v9
	v_add_co_ci_u32_e64 v5, s1, s11, v10, s1
	s_waitcnt lgkmcnt(0)
	v_add_co_u32 v2, s1, s2, v9
	v_mov_b32_e32 v9, 0
	v_add_co_ci_u32_e64 v3, s1, s3, v10, s1
	s_and_b32 s2, vcc_lo, s0
	s_delay_alu instid0(SALU_CYCLE_1)
	s_and_saveexec_b32 s1, s2
	s_cbranch_execz .LBB648_2
; %bb.1:
	global_load_b32 v8, v[4:5], off
	global_load_b32 v9, v[2:3], off
.LBB648_2:
	s_or_b32 exec_lo, exec_lo, s1
	v_cmp_lt_i32_e64 s1, 1, v6
	v_mov_b32_e32 v10, 0
	s_mov_b32 s7, 0
	s_delay_alu instid0(VALU_DEP_2) | instskip(NEXT) | instid1(SALU_CYCLE_1)
	s_and_b32 s1, vcc_lo, s1
	s_and_saveexec_b32 s2, s1
	s_cbranch_execz .LBB648_4
; %bb.3:
	s_lshl_b64 s[4:5], s[6:7], 2
	s_delay_alu instid0(SALU_CYCLE_1) | instskip(NEXT) | instid1(VALU_DEP_1)
	v_add_co_u32 v4, s1, v4, s4
	v_add_co_ci_u32_e64 v5, s1, s5, v5, s1
	v_add_co_u32 v2, s1, v2, s4
	s_delay_alu instid0(VALU_DEP_1)
	v_add_co_ci_u32_e64 v3, s1, s5, v3, s1
	global_load_b32 v7, v[4:5], off
	global_load_b32 v10, v[2:3], off
.LBB648_4:
	s_or_b32 exec_lo, exec_lo, s2
	v_mbcnt_lo_u32_b32 v2, -1, 0
	s_waitcnt vmcnt(1)
	v_add_f32_e32 v5, 0, v8
	v_add_f32_e32 v11, 0, v7
	s_delay_alu instid0(VALU_DEP_3) | instskip(SKIP_2) | instid1(VALU_DEP_3)
	v_and_b32_e32 v3, 24, v2
	v_xor_b32_e32 v4, 4, v2
	v_xor_b32_e32 v13, 2, v2
	v_add_nc_u32_e32 v3, 8, v3
	s_delay_alu instid0(VALU_DEP_1) | instskip(NEXT) | instid1(VALU_DEP_1)
	v_cmp_lt_i32_e64 s1, v4, v3
	v_cndmask_b32_e64 v4, v2, v4, s1
	s_delay_alu instid0(VALU_DEP_4) | instskip(NEXT) | instid1(VALU_DEP_2)
	v_cmp_lt_i32_e64 s1, v13, v3
	v_lshlrev_b32_e32 v4, 2, v4
	s_delay_alu instid0(VALU_DEP_2)
	v_cndmask_b32_e64 v13, v2, v13, s1
	ds_bpermute_b32 v12, v4, v5
	ds_bpermute_b32 v4, v4, v11
	v_lshlrev_b32_e32 v13, 2, v13
	s_waitcnt lgkmcnt(1)
	v_add_f32_e32 v5, v5, v12
	s_waitcnt lgkmcnt(0)
	v_add_f32_e32 v11, v11, v4
	ds_bpermute_b32 v4, v13, v5
	ds_bpermute_b32 v12, v13, v11
	v_xor_b32_e32 v13, 1, v2
	s_delay_alu instid0(VALU_DEP_1) | instskip(NEXT) | instid1(VALU_DEP_1)
	v_cmp_lt_i32_e64 s1, v13, v3
	v_cndmask_b32_e64 v2, v2, v13, s1
	s_waitcnt lgkmcnt(1)
	s_delay_alu instid0(VALU_DEP_1)
	v_dual_add_f32 v4, v5, v4 :: v_dual_lshlrev_b32 v3, 2, v2
	s_waitcnt lgkmcnt(0)
	v_add_f32_e32 v2, v11, v12
	ds_bpermute_b32 v5, v3, v4
	ds_bpermute_b32 v3, v3, v2
	s_and_saveexec_b32 s1, s0
	s_cbranch_execz .LBB648_10
; %bb.5:
	v_lshlrev_b64 v[0:1], 1, v[0:1]
	s_delay_alu instid0(VALU_DEP_1) | instskip(NEXT) | instid1(VALU_DEP_1)
	v_add_co_u32 v0, s0, s8, v0
	v_add_co_ci_u32_e64 v1, s0, s9, v1, s0
	s_and_saveexec_b32 s1, vcc_lo
	s_cbranch_execz .LBB648_7
; %bb.6:
	s_waitcnt lgkmcnt(1)
	v_add_f32_e32 v4, v4, v5
	s_waitcnt vmcnt(0)
	s_delay_alu instid0(VALU_DEP_1) | instskip(NEXT) | instid1(VALU_DEP_1)
	v_fma_f32 v4, -v4, v9, v8
	v_bfe_u32 v5, v4, 16, 1
	v_cmp_o_f32_e64 s0, v4, v4
	s_delay_alu instid0(VALU_DEP_2) | instskip(NEXT) | instid1(VALU_DEP_1)
	v_add3_u32 v5, v4, v5, 0x7fff
	v_lshrrev_b32_e32 v5, 16, v5
	s_delay_alu instid0(VALU_DEP_1)
	v_cndmask_b32_e64 v4, 0x7fc0, v5, s0
	global_store_b16 v[0:1], v4, off
.LBB648_7:
	s_or_b32 exec_lo, exec_lo, s1
	v_cmp_ne_u32_e64 s0, 1, v6
	s_delay_alu instid0(VALU_DEP_1)
	s_and_b32 exec_lo, exec_lo, s0
	s_cbranch_execz .LBB648_10
; %bb.8:
	s_and_b32 exec_lo, exec_lo, vcc_lo
	s_cbranch_execz .LBB648_10
; %bb.9:
	s_waitcnt lgkmcnt(0)
	v_add_f32_e32 v2, v2, v3
	s_lshl_b64 s[0:1], s[6:7], 1
	s_waitcnt vmcnt(0)
	s_delay_alu instid0(VALU_DEP_1) | instskip(NEXT) | instid1(VALU_DEP_1)
	v_fma_f32 v2, -v2, v10, v7
	v_bfe_u32 v3, v2, 16, 1
	v_cmp_o_f32_e32 vcc_lo, v2, v2
	s_delay_alu instid0(VALU_DEP_2) | instskip(NEXT) | instid1(VALU_DEP_1)
	v_add3_u32 v3, v2, v3, 0x7fff
	v_lshrrev_b32_e32 v3, 16, v3
	s_delay_alu instid0(VALU_DEP_1)
	v_cndmask_b32_e32 v2, 0x7fc0, v3, vcc_lo
	v_add_co_u32 v0, vcc_lo, v0, s0
	v_add_co_ci_u32_e32 v1, vcc_lo, s1, v1, vcc_lo
	global_store_b16 v[0:1], v2, off
.LBB648_10:
	s_nop 0
	s_sendmsg sendmsg(MSG_DEALLOC_VGPRS)
	s_endpgm
	.section	.rodata,"a",@progbits
	.p2align	6, 0x0
	.amdhsa_kernel _ZN12_GLOBAL__N_121softmax_warp_backwardIfN3c108BFloat16EfLi3ELb0ELb0ELi64EEEvPT0_PKT_S7_iiiPKb
		.amdhsa_group_segment_fixed_size 0
		.amdhsa_private_segment_fixed_size 0
		.amdhsa_kernarg_size 304
		.amdhsa_user_sgpr_count 15
		.amdhsa_user_sgpr_dispatch_ptr 0
		.amdhsa_user_sgpr_queue_ptr 0
		.amdhsa_user_sgpr_kernarg_segment_ptr 1
		.amdhsa_user_sgpr_dispatch_id 0
		.amdhsa_user_sgpr_private_segment_size 0
		.amdhsa_wavefront_size32 1
		.amdhsa_uses_dynamic_stack 0
		.amdhsa_enable_private_segment 0
		.amdhsa_system_sgpr_workgroup_id_x 1
		.amdhsa_system_sgpr_workgroup_id_y 0
		.amdhsa_system_sgpr_workgroup_id_z 0
		.amdhsa_system_sgpr_workgroup_info 0
		.amdhsa_system_vgpr_workitem_id 1
		.amdhsa_next_free_vgpr 14
		.amdhsa_next_free_sgpr 16
		.amdhsa_reserve_vcc 1
		.amdhsa_float_round_mode_32 0
		.amdhsa_float_round_mode_16_64 0
		.amdhsa_float_denorm_mode_32 3
		.amdhsa_float_denorm_mode_16_64 3
		.amdhsa_dx10_clamp 1
		.amdhsa_ieee_mode 1
		.amdhsa_fp16_overflow 0
		.amdhsa_workgroup_processor_mode 1
		.amdhsa_memory_ordered 1
		.amdhsa_forward_progress 0
		.amdhsa_shared_vgpr_count 0
		.amdhsa_exception_fp_ieee_invalid_op 0
		.amdhsa_exception_fp_denorm_src 0
		.amdhsa_exception_fp_ieee_div_zero 0
		.amdhsa_exception_fp_ieee_overflow 0
		.amdhsa_exception_fp_ieee_underflow 0
		.amdhsa_exception_fp_ieee_inexact 0
		.amdhsa_exception_int_div_zero 0
	.end_amdhsa_kernel
	.section	.text._ZN12_GLOBAL__N_121softmax_warp_backwardIfN3c108BFloat16EfLi3ELb0ELb0ELi64EEEvPT0_PKT_S7_iiiPKb,"axG",@progbits,_ZN12_GLOBAL__N_121softmax_warp_backwardIfN3c108BFloat16EfLi3ELb0ELb0ELi64EEEvPT0_PKT_S7_iiiPKb,comdat
.Lfunc_end648:
	.size	_ZN12_GLOBAL__N_121softmax_warp_backwardIfN3c108BFloat16EfLi3ELb0ELb0ELi64EEEvPT0_PKT_S7_iiiPKb, .Lfunc_end648-_ZN12_GLOBAL__N_121softmax_warp_backwardIfN3c108BFloat16EfLi3ELb0ELb0ELi64EEEvPT0_PKT_S7_iiiPKb
                                        ; -- End function
	.section	.AMDGPU.csdata,"",@progbits
; Kernel info:
; codeLenInByte = 764
; NumSgprs: 18
; NumVgprs: 14
; ScratchSize: 0
; MemoryBound: 0
; FloatMode: 240
; IeeeMode: 1
; LDSByteSize: 0 bytes/workgroup (compile time only)
; SGPRBlocks: 2
; VGPRBlocks: 1
; NumSGPRsForWavesPerEU: 18
; NumVGPRsForWavesPerEU: 14
; Occupancy: 16
; WaveLimiterHint : 0
; COMPUTE_PGM_RSRC2:SCRATCH_EN: 0
; COMPUTE_PGM_RSRC2:USER_SGPR: 15
; COMPUTE_PGM_RSRC2:TRAP_HANDLER: 0
; COMPUTE_PGM_RSRC2:TGID_X_EN: 1
; COMPUTE_PGM_RSRC2:TGID_Y_EN: 0
; COMPUTE_PGM_RSRC2:TGID_Z_EN: 0
; COMPUTE_PGM_RSRC2:TIDIG_COMP_CNT: 1
	.section	.text._ZN12_GLOBAL__N_121softmax_warp_backwardIfN3c108BFloat16EfLi3ELb0ELb0ELi32EEEvPT0_PKT_S7_iiiPKb,"axG",@progbits,_ZN12_GLOBAL__N_121softmax_warp_backwardIfN3c108BFloat16EfLi3ELb0ELb0ELi32EEEvPT0_PKT_S7_iiiPKb,comdat
	.globl	_ZN12_GLOBAL__N_121softmax_warp_backwardIfN3c108BFloat16EfLi3ELb0ELb0ELi32EEEvPT0_PKT_S7_iiiPKb ; -- Begin function _ZN12_GLOBAL__N_121softmax_warp_backwardIfN3c108BFloat16EfLi3ELb0ELb0ELi32EEEvPT0_PKT_S7_iiiPKb
	.p2align	8
	.type	_ZN12_GLOBAL__N_121softmax_warp_backwardIfN3c108BFloat16EfLi3ELb0ELb0ELi32EEEvPT0_PKT_S7_iiiPKb,@function
_ZN12_GLOBAL__N_121softmax_warp_backwardIfN3c108BFloat16EfLi3ELb0ELb0ELi32EEEvPT0_PKT_S7_iiiPKb: ; @_ZN12_GLOBAL__N_121softmax_warp_backwardIfN3c108BFloat16EfLi3ELb0ELb0ELi32EEEvPT0_PKT_S7_iiiPKb
; %bb.0:
	s_clause 0x1
	s_load_b32 s2, s[0:1], 0x3c
	s_load_b128 s[4:7], s[0:1], 0x18
	v_bfe_u32 v1, v0, 10, 10
	v_dual_mov_b32 v7, 0 :: v_dual_and_b32 v2, 7, v0
	s_load_b128 s[8:11], s[0:1], 0x0
	v_mov_b32_e32 v8, 0
	s_waitcnt lgkmcnt(0)
	s_lshr_b32 s2, s2, 16
	v_cmp_gt_i32_e32 vcc_lo, s6, v2
	s_mul_i32 s15, s15, s2
	s_load_b64 s[2:3], s[0:1], 0x10
	v_add_lshl_u32 v3, s15, v1, 1
	s_delay_alu instid0(VALU_DEP_1) | instskip(SKIP_1) | instid1(VALU_DEP_1)
	v_mad_u64_u32 v[0:1], null, v3, s5, v[2:3]
	v_sub_nc_u32_e32 v6, s4, v3
	v_cmp_lt_i32_e64 s0, 0, v6
	s_delay_alu instid0(VALU_DEP_3) | instskip(NEXT) | instid1(VALU_DEP_1)
	v_ashrrev_i32_e32 v1, 31, v0
	v_lshlrev_b64 v[9:10], 2, v[0:1]
	s_delay_alu instid0(VALU_DEP_1) | instskip(NEXT) | instid1(VALU_DEP_1)
	v_add_co_u32 v4, s1, s10, v9
	v_add_co_ci_u32_e64 v5, s1, s11, v10, s1
	s_waitcnt lgkmcnt(0)
	v_add_co_u32 v2, s1, s2, v9
	v_mov_b32_e32 v9, 0
	v_add_co_ci_u32_e64 v3, s1, s3, v10, s1
	s_and_b32 s2, vcc_lo, s0
	s_delay_alu instid0(SALU_CYCLE_1)
	s_and_saveexec_b32 s1, s2
	s_cbranch_execz .LBB649_2
; %bb.1:
	global_load_b32 v8, v[4:5], off
	global_load_b32 v9, v[2:3], off
.LBB649_2:
	s_or_b32 exec_lo, exec_lo, s1
	v_cmp_lt_i32_e64 s1, 1, v6
	v_mov_b32_e32 v10, 0
	s_mov_b32 s7, 0
	s_delay_alu instid0(VALU_DEP_2) | instskip(NEXT) | instid1(SALU_CYCLE_1)
	s_and_b32 s1, vcc_lo, s1
	s_and_saveexec_b32 s2, s1
	s_cbranch_execz .LBB649_4
; %bb.3:
	s_lshl_b64 s[4:5], s[6:7], 2
	s_delay_alu instid0(SALU_CYCLE_1) | instskip(NEXT) | instid1(VALU_DEP_1)
	v_add_co_u32 v4, s1, v4, s4
	v_add_co_ci_u32_e64 v5, s1, s5, v5, s1
	v_add_co_u32 v2, s1, v2, s4
	s_delay_alu instid0(VALU_DEP_1)
	v_add_co_ci_u32_e64 v3, s1, s5, v3, s1
	global_load_b32 v7, v[4:5], off
	global_load_b32 v10, v[2:3], off
.LBB649_4:
	s_or_b32 exec_lo, exec_lo, s2
	v_mbcnt_lo_u32_b32 v2, -1, 0
	s_waitcnt vmcnt(1)
	v_add_f32_e32 v5, 0, v8
	v_add_f32_e32 v11, 0, v7
	s_delay_alu instid0(VALU_DEP_3) | instskip(SKIP_2) | instid1(VALU_DEP_3)
	v_and_b32_e32 v3, 24, v2
	v_xor_b32_e32 v4, 4, v2
	v_xor_b32_e32 v13, 2, v2
	v_add_nc_u32_e32 v3, 8, v3
	s_delay_alu instid0(VALU_DEP_1) | instskip(NEXT) | instid1(VALU_DEP_1)
	v_cmp_lt_i32_e64 s1, v4, v3
	v_cndmask_b32_e64 v4, v2, v4, s1
	s_delay_alu instid0(VALU_DEP_4) | instskip(NEXT) | instid1(VALU_DEP_2)
	v_cmp_lt_i32_e64 s1, v13, v3
	v_lshlrev_b32_e32 v4, 2, v4
	s_delay_alu instid0(VALU_DEP_2)
	v_cndmask_b32_e64 v13, v2, v13, s1
	ds_bpermute_b32 v12, v4, v5
	ds_bpermute_b32 v4, v4, v11
	v_lshlrev_b32_e32 v13, 2, v13
	s_waitcnt lgkmcnt(1)
	v_add_f32_e32 v5, v5, v12
	s_waitcnt lgkmcnt(0)
	v_add_f32_e32 v11, v11, v4
	ds_bpermute_b32 v4, v13, v5
	ds_bpermute_b32 v12, v13, v11
	v_xor_b32_e32 v13, 1, v2
	s_delay_alu instid0(VALU_DEP_1) | instskip(NEXT) | instid1(VALU_DEP_1)
	v_cmp_lt_i32_e64 s1, v13, v3
	v_cndmask_b32_e64 v2, v2, v13, s1
	s_waitcnt lgkmcnt(1)
	s_delay_alu instid0(VALU_DEP_1)
	v_dual_add_f32 v4, v5, v4 :: v_dual_lshlrev_b32 v3, 2, v2
	s_waitcnt lgkmcnt(0)
	v_add_f32_e32 v2, v11, v12
	ds_bpermute_b32 v5, v3, v4
	ds_bpermute_b32 v3, v3, v2
	s_and_saveexec_b32 s1, s0
	s_cbranch_execz .LBB649_10
; %bb.5:
	v_lshlrev_b64 v[0:1], 1, v[0:1]
	s_delay_alu instid0(VALU_DEP_1) | instskip(NEXT) | instid1(VALU_DEP_1)
	v_add_co_u32 v0, s0, s8, v0
	v_add_co_ci_u32_e64 v1, s0, s9, v1, s0
	s_and_saveexec_b32 s1, vcc_lo
	s_cbranch_execz .LBB649_7
; %bb.6:
	s_waitcnt lgkmcnt(1)
	v_add_f32_e32 v4, v4, v5
	s_waitcnt vmcnt(0)
	s_delay_alu instid0(VALU_DEP_1) | instskip(NEXT) | instid1(VALU_DEP_1)
	v_fma_f32 v4, -v4, v9, v8
	v_bfe_u32 v5, v4, 16, 1
	v_cmp_o_f32_e64 s0, v4, v4
	s_delay_alu instid0(VALU_DEP_2) | instskip(NEXT) | instid1(VALU_DEP_1)
	v_add3_u32 v5, v4, v5, 0x7fff
	v_lshrrev_b32_e32 v5, 16, v5
	s_delay_alu instid0(VALU_DEP_1)
	v_cndmask_b32_e64 v4, 0x7fc0, v5, s0
	global_store_b16 v[0:1], v4, off
.LBB649_7:
	s_or_b32 exec_lo, exec_lo, s1
	v_cmp_ne_u32_e64 s0, 1, v6
	s_delay_alu instid0(VALU_DEP_1)
	s_and_b32 exec_lo, exec_lo, s0
	s_cbranch_execz .LBB649_10
; %bb.8:
	s_and_b32 exec_lo, exec_lo, vcc_lo
	s_cbranch_execz .LBB649_10
; %bb.9:
	s_waitcnt lgkmcnt(0)
	v_add_f32_e32 v2, v2, v3
	s_lshl_b64 s[0:1], s[6:7], 1
	s_waitcnt vmcnt(0)
	s_delay_alu instid0(VALU_DEP_1) | instskip(NEXT) | instid1(VALU_DEP_1)
	v_fma_f32 v2, -v2, v10, v7
	v_bfe_u32 v3, v2, 16, 1
	v_cmp_o_f32_e32 vcc_lo, v2, v2
	s_delay_alu instid0(VALU_DEP_2) | instskip(NEXT) | instid1(VALU_DEP_1)
	v_add3_u32 v3, v2, v3, 0x7fff
	v_lshrrev_b32_e32 v3, 16, v3
	s_delay_alu instid0(VALU_DEP_1)
	v_cndmask_b32_e32 v2, 0x7fc0, v3, vcc_lo
	v_add_co_u32 v0, vcc_lo, v0, s0
	v_add_co_ci_u32_e32 v1, vcc_lo, s1, v1, vcc_lo
	global_store_b16 v[0:1], v2, off
.LBB649_10:
	s_nop 0
	s_sendmsg sendmsg(MSG_DEALLOC_VGPRS)
	s_endpgm
	.section	.rodata,"a",@progbits
	.p2align	6, 0x0
	.amdhsa_kernel _ZN12_GLOBAL__N_121softmax_warp_backwardIfN3c108BFloat16EfLi3ELb0ELb0ELi32EEEvPT0_PKT_S7_iiiPKb
		.amdhsa_group_segment_fixed_size 0
		.amdhsa_private_segment_fixed_size 0
		.amdhsa_kernarg_size 304
		.amdhsa_user_sgpr_count 15
		.amdhsa_user_sgpr_dispatch_ptr 0
		.amdhsa_user_sgpr_queue_ptr 0
		.amdhsa_user_sgpr_kernarg_segment_ptr 1
		.amdhsa_user_sgpr_dispatch_id 0
		.amdhsa_user_sgpr_private_segment_size 0
		.amdhsa_wavefront_size32 1
		.amdhsa_uses_dynamic_stack 0
		.amdhsa_enable_private_segment 0
		.amdhsa_system_sgpr_workgroup_id_x 1
		.amdhsa_system_sgpr_workgroup_id_y 0
		.amdhsa_system_sgpr_workgroup_id_z 0
		.amdhsa_system_sgpr_workgroup_info 0
		.amdhsa_system_vgpr_workitem_id 1
		.amdhsa_next_free_vgpr 14
		.amdhsa_next_free_sgpr 16
		.amdhsa_reserve_vcc 1
		.amdhsa_float_round_mode_32 0
		.amdhsa_float_round_mode_16_64 0
		.amdhsa_float_denorm_mode_32 3
		.amdhsa_float_denorm_mode_16_64 3
		.amdhsa_dx10_clamp 1
		.amdhsa_ieee_mode 1
		.amdhsa_fp16_overflow 0
		.amdhsa_workgroup_processor_mode 1
		.amdhsa_memory_ordered 1
		.amdhsa_forward_progress 0
		.amdhsa_shared_vgpr_count 0
		.amdhsa_exception_fp_ieee_invalid_op 0
		.amdhsa_exception_fp_denorm_src 0
		.amdhsa_exception_fp_ieee_div_zero 0
		.amdhsa_exception_fp_ieee_overflow 0
		.amdhsa_exception_fp_ieee_underflow 0
		.amdhsa_exception_fp_ieee_inexact 0
		.amdhsa_exception_int_div_zero 0
	.end_amdhsa_kernel
	.section	.text._ZN12_GLOBAL__N_121softmax_warp_backwardIfN3c108BFloat16EfLi3ELb0ELb0ELi32EEEvPT0_PKT_S7_iiiPKb,"axG",@progbits,_ZN12_GLOBAL__N_121softmax_warp_backwardIfN3c108BFloat16EfLi3ELb0ELb0ELi32EEEvPT0_PKT_S7_iiiPKb,comdat
.Lfunc_end649:
	.size	_ZN12_GLOBAL__N_121softmax_warp_backwardIfN3c108BFloat16EfLi3ELb0ELb0ELi32EEEvPT0_PKT_S7_iiiPKb, .Lfunc_end649-_ZN12_GLOBAL__N_121softmax_warp_backwardIfN3c108BFloat16EfLi3ELb0ELb0ELi32EEEvPT0_PKT_S7_iiiPKb
                                        ; -- End function
	.section	.AMDGPU.csdata,"",@progbits
; Kernel info:
; codeLenInByte = 764
; NumSgprs: 18
; NumVgprs: 14
; ScratchSize: 0
; MemoryBound: 0
; FloatMode: 240
; IeeeMode: 1
; LDSByteSize: 0 bytes/workgroup (compile time only)
; SGPRBlocks: 2
; VGPRBlocks: 1
; NumSGPRsForWavesPerEU: 18
; NumVGPRsForWavesPerEU: 14
; Occupancy: 16
; WaveLimiterHint : 0
; COMPUTE_PGM_RSRC2:SCRATCH_EN: 0
; COMPUTE_PGM_RSRC2:USER_SGPR: 15
; COMPUTE_PGM_RSRC2:TRAP_HANDLER: 0
; COMPUTE_PGM_RSRC2:TGID_X_EN: 1
; COMPUTE_PGM_RSRC2:TGID_Y_EN: 0
; COMPUTE_PGM_RSRC2:TGID_Z_EN: 0
; COMPUTE_PGM_RSRC2:TIDIG_COMP_CNT: 1
	.section	.text._ZN12_GLOBAL__N_121softmax_warp_backwardIfN3c108BFloat16EfLi4ELb0ELb0ELi64EEEvPT0_PKT_S7_iiiPKb,"axG",@progbits,_ZN12_GLOBAL__N_121softmax_warp_backwardIfN3c108BFloat16EfLi4ELb0ELb0ELi64EEEvPT0_PKT_S7_iiiPKb,comdat
	.globl	_ZN12_GLOBAL__N_121softmax_warp_backwardIfN3c108BFloat16EfLi4ELb0ELb0ELi64EEEvPT0_PKT_S7_iiiPKb ; -- Begin function _ZN12_GLOBAL__N_121softmax_warp_backwardIfN3c108BFloat16EfLi4ELb0ELb0ELi64EEEvPT0_PKT_S7_iiiPKb
	.p2align	8
	.type	_ZN12_GLOBAL__N_121softmax_warp_backwardIfN3c108BFloat16EfLi4ELb0ELb0ELi64EEEvPT0_PKT_S7_iiiPKb,@function
_ZN12_GLOBAL__N_121softmax_warp_backwardIfN3c108BFloat16EfLi4ELb0ELb0ELi64EEEvPT0_PKT_S7_iiiPKb: ; @_ZN12_GLOBAL__N_121softmax_warp_backwardIfN3c108BFloat16EfLi4ELb0ELb0ELi64EEEvPT0_PKT_S7_iiiPKb
; %bb.0:
	s_clause 0x1
	s_load_b32 s2, s[0:1], 0x3c
	s_load_b128 s[4:7], s[0:1], 0x18
	v_bfe_u32 v1, v0, 10, 10
	v_dual_mov_b32 v7, 0 :: v_dual_and_b32 v2, 15, v0
	s_load_b128 s[8:11], s[0:1], 0x0
	v_mov_b32_e32 v8, 0
	s_waitcnt lgkmcnt(0)
	s_lshr_b32 s2, s2, 16
	v_cmp_gt_i32_e32 vcc_lo, s6, v2
	s_mul_i32 s15, s15, s2
	s_load_b64 s[2:3], s[0:1], 0x10
	v_add_lshl_u32 v3, s15, v1, 1
	s_delay_alu instid0(VALU_DEP_1) | instskip(SKIP_1) | instid1(VALU_DEP_1)
	v_mad_u64_u32 v[0:1], null, v3, s5, v[2:3]
	v_sub_nc_u32_e32 v6, s4, v3
	v_cmp_lt_i32_e64 s0, 0, v6
	s_delay_alu instid0(VALU_DEP_3) | instskip(NEXT) | instid1(VALU_DEP_1)
	v_ashrrev_i32_e32 v1, 31, v0
	v_lshlrev_b64 v[9:10], 2, v[0:1]
	s_delay_alu instid0(VALU_DEP_1) | instskip(NEXT) | instid1(VALU_DEP_1)
	v_add_co_u32 v4, s1, s10, v9
	v_add_co_ci_u32_e64 v5, s1, s11, v10, s1
	s_waitcnt lgkmcnt(0)
	v_add_co_u32 v2, s1, s2, v9
	v_mov_b32_e32 v9, 0
	v_add_co_ci_u32_e64 v3, s1, s3, v10, s1
	s_and_b32 s2, vcc_lo, s0
	s_delay_alu instid0(SALU_CYCLE_1)
	s_and_saveexec_b32 s1, s2
	s_cbranch_execz .LBB650_2
; %bb.1:
	global_load_b32 v8, v[4:5], off
	global_load_b32 v9, v[2:3], off
.LBB650_2:
	s_or_b32 exec_lo, exec_lo, s1
	v_cmp_lt_i32_e64 s1, 1, v6
	v_mov_b32_e32 v10, 0
	s_mov_b32 s7, 0
	s_delay_alu instid0(VALU_DEP_2) | instskip(NEXT) | instid1(SALU_CYCLE_1)
	s_and_b32 s1, vcc_lo, s1
	s_and_saveexec_b32 s2, s1
	s_cbranch_execz .LBB650_4
; %bb.3:
	s_lshl_b64 s[4:5], s[6:7], 2
	s_delay_alu instid0(SALU_CYCLE_1) | instskip(NEXT) | instid1(VALU_DEP_1)
	v_add_co_u32 v4, s1, v4, s4
	v_add_co_ci_u32_e64 v5, s1, s5, v5, s1
	v_add_co_u32 v2, s1, v2, s4
	s_delay_alu instid0(VALU_DEP_1)
	v_add_co_ci_u32_e64 v3, s1, s5, v3, s1
	global_load_b32 v7, v[4:5], off
	global_load_b32 v10, v[2:3], off
.LBB650_4:
	s_or_b32 exec_lo, exec_lo, s2
	v_mbcnt_lo_u32_b32 v2, -1, 0
	s_waitcnt vmcnt(1)
	v_add_f32_e32 v11, 0, v7
	v_add_f32_e32 v5, 0, v8
	s_delay_alu instid0(VALU_DEP_3) | instskip(SKIP_2) | instid1(VALU_DEP_3)
	v_and_b32_e32 v3, 16, v2
	v_xor_b32_e32 v4, 8, v2
	v_xor_b32_e32 v13, 4, v2
	v_add_nc_u32_e32 v3, 16, v3
	s_delay_alu instid0(VALU_DEP_1) | instskip(NEXT) | instid1(VALU_DEP_1)
	v_cmp_lt_i32_e64 s1, v4, v3
	v_cndmask_b32_e64 v4, v2, v4, s1
	s_delay_alu instid0(VALU_DEP_4) | instskip(NEXT) | instid1(VALU_DEP_2)
	v_cmp_lt_i32_e64 s1, v13, v3
	v_lshlrev_b32_e32 v4, 2, v4
	s_delay_alu instid0(VALU_DEP_2)
	v_cndmask_b32_e64 v13, v2, v13, s1
	ds_bpermute_b32 v12, v4, v5
	ds_bpermute_b32 v4, v4, v11
	v_lshlrev_b32_e32 v13, 2, v13
	s_waitcnt lgkmcnt(1)
	v_add_f32_e32 v5, v5, v12
	s_waitcnt lgkmcnt(0)
	v_add_f32_e32 v4, v11, v4
	ds_bpermute_b32 v11, v13, v5
	ds_bpermute_b32 v12, v13, v4
	v_xor_b32_e32 v13, 2, v2
	s_delay_alu instid0(VALU_DEP_1) | instskip(NEXT) | instid1(VALU_DEP_1)
	v_cmp_lt_i32_e64 s1, v13, v3
	v_cndmask_b32_e64 v13, v2, v13, s1
	s_delay_alu instid0(VALU_DEP_1)
	v_lshlrev_b32_e32 v13, 2, v13
	s_waitcnt lgkmcnt(1)
	v_add_f32_e32 v5, v5, v11
	s_waitcnt lgkmcnt(0)
	v_add_f32_e32 v11, v4, v12
	ds_bpermute_b32 v4, v13, v5
	ds_bpermute_b32 v12, v13, v11
	v_xor_b32_e32 v13, 1, v2
	s_waitcnt lgkmcnt(1)
	v_add_f32_e32 v4, v5, v4
	s_delay_alu instid0(VALU_DEP_2) | instskip(NEXT) | instid1(VALU_DEP_1)
	v_cmp_lt_i32_e64 s1, v13, v3
	v_cndmask_b32_e64 v2, v2, v13, s1
	s_waitcnt lgkmcnt(0)
	s_delay_alu instid0(VALU_DEP_1)
	v_dual_add_f32 v2, v11, v12 :: v_dual_lshlrev_b32 v3, 2, v2
	ds_bpermute_b32 v5, v3, v4
	ds_bpermute_b32 v3, v3, v2
	s_and_saveexec_b32 s1, s0
	s_cbranch_execz .LBB650_10
; %bb.5:
	v_lshlrev_b64 v[0:1], 1, v[0:1]
	s_delay_alu instid0(VALU_DEP_1) | instskip(NEXT) | instid1(VALU_DEP_1)
	v_add_co_u32 v0, s0, s8, v0
	v_add_co_ci_u32_e64 v1, s0, s9, v1, s0
	s_and_saveexec_b32 s1, vcc_lo
	s_cbranch_execz .LBB650_7
; %bb.6:
	s_waitcnt lgkmcnt(1)
	v_add_f32_e32 v4, v4, v5
	s_waitcnt vmcnt(0)
	s_delay_alu instid0(VALU_DEP_1) | instskip(NEXT) | instid1(VALU_DEP_1)
	v_fma_f32 v4, -v4, v9, v8
	v_bfe_u32 v5, v4, 16, 1
	v_cmp_o_f32_e64 s0, v4, v4
	s_delay_alu instid0(VALU_DEP_2) | instskip(NEXT) | instid1(VALU_DEP_1)
	v_add3_u32 v5, v4, v5, 0x7fff
	v_lshrrev_b32_e32 v5, 16, v5
	s_delay_alu instid0(VALU_DEP_1)
	v_cndmask_b32_e64 v4, 0x7fc0, v5, s0
	global_store_b16 v[0:1], v4, off
.LBB650_7:
	s_or_b32 exec_lo, exec_lo, s1
	v_cmp_ne_u32_e64 s0, 1, v6
	s_delay_alu instid0(VALU_DEP_1)
	s_and_b32 exec_lo, exec_lo, s0
	s_cbranch_execz .LBB650_10
; %bb.8:
	s_and_b32 exec_lo, exec_lo, vcc_lo
	s_cbranch_execz .LBB650_10
; %bb.9:
	s_waitcnt lgkmcnt(0)
	v_add_f32_e32 v2, v2, v3
	s_lshl_b64 s[0:1], s[6:7], 1
	s_waitcnt vmcnt(0)
	s_delay_alu instid0(VALU_DEP_1) | instskip(NEXT) | instid1(VALU_DEP_1)
	v_fma_f32 v2, -v2, v10, v7
	v_bfe_u32 v3, v2, 16, 1
	v_cmp_o_f32_e32 vcc_lo, v2, v2
	s_delay_alu instid0(VALU_DEP_2) | instskip(NEXT) | instid1(VALU_DEP_1)
	v_add3_u32 v3, v2, v3, 0x7fff
	v_lshrrev_b32_e32 v3, 16, v3
	s_delay_alu instid0(VALU_DEP_1)
	v_cndmask_b32_e32 v2, 0x7fc0, v3, vcc_lo
	v_add_co_u32 v0, vcc_lo, v0, s0
	v_add_co_ci_u32_e32 v1, vcc_lo, s1, v1, vcc_lo
	global_store_b16 v[0:1], v2, off
.LBB650_10:
	s_nop 0
	s_sendmsg sendmsg(MSG_DEALLOC_VGPRS)
	s_endpgm
	.section	.rodata,"a",@progbits
	.p2align	6, 0x0
	.amdhsa_kernel _ZN12_GLOBAL__N_121softmax_warp_backwardIfN3c108BFloat16EfLi4ELb0ELb0ELi64EEEvPT0_PKT_S7_iiiPKb
		.amdhsa_group_segment_fixed_size 0
		.amdhsa_private_segment_fixed_size 0
		.amdhsa_kernarg_size 304
		.amdhsa_user_sgpr_count 15
		.amdhsa_user_sgpr_dispatch_ptr 0
		.amdhsa_user_sgpr_queue_ptr 0
		.amdhsa_user_sgpr_kernarg_segment_ptr 1
		.amdhsa_user_sgpr_dispatch_id 0
		.amdhsa_user_sgpr_private_segment_size 0
		.amdhsa_wavefront_size32 1
		.amdhsa_uses_dynamic_stack 0
		.amdhsa_enable_private_segment 0
		.amdhsa_system_sgpr_workgroup_id_x 1
		.amdhsa_system_sgpr_workgroup_id_y 0
		.amdhsa_system_sgpr_workgroup_id_z 0
		.amdhsa_system_sgpr_workgroup_info 0
		.amdhsa_system_vgpr_workitem_id 1
		.amdhsa_next_free_vgpr 14
		.amdhsa_next_free_sgpr 16
		.amdhsa_reserve_vcc 1
		.amdhsa_float_round_mode_32 0
		.amdhsa_float_round_mode_16_64 0
		.amdhsa_float_denorm_mode_32 3
		.amdhsa_float_denorm_mode_16_64 3
		.amdhsa_dx10_clamp 1
		.amdhsa_ieee_mode 1
		.amdhsa_fp16_overflow 0
		.amdhsa_workgroup_processor_mode 1
		.amdhsa_memory_ordered 1
		.amdhsa_forward_progress 0
		.amdhsa_shared_vgpr_count 0
		.amdhsa_exception_fp_ieee_invalid_op 0
		.amdhsa_exception_fp_denorm_src 0
		.amdhsa_exception_fp_ieee_div_zero 0
		.amdhsa_exception_fp_ieee_overflow 0
		.amdhsa_exception_fp_ieee_underflow 0
		.amdhsa_exception_fp_ieee_inexact 0
		.amdhsa_exception_int_div_zero 0
	.end_amdhsa_kernel
	.section	.text._ZN12_GLOBAL__N_121softmax_warp_backwardIfN3c108BFloat16EfLi4ELb0ELb0ELi64EEEvPT0_PKT_S7_iiiPKb,"axG",@progbits,_ZN12_GLOBAL__N_121softmax_warp_backwardIfN3c108BFloat16EfLi4ELb0ELb0ELi64EEEvPT0_PKT_S7_iiiPKb,comdat
.Lfunc_end650:
	.size	_ZN12_GLOBAL__N_121softmax_warp_backwardIfN3c108BFloat16EfLi4ELb0ELb0ELi64EEEvPT0_PKT_S7_iiiPKb, .Lfunc_end650-_ZN12_GLOBAL__N_121softmax_warp_backwardIfN3c108BFloat16EfLi4ELb0ELb0ELi64EEEvPT0_PKT_S7_iiiPKb
                                        ; -- End function
	.section	.AMDGPU.csdata,"",@progbits
; Kernel info:
; codeLenInByte = 828
; NumSgprs: 18
; NumVgprs: 14
; ScratchSize: 0
; MemoryBound: 0
; FloatMode: 240
; IeeeMode: 1
; LDSByteSize: 0 bytes/workgroup (compile time only)
; SGPRBlocks: 2
; VGPRBlocks: 1
; NumSGPRsForWavesPerEU: 18
; NumVGPRsForWavesPerEU: 14
; Occupancy: 16
; WaveLimiterHint : 0
; COMPUTE_PGM_RSRC2:SCRATCH_EN: 0
; COMPUTE_PGM_RSRC2:USER_SGPR: 15
; COMPUTE_PGM_RSRC2:TRAP_HANDLER: 0
; COMPUTE_PGM_RSRC2:TGID_X_EN: 1
; COMPUTE_PGM_RSRC2:TGID_Y_EN: 0
; COMPUTE_PGM_RSRC2:TGID_Z_EN: 0
; COMPUTE_PGM_RSRC2:TIDIG_COMP_CNT: 1
	.section	.text._ZN12_GLOBAL__N_121softmax_warp_backwardIfN3c108BFloat16EfLi4ELb0ELb0ELi32EEEvPT0_PKT_S7_iiiPKb,"axG",@progbits,_ZN12_GLOBAL__N_121softmax_warp_backwardIfN3c108BFloat16EfLi4ELb0ELb0ELi32EEEvPT0_PKT_S7_iiiPKb,comdat
	.globl	_ZN12_GLOBAL__N_121softmax_warp_backwardIfN3c108BFloat16EfLi4ELb0ELb0ELi32EEEvPT0_PKT_S7_iiiPKb ; -- Begin function _ZN12_GLOBAL__N_121softmax_warp_backwardIfN3c108BFloat16EfLi4ELb0ELb0ELi32EEEvPT0_PKT_S7_iiiPKb
	.p2align	8
	.type	_ZN12_GLOBAL__N_121softmax_warp_backwardIfN3c108BFloat16EfLi4ELb0ELb0ELi32EEEvPT0_PKT_S7_iiiPKb,@function
_ZN12_GLOBAL__N_121softmax_warp_backwardIfN3c108BFloat16EfLi4ELb0ELb0ELi32EEEvPT0_PKT_S7_iiiPKb: ; @_ZN12_GLOBAL__N_121softmax_warp_backwardIfN3c108BFloat16EfLi4ELb0ELb0ELi32EEEvPT0_PKT_S7_iiiPKb
; %bb.0:
	s_clause 0x1
	s_load_b32 s2, s[0:1], 0x3c
	s_load_b128 s[4:7], s[0:1], 0x18
	v_bfe_u32 v1, v0, 10, 10
	v_dual_mov_b32 v7, 0 :: v_dual_and_b32 v2, 15, v0
	s_load_b128 s[8:11], s[0:1], 0x0
	v_mov_b32_e32 v8, 0
	s_waitcnt lgkmcnt(0)
	s_lshr_b32 s2, s2, 16
	v_cmp_gt_i32_e32 vcc_lo, s6, v2
	s_mul_i32 s15, s15, s2
	s_load_b64 s[2:3], s[0:1], 0x10
	v_add_lshl_u32 v3, s15, v1, 1
	s_delay_alu instid0(VALU_DEP_1) | instskip(SKIP_1) | instid1(VALU_DEP_1)
	v_mad_u64_u32 v[0:1], null, v3, s5, v[2:3]
	v_sub_nc_u32_e32 v6, s4, v3
	v_cmp_lt_i32_e64 s0, 0, v6
	s_delay_alu instid0(VALU_DEP_3) | instskip(NEXT) | instid1(VALU_DEP_1)
	v_ashrrev_i32_e32 v1, 31, v0
	v_lshlrev_b64 v[9:10], 2, v[0:1]
	s_delay_alu instid0(VALU_DEP_1) | instskip(NEXT) | instid1(VALU_DEP_1)
	v_add_co_u32 v4, s1, s10, v9
	v_add_co_ci_u32_e64 v5, s1, s11, v10, s1
	s_waitcnt lgkmcnt(0)
	v_add_co_u32 v2, s1, s2, v9
	v_mov_b32_e32 v9, 0
	v_add_co_ci_u32_e64 v3, s1, s3, v10, s1
	s_and_b32 s2, vcc_lo, s0
	s_delay_alu instid0(SALU_CYCLE_1)
	s_and_saveexec_b32 s1, s2
	s_cbranch_execz .LBB651_2
; %bb.1:
	global_load_b32 v8, v[4:5], off
	global_load_b32 v9, v[2:3], off
.LBB651_2:
	s_or_b32 exec_lo, exec_lo, s1
	v_cmp_lt_i32_e64 s1, 1, v6
	v_mov_b32_e32 v10, 0
	s_mov_b32 s7, 0
	s_delay_alu instid0(VALU_DEP_2) | instskip(NEXT) | instid1(SALU_CYCLE_1)
	s_and_b32 s1, vcc_lo, s1
	s_and_saveexec_b32 s2, s1
	s_cbranch_execz .LBB651_4
; %bb.3:
	s_lshl_b64 s[4:5], s[6:7], 2
	s_delay_alu instid0(SALU_CYCLE_1) | instskip(NEXT) | instid1(VALU_DEP_1)
	v_add_co_u32 v4, s1, v4, s4
	v_add_co_ci_u32_e64 v5, s1, s5, v5, s1
	v_add_co_u32 v2, s1, v2, s4
	s_delay_alu instid0(VALU_DEP_1)
	v_add_co_ci_u32_e64 v3, s1, s5, v3, s1
	global_load_b32 v7, v[4:5], off
	global_load_b32 v10, v[2:3], off
.LBB651_4:
	s_or_b32 exec_lo, exec_lo, s2
	v_mbcnt_lo_u32_b32 v2, -1, 0
	s_waitcnt vmcnt(1)
	v_add_f32_e32 v11, 0, v7
	v_add_f32_e32 v5, 0, v8
	s_delay_alu instid0(VALU_DEP_3) | instskip(SKIP_2) | instid1(VALU_DEP_3)
	v_and_b32_e32 v3, 16, v2
	v_xor_b32_e32 v4, 8, v2
	v_xor_b32_e32 v13, 4, v2
	v_add_nc_u32_e32 v3, 16, v3
	s_delay_alu instid0(VALU_DEP_1) | instskip(NEXT) | instid1(VALU_DEP_1)
	v_cmp_lt_i32_e64 s1, v4, v3
	v_cndmask_b32_e64 v4, v2, v4, s1
	s_delay_alu instid0(VALU_DEP_4) | instskip(NEXT) | instid1(VALU_DEP_2)
	v_cmp_lt_i32_e64 s1, v13, v3
	v_lshlrev_b32_e32 v4, 2, v4
	s_delay_alu instid0(VALU_DEP_2)
	v_cndmask_b32_e64 v13, v2, v13, s1
	ds_bpermute_b32 v12, v4, v5
	ds_bpermute_b32 v4, v4, v11
	v_lshlrev_b32_e32 v13, 2, v13
	s_waitcnt lgkmcnt(1)
	v_add_f32_e32 v5, v5, v12
	s_waitcnt lgkmcnt(0)
	v_add_f32_e32 v4, v11, v4
	ds_bpermute_b32 v11, v13, v5
	ds_bpermute_b32 v12, v13, v4
	v_xor_b32_e32 v13, 2, v2
	s_delay_alu instid0(VALU_DEP_1) | instskip(NEXT) | instid1(VALU_DEP_1)
	v_cmp_lt_i32_e64 s1, v13, v3
	v_cndmask_b32_e64 v13, v2, v13, s1
	s_delay_alu instid0(VALU_DEP_1)
	v_lshlrev_b32_e32 v13, 2, v13
	s_waitcnt lgkmcnt(1)
	v_add_f32_e32 v5, v5, v11
	s_waitcnt lgkmcnt(0)
	v_add_f32_e32 v11, v4, v12
	ds_bpermute_b32 v4, v13, v5
	ds_bpermute_b32 v12, v13, v11
	v_xor_b32_e32 v13, 1, v2
	s_waitcnt lgkmcnt(1)
	v_add_f32_e32 v4, v5, v4
	s_delay_alu instid0(VALU_DEP_2) | instskip(NEXT) | instid1(VALU_DEP_1)
	v_cmp_lt_i32_e64 s1, v13, v3
	v_cndmask_b32_e64 v2, v2, v13, s1
	s_waitcnt lgkmcnt(0)
	s_delay_alu instid0(VALU_DEP_1)
	v_dual_add_f32 v2, v11, v12 :: v_dual_lshlrev_b32 v3, 2, v2
	ds_bpermute_b32 v5, v3, v4
	ds_bpermute_b32 v3, v3, v2
	s_and_saveexec_b32 s1, s0
	s_cbranch_execz .LBB651_10
; %bb.5:
	v_lshlrev_b64 v[0:1], 1, v[0:1]
	s_delay_alu instid0(VALU_DEP_1) | instskip(NEXT) | instid1(VALU_DEP_1)
	v_add_co_u32 v0, s0, s8, v0
	v_add_co_ci_u32_e64 v1, s0, s9, v1, s0
	s_and_saveexec_b32 s1, vcc_lo
	s_cbranch_execz .LBB651_7
; %bb.6:
	s_waitcnt lgkmcnt(1)
	v_add_f32_e32 v4, v4, v5
	s_waitcnt vmcnt(0)
	s_delay_alu instid0(VALU_DEP_1) | instskip(NEXT) | instid1(VALU_DEP_1)
	v_fma_f32 v4, -v4, v9, v8
	v_bfe_u32 v5, v4, 16, 1
	v_cmp_o_f32_e64 s0, v4, v4
	s_delay_alu instid0(VALU_DEP_2) | instskip(NEXT) | instid1(VALU_DEP_1)
	v_add3_u32 v5, v4, v5, 0x7fff
	v_lshrrev_b32_e32 v5, 16, v5
	s_delay_alu instid0(VALU_DEP_1)
	v_cndmask_b32_e64 v4, 0x7fc0, v5, s0
	global_store_b16 v[0:1], v4, off
.LBB651_7:
	s_or_b32 exec_lo, exec_lo, s1
	v_cmp_ne_u32_e64 s0, 1, v6
	s_delay_alu instid0(VALU_DEP_1)
	s_and_b32 exec_lo, exec_lo, s0
	s_cbranch_execz .LBB651_10
; %bb.8:
	s_and_b32 exec_lo, exec_lo, vcc_lo
	s_cbranch_execz .LBB651_10
; %bb.9:
	s_waitcnt lgkmcnt(0)
	v_add_f32_e32 v2, v2, v3
	s_lshl_b64 s[0:1], s[6:7], 1
	s_waitcnt vmcnt(0)
	s_delay_alu instid0(VALU_DEP_1) | instskip(NEXT) | instid1(VALU_DEP_1)
	v_fma_f32 v2, -v2, v10, v7
	v_bfe_u32 v3, v2, 16, 1
	v_cmp_o_f32_e32 vcc_lo, v2, v2
	s_delay_alu instid0(VALU_DEP_2) | instskip(NEXT) | instid1(VALU_DEP_1)
	v_add3_u32 v3, v2, v3, 0x7fff
	v_lshrrev_b32_e32 v3, 16, v3
	s_delay_alu instid0(VALU_DEP_1)
	v_cndmask_b32_e32 v2, 0x7fc0, v3, vcc_lo
	v_add_co_u32 v0, vcc_lo, v0, s0
	v_add_co_ci_u32_e32 v1, vcc_lo, s1, v1, vcc_lo
	global_store_b16 v[0:1], v2, off
.LBB651_10:
	s_nop 0
	s_sendmsg sendmsg(MSG_DEALLOC_VGPRS)
	s_endpgm
	.section	.rodata,"a",@progbits
	.p2align	6, 0x0
	.amdhsa_kernel _ZN12_GLOBAL__N_121softmax_warp_backwardIfN3c108BFloat16EfLi4ELb0ELb0ELi32EEEvPT0_PKT_S7_iiiPKb
		.amdhsa_group_segment_fixed_size 0
		.amdhsa_private_segment_fixed_size 0
		.amdhsa_kernarg_size 304
		.amdhsa_user_sgpr_count 15
		.amdhsa_user_sgpr_dispatch_ptr 0
		.amdhsa_user_sgpr_queue_ptr 0
		.amdhsa_user_sgpr_kernarg_segment_ptr 1
		.amdhsa_user_sgpr_dispatch_id 0
		.amdhsa_user_sgpr_private_segment_size 0
		.amdhsa_wavefront_size32 1
		.amdhsa_uses_dynamic_stack 0
		.amdhsa_enable_private_segment 0
		.amdhsa_system_sgpr_workgroup_id_x 1
		.amdhsa_system_sgpr_workgroup_id_y 0
		.amdhsa_system_sgpr_workgroup_id_z 0
		.amdhsa_system_sgpr_workgroup_info 0
		.amdhsa_system_vgpr_workitem_id 1
		.amdhsa_next_free_vgpr 14
		.amdhsa_next_free_sgpr 16
		.amdhsa_reserve_vcc 1
		.amdhsa_float_round_mode_32 0
		.amdhsa_float_round_mode_16_64 0
		.amdhsa_float_denorm_mode_32 3
		.amdhsa_float_denorm_mode_16_64 3
		.amdhsa_dx10_clamp 1
		.amdhsa_ieee_mode 1
		.amdhsa_fp16_overflow 0
		.amdhsa_workgroup_processor_mode 1
		.amdhsa_memory_ordered 1
		.amdhsa_forward_progress 0
		.amdhsa_shared_vgpr_count 0
		.amdhsa_exception_fp_ieee_invalid_op 0
		.amdhsa_exception_fp_denorm_src 0
		.amdhsa_exception_fp_ieee_div_zero 0
		.amdhsa_exception_fp_ieee_overflow 0
		.amdhsa_exception_fp_ieee_underflow 0
		.amdhsa_exception_fp_ieee_inexact 0
		.amdhsa_exception_int_div_zero 0
	.end_amdhsa_kernel
	.section	.text._ZN12_GLOBAL__N_121softmax_warp_backwardIfN3c108BFloat16EfLi4ELb0ELb0ELi32EEEvPT0_PKT_S7_iiiPKb,"axG",@progbits,_ZN12_GLOBAL__N_121softmax_warp_backwardIfN3c108BFloat16EfLi4ELb0ELb0ELi32EEEvPT0_PKT_S7_iiiPKb,comdat
.Lfunc_end651:
	.size	_ZN12_GLOBAL__N_121softmax_warp_backwardIfN3c108BFloat16EfLi4ELb0ELb0ELi32EEEvPT0_PKT_S7_iiiPKb, .Lfunc_end651-_ZN12_GLOBAL__N_121softmax_warp_backwardIfN3c108BFloat16EfLi4ELb0ELb0ELi32EEEvPT0_PKT_S7_iiiPKb
                                        ; -- End function
	.section	.AMDGPU.csdata,"",@progbits
; Kernel info:
; codeLenInByte = 828
; NumSgprs: 18
; NumVgprs: 14
; ScratchSize: 0
; MemoryBound: 0
; FloatMode: 240
; IeeeMode: 1
; LDSByteSize: 0 bytes/workgroup (compile time only)
; SGPRBlocks: 2
; VGPRBlocks: 1
; NumSGPRsForWavesPerEU: 18
; NumVGPRsForWavesPerEU: 14
; Occupancy: 16
; WaveLimiterHint : 0
; COMPUTE_PGM_RSRC2:SCRATCH_EN: 0
; COMPUTE_PGM_RSRC2:USER_SGPR: 15
; COMPUTE_PGM_RSRC2:TRAP_HANDLER: 0
; COMPUTE_PGM_RSRC2:TGID_X_EN: 1
; COMPUTE_PGM_RSRC2:TGID_Y_EN: 0
; COMPUTE_PGM_RSRC2:TGID_Z_EN: 0
; COMPUTE_PGM_RSRC2:TIDIG_COMP_CNT: 1
	.section	.text._ZN12_GLOBAL__N_121softmax_warp_backwardIfN3c108BFloat16EfLi5ELb0ELb0ELi64EEEvPT0_PKT_S7_iiiPKb,"axG",@progbits,_ZN12_GLOBAL__N_121softmax_warp_backwardIfN3c108BFloat16EfLi5ELb0ELb0ELi64EEEvPT0_PKT_S7_iiiPKb,comdat
	.globl	_ZN12_GLOBAL__N_121softmax_warp_backwardIfN3c108BFloat16EfLi5ELb0ELb0ELi64EEEvPT0_PKT_S7_iiiPKb ; -- Begin function _ZN12_GLOBAL__N_121softmax_warp_backwardIfN3c108BFloat16EfLi5ELb0ELb0ELi64EEEvPT0_PKT_S7_iiiPKb
	.p2align	8
	.type	_ZN12_GLOBAL__N_121softmax_warp_backwardIfN3c108BFloat16EfLi5ELb0ELb0ELi64EEEvPT0_PKT_S7_iiiPKb,@function
_ZN12_GLOBAL__N_121softmax_warp_backwardIfN3c108BFloat16EfLi5ELb0ELb0ELi64EEEvPT0_PKT_S7_iiiPKb: ; @_ZN12_GLOBAL__N_121softmax_warp_backwardIfN3c108BFloat16EfLi5ELb0ELb0ELi64EEEvPT0_PKT_S7_iiiPKb
; %bb.0:
	s_clause 0x1
	s_load_b32 s2, s[0:1], 0x3c
	s_load_b128 s[4:7], s[0:1], 0x18
	v_bfe_u32 v1, v0, 10, 10
	v_dual_mov_b32 v7, 0 :: v_dual_and_b32 v2, 31, v0
	s_load_b128 s[8:11], s[0:1], 0x0
	v_mov_b32_e32 v8, 0
	s_waitcnt lgkmcnt(0)
	s_lshr_b32 s2, s2, 16
	v_cmp_gt_i32_e32 vcc_lo, s6, v2
	s_mul_i32 s15, s15, s2
	s_load_b64 s[2:3], s[0:1], 0x10
	v_add_lshl_u32 v3, s15, v1, 1
	s_delay_alu instid0(VALU_DEP_1) | instskip(SKIP_1) | instid1(VALU_DEP_1)
	v_mad_u64_u32 v[0:1], null, v3, s5, v[2:3]
	v_sub_nc_u32_e32 v6, s4, v3
	v_cmp_lt_i32_e64 s0, 0, v6
	s_delay_alu instid0(VALU_DEP_3) | instskip(NEXT) | instid1(VALU_DEP_1)
	v_ashrrev_i32_e32 v1, 31, v0
	v_lshlrev_b64 v[9:10], 2, v[0:1]
	s_delay_alu instid0(VALU_DEP_1) | instskip(NEXT) | instid1(VALU_DEP_1)
	v_add_co_u32 v4, s1, s10, v9
	v_add_co_ci_u32_e64 v5, s1, s11, v10, s1
	s_waitcnt lgkmcnt(0)
	v_add_co_u32 v2, s1, s2, v9
	v_mov_b32_e32 v9, 0
	v_add_co_ci_u32_e64 v3, s1, s3, v10, s1
	s_and_b32 s2, vcc_lo, s0
	s_delay_alu instid0(SALU_CYCLE_1)
	s_and_saveexec_b32 s1, s2
	s_cbranch_execz .LBB652_2
; %bb.1:
	global_load_b32 v8, v[4:5], off
	global_load_b32 v9, v[2:3], off
.LBB652_2:
	s_or_b32 exec_lo, exec_lo, s1
	v_cmp_lt_i32_e64 s1, 1, v6
	v_mov_b32_e32 v10, 0
	s_mov_b32 s7, 0
	s_delay_alu instid0(VALU_DEP_2) | instskip(NEXT) | instid1(SALU_CYCLE_1)
	s_and_b32 s1, vcc_lo, s1
	s_and_saveexec_b32 s2, s1
	s_cbranch_execz .LBB652_4
; %bb.3:
	s_lshl_b64 s[4:5], s[6:7], 2
	s_delay_alu instid0(SALU_CYCLE_1) | instskip(NEXT) | instid1(VALU_DEP_1)
	v_add_co_u32 v4, s1, v4, s4
	v_add_co_ci_u32_e64 v5, s1, s5, v5, s1
	v_add_co_u32 v2, s1, v2, s4
	s_delay_alu instid0(VALU_DEP_1)
	v_add_co_ci_u32_e64 v3, s1, s5, v3, s1
	global_load_b32 v7, v[4:5], off
	global_load_b32 v10, v[2:3], off
.LBB652_4:
	s_or_b32 exec_lo, exec_lo, s2
	v_mbcnt_lo_u32_b32 v2, -1, 0
	s_delay_alu instid0(VALU_DEP_1) | instskip(SKIP_1) | instid1(VALU_DEP_2)
	v_xor_b32_e32 v3, 16, v2
	v_xor_b32_e32 v12, 8, v2
	v_cmp_gt_i32_e64 s1, 32, v3
	s_delay_alu instid0(VALU_DEP_1) | instskip(NEXT) | instid1(VALU_DEP_3)
	v_cndmask_b32_e64 v3, v2, v3, s1
	v_cmp_gt_i32_e64 s1, 32, v12
	s_waitcnt vmcnt(1)
	s_delay_alu instid0(VALU_DEP_2) | instskip(NEXT) | instid1(VALU_DEP_2)
	v_dual_add_f32 v4, 0, v8 :: v_dual_lshlrev_b32 v3, 2, v3
	v_cndmask_b32_e64 v12, v2, v12, s1
	v_add_f32_e32 v5, 0, v7
	ds_bpermute_b32 v11, v3, v4
	v_lshlrev_b32_e32 v12, 2, v12
	ds_bpermute_b32 v3, v3, v5
	s_waitcnt lgkmcnt(1)
	v_add_f32_e32 v4, v4, v11
	s_waitcnt lgkmcnt(0)
	v_add_f32_e32 v3, v5, v3
	ds_bpermute_b32 v5, v12, v4
	ds_bpermute_b32 v11, v12, v3
	v_xor_b32_e32 v12, 4, v2
	s_delay_alu instid0(VALU_DEP_1) | instskip(NEXT) | instid1(VALU_DEP_1)
	v_cmp_gt_i32_e64 s1, 32, v12
	v_cndmask_b32_e64 v12, v2, v12, s1
	s_delay_alu instid0(VALU_DEP_1)
	v_lshlrev_b32_e32 v12, 2, v12
	s_waitcnt lgkmcnt(0)
	v_dual_add_f32 v4, v4, v5 :: v_dual_add_f32 v3, v3, v11
	ds_bpermute_b32 v5, v12, v4
	ds_bpermute_b32 v11, v12, v3
	v_xor_b32_e32 v12, 2, v2
	s_delay_alu instid0(VALU_DEP_1) | instskip(NEXT) | instid1(VALU_DEP_1)
	v_cmp_gt_i32_e64 s1, 32, v12
	v_cndmask_b32_e64 v12, v2, v12, s1
	s_delay_alu instid0(VALU_DEP_1)
	v_lshlrev_b32_e32 v12, 2, v12
	s_waitcnt lgkmcnt(0)
	v_dual_add_f32 v4, v4, v5 :: v_dual_add_f32 v3, v3, v11
	ds_bpermute_b32 v5, v12, v4
	ds_bpermute_b32 v11, v12, v3
	v_xor_b32_e32 v12, 1, v2
	s_delay_alu instid0(VALU_DEP_1) | instskip(NEXT) | instid1(VALU_DEP_1)
	v_cmp_gt_i32_e64 s1, 32, v12
	v_cndmask_b32_e64 v2, v2, v12, s1
	s_delay_alu instid0(VALU_DEP_1)
	v_lshlrev_b32_e32 v12, 2, v2
	s_waitcnt lgkmcnt(1)
	v_add_f32_e32 v4, v4, v5
	s_waitcnt lgkmcnt(0)
	v_add_f32_e32 v2, v3, v11
	ds_bpermute_b32 v5, v12, v4
	ds_bpermute_b32 v3, v12, v2
	s_and_saveexec_b32 s1, s0
	s_cbranch_execz .LBB652_10
; %bb.5:
	v_lshlrev_b64 v[0:1], 1, v[0:1]
	s_delay_alu instid0(VALU_DEP_1) | instskip(NEXT) | instid1(VALU_DEP_1)
	v_add_co_u32 v0, s0, s8, v0
	v_add_co_ci_u32_e64 v1, s0, s9, v1, s0
	s_and_saveexec_b32 s1, vcc_lo
	s_cbranch_execz .LBB652_7
; %bb.6:
	s_waitcnt lgkmcnt(1)
	v_add_f32_e32 v4, v4, v5
	s_waitcnt vmcnt(0)
	s_delay_alu instid0(VALU_DEP_1) | instskip(NEXT) | instid1(VALU_DEP_1)
	v_fma_f32 v4, -v4, v9, v8
	v_bfe_u32 v5, v4, 16, 1
	v_cmp_o_f32_e64 s0, v4, v4
	s_delay_alu instid0(VALU_DEP_2) | instskip(NEXT) | instid1(VALU_DEP_1)
	v_add3_u32 v5, v4, v5, 0x7fff
	v_lshrrev_b32_e32 v5, 16, v5
	s_delay_alu instid0(VALU_DEP_1)
	v_cndmask_b32_e64 v4, 0x7fc0, v5, s0
	global_store_b16 v[0:1], v4, off
.LBB652_7:
	s_or_b32 exec_lo, exec_lo, s1
	v_cmp_ne_u32_e64 s0, 1, v6
	s_delay_alu instid0(VALU_DEP_1)
	s_and_b32 exec_lo, exec_lo, s0
	s_cbranch_execz .LBB652_10
; %bb.8:
	s_and_b32 exec_lo, exec_lo, vcc_lo
	s_cbranch_execz .LBB652_10
; %bb.9:
	s_waitcnt lgkmcnt(0)
	v_add_f32_e32 v2, v2, v3
	s_lshl_b64 s[0:1], s[6:7], 1
	s_waitcnt vmcnt(0)
	s_delay_alu instid0(VALU_DEP_1) | instskip(NEXT) | instid1(VALU_DEP_1)
	v_fma_f32 v2, -v2, v10, v7
	v_bfe_u32 v3, v2, 16, 1
	v_cmp_o_f32_e32 vcc_lo, v2, v2
	s_delay_alu instid0(VALU_DEP_2) | instskip(NEXT) | instid1(VALU_DEP_1)
	v_add3_u32 v3, v2, v3, 0x7fff
	v_lshrrev_b32_e32 v3, 16, v3
	s_delay_alu instid0(VALU_DEP_1)
	v_cndmask_b32_e32 v2, 0x7fc0, v3, vcc_lo
	v_add_co_u32 v0, vcc_lo, v0, s0
	v_add_co_ci_u32_e32 v1, vcc_lo, s1, v1, vcc_lo
	global_store_b16 v[0:1], v2, off
.LBB652_10:
	s_nop 0
	s_sendmsg sendmsg(MSG_DEALLOC_VGPRS)
	s_endpgm
	.section	.rodata,"a",@progbits
	.p2align	6, 0x0
	.amdhsa_kernel _ZN12_GLOBAL__N_121softmax_warp_backwardIfN3c108BFloat16EfLi5ELb0ELb0ELi64EEEvPT0_PKT_S7_iiiPKb
		.amdhsa_group_segment_fixed_size 0
		.amdhsa_private_segment_fixed_size 0
		.amdhsa_kernarg_size 304
		.amdhsa_user_sgpr_count 15
		.amdhsa_user_sgpr_dispatch_ptr 0
		.amdhsa_user_sgpr_queue_ptr 0
		.amdhsa_user_sgpr_kernarg_segment_ptr 1
		.amdhsa_user_sgpr_dispatch_id 0
		.amdhsa_user_sgpr_private_segment_size 0
		.amdhsa_wavefront_size32 1
		.amdhsa_uses_dynamic_stack 0
		.amdhsa_enable_private_segment 0
		.amdhsa_system_sgpr_workgroup_id_x 1
		.amdhsa_system_sgpr_workgroup_id_y 0
		.amdhsa_system_sgpr_workgroup_id_z 0
		.amdhsa_system_sgpr_workgroup_info 0
		.amdhsa_system_vgpr_workitem_id 1
		.amdhsa_next_free_vgpr 13
		.amdhsa_next_free_sgpr 16
		.amdhsa_reserve_vcc 1
		.amdhsa_float_round_mode_32 0
		.amdhsa_float_round_mode_16_64 0
		.amdhsa_float_denorm_mode_32 3
		.amdhsa_float_denorm_mode_16_64 3
		.amdhsa_dx10_clamp 1
		.amdhsa_ieee_mode 1
		.amdhsa_fp16_overflow 0
		.amdhsa_workgroup_processor_mode 1
		.amdhsa_memory_ordered 1
		.amdhsa_forward_progress 0
		.amdhsa_shared_vgpr_count 0
		.amdhsa_exception_fp_ieee_invalid_op 0
		.amdhsa_exception_fp_denorm_src 0
		.amdhsa_exception_fp_ieee_div_zero 0
		.amdhsa_exception_fp_ieee_overflow 0
		.amdhsa_exception_fp_ieee_underflow 0
		.amdhsa_exception_fp_ieee_inexact 0
		.amdhsa_exception_int_div_zero 0
	.end_amdhsa_kernel
	.section	.text._ZN12_GLOBAL__N_121softmax_warp_backwardIfN3c108BFloat16EfLi5ELb0ELb0ELi64EEEvPT0_PKT_S7_iiiPKb,"axG",@progbits,_ZN12_GLOBAL__N_121softmax_warp_backwardIfN3c108BFloat16EfLi5ELb0ELb0ELi64EEEvPT0_PKT_S7_iiiPKb,comdat
.Lfunc_end652:
	.size	_ZN12_GLOBAL__N_121softmax_warp_backwardIfN3c108BFloat16EfLi5ELb0ELb0ELi64EEEvPT0_PKT_S7_iiiPKb, .Lfunc_end652-_ZN12_GLOBAL__N_121softmax_warp_backwardIfN3c108BFloat16EfLi5ELb0ELb0ELi64EEEvPT0_PKT_S7_iiiPKb
                                        ; -- End function
	.section	.AMDGPU.csdata,"",@progbits
; Kernel info:
; codeLenInByte = 872
; NumSgprs: 18
; NumVgprs: 13
; ScratchSize: 0
; MemoryBound: 0
; FloatMode: 240
; IeeeMode: 1
; LDSByteSize: 0 bytes/workgroup (compile time only)
; SGPRBlocks: 2
; VGPRBlocks: 1
; NumSGPRsForWavesPerEU: 18
; NumVGPRsForWavesPerEU: 13
; Occupancy: 16
; WaveLimiterHint : 0
; COMPUTE_PGM_RSRC2:SCRATCH_EN: 0
; COMPUTE_PGM_RSRC2:USER_SGPR: 15
; COMPUTE_PGM_RSRC2:TRAP_HANDLER: 0
; COMPUTE_PGM_RSRC2:TGID_X_EN: 1
; COMPUTE_PGM_RSRC2:TGID_Y_EN: 0
; COMPUTE_PGM_RSRC2:TGID_Z_EN: 0
; COMPUTE_PGM_RSRC2:TIDIG_COMP_CNT: 1
	.section	.text._ZN12_GLOBAL__N_121softmax_warp_backwardIfN3c108BFloat16EfLi5ELb0ELb0ELi32EEEvPT0_PKT_S7_iiiPKb,"axG",@progbits,_ZN12_GLOBAL__N_121softmax_warp_backwardIfN3c108BFloat16EfLi5ELb0ELb0ELi32EEEvPT0_PKT_S7_iiiPKb,comdat
	.globl	_ZN12_GLOBAL__N_121softmax_warp_backwardIfN3c108BFloat16EfLi5ELb0ELb0ELi32EEEvPT0_PKT_S7_iiiPKb ; -- Begin function _ZN12_GLOBAL__N_121softmax_warp_backwardIfN3c108BFloat16EfLi5ELb0ELb0ELi32EEEvPT0_PKT_S7_iiiPKb
	.p2align	8
	.type	_ZN12_GLOBAL__N_121softmax_warp_backwardIfN3c108BFloat16EfLi5ELb0ELb0ELi32EEEvPT0_PKT_S7_iiiPKb,@function
_ZN12_GLOBAL__N_121softmax_warp_backwardIfN3c108BFloat16EfLi5ELb0ELb0ELi32EEEvPT0_PKT_S7_iiiPKb: ; @_ZN12_GLOBAL__N_121softmax_warp_backwardIfN3c108BFloat16EfLi5ELb0ELb0ELi32EEEvPT0_PKT_S7_iiiPKb
; %bb.0:
	s_clause 0x1
	s_load_b32 s2, s[0:1], 0x3c
	s_load_b128 s[4:7], s[0:1], 0x18
	v_bfe_u32 v1, v0, 10, 10
	v_dual_mov_b32 v7, 0 :: v_dual_and_b32 v2, 31, v0
	s_load_b128 s[8:11], s[0:1], 0x0
	v_mov_b32_e32 v8, 0
	s_waitcnt lgkmcnt(0)
	s_lshr_b32 s2, s2, 16
	v_cmp_gt_i32_e32 vcc_lo, s6, v2
	s_mul_i32 s15, s15, s2
	s_load_b64 s[2:3], s[0:1], 0x10
	v_add_lshl_u32 v3, s15, v1, 1
	s_delay_alu instid0(VALU_DEP_1) | instskip(SKIP_1) | instid1(VALU_DEP_1)
	v_mad_u64_u32 v[0:1], null, v3, s5, v[2:3]
	v_sub_nc_u32_e32 v6, s4, v3
	v_cmp_lt_i32_e64 s0, 0, v6
	s_delay_alu instid0(VALU_DEP_3) | instskip(NEXT) | instid1(VALU_DEP_1)
	v_ashrrev_i32_e32 v1, 31, v0
	v_lshlrev_b64 v[9:10], 2, v[0:1]
	s_delay_alu instid0(VALU_DEP_1) | instskip(NEXT) | instid1(VALU_DEP_1)
	v_add_co_u32 v4, s1, s10, v9
	v_add_co_ci_u32_e64 v5, s1, s11, v10, s1
	s_waitcnt lgkmcnt(0)
	v_add_co_u32 v2, s1, s2, v9
	v_mov_b32_e32 v9, 0
	v_add_co_ci_u32_e64 v3, s1, s3, v10, s1
	s_and_b32 s2, vcc_lo, s0
	s_delay_alu instid0(SALU_CYCLE_1)
	s_and_saveexec_b32 s1, s2
	s_cbranch_execz .LBB653_2
; %bb.1:
	global_load_b32 v8, v[4:5], off
	global_load_b32 v9, v[2:3], off
.LBB653_2:
	s_or_b32 exec_lo, exec_lo, s1
	v_cmp_lt_i32_e64 s1, 1, v6
	v_mov_b32_e32 v10, 0
	s_mov_b32 s7, 0
	s_delay_alu instid0(VALU_DEP_2) | instskip(NEXT) | instid1(SALU_CYCLE_1)
	s_and_b32 s1, vcc_lo, s1
	s_and_saveexec_b32 s2, s1
	s_cbranch_execz .LBB653_4
; %bb.3:
	s_lshl_b64 s[4:5], s[6:7], 2
	s_delay_alu instid0(SALU_CYCLE_1) | instskip(NEXT) | instid1(VALU_DEP_1)
	v_add_co_u32 v4, s1, v4, s4
	v_add_co_ci_u32_e64 v5, s1, s5, v5, s1
	v_add_co_u32 v2, s1, v2, s4
	s_delay_alu instid0(VALU_DEP_1)
	v_add_co_ci_u32_e64 v3, s1, s5, v3, s1
	global_load_b32 v7, v[4:5], off
	global_load_b32 v10, v[2:3], off
.LBB653_4:
	s_or_b32 exec_lo, exec_lo, s2
	v_mbcnt_lo_u32_b32 v2, -1, 0
	s_delay_alu instid0(VALU_DEP_1) | instskip(SKIP_1) | instid1(VALU_DEP_2)
	v_xor_b32_e32 v3, 16, v2
	v_xor_b32_e32 v12, 8, v2
	v_cmp_gt_i32_e64 s1, 32, v3
	s_delay_alu instid0(VALU_DEP_1) | instskip(NEXT) | instid1(VALU_DEP_3)
	v_cndmask_b32_e64 v3, v2, v3, s1
	v_cmp_gt_i32_e64 s1, 32, v12
	s_waitcnt vmcnt(1)
	s_delay_alu instid0(VALU_DEP_2) | instskip(NEXT) | instid1(VALU_DEP_2)
	v_dual_add_f32 v4, 0, v8 :: v_dual_lshlrev_b32 v3, 2, v3
	v_cndmask_b32_e64 v12, v2, v12, s1
	v_add_f32_e32 v5, 0, v7
	ds_bpermute_b32 v11, v3, v4
	v_lshlrev_b32_e32 v12, 2, v12
	ds_bpermute_b32 v3, v3, v5
	s_waitcnt lgkmcnt(1)
	v_add_f32_e32 v4, v4, v11
	s_waitcnt lgkmcnt(0)
	v_add_f32_e32 v3, v5, v3
	ds_bpermute_b32 v5, v12, v4
	ds_bpermute_b32 v11, v12, v3
	v_xor_b32_e32 v12, 4, v2
	s_delay_alu instid0(VALU_DEP_1) | instskip(NEXT) | instid1(VALU_DEP_1)
	v_cmp_gt_i32_e64 s1, 32, v12
	v_cndmask_b32_e64 v12, v2, v12, s1
	s_delay_alu instid0(VALU_DEP_1)
	v_lshlrev_b32_e32 v12, 2, v12
	s_waitcnt lgkmcnt(0)
	v_dual_add_f32 v4, v4, v5 :: v_dual_add_f32 v3, v3, v11
	ds_bpermute_b32 v5, v12, v4
	ds_bpermute_b32 v11, v12, v3
	v_xor_b32_e32 v12, 2, v2
	s_delay_alu instid0(VALU_DEP_1) | instskip(NEXT) | instid1(VALU_DEP_1)
	v_cmp_gt_i32_e64 s1, 32, v12
	v_cndmask_b32_e64 v12, v2, v12, s1
	s_delay_alu instid0(VALU_DEP_1)
	v_lshlrev_b32_e32 v12, 2, v12
	s_waitcnt lgkmcnt(0)
	v_dual_add_f32 v4, v4, v5 :: v_dual_add_f32 v3, v3, v11
	ds_bpermute_b32 v5, v12, v4
	ds_bpermute_b32 v11, v12, v3
	v_xor_b32_e32 v12, 1, v2
	s_delay_alu instid0(VALU_DEP_1) | instskip(NEXT) | instid1(VALU_DEP_1)
	v_cmp_gt_i32_e64 s1, 32, v12
	v_cndmask_b32_e64 v2, v2, v12, s1
	s_delay_alu instid0(VALU_DEP_1)
	v_lshlrev_b32_e32 v12, 2, v2
	s_waitcnt lgkmcnt(1)
	v_add_f32_e32 v4, v4, v5
	s_waitcnt lgkmcnt(0)
	v_add_f32_e32 v2, v3, v11
	ds_bpermute_b32 v5, v12, v4
	ds_bpermute_b32 v3, v12, v2
	s_and_saveexec_b32 s1, s0
	s_cbranch_execz .LBB653_10
; %bb.5:
	v_lshlrev_b64 v[0:1], 1, v[0:1]
	s_delay_alu instid0(VALU_DEP_1) | instskip(NEXT) | instid1(VALU_DEP_1)
	v_add_co_u32 v0, s0, s8, v0
	v_add_co_ci_u32_e64 v1, s0, s9, v1, s0
	s_and_saveexec_b32 s1, vcc_lo
	s_cbranch_execz .LBB653_7
; %bb.6:
	s_waitcnt lgkmcnt(1)
	v_add_f32_e32 v4, v4, v5
	s_waitcnt vmcnt(0)
	s_delay_alu instid0(VALU_DEP_1) | instskip(NEXT) | instid1(VALU_DEP_1)
	v_fma_f32 v4, -v4, v9, v8
	v_bfe_u32 v5, v4, 16, 1
	v_cmp_o_f32_e64 s0, v4, v4
	s_delay_alu instid0(VALU_DEP_2) | instskip(NEXT) | instid1(VALU_DEP_1)
	v_add3_u32 v5, v4, v5, 0x7fff
	v_lshrrev_b32_e32 v5, 16, v5
	s_delay_alu instid0(VALU_DEP_1)
	v_cndmask_b32_e64 v4, 0x7fc0, v5, s0
	global_store_b16 v[0:1], v4, off
.LBB653_7:
	s_or_b32 exec_lo, exec_lo, s1
	v_cmp_ne_u32_e64 s0, 1, v6
	s_delay_alu instid0(VALU_DEP_1)
	s_and_b32 exec_lo, exec_lo, s0
	s_cbranch_execz .LBB653_10
; %bb.8:
	s_and_b32 exec_lo, exec_lo, vcc_lo
	s_cbranch_execz .LBB653_10
; %bb.9:
	s_waitcnt lgkmcnt(0)
	v_add_f32_e32 v2, v2, v3
	s_lshl_b64 s[0:1], s[6:7], 1
	s_waitcnt vmcnt(0)
	s_delay_alu instid0(VALU_DEP_1) | instskip(NEXT) | instid1(VALU_DEP_1)
	v_fma_f32 v2, -v2, v10, v7
	v_bfe_u32 v3, v2, 16, 1
	v_cmp_o_f32_e32 vcc_lo, v2, v2
	s_delay_alu instid0(VALU_DEP_2) | instskip(NEXT) | instid1(VALU_DEP_1)
	v_add3_u32 v3, v2, v3, 0x7fff
	v_lshrrev_b32_e32 v3, 16, v3
	s_delay_alu instid0(VALU_DEP_1)
	v_cndmask_b32_e32 v2, 0x7fc0, v3, vcc_lo
	v_add_co_u32 v0, vcc_lo, v0, s0
	v_add_co_ci_u32_e32 v1, vcc_lo, s1, v1, vcc_lo
	global_store_b16 v[0:1], v2, off
.LBB653_10:
	s_nop 0
	s_sendmsg sendmsg(MSG_DEALLOC_VGPRS)
	s_endpgm
	.section	.rodata,"a",@progbits
	.p2align	6, 0x0
	.amdhsa_kernel _ZN12_GLOBAL__N_121softmax_warp_backwardIfN3c108BFloat16EfLi5ELb0ELb0ELi32EEEvPT0_PKT_S7_iiiPKb
		.amdhsa_group_segment_fixed_size 0
		.amdhsa_private_segment_fixed_size 0
		.amdhsa_kernarg_size 304
		.amdhsa_user_sgpr_count 15
		.amdhsa_user_sgpr_dispatch_ptr 0
		.amdhsa_user_sgpr_queue_ptr 0
		.amdhsa_user_sgpr_kernarg_segment_ptr 1
		.amdhsa_user_sgpr_dispatch_id 0
		.amdhsa_user_sgpr_private_segment_size 0
		.amdhsa_wavefront_size32 1
		.amdhsa_uses_dynamic_stack 0
		.amdhsa_enable_private_segment 0
		.amdhsa_system_sgpr_workgroup_id_x 1
		.amdhsa_system_sgpr_workgroup_id_y 0
		.amdhsa_system_sgpr_workgroup_id_z 0
		.amdhsa_system_sgpr_workgroup_info 0
		.amdhsa_system_vgpr_workitem_id 1
		.amdhsa_next_free_vgpr 13
		.amdhsa_next_free_sgpr 16
		.amdhsa_reserve_vcc 1
		.amdhsa_float_round_mode_32 0
		.amdhsa_float_round_mode_16_64 0
		.amdhsa_float_denorm_mode_32 3
		.amdhsa_float_denorm_mode_16_64 3
		.amdhsa_dx10_clamp 1
		.amdhsa_ieee_mode 1
		.amdhsa_fp16_overflow 0
		.amdhsa_workgroup_processor_mode 1
		.amdhsa_memory_ordered 1
		.amdhsa_forward_progress 0
		.amdhsa_shared_vgpr_count 0
		.amdhsa_exception_fp_ieee_invalid_op 0
		.amdhsa_exception_fp_denorm_src 0
		.amdhsa_exception_fp_ieee_div_zero 0
		.amdhsa_exception_fp_ieee_overflow 0
		.amdhsa_exception_fp_ieee_underflow 0
		.amdhsa_exception_fp_ieee_inexact 0
		.amdhsa_exception_int_div_zero 0
	.end_amdhsa_kernel
	.section	.text._ZN12_GLOBAL__N_121softmax_warp_backwardIfN3c108BFloat16EfLi5ELb0ELb0ELi32EEEvPT0_PKT_S7_iiiPKb,"axG",@progbits,_ZN12_GLOBAL__N_121softmax_warp_backwardIfN3c108BFloat16EfLi5ELb0ELb0ELi32EEEvPT0_PKT_S7_iiiPKb,comdat
.Lfunc_end653:
	.size	_ZN12_GLOBAL__N_121softmax_warp_backwardIfN3c108BFloat16EfLi5ELb0ELb0ELi32EEEvPT0_PKT_S7_iiiPKb, .Lfunc_end653-_ZN12_GLOBAL__N_121softmax_warp_backwardIfN3c108BFloat16EfLi5ELb0ELb0ELi32EEEvPT0_PKT_S7_iiiPKb
                                        ; -- End function
	.section	.AMDGPU.csdata,"",@progbits
; Kernel info:
; codeLenInByte = 872
; NumSgprs: 18
; NumVgprs: 13
; ScratchSize: 0
; MemoryBound: 0
; FloatMode: 240
; IeeeMode: 1
; LDSByteSize: 0 bytes/workgroup (compile time only)
; SGPRBlocks: 2
; VGPRBlocks: 1
; NumSGPRsForWavesPerEU: 18
; NumVGPRsForWavesPerEU: 13
; Occupancy: 16
; WaveLimiterHint : 0
; COMPUTE_PGM_RSRC2:SCRATCH_EN: 0
; COMPUTE_PGM_RSRC2:USER_SGPR: 15
; COMPUTE_PGM_RSRC2:TRAP_HANDLER: 0
; COMPUTE_PGM_RSRC2:TGID_X_EN: 1
; COMPUTE_PGM_RSRC2:TGID_Y_EN: 0
; COMPUTE_PGM_RSRC2:TGID_Z_EN: 0
; COMPUTE_PGM_RSRC2:TIDIG_COMP_CNT: 1
	.section	.text._ZN12_GLOBAL__N_121softmax_warp_backwardIfN3c108BFloat16EfLi6ELb0ELb0ELi64EEEvPT0_PKT_S7_iiiPKb,"axG",@progbits,_ZN12_GLOBAL__N_121softmax_warp_backwardIfN3c108BFloat16EfLi6ELb0ELb0ELi64EEEvPT0_PKT_S7_iiiPKb,comdat
	.globl	_ZN12_GLOBAL__N_121softmax_warp_backwardIfN3c108BFloat16EfLi6ELb0ELb0ELi64EEEvPT0_PKT_S7_iiiPKb ; -- Begin function _ZN12_GLOBAL__N_121softmax_warp_backwardIfN3c108BFloat16EfLi6ELb0ELb0ELi64EEEvPT0_PKT_S7_iiiPKb
	.p2align	8
	.type	_ZN12_GLOBAL__N_121softmax_warp_backwardIfN3c108BFloat16EfLi6ELb0ELb0ELi64EEEvPT0_PKT_S7_iiiPKb,@function
_ZN12_GLOBAL__N_121softmax_warp_backwardIfN3c108BFloat16EfLi6ELb0ELb0ELi64EEEvPT0_PKT_S7_iiiPKb: ; @_ZN12_GLOBAL__N_121softmax_warp_backwardIfN3c108BFloat16EfLi6ELb0ELb0ELi64EEEvPT0_PKT_S7_iiiPKb
; %bb.0:
	s_clause 0x1
	s_load_b32 s2, s[0:1], 0x3c
	s_load_b128 s[4:7], s[0:1], 0x18
	v_bfe_u32 v1, v0, 10, 10
	v_dual_mov_b32 v7, 0 :: v_dual_and_b32 v2, 63, v0
	s_load_b128 s[8:11], s[0:1], 0x0
	v_mov_b32_e32 v8, 0
	s_waitcnt lgkmcnt(0)
	s_lshr_b32 s2, s2, 16
	v_cmp_gt_i32_e32 vcc_lo, s6, v2
	s_mul_i32 s15, s15, s2
	s_load_b64 s[2:3], s[0:1], 0x10
	v_add_lshl_u32 v3, s15, v1, 1
	s_delay_alu instid0(VALU_DEP_1) | instskip(SKIP_1) | instid1(VALU_DEP_1)
	v_mad_u64_u32 v[0:1], null, v3, s5, v[2:3]
	v_sub_nc_u32_e32 v6, s4, v3
	v_cmp_lt_i32_e64 s0, 0, v6
	s_delay_alu instid0(VALU_DEP_3) | instskip(NEXT) | instid1(VALU_DEP_1)
	v_ashrrev_i32_e32 v1, 31, v0
	v_lshlrev_b64 v[9:10], 2, v[0:1]
	s_delay_alu instid0(VALU_DEP_1) | instskip(NEXT) | instid1(VALU_DEP_1)
	v_add_co_u32 v4, s1, s10, v9
	v_add_co_ci_u32_e64 v5, s1, s11, v10, s1
	s_waitcnt lgkmcnt(0)
	v_add_co_u32 v2, s1, s2, v9
	v_mov_b32_e32 v9, 0
	v_add_co_ci_u32_e64 v3, s1, s3, v10, s1
	s_and_b32 s2, vcc_lo, s0
	s_delay_alu instid0(SALU_CYCLE_1)
	s_and_saveexec_b32 s1, s2
	s_cbranch_execz .LBB654_2
; %bb.1:
	global_load_b32 v8, v[4:5], off
	global_load_b32 v9, v[2:3], off
.LBB654_2:
	s_or_b32 exec_lo, exec_lo, s1
	v_cmp_lt_i32_e64 s1, 1, v6
	v_mov_b32_e32 v10, 0
	s_mov_b32 s7, 0
	s_delay_alu instid0(VALU_DEP_2) | instskip(NEXT) | instid1(SALU_CYCLE_1)
	s_and_b32 s1, vcc_lo, s1
	s_and_saveexec_b32 s2, s1
	s_cbranch_execz .LBB654_4
; %bb.3:
	s_lshl_b64 s[4:5], s[6:7], 2
	s_delay_alu instid0(SALU_CYCLE_1) | instskip(NEXT) | instid1(VALU_DEP_1)
	v_add_co_u32 v4, s1, v4, s4
	v_add_co_ci_u32_e64 v5, s1, s5, v5, s1
	v_add_co_u32 v2, s1, v2, s4
	s_delay_alu instid0(VALU_DEP_1)
	v_add_co_ci_u32_e64 v3, s1, s5, v3, s1
	global_load_b32 v7, v[4:5], off
	global_load_b32 v10, v[2:3], off
.LBB654_4:
	s_or_b32 exec_lo, exec_lo, s2
	v_mbcnt_lo_u32_b32 v2, -1, 0
	s_delay_alu instid0(VALU_DEP_1) | instskip(SKIP_1) | instid1(VALU_DEP_2)
	v_or_b32_e32 v3, 32, v2
	v_xor_b32_e32 v12, 16, v2
	v_cmp_gt_i32_e64 s1, 64, v3
	s_delay_alu instid0(VALU_DEP_1) | instskip(NEXT) | instid1(VALU_DEP_3)
	v_cndmask_b32_e64 v3, v2, v3, s1
	v_cmp_gt_i32_e64 s1, 64, v12
	s_waitcnt vmcnt(1)
	s_delay_alu instid0(VALU_DEP_2) | instskip(NEXT) | instid1(VALU_DEP_2)
	v_dual_add_f32 v4, 0, v8 :: v_dual_lshlrev_b32 v3, 2, v3
	v_cndmask_b32_e64 v12, v2, v12, s1
	v_add_f32_e32 v5, 0, v7
	ds_bpermute_b32 v11, v3, v4
	v_lshlrev_b32_e32 v12, 2, v12
	ds_bpermute_b32 v3, v3, v5
	s_waitcnt lgkmcnt(1)
	v_add_f32_e32 v4, v4, v11
	s_waitcnt lgkmcnt(0)
	v_add_f32_e32 v3, v5, v3
	ds_bpermute_b32 v5, v12, v4
	ds_bpermute_b32 v11, v12, v3
	v_xor_b32_e32 v12, 8, v2
	s_delay_alu instid0(VALU_DEP_1) | instskip(NEXT) | instid1(VALU_DEP_1)
	v_cmp_gt_i32_e64 s1, 64, v12
	v_cndmask_b32_e64 v12, v2, v12, s1
	s_delay_alu instid0(VALU_DEP_1)
	v_lshlrev_b32_e32 v12, 2, v12
	s_waitcnt lgkmcnt(0)
	v_dual_add_f32 v4, v4, v5 :: v_dual_add_f32 v3, v3, v11
	ds_bpermute_b32 v5, v12, v4
	ds_bpermute_b32 v11, v12, v3
	v_xor_b32_e32 v12, 4, v2
	s_delay_alu instid0(VALU_DEP_1) | instskip(NEXT) | instid1(VALU_DEP_1)
	v_cmp_gt_i32_e64 s1, 64, v12
	v_cndmask_b32_e64 v12, v2, v12, s1
	s_waitcnt lgkmcnt(0)
	s_delay_alu instid0(VALU_DEP_1)
	v_dual_add_f32 v3, v3, v11 :: v_dual_lshlrev_b32 v12, 2, v12
	ds_bpermute_b32 v11, v12, v3
	s_waitcnt lgkmcnt(0)
	v_dual_add_f32 v4, v4, v5 :: v_dual_add_f32 v3, v3, v11
	ds_bpermute_b32 v5, v12, v4
	v_xor_b32_e32 v12, 2, v2
	s_delay_alu instid0(VALU_DEP_1) | instskip(NEXT) | instid1(VALU_DEP_1)
	v_cmp_gt_i32_e64 s1, 64, v12
	v_cndmask_b32_e64 v12, v2, v12, s1
	s_delay_alu instid0(VALU_DEP_1)
	v_lshlrev_b32_e32 v12, 2, v12
	s_waitcnt lgkmcnt(0)
	v_add_f32_e32 v4, v4, v5
	ds_bpermute_b32 v11, v12, v3
	ds_bpermute_b32 v5, v12, v4
	v_xor_b32_e32 v12, 1, v2
	s_delay_alu instid0(VALU_DEP_1) | instskip(NEXT) | instid1(VALU_DEP_1)
	v_cmp_gt_i32_e64 s1, 64, v12
	v_cndmask_b32_e64 v2, v2, v12, s1
	s_delay_alu instid0(VALU_DEP_1)
	v_lshlrev_b32_e32 v12, 2, v2
	s_waitcnt lgkmcnt(1)
	v_add_f32_e32 v2, v3, v11
	s_waitcnt lgkmcnt(0)
	v_add_f32_e32 v4, v4, v5
	ds_bpermute_b32 v3, v12, v2
	ds_bpermute_b32 v5, v12, v4
	s_and_saveexec_b32 s1, s0
	s_cbranch_execz .LBB654_10
; %bb.5:
	v_lshlrev_b64 v[0:1], 1, v[0:1]
	s_delay_alu instid0(VALU_DEP_1) | instskip(NEXT) | instid1(VALU_DEP_1)
	v_add_co_u32 v0, s0, s8, v0
	v_add_co_ci_u32_e64 v1, s0, s9, v1, s0
	s_and_saveexec_b32 s1, vcc_lo
	s_cbranch_execz .LBB654_7
; %bb.6:
	s_waitcnt lgkmcnt(0)
	v_add_f32_e32 v4, v4, v5
	s_waitcnt vmcnt(0)
	s_delay_alu instid0(VALU_DEP_1) | instskip(NEXT) | instid1(VALU_DEP_1)
	v_fma_f32 v4, -v4, v9, v8
	v_bfe_u32 v5, v4, 16, 1
	v_cmp_o_f32_e64 s0, v4, v4
	s_delay_alu instid0(VALU_DEP_2) | instskip(NEXT) | instid1(VALU_DEP_1)
	v_add3_u32 v5, v4, v5, 0x7fff
	v_lshrrev_b32_e32 v5, 16, v5
	s_delay_alu instid0(VALU_DEP_1)
	v_cndmask_b32_e64 v4, 0x7fc0, v5, s0
	global_store_b16 v[0:1], v4, off
.LBB654_7:
	s_or_b32 exec_lo, exec_lo, s1
	v_cmp_ne_u32_e64 s0, 1, v6
	s_delay_alu instid0(VALU_DEP_1)
	s_and_b32 exec_lo, exec_lo, s0
	s_cbranch_execz .LBB654_10
; %bb.8:
	s_and_b32 exec_lo, exec_lo, vcc_lo
	s_cbranch_execz .LBB654_10
; %bb.9:
	s_waitcnt lgkmcnt(1)
	v_add_f32_e32 v2, v2, v3
	s_lshl_b64 s[0:1], s[6:7], 1
	s_waitcnt vmcnt(0)
	s_delay_alu instid0(VALU_DEP_1) | instskip(NEXT) | instid1(VALU_DEP_1)
	v_fma_f32 v2, -v2, v10, v7
	v_bfe_u32 v3, v2, 16, 1
	v_cmp_o_f32_e32 vcc_lo, v2, v2
	s_delay_alu instid0(VALU_DEP_2) | instskip(NEXT) | instid1(VALU_DEP_1)
	v_add3_u32 v3, v2, v3, 0x7fff
	v_lshrrev_b32_e32 v3, 16, v3
	s_delay_alu instid0(VALU_DEP_1)
	v_cndmask_b32_e32 v2, 0x7fc0, v3, vcc_lo
	v_add_co_u32 v0, vcc_lo, v0, s0
	v_add_co_ci_u32_e32 v1, vcc_lo, s1, v1, vcc_lo
	global_store_b16 v[0:1], v2, off
.LBB654_10:
	s_nop 0
	s_sendmsg sendmsg(MSG_DEALLOC_VGPRS)
	s_endpgm
	.section	.rodata,"a",@progbits
	.p2align	6, 0x0
	.amdhsa_kernel _ZN12_GLOBAL__N_121softmax_warp_backwardIfN3c108BFloat16EfLi6ELb0ELb0ELi64EEEvPT0_PKT_S7_iiiPKb
		.amdhsa_group_segment_fixed_size 0
		.amdhsa_private_segment_fixed_size 0
		.amdhsa_kernarg_size 304
		.amdhsa_user_sgpr_count 15
		.amdhsa_user_sgpr_dispatch_ptr 0
		.amdhsa_user_sgpr_queue_ptr 0
		.amdhsa_user_sgpr_kernarg_segment_ptr 1
		.amdhsa_user_sgpr_dispatch_id 0
		.amdhsa_user_sgpr_private_segment_size 0
		.amdhsa_wavefront_size32 1
		.amdhsa_uses_dynamic_stack 0
		.amdhsa_enable_private_segment 0
		.amdhsa_system_sgpr_workgroup_id_x 1
		.amdhsa_system_sgpr_workgroup_id_y 0
		.amdhsa_system_sgpr_workgroup_id_z 0
		.amdhsa_system_sgpr_workgroup_info 0
		.amdhsa_system_vgpr_workitem_id 1
		.amdhsa_next_free_vgpr 13
		.amdhsa_next_free_sgpr 16
		.amdhsa_reserve_vcc 1
		.amdhsa_float_round_mode_32 0
		.amdhsa_float_round_mode_16_64 0
		.amdhsa_float_denorm_mode_32 3
		.amdhsa_float_denorm_mode_16_64 3
		.amdhsa_dx10_clamp 1
		.amdhsa_ieee_mode 1
		.amdhsa_fp16_overflow 0
		.amdhsa_workgroup_processor_mode 1
		.amdhsa_memory_ordered 1
		.amdhsa_forward_progress 0
		.amdhsa_shared_vgpr_count 0
		.amdhsa_exception_fp_ieee_invalid_op 0
		.amdhsa_exception_fp_denorm_src 0
		.amdhsa_exception_fp_ieee_div_zero 0
		.amdhsa_exception_fp_ieee_overflow 0
		.amdhsa_exception_fp_ieee_underflow 0
		.amdhsa_exception_fp_ieee_inexact 0
		.amdhsa_exception_int_div_zero 0
	.end_amdhsa_kernel
	.section	.text._ZN12_GLOBAL__N_121softmax_warp_backwardIfN3c108BFloat16EfLi6ELb0ELb0ELi64EEEvPT0_PKT_S7_iiiPKb,"axG",@progbits,_ZN12_GLOBAL__N_121softmax_warp_backwardIfN3c108BFloat16EfLi6ELb0ELb0ELi64EEEvPT0_PKT_S7_iiiPKb,comdat
.Lfunc_end654:
	.size	_ZN12_GLOBAL__N_121softmax_warp_backwardIfN3c108BFloat16EfLi6ELb0ELb0ELi64EEEvPT0_PKT_S7_iiiPKb, .Lfunc_end654-_ZN12_GLOBAL__N_121softmax_warp_backwardIfN3c108BFloat16EfLi6ELb0ELb0ELi64EEEvPT0_PKT_S7_iiiPKb
                                        ; -- End function
	.section	.AMDGPU.csdata,"",@progbits
; Kernel info:
; codeLenInByte = 936
; NumSgprs: 18
; NumVgprs: 13
; ScratchSize: 0
; MemoryBound: 0
; FloatMode: 240
; IeeeMode: 1
; LDSByteSize: 0 bytes/workgroup (compile time only)
; SGPRBlocks: 2
; VGPRBlocks: 1
; NumSGPRsForWavesPerEU: 18
; NumVGPRsForWavesPerEU: 13
; Occupancy: 16
; WaveLimiterHint : 0
; COMPUTE_PGM_RSRC2:SCRATCH_EN: 0
; COMPUTE_PGM_RSRC2:USER_SGPR: 15
; COMPUTE_PGM_RSRC2:TRAP_HANDLER: 0
; COMPUTE_PGM_RSRC2:TGID_X_EN: 1
; COMPUTE_PGM_RSRC2:TGID_Y_EN: 0
; COMPUTE_PGM_RSRC2:TGID_Z_EN: 0
; COMPUTE_PGM_RSRC2:TIDIG_COMP_CNT: 1
	.section	.text._ZN12_GLOBAL__N_121softmax_warp_backwardIfN3c108BFloat16EfLi6ELb0ELb0ELi32EEEvPT0_PKT_S7_iiiPKb,"axG",@progbits,_ZN12_GLOBAL__N_121softmax_warp_backwardIfN3c108BFloat16EfLi6ELb0ELb0ELi32EEEvPT0_PKT_S7_iiiPKb,comdat
	.globl	_ZN12_GLOBAL__N_121softmax_warp_backwardIfN3c108BFloat16EfLi6ELb0ELb0ELi32EEEvPT0_PKT_S7_iiiPKb ; -- Begin function _ZN12_GLOBAL__N_121softmax_warp_backwardIfN3c108BFloat16EfLi6ELb0ELb0ELi32EEEvPT0_PKT_S7_iiiPKb
	.p2align	8
	.type	_ZN12_GLOBAL__N_121softmax_warp_backwardIfN3c108BFloat16EfLi6ELb0ELb0ELi32EEEvPT0_PKT_S7_iiiPKb,@function
_ZN12_GLOBAL__N_121softmax_warp_backwardIfN3c108BFloat16EfLi6ELb0ELb0ELi32EEEvPT0_PKT_S7_iiiPKb: ; @_ZN12_GLOBAL__N_121softmax_warp_backwardIfN3c108BFloat16EfLi6ELb0ELb0ELi32EEEvPT0_PKT_S7_iiiPKb
; %bb.0:
	s_clause 0x1
	s_load_b32 s2, s[0:1], 0x3c
	s_load_b128 s[4:7], s[0:1], 0x18
	v_bfe_u32 v1, v0, 10, 10
	v_dual_mov_b32 v9, 0 :: v_dual_and_b32 v6, 31, v0
	s_load_b128 s[8:11], s[0:1], 0x0
	v_mov_b32_e32 v8, 0
	v_mov_b32_e32 v10, 0
	s_waitcnt lgkmcnt(0)
	s_lshr_b32 s2, s2, 16
	s_delay_alu instid0(SALU_CYCLE_1) | instskip(SKIP_3) | instid1(VALU_DEP_2)
	s_mul_i32 s15, s15, s2
	s_load_b64 s[2:3], s[0:1], 0x10
	v_add_lshl_u32 v2, s15, v1, 1
	v_cmp_gt_i32_e64 s0, s6, v6
	v_mad_u64_u32 v[0:1], null, v2, s5, v[6:7]
	v_sub_nc_u32_e32 v7, s4, v2
	s_delay_alu instid0(VALU_DEP_1) | instskip(NEXT) | instid1(VALU_DEP_3)
	v_cmp_lt_i32_e64 s1, 0, v7
	v_ashrrev_i32_e32 v1, 31, v0
	s_delay_alu instid0(VALU_DEP_1) | instskip(NEXT) | instid1(VALU_DEP_1)
	v_lshlrev_b64 v[2:3], 2, v[0:1]
	v_add_co_u32 v4, vcc_lo, s10, v2
	s_delay_alu instid0(VALU_DEP_2) | instskip(SKIP_4) | instid1(SALU_CYCLE_1)
	v_add_co_ci_u32_e32 v5, vcc_lo, s11, v3, vcc_lo
	s_waitcnt lgkmcnt(0)
	v_add_co_u32 v2, vcc_lo, s2, v2
	v_add_co_ci_u32_e32 v3, vcc_lo, s3, v3, vcc_lo
	s_and_b32 s3, s1, s0
	s_and_saveexec_b32 s2, s3
	s_cbranch_execz .LBB655_2
; %bb.1:
	global_load_b32 v9, v[4:5], off
	global_load_b32 v10, v[2:3], off
.LBB655_2:
	s_or_b32 exec_lo, exec_lo, s2
	v_or_b32_e32 v6, 32, v6
	v_mov_b32_e32 v11, 0
	s_delay_alu instid0(VALU_DEP_2) | instskip(SKIP_1) | instid1(SALU_CYCLE_1)
	v_cmp_gt_i32_e32 vcc_lo, s6, v6
	s_and_b32 s3, s1, vcc_lo
	s_and_saveexec_b32 s2, s3
	s_cbranch_execz .LBB655_4
; %bb.3:
	global_load_b32 v8, v[4:5], off offset:128
	global_load_b32 v11, v[2:3], off offset:128
.LBB655_4:
	s_or_b32 exec_lo, exec_lo, s2
	v_cmp_lt_i32_e64 s2, 1, v7
	v_dual_mov_b32 v6, 0 :: v_dual_mov_b32 v13, 0
	v_mov_b32_e32 v12, 0
	s_mov_b32 s7, 0
	s_delay_alu instid0(VALU_DEP_3) | instskip(NEXT) | instid1(SALU_CYCLE_1)
	s_and_b32 s3, s2, s0
	s_and_saveexec_b32 s4, s3
	s_cbranch_execz .LBB655_6
; %bb.5:
	s_lshl_b64 s[10:11], s[6:7], 2
	s_delay_alu instid0(SALU_CYCLE_1) | instskip(NEXT) | instid1(VALU_DEP_1)
	v_add_co_u32 v12, s3, v4, s10
	v_add_co_ci_u32_e64 v13, s3, s11, v5, s3
	v_add_co_u32 v14, s3, v2, s10
	s_delay_alu instid0(VALU_DEP_1)
	v_add_co_ci_u32_e64 v15, s3, s11, v3, s3
	global_load_b32 v12, v[12:13], off
	global_load_b32 v13, v[14:15], off
.LBB655_6:
	s_or_b32 exec_lo, exec_lo, s4
	v_mov_b32_e32 v14, 0
	s_and_b32 s2, s2, vcc_lo
	s_delay_alu instid0(SALU_CYCLE_1)
	s_and_saveexec_b32 s3, s2
	s_cbranch_execz .LBB655_8
; %bb.7:
	s_lshl_b64 s[4:5], s[6:7], 2
	s_delay_alu instid0(SALU_CYCLE_1) | instskip(NEXT) | instid1(VALU_DEP_1)
	v_add_co_u32 v4, s2, v4, s4
	v_add_co_ci_u32_e64 v5, s2, s5, v5, s2
	v_add_co_u32 v2, s2, v2, s4
	s_delay_alu instid0(VALU_DEP_1)
	v_add_co_ci_u32_e64 v3, s2, s5, v3, s2
	global_load_b32 v6, v[4:5], off offset:128
	global_load_b32 v14, v[2:3], off offset:128
.LBB655_8:
	s_or_b32 exec_lo, exec_lo, s3
	v_mbcnt_lo_u32_b32 v2, -1, 0
	s_waitcnt vmcnt(1)
	v_dual_add_f32 v4, 0, v9 :: v_dual_add_f32 v5, 0, v12
	s_delay_alu instid0(VALU_DEP_2) | instskip(SKIP_1) | instid1(VALU_DEP_2)
	v_xor_b32_e32 v3, 16, v2
	v_xor_b32_e32 v16, 8, v2
	v_cmp_gt_i32_e64 s2, 32, v3
	s_delay_alu instid0(VALU_DEP_1) | instskip(NEXT) | instid1(VALU_DEP_3)
	v_cndmask_b32_e64 v3, v2, v3, s2
	v_cmp_gt_i32_e64 s2, 32, v16
	s_delay_alu instid0(VALU_DEP_2) | instskip(NEXT) | instid1(VALU_DEP_2)
	v_dual_add_f32 v4, v4, v8 :: v_dual_lshlrev_b32 v3, 2, v3
	v_cndmask_b32_e64 v16, v2, v16, s2
	v_add_f32_e32 v5, v5, v6
	ds_bpermute_b32 v15, v3, v4
	v_lshlrev_b32_e32 v16, 2, v16
	ds_bpermute_b32 v3, v3, v5
	s_waitcnt lgkmcnt(1)
	v_add_f32_e32 v4, v4, v15
	s_waitcnt lgkmcnt(0)
	v_add_f32_e32 v3, v5, v3
	ds_bpermute_b32 v5, v16, v4
	ds_bpermute_b32 v15, v16, v3
	v_xor_b32_e32 v16, 4, v2
	s_delay_alu instid0(VALU_DEP_1) | instskip(NEXT) | instid1(VALU_DEP_1)
	v_cmp_gt_i32_e64 s2, 32, v16
	v_cndmask_b32_e64 v16, v2, v16, s2
	s_delay_alu instid0(VALU_DEP_1)
	v_lshlrev_b32_e32 v16, 2, v16
	s_waitcnt lgkmcnt(0)
	v_dual_add_f32 v4, v4, v5 :: v_dual_add_f32 v3, v3, v15
	ds_bpermute_b32 v5, v16, v4
	ds_bpermute_b32 v15, v16, v3
	v_xor_b32_e32 v16, 2, v2
	s_delay_alu instid0(VALU_DEP_1) | instskip(NEXT) | instid1(VALU_DEP_1)
	v_cmp_gt_i32_e64 s2, 32, v16
	v_cndmask_b32_e64 v16, v2, v16, s2
	s_delay_alu instid0(VALU_DEP_1)
	v_lshlrev_b32_e32 v16, 2, v16
	s_waitcnt lgkmcnt(0)
	v_dual_add_f32 v4, v4, v5 :: v_dual_add_f32 v3, v3, v15
	ds_bpermute_b32 v5, v16, v4
	ds_bpermute_b32 v15, v16, v3
	v_xor_b32_e32 v16, 1, v2
	s_delay_alu instid0(VALU_DEP_1) | instskip(NEXT) | instid1(VALU_DEP_1)
	v_cmp_gt_i32_e64 s2, 32, v16
	v_cndmask_b32_e64 v2, v2, v16, s2
	s_delay_alu instid0(VALU_DEP_1)
	v_lshlrev_b32_e32 v16, 2, v2
	s_waitcnt lgkmcnt(1)
	v_add_f32_e32 v4, v4, v5
	s_waitcnt lgkmcnt(0)
	v_add_f32_e32 v2, v3, v15
	ds_bpermute_b32 v5, v16, v4
	ds_bpermute_b32 v3, v16, v2
	s_and_saveexec_b32 s2, s1
	s_cbranch_execz .LBB655_12
; %bb.9:
	v_lshlrev_b64 v[0:1], 1, v[0:1]
	s_waitcnt lgkmcnt(1)
	v_add_f32_e32 v4, v4, v5
	s_delay_alu instid0(VALU_DEP_2) | instskip(NEXT) | instid1(VALU_DEP_1)
	v_add_co_u32 v0, s1, s8, v0
	v_add_co_ci_u32_e64 v1, s1, s9, v1, s1
	s_and_saveexec_b32 s2, s0
	s_cbranch_execnz .LBB655_13
; %bb.10:
	s_or_b32 exec_lo, exec_lo, s2
	s_and_saveexec_b32 s2, vcc_lo
	s_cbranch_execnz .LBB655_14
.LBB655_11:
	s_or_b32 exec_lo, exec_lo, s2
	v_cmp_ne_u32_e64 s1, 1, v7
	s_delay_alu instid0(VALU_DEP_1)
	s_and_b32 exec_lo, exec_lo, s1
	s_cbranch_execnz .LBB655_15
.LBB655_12:
	s_nop 0
	s_sendmsg sendmsg(MSG_DEALLOC_VGPRS)
	s_endpgm
.LBB655_13:
	s_waitcnt vmcnt(0)
	v_fma_f32 v5, -v4, v10, v9
	s_delay_alu instid0(VALU_DEP_1) | instskip(SKIP_1) | instid1(VALU_DEP_2)
	v_bfe_u32 v9, v5, 16, 1
	v_cmp_o_f32_e64 s1, v5, v5
	v_add3_u32 v9, v5, v9, 0x7fff
	s_delay_alu instid0(VALU_DEP_1) | instskip(NEXT) | instid1(VALU_DEP_1)
	v_lshrrev_b32_e32 v9, 16, v9
	v_cndmask_b32_e64 v5, 0x7fc0, v9, s1
	global_store_b16 v[0:1], v5, off
	s_or_b32 exec_lo, exec_lo, s2
	s_and_saveexec_b32 s2, vcc_lo
	s_cbranch_execz .LBB655_11
.LBB655_14:
	s_waitcnt vmcnt(0)
	v_fma_f32 v4, -v4, v11, v8
	s_delay_alu instid0(VALU_DEP_1) | instskip(SKIP_1) | instid1(VALU_DEP_2)
	v_bfe_u32 v5, v4, 16, 1
	v_cmp_o_f32_e64 s1, v4, v4
	v_add3_u32 v5, v4, v5, 0x7fff
	s_delay_alu instid0(VALU_DEP_1) | instskip(NEXT) | instid1(VALU_DEP_1)
	v_lshrrev_b32_e32 v5, 16, v5
	v_cndmask_b32_e64 v4, 0x7fc0, v5, s1
	global_store_b16 v[0:1], v4, off offset:64
	s_or_b32 exec_lo, exec_lo, s2
	v_cmp_ne_u32_e64 s1, 1, v7
	s_delay_alu instid0(VALU_DEP_1)
	s_and_b32 exec_lo, exec_lo, s1
	s_cbranch_execz .LBB655_12
.LBB655_15:
	s_waitcnt lgkmcnt(0)
	v_add_f32_e32 v2, v2, v3
	s_and_saveexec_b32 s1, s0
	s_cbranch_execz .LBB655_17
; %bb.16:
	s_waitcnt vmcnt(0)
	s_delay_alu instid0(VALU_DEP_1) | instskip(SKIP_1) | instid1(VALU_DEP_1)
	v_fma_f32 v3, -v2, v13, v12
	s_lshl_b64 s[2:3], s[6:7], 1
	v_bfe_u32 v4, v3, 16, 1
	v_cmp_o_f32_e64 s0, v3, v3
	s_delay_alu instid0(VALU_DEP_2) | instskip(NEXT) | instid1(VALU_DEP_1)
	v_add3_u32 v4, v3, v4, 0x7fff
	v_lshrrev_b32_e32 v4, 16, v4
	s_delay_alu instid0(VALU_DEP_1) | instskip(SKIP_1) | instid1(VALU_DEP_1)
	v_cndmask_b32_e64 v5, 0x7fc0, v4, s0
	v_add_co_u32 v3, s0, v0, s2
	v_add_co_ci_u32_e64 v4, s0, s3, v1, s0
	global_store_b16 v[3:4], v5, off
.LBB655_17:
	s_or_b32 exec_lo, exec_lo, s1
	s_delay_alu instid0(SALU_CYCLE_1)
	s_and_b32 exec_lo, exec_lo, vcc_lo
	s_cbranch_execz .LBB655_12
; %bb.18:
	s_waitcnt vmcnt(0)
	v_fma_f32 v2, -v2, v14, v6
	s_ashr_i32 s7, s6, 31
	s_delay_alu instid0(SALU_CYCLE_1) | instskip(NEXT) | instid1(VALU_DEP_1)
	s_lshl_b64 s[0:1], s[6:7], 1
	v_bfe_u32 v3, v2, 16, 1
	v_cmp_o_f32_e32 vcc_lo, v2, v2
	s_delay_alu instid0(VALU_DEP_2) | instskip(NEXT) | instid1(VALU_DEP_1)
	v_add3_u32 v3, v2, v3, 0x7fff
	v_lshrrev_b32_e32 v3, 16, v3
	s_delay_alu instid0(VALU_DEP_1)
	v_cndmask_b32_e32 v2, 0x7fc0, v3, vcc_lo
	v_add_co_u32 v0, vcc_lo, v0, s0
	v_add_co_ci_u32_e32 v1, vcc_lo, s1, v1, vcc_lo
	global_store_b16 v[0:1], v2, off offset:64
	s_nop 0
	s_sendmsg sendmsg(MSG_DEALLOC_VGPRS)
	s_endpgm
	.section	.rodata,"a",@progbits
	.p2align	6, 0x0
	.amdhsa_kernel _ZN12_GLOBAL__N_121softmax_warp_backwardIfN3c108BFloat16EfLi6ELb0ELb0ELi32EEEvPT0_PKT_S7_iiiPKb
		.amdhsa_group_segment_fixed_size 0
		.amdhsa_private_segment_fixed_size 0
		.amdhsa_kernarg_size 304
		.amdhsa_user_sgpr_count 15
		.amdhsa_user_sgpr_dispatch_ptr 0
		.amdhsa_user_sgpr_queue_ptr 0
		.amdhsa_user_sgpr_kernarg_segment_ptr 1
		.amdhsa_user_sgpr_dispatch_id 0
		.amdhsa_user_sgpr_private_segment_size 0
		.amdhsa_wavefront_size32 1
		.amdhsa_uses_dynamic_stack 0
		.amdhsa_enable_private_segment 0
		.amdhsa_system_sgpr_workgroup_id_x 1
		.amdhsa_system_sgpr_workgroup_id_y 0
		.amdhsa_system_sgpr_workgroup_id_z 0
		.amdhsa_system_sgpr_workgroup_info 0
		.amdhsa_system_vgpr_workitem_id 1
		.amdhsa_next_free_vgpr 17
		.amdhsa_next_free_sgpr 16
		.amdhsa_reserve_vcc 1
		.amdhsa_float_round_mode_32 0
		.amdhsa_float_round_mode_16_64 0
		.amdhsa_float_denorm_mode_32 3
		.amdhsa_float_denorm_mode_16_64 3
		.amdhsa_dx10_clamp 1
		.amdhsa_ieee_mode 1
		.amdhsa_fp16_overflow 0
		.amdhsa_workgroup_processor_mode 1
		.amdhsa_memory_ordered 1
		.amdhsa_forward_progress 0
		.amdhsa_shared_vgpr_count 0
		.amdhsa_exception_fp_ieee_invalid_op 0
		.amdhsa_exception_fp_denorm_src 0
		.amdhsa_exception_fp_ieee_div_zero 0
		.amdhsa_exception_fp_ieee_overflow 0
		.amdhsa_exception_fp_ieee_underflow 0
		.amdhsa_exception_fp_ieee_inexact 0
		.amdhsa_exception_int_div_zero 0
	.end_amdhsa_kernel
	.section	.text._ZN12_GLOBAL__N_121softmax_warp_backwardIfN3c108BFloat16EfLi6ELb0ELb0ELi32EEEvPT0_PKT_S7_iiiPKb,"axG",@progbits,_ZN12_GLOBAL__N_121softmax_warp_backwardIfN3c108BFloat16EfLi6ELb0ELb0ELi32EEEvPT0_PKT_S7_iiiPKb,comdat
.Lfunc_end655:
	.size	_ZN12_GLOBAL__N_121softmax_warp_backwardIfN3c108BFloat16EfLi6ELb0ELb0ELi32EEEvPT0_PKT_S7_iiiPKb, .Lfunc_end655-_ZN12_GLOBAL__N_121softmax_warp_backwardIfN3c108BFloat16EfLi6ELb0ELb0ELi32EEEvPT0_PKT_S7_iiiPKb
                                        ; -- End function
	.section	.AMDGPU.csdata,"",@progbits
; Kernel info:
; codeLenInByte = 1260
; NumSgprs: 18
; NumVgprs: 17
; ScratchSize: 0
; MemoryBound: 0
; FloatMode: 240
; IeeeMode: 1
; LDSByteSize: 0 bytes/workgroup (compile time only)
; SGPRBlocks: 2
; VGPRBlocks: 2
; NumSGPRsForWavesPerEU: 18
; NumVGPRsForWavesPerEU: 17
; Occupancy: 16
; WaveLimiterHint : 0
; COMPUTE_PGM_RSRC2:SCRATCH_EN: 0
; COMPUTE_PGM_RSRC2:USER_SGPR: 15
; COMPUTE_PGM_RSRC2:TRAP_HANDLER: 0
; COMPUTE_PGM_RSRC2:TGID_X_EN: 1
; COMPUTE_PGM_RSRC2:TGID_Y_EN: 0
; COMPUTE_PGM_RSRC2:TGID_Z_EN: 0
; COMPUTE_PGM_RSRC2:TIDIG_COMP_CNT: 1
	.section	.text._ZN12_GLOBAL__N_121softmax_warp_backwardIfN3c108BFloat16EfLi7ELb0ELb0ELi64EEEvPT0_PKT_S7_iiiPKb,"axG",@progbits,_ZN12_GLOBAL__N_121softmax_warp_backwardIfN3c108BFloat16EfLi7ELb0ELb0ELi64EEEvPT0_PKT_S7_iiiPKb,comdat
	.globl	_ZN12_GLOBAL__N_121softmax_warp_backwardIfN3c108BFloat16EfLi7ELb0ELb0ELi64EEEvPT0_PKT_S7_iiiPKb ; -- Begin function _ZN12_GLOBAL__N_121softmax_warp_backwardIfN3c108BFloat16EfLi7ELb0ELb0ELi64EEEvPT0_PKT_S7_iiiPKb
	.p2align	8
	.type	_ZN12_GLOBAL__N_121softmax_warp_backwardIfN3c108BFloat16EfLi7ELb0ELb0ELi64EEEvPT0_PKT_S7_iiiPKb,@function
_ZN12_GLOBAL__N_121softmax_warp_backwardIfN3c108BFloat16EfLi7ELb0ELb0ELi64EEEvPT0_PKT_S7_iiiPKb: ; @_ZN12_GLOBAL__N_121softmax_warp_backwardIfN3c108BFloat16EfLi7ELb0ELb0ELi64EEEvPT0_PKT_S7_iiiPKb
; %bb.0:
	s_clause 0x1
	s_load_b32 s2, s[0:1], 0x3c
	s_load_b128 s[4:7], s[0:1], 0x18
	v_bfe_u32 v1, v0, 10, 10
	v_dual_mov_b32 v9, 0 :: v_dual_and_b32 v6, 63, v0
	s_load_b128 s[8:11], s[0:1], 0x0
	v_mov_b32_e32 v8, 0
	v_mov_b32_e32 v10, 0
	s_waitcnt lgkmcnt(0)
	s_lshr_b32 s2, s2, 16
	s_delay_alu instid0(SALU_CYCLE_1) | instskip(SKIP_3) | instid1(VALU_DEP_2)
	s_mul_i32 s15, s15, s2
	s_load_b64 s[2:3], s[0:1], 0x10
	v_add_lshl_u32 v2, s15, v1, 1
	v_cmp_gt_i32_e64 s0, s6, v6
	v_mad_u64_u32 v[0:1], null, v2, s5, v[6:7]
	v_sub_nc_u32_e32 v7, s4, v2
	s_delay_alu instid0(VALU_DEP_1) | instskip(NEXT) | instid1(VALU_DEP_3)
	v_cmp_lt_i32_e64 s1, 0, v7
	v_ashrrev_i32_e32 v1, 31, v0
	s_delay_alu instid0(VALU_DEP_1) | instskip(NEXT) | instid1(VALU_DEP_1)
	v_lshlrev_b64 v[2:3], 2, v[0:1]
	v_add_co_u32 v4, vcc_lo, s10, v2
	s_delay_alu instid0(VALU_DEP_2) | instskip(SKIP_4) | instid1(SALU_CYCLE_1)
	v_add_co_ci_u32_e32 v5, vcc_lo, s11, v3, vcc_lo
	s_waitcnt lgkmcnt(0)
	v_add_co_u32 v2, vcc_lo, s2, v2
	v_add_co_ci_u32_e32 v3, vcc_lo, s3, v3, vcc_lo
	s_and_b32 s3, s1, s0
	s_and_saveexec_b32 s2, s3
	s_cbranch_execz .LBB656_2
; %bb.1:
	global_load_b32 v9, v[4:5], off
	global_load_b32 v10, v[2:3], off
.LBB656_2:
	s_or_b32 exec_lo, exec_lo, s2
	v_or_b32_e32 v6, 64, v6
	v_mov_b32_e32 v11, 0
	s_delay_alu instid0(VALU_DEP_2) | instskip(SKIP_1) | instid1(SALU_CYCLE_1)
	v_cmp_gt_i32_e32 vcc_lo, s6, v6
	s_and_b32 s3, s1, vcc_lo
	s_and_saveexec_b32 s2, s3
	s_cbranch_execz .LBB656_4
; %bb.3:
	global_load_b32 v8, v[4:5], off offset:256
	global_load_b32 v11, v[2:3], off offset:256
.LBB656_4:
	s_or_b32 exec_lo, exec_lo, s2
	v_cmp_lt_i32_e64 s2, 1, v7
	v_dual_mov_b32 v6, 0 :: v_dual_mov_b32 v13, 0
	v_mov_b32_e32 v12, 0
	s_mov_b32 s7, 0
	s_delay_alu instid0(VALU_DEP_3) | instskip(NEXT) | instid1(SALU_CYCLE_1)
	s_and_b32 s3, s2, s0
	s_and_saveexec_b32 s4, s3
	s_cbranch_execz .LBB656_6
; %bb.5:
	s_lshl_b64 s[10:11], s[6:7], 2
	s_delay_alu instid0(SALU_CYCLE_1) | instskip(NEXT) | instid1(VALU_DEP_1)
	v_add_co_u32 v12, s3, v4, s10
	v_add_co_ci_u32_e64 v13, s3, s11, v5, s3
	v_add_co_u32 v14, s3, v2, s10
	s_delay_alu instid0(VALU_DEP_1)
	v_add_co_ci_u32_e64 v15, s3, s11, v3, s3
	global_load_b32 v12, v[12:13], off
	global_load_b32 v13, v[14:15], off
.LBB656_6:
	s_or_b32 exec_lo, exec_lo, s4
	v_mov_b32_e32 v14, 0
	s_and_b32 s2, s2, vcc_lo
	s_delay_alu instid0(SALU_CYCLE_1)
	s_and_saveexec_b32 s3, s2
	s_cbranch_execz .LBB656_8
; %bb.7:
	s_lshl_b64 s[4:5], s[6:7], 2
	s_delay_alu instid0(SALU_CYCLE_1) | instskip(NEXT) | instid1(VALU_DEP_1)
	v_add_co_u32 v4, s2, v4, s4
	v_add_co_ci_u32_e64 v5, s2, s5, v5, s2
	v_add_co_u32 v2, s2, v2, s4
	s_delay_alu instid0(VALU_DEP_1)
	v_add_co_ci_u32_e64 v3, s2, s5, v3, s2
	global_load_b32 v6, v[4:5], off offset:256
	global_load_b32 v14, v[2:3], off offset:256
.LBB656_8:
	s_or_b32 exec_lo, exec_lo, s3
	v_mbcnt_lo_u32_b32 v2, -1, 0
	s_waitcnt vmcnt(1)
	v_dual_add_f32 v4, 0, v9 :: v_dual_add_f32 v5, 0, v12
	s_delay_alu instid0(VALU_DEP_2) | instskip(SKIP_1) | instid1(VALU_DEP_2)
	v_or_b32_e32 v3, 32, v2
	v_xor_b32_e32 v16, 16, v2
	v_cmp_gt_i32_e64 s2, 64, v3
	s_delay_alu instid0(VALU_DEP_1) | instskip(NEXT) | instid1(VALU_DEP_3)
	v_cndmask_b32_e64 v3, v2, v3, s2
	v_cmp_gt_i32_e64 s2, 64, v16
	s_delay_alu instid0(VALU_DEP_2) | instskip(NEXT) | instid1(VALU_DEP_2)
	v_dual_add_f32 v4, v4, v8 :: v_dual_lshlrev_b32 v3, 2, v3
	v_cndmask_b32_e64 v16, v2, v16, s2
	v_add_f32_e32 v5, v5, v6
	ds_bpermute_b32 v15, v3, v4
	v_lshlrev_b32_e32 v16, 2, v16
	ds_bpermute_b32 v3, v3, v5
	s_waitcnt lgkmcnt(1)
	v_add_f32_e32 v4, v4, v15
	s_waitcnt lgkmcnt(0)
	v_add_f32_e32 v3, v5, v3
	ds_bpermute_b32 v5, v16, v4
	ds_bpermute_b32 v15, v16, v3
	v_xor_b32_e32 v16, 8, v2
	s_delay_alu instid0(VALU_DEP_1) | instskip(NEXT) | instid1(VALU_DEP_1)
	v_cmp_gt_i32_e64 s2, 64, v16
	v_cndmask_b32_e64 v16, v2, v16, s2
	s_delay_alu instid0(VALU_DEP_1)
	v_lshlrev_b32_e32 v16, 2, v16
	s_waitcnt lgkmcnt(0)
	v_dual_add_f32 v4, v4, v5 :: v_dual_add_f32 v3, v3, v15
	ds_bpermute_b32 v5, v16, v4
	ds_bpermute_b32 v15, v16, v3
	v_xor_b32_e32 v16, 4, v2
	s_delay_alu instid0(VALU_DEP_1) | instskip(NEXT) | instid1(VALU_DEP_1)
	v_cmp_gt_i32_e64 s2, 64, v16
	v_cndmask_b32_e64 v16, v2, v16, s2
	s_waitcnt lgkmcnt(0)
	s_delay_alu instid0(VALU_DEP_1)
	v_dual_add_f32 v3, v3, v15 :: v_dual_lshlrev_b32 v16, 2, v16
	ds_bpermute_b32 v15, v16, v3
	s_waitcnt lgkmcnt(0)
	v_dual_add_f32 v4, v4, v5 :: v_dual_add_f32 v3, v3, v15
	ds_bpermute_b32 v5, v16, v4
	v_xor_b32_e32 v16, 2, v2
	s_delay_alu instid0(VALU_DEP_1) | instskip(NEXT) | instid1(VALU_DEP_1)
	v_cmp_gt_i32_e64 s2, 64, v16
	v_cndmask_b32_e64 v16, v2, v16, s2
	s_delay_alu instid0(VALU_DEP_1)
	v_lshlrev_b32_e32 v16, 2, v16
	s_waitcnt lgkmcnt(0)
	v_add_f32_e32 v4, v4, v5
	ds_bpermute_b32 v15, v16, v3
	ds_bpermute_b32 v5, v16, v4
	v_xor_b32_e32 v16, 1, v2
	s_delay_alu instid0(VALU_DEP_1) | instskip(NEXT) | instid1(VALU_DEP_1)
	v_cmp_gt_i32_e64 s2, 64, v16
	v_cndmask_b32_e64 v2, v2, v16, s2
	s_delay_alu instid0(VALU_DEP_1)
	v_lshlrev_b32_e32 v16, 2, v2
	s_waitcnt lgkmcnt(1)
	v_add_f32_e32 v2, v3, v15
	s_waitcnt lgkmcnt(0)
	v_add_f32_e32 v4, v4, v5
	ds_bpermute_b32 v3, v16, v2
	ds_bpermute_b32 v5, v16, v4
	s_and_saveexec_b32 s2, s1
	s_cbranch_execz .LBB656_12
; %bb.9:
	v_lshlrev_b64 v[0:1], 1, v[0:1]
	s_waitcnt lgkmcnt(0)
	v_add_f32_e32 v4, v4, v5
	s_delay_alu instid0(VALU_DEP_2) | instskip(NEXT) | instid1(VALU_DEP_1)
	v_add_co_u32 v0, s1, s8, v0
	v_add_co_ci_u32_e64 v1, s1, s9, v1, s1
	s_and_saveexec_b32 s2, s0
	s_cbranch_execnz .LBB656_13
; %bb.10:
	s_or_b32 exec_lo, exec_lo, s2
	s_and_saveexec_b32 s2, vcc_lo
	s_cbranch_execnz .LBB656_14
.LBB656_11:
	s_or_b32 exec_lo, exec_lo, s2
	v_cmp_ne_u32_e64 s1, 1, v7
	s_delay_alu instid0(VALU_DEP_1)
	s_and_b32 exec_lo, exec_lo, s1
	s_cbranch_execnz .LBB656_15
.LBB656_12:
	s_nop 0
	s_sendmsg sendmsg(MSG_DEALLOC_VGPRS)
	s_endpgm
.LBB656_13:
	s_waitcnt vmcnt(0)
	v_fma_f32 v5, -v4, v10, v9
	s_delay_alu instid0(VALU_DEP_1) | instskip(SKIP_1) | instid1(VALU_DEP_2)
	v_bfe_u32 v9, v5, 16, 1
	v_cmp_o_f32_e64 s1, v5, v5
	v_add3_u32 v9, v5, v9, 0x7fff
	s_delay_alu instid0(VALU_DEP_1) | instskip(NEXT) | instid1(VALU_DEP_1)
	v_lshrrev_b32_e32 v9, 16, v9
	v_cndmask_b32_e64 v5, 0x7fc0, v9, s1
	global_store_b16 v[0:1], v5, off
	s_or_b32 exec_lo, exec_lo, s2
	s_and_saveexec_b32 s2, vcc_lo
	s_cbranch_execz .LBB656_11
.LBB656_14:
	s_waitcnt vmcnt(0)
	v_fma_f32 v4, -v4, v11, v8
	s_delay_alu instid0(VALU_DEP_1) | instskip(SKIP_1) | instid1(VALU_DEP_2)
	v_bfe_u32 v5, v4, 16, 1
	v_cmp_o_f32_e64 s1, v4, v4
	v_add3_u32 v5, v4, v5, 0x7fff
	s_delay_alu instid0(VALU_DEP_1) | instskip(NEXT) | instid1(VALU_DEP_1)
	v_lshrrev_b32_e32 v5, 16, v5
	v_cndmask_b32_e64 v4, 0x7fc0, v5, s1
	global_store_b16 v[0:1], v4, off offset:128
	s_or_b32 exec_lo, exec_lo, s2
	v_cmp_ne_u32_e64 s1, 1, v7
	s_delay_alu instid0(VALU_DEP_1)
	s_and_b32 exec_lo, exec_lo, s1
	s_cbranch_execz .LBB656_12
.LBB656_15:
	v_add_f32_e32 v2, v2, v3
	s_and_saveexec_b32 s1, s0
	s_cbranch_execz .LBB656_17
; %bb.16:
	s_waitcnt vmcnt(0)
	s_delay_alu instid0(VALU_DEP_1) | instskip(SKIP_1) | instid1(VALU_DEP_1)
	v_fma_f32 v3, -v2, v13, v12
	s_lshl_b64 s[2:3], s[6:7], 1
	v_bfe_u32 v4, v3, 16, 1
	v_cmp_o_f32_e64 s0, v3, v3
	s_delay_alu instid0(VALU_DEP_2) | instskip(NEXT) | instid1(VALU_DEP_1)
	v_add3_u32 v4, v3, v4, 0x7fff
	v_lshrrev_b32_e32 v4, 16, v4
	s_delay_alu instid0(VALU_DEP_1) | instskip(SKIP_1) | instid1(VALU_DEP_1)
	v_cndmask_b32_e64 v5, 0x7fc0, v4, s0
	v_add_co_u32 v3, s0, v0, s2
	v_add_co_ci_u32_e64 v4, s0, s3, v1, s0
	global_store_b16 v[3:4], v5, off
.LBB656_17:
	s_or_b32 exec_lo, exec_lo, s1
	s_delay_alu instid0(SALU_CYCLE_1)
	s_and_b32 exec_lo, exec_lo, vcc_lo
	s_cbranch_execz .LBB656_12
; %bb.18:
	s_waitcnt vmcnt(0)
	v_fma_f32 v2, -v2, v14, v6
	s_ashr_i32 s7, s6, 31
	s_delay_alu instid0(SALU_CYCLE_1) | instskip(NEXT) | instid1(VALU_DEP_1)
	s_lshl_b64 s[0:1], s[6:7], 1
	v_bfe_u32 v3, v2, 16, 1
	v_cmp_o_f32_e32 vcc_lo, v2, v2
	s_delay_alu instid0(VALU_DEP_2) | instskip(NEXT) | instid1(VALU_DEP_1)
	v_add3_u32 v3, v2, v3, 0x7fff
	v_lshrrev_b32_e32 v3, 16, v3
	s_delay_alu instid0(VALU_DEP_1)
	v_cndmask_b32_e32 v2, 0x7fc0, v3, vcc_lo
	v_add_co_u32 v0, vcc_lo, v0, s0
	v_add_co_ci_u32_e32 v1, vcc_lo, s1, v1, vcc_lo
	global_store_b16 v[0:1], v2, off offset:128
	s_nop 0
	s_sendmsg sendmsg(MSG_DEALLOC_VGPRS)
	s_endpgm
	.section	.rodata,"a",@progbits
	.p2align	6, 0x0
	.amdhsa_kernel _ZN12_GLOBAL__N_121softmax_warp_backwardIfN3c108BFloat16EfLi7ELb0ELb0ELi64EEEvPT0_PKT_S7_iiiPKb
		.amdhsa_group_segment_fixed_size 0
		.amdhsa_private_segment_fixed_size 0
		.amdhsa_kernarg_size 304
		.amdhsa_user_sgpr_count 15
		.amdhsa_user_sgpr_dispatch_ptr 0
		.amdhsa_user_sgpr_queue_ptr 0
		.amdhsa_user_sgpr_kernarg_segment_ptr 1
		.amdhsa_user_sgpr_dispatch_id 0
		.amdhsa_user_sgpr_private_segment_size 0
		.amdhsa_wavefront_size32 1
		.amdhsa_uses_dynamic_stack 0
		.amdhsa_enable_private_segment 0
		.amdhsa_system_sgpr_workgroup_id_x 1
		.amdhsa_system_sgpr_workgroup_id_y 0
		.amdhsa_system_sgpr_workgroup_id_z 0
		.amdhsa_system_sgpr_workgroup_info 0
		.amdhsa_system_vgpr_workitem_id 1
		.amdhsa_next_free_vgpr 17
		.amdhsa_next_free_sgpr 16
		.amdhsa_reserve_vcc 1
		.amdhsa_float_round_mode_32 0
		.amdhsa_float_round_mode_16_64 0
		.amdhsa_float_denorm_mode_32 3
		.amdhsa_float_denorm_mode_16_64 3
		.amdhsa_dx10_clamp 1
		.amdhsa_ieee_mode 1
		.amdhsa_fp16_overflow 0
		.amdhsa_workgroup_processor_mode 1
		.amdhsa_memory_ordered 1
		.amdhsa_forward_progress 0
		.amdhsa_shared_vgpr_count 0
		.amdhsa_exception_fp_ieee_invalid_op 0
		.amdhsa_exception_fp_denorm_src 0
		.amdhsa_exception_fp_ieee_div_zero 0
		.amdhsa_exception_fp_ieee_overflow 0
		.amdhsa_exception_fp_ieee_underflow 0
		.amdhsa_exception_fp_ieee_inexact 0
		.amdhsa_exception_int_div_zero 0
	.end_amdhsa_kernel
	.section	.text._ZN12_GLOBAL__N_121softmax_warp_backwardIfN3c108BFloat16EfLi7ELb0ELb0ELi64EEEvPT0_PKT_S7_iiiPKb,"axG",@progbits,_ZN12_GLOBAL__N_121softmax_warp_backwardIfN3c108BFloat16EfLi7ELb0ELb0ELi64EEEvPT0_PKT_S7_iiiPKb,comdat
.Lfunc_end656:
	.size	_ZN12_GLOBAL__N_121softmax_warp_backwardIfN3c108BFloat16EfLi7ELb0ELb0ELi64EEEvPT0_PKT_S7_iiiPKb, .Lfunc_end656-_ZN12_GLOBAL__N_121softmax_warp_backwardIfN3c108BFloat16EfLi7ELb0ELb0ELi64EEEvPT0_PKT_S7_iiiPKb
                                        ; -- End function
	.section	.AMDGPU.csdata,"",@progbits
; Kernel info:
; codeLenInByte = 1320
; NumSgprs: 18
; NumVgprs: 17
; ScratchSize: 0
; MemoryBound: 0
; FloatMode: 240
; IeeeMode: 1
; LDSByteSize: 0 bytes/workgroup (compile time only)
; SGPRBlocks: 2
; VGPRBlocks: 2
; NumSGPRsForWavesPerEU: 18
; NumVGPRsForWavesPerEU: 17
; Occupancy: 16
; WaveLimiterHint : 0
; COMPUTE_PGM_RSRC2:SCRATCH_EN: 0
; COMPUTE_PGM_RSRC2:USER_SGPR: 15
; COMPUTE_PGM_RSRC2:TRAP_HANDLER: 0
; COMPUTE_PGM_RSRC2:TGID_X_EN: 1
; COMPUTE_PGM_RSRC2:TGID_Y_EN: 0
; COMPUTE_PGM_RSRC2:TGID_Z_EN: 0
; COMPUTE_PGM_RSRC2:TIDIG_COMP_CNT: 1
	.section	.text._ZN12_GLOBAL__N_121softmax_warp_backwardIfN3c108BFloat16EfLi7ELb0ELb0ELi32EEEvPT0_PKT_S7_iiiPKb,"axG",@progbits,_ZN12_GLOBAL__N_121softmax_warp_backwardIfN3c108BFloat16EfLi7ELb0ELb0ELi32EEEvPT0_PKT_S7_iiiPKb,comdat
	.globl	_ZN12_GLOBAL__N_121softmax_warp_backwardIfN3c108BFloat16EfLi7ELb0ELb0ELi32EEEvPT0_PKT_S7_iiiPKb ; -- Begin function _ZN12_GLOBAL__N_121softmax_warp_backwardIfN3c108BFloat16EfLi7ELb0ELb0ELi32EEEvPT0_PKT_S7_iiiPKb
	.p2align	8
	.type	_ZN12_GLOBAL__N_121softmax_warp_backwardIfN3c108BFloat16EfLi7ELb0ELb0ELi32EEEvPT0_PKT_S7_iiiPKb,@function
_ZN12_GLOBAL__N_121softmax_warp_backwardIfN3c108BFloat16EfLi7ELb0ELb0ELi32EEEvPT0_PKT_S7_iiiPKb: ; @_ZN12_GLOBAL__N_121softmax_warp_backwardIfN3c108BFloat16EfLi7ELb0ELb0ELi32EEEvPT0_PKT_S7_iiiPKb
; %bb.0:
	s_clause 0x1
	s_load_b32 s2, s[0:1], 0x3c
	s_load_b128 s[4:7], s[0:1], 0x18
	v_bfe_u32 v1, v0, 10, 10
	v_dual_mov_b32 v9, 0 :: v_dual_and_b32 v6, 31, v0
	s_clause 0x1
	s_load_b128 s[8:11], s[0:1], 0x0
	s_load_b64 s[12:13], s[0:1], 0x10
	v_dual_mov_b32 v8, 0 :: v_dual_mov_b32 v11, 0
	s_waitcnt lgkmcnt(0)
	s_lshr_b32 s2, s2, 16
	v_cmp_gt_i32_e32 vcc_lo, s6, v6
	s_mul_i32 s15, s15, s2
	s_delay_alu instid0(SALU_CYCLE_1) | instskip(NEXT) | instid1(VALU_DEP_1)
	v_add_lshl_u32 v2, s15, v1, 1
	v_mad_u64_u32 v[0:1], null, v2, s5, v[6:7]
	v_sub_nc_u32_e32 v7, s4, v2
	s_delay_alu instid0(VALU_DEP_1) | instskip(NEXT) | instid1(VALU_DEP_3)
	v_cmp_lt_i32_e64 s3, 0, v7
	v_ashrrev_i32_e32 v1, 31, v0
	s_delay_alu instid0(VALU_DEP_2) | instskip(NEXT) | instid1(VALU_DEP_1)
	s_and_b32 s1, s3, vcc_lo
	v_lshlrev_b64 v[2:3], 2, v[0:1]
	s_delay_alu instid0(VALU_DEP_1) | instskip(NEXT) | instid1(VALU_DEP_1)
	v_add_co_u32 v4, s0, s10, v2
	v_add_co_ci_u32_e64 v5, s0, s11, v3, s0
	v_add_co_u32 v2, s0, s12, v2
	s_delay_alu instid0(VALU_DEP_1)
	v_add_co_ci_u32_e64 v3, s0, s13, v3, s0
	s_and_saveexec_b32 s0, s1
	s_cbranch_execz .LBB657_2
; %bb.1:
	global_load_b32 v9, v[4:5], off
	global_load_b32 v11, v[2:3], off
.LBB657_2:
	s_or_b32 exec_lo, exec_lo, s0
	v_or_b32_e32 v10, 32, v6
	v_mov_b32_e32 v12, 0
	s_delay_alu instid0(VALU_DEP_2) | instskip(NEXT) | instid1(VALU_DEP_1)
	v_cmp_gt_i32_e64 s0, s6, v10
	s_and_b32 s2, s3, s0
	s_delay_alu instid0(SALU_CYCLE_1)
	s_and_saveexec_b32 s1, s2
	s_cbranch_execz .LBB657_4
; %bb.3:
	global_load_b32 v8, v[4:5], off offset:128
	global_load_b32 v12, v[2:3], off offset:128
.LBB657_4:
	s_or_b32 exec_lo, exec_lo, s1
	v_or_b32_e32 v10, 64, v6
	v_dual_mov_b32 v14, 0 :: v_dual_mov_b32 v13, 0
	s_delay_alu instid0(VALU_DEP_2) | instskip(SKIP_1) | instid1(VALU_DEP_2)
	v_cmp_gt_i32_e64 s1, s6, v10
	v_mov_b32_e32 v10, 0
	s_and_b32 s4, s3, s1
	s_delay_alu instid0(SALU_CYCLE_1)
	s_and_saveexec_b32 s2, s4
	s_cbranch_execz .LBB657_6
; %bb.5:
	global_load_b32 v13, v[4:5], off offset:256
	global_load_b32 v14, v[2:3], off offset:256
.LBB657_6:
	s_or_b32 exec_lo, exec_lo, s2
	v_or_b32_e32 v6, 0x60, v6
	v_mov_b32_e32 v16, 0
	s_delay_alu instid0(VALU_DEP_2) | instskip(NEXT) | instid1(VALU_DEP_1)
	v_cmp_gt_i32_e64 s2, s6, v6
	s_and_b32 s5, s3, s2
	s_delay_alu instid0(SALU_CYCLE_1)
	s_and_saveexec_b32 s4, s5
	s_cbranch_execz .LBB657_8
; %bb.7:
	global_load_b32 v10, v[4:5], off offset:384
	global_load_b32 v16, v[2:3], off offset:384
.LBB657_8:
	s_or_b32 exec_lo, exec_lo, s4
	v_cmp_lt_i32_e64 s4, 1, v7
	v_dual_mov_b32 v6, 0 :: v_dual_mov_b32 v15, 0
	v_mov_b32_e32 v17, 0
	s_mov_b32 s7, 0
	s_delay_alu instid0(VALU_DEP_3) | instskip(NEXT) | instid1(SALU_CYCLE_1)
	s_and_b32 s5, s4, vcc_lo
	s_and_saveexec_b32 s10, s5
	s_cbranch_execz .LBB657_10
; %bb.9:
	s_lshl_b64 s[12:13], s[6:7], 2
	s_delay_alu instid0(SALU_CYCLE_1) | instskip(NEXT) | instid1(VALU_DEP_1)
	v_add_co_u32 v17, s5, v4, s12
	v_add_co_ci_u32_e64 v18, s5, s13, v5, s5
	v_add_co_u32 v19, s5, v2, s12
	s_delay_alu instid0(VALU_DEP_1)
	v_add_co_ci_u32_e64 v20, s5, s13, v3, s5
	global_load_b32 v15, v[17:18], off
	global_load_b32 v17, v[19:20], off
.LBB657_10:
	s_or_b32 exec_lo, exec_lo, s10
	v_mov_b32_e32 v19, 0
	s_and_b32 s5, s4, s0
	s_delay_alu instid0(SALU_CYCLE_1)
	s_and_saveexec_b32 s10, s5
	s_cbranch_execz .LBB657_12
; %bb.11:
	s_lshl_b64 s[12:13], s[6:7], 2
	s_delay_alu instid0(SALU_CYCLE_1) | instskip(NEXT) | instid1(VALU_DEP_1)
	v_add_co_u32 v18, s5, v4, s12
	v_add_co_ci_u32_e64 v19, s5, s13, v5, s5
	v_add_co_u32 v20, s5, v2, s12
	s_delay_alu instid0(VALU_DEP_1)
	v_add_co_ci_u32_e64 v21, s5, s13, v3, s5
	global_load_b32 v6, v[18:19], off offset:128
	global_load_b32 v19, v[20:21], off offset:128
.LBB657_12:
	s_or_b32 exec_lo, exec_lo, s10
	v_dual_mov_b32 v18, 0 :: v_dual_mov_b32 v21, 0
	v_mov_b32_e32 v20, 0
	s_and_b32 s5, s4, s1
	s_delay_alu instid0(SALU_CYCLE_1)
	s_and_saveexec_b32 s10, s5
	s_cbranch_execz .LBB657_14
; %bb.13:
	s_lshl_b64 s[12:13], s[6:7], 2
	s_delay_alu instid0(SALU_CYCLE_1) | instskip(NEXT) | instid1(VALU_DEP_1)
	v_add_co_u32 v20, s5, v4, s12
	v_add_co_ci_u32_e64 v21, s5, s13, v5, s5
	v_add_co_u32 v22, s5, v2, s12
	s_delay_alu instid0(VALU_DEP_1)
	v_add_co_ci_u32_e64 v23, s5, s13, v3, s5
	global_load_b32 v20, v[20:21], off offset:256
	global_load_b32 v21, v[22:23], off offset:256
.LBB657_14:
	s_or_b32 exec_lo, exec_lo, s10
	v_mov_b32_e32 v22, 0
	s_and_b32 s4, s4, s2
	s_delay_alu instid0(SALU_CYCLE_1)
	s_and_saveexec_b32 s5, s4
	s_cbranch_execz .LBB657_16
; %bb.15:
	s_lshl_b64 s[10:11], s[6:7], 2
	s_delay_alu instid0(SALU_CYCLE_1) | instskip(NEXT) | instid1(VALU_DEP_1)
	v_add_co_u32 v4, s4, v4, s10
	v_add_co_ci_u32_e64 v5, s4, s11, v5, s4
	v_add_co_u32 v2, s4, v2, s10
	s_delay_alu instid0(VALU_DEP_1)
	v_add_co_ci_u32_e64 v3, s4, s11, v3, s4
	global_load_b32 v18, v[4:5], off offset:384
	global_load_b32 v22, v[2:3], off offset:384
.LBB657_16:
	s_or_b32 exec_lo, exec_lo, s5
	v_mbcnt_lo_u32_b32 v3, -1, 0
	s_waitcnt vmcnt(1)
	v_add_f32_e32 v2, 0, v9
	s_delay_alu instid0(VALU_DEP_2) | instskip(NEXT) | instid1(VALU_DEP_2)
	v_xor_b32_e32 v5, 16, v3
	v_add_f32_e32 v2, v2, v8
	v_xor_b32_e32 v24, 8, v3
	s_delay_alu instid0(VALU_DEP_3) | instskip(NEXT) | instid1(VALU_DEP_3)
	v_cmp_gt_i32_e64 s4, 32, v5
	v_add_f32_e32 v2, v2, v13
	s_delay_alu instid0(VALU_DEP_2) | instskip(SKIP_1) | instid1(VALU_DEP_3)
	v_cndmask_b32_e64 v5, v3, v5, s4
	v_add_f32_e32 v4, 0, v15
	v_add_f32_e32 v2, v2, v10
	v_cmp_gt_i32_e64 s4, 32, v24
	s_delay_alu instid0(VALU_DEP_3) | instskip(NEXT) | instid1(VALU_DEP_2)
	v_dual_add_f32 v4, v4, v6 :: v_dual_lshlrev_b32 v5, 2, v5
	v_cndmask_b32_e64 v24, v3, v24, s4
	ds_bpermute_b32 v23, v5, v2
	v_add_f32_e32 v4, v4, v20
	v_lshlrev_b32_e32 v24, 2, v24
	s_delay_alu instid0(VALU_DEP_2)
	v_add_f32_e32 v4, v4, v18
	ds_bpermute_b32 v5, v5, v4
	s_waitcnt lgkmcnt(1)
	v_add_f32_e32 v2, v2, v23
	s_waitcnt lgkmcnt(0)
	v_add_f32_e32 v4, v4, v5
	ds_bpermute_b32 v5, v24, v2
	ds_bpermute_b32 v23, v24, v4
	v_xor_b32_e32 v24, 4, v3
	s_delay_alu instid0(VALU_DEP_1) | instskip(NEXT) | instid1(VALU_DEP_1)
	v_cmp_gt_i32_e64 s4, 32, v24
	v_cndmask_b32_e64 v24, v3, v24, s4
	s_delay_alu instid0(VALU_DEP_1)
	v_lshlrev_b32_e32 v24, 2, v24
	s_waitcnt lgkmcnt(1)
	v_add_f32_e32 v2, v2, v5
	s_waitcnt lgkmcnt(0)
	v_add_f32_e32 v4, v4, v23
	ds_bpermute_b32 v5, v24, v2
	ds_bpermute_b32 v23, v24, v4
	v_xor_b32_e32 v24, 2, v3
	s_delay_alu instid0(VALU_DEP_1) | instskip(NEXT) | instid1(VALU_DEP_1)
	v_cmp_gt_i32_e64 s4, 32, v24
	v_cndmask_b32_e64 v24, v3, v24, s4
	s_delay_alu instid0(VALU_DEP_1)
	v_lshlrev_b32_e32 v24, 2, v24
	s_waitcnt lgkmcnt(0)
	v_dual_add_f32 v2, v2, v5 :: v_dual_add_f32 v5, v4, v23
	ds_bpermute_b32 v4, v24, v2
	ds_bpermute_b32 v23, v24, v5
	v_xor_b32_e32 v24, 1, v3
	s_delay_alu instid0(VALU_DEP_1) | instskip(NEXT) | instid1(VALU_DEP_1)
	v_cmp_gt_i32_e64 s4, 32, v24
	v_cndmask_b32_e64 v3, v3, v24, s4
	s_waitcnt lgkmcnt(1)
	s_delay_alu instid0(VALU_DEP_1)
	v_dual_add_f32 v4, v2, v4 :: v_dual_lshlrev_b32 v3, 2, v3
	s_waitcnt lgkmcnt(0)
	v_add_f32_e32 v2, v5, v23
	ds_bpermute_b32 v5, v3, v4
	ds_bpermute_b32 v3, v3, v2
	s_and_saveexec_b32 s4, s3
	s_cbranch_execz .LBB657_22
; %bb.17:
	v_lshlrev_b64 v[0:1], 1, v[0:1]
	s_waitcnt lgkmcnt(1)
	v_add_f32_e32 v4, v4, v5
	s_delay_alu instid0(VALU_DEP_2) | instskip(NEXT) | instid1(VALU_DEP_1)
	v_add_co_u32 v0, s3, s8, v0
	v_add_co_ci_u32_e64 v1, s3, s9, v1, s3
	s_and_saveexec_b32 s4, vcc_lo
	s_cbranch_execnz .LBB657_23
; %bb.18:
	s_or_b32 exec_lo, exec_lo, s4
	s_and_saveexec_b32 s4, s0
	s_cbranch_execnz .LBB657_24
.LBB657_19:
	s_or_b32 exec_lo, exec_lo, s4
	s_and_saveexec_b32 s4, s1
	s_cbranch_execnz .LBB657_25
.LBB657_20:
	s_or_b32 exec_lo, exec_lo, s4
	s_and_saveexec_b32 s4, s2
	s_cbranch_execnz .LBB657_26
.LBB657_21:
	s_or_b32 exec_lo, exec_lo, s4
	v_cmp_ne_u32_e64 s3, 1, v7
	s_delay_alu instid0(VALU_DEP_1)
	s_and_b32 exec_lo, exec_lo, s3
	s_cbranch_execnz .LBB657_27
.LBB657_22:
	s_nop 0
	s_sendmsg sendmsg(MSG_DEALLOC_VGPRS)
	s_endpgm
.LBB657_23:
	s_waitcnt vmcnt(0)
	v_fma_f32 v5, -v4, v11, v9
	s_delay_alu instid0(VALU_DEP_1) | instskip(SKIP_1) | instid1(VALU_DEP_2)
	v_bfe_u32 v9, v5, 16, 1
	v_cmp_o_f32_e64 s3, v5, v5
	v_add3_u32 v9, v5, v9, 0x7fff
	s_delay_alu instid0(VALU_DEP_1) | instskip(NEXT) | instid1(VALU_DEP_1)
	v_lshrrev_b32_e32 v9, 16, v9
	v_cndmask_b32_e64 v5, 0x7fc0, v9, s3
	global_store_b16 v[0:1], v5, off
	s_or_b32 exec_lo, exec_lo, s4
	s_and_saveexec_b32 s4, s0
	s_cbranch_execz .LBB657_19
.LBB657_24:
	s_waitcnt vmcnt(0)
	v_fma_f32 v5, -v4, v12, v8
	s_delay_alu instid0(VALU_DEP_1) | instskip(SKIP_1) | instid1(VALU_DEP_2)
	v_bfe_u32 v8, v5, 16, 1
	v_cmp_o_f32_e64 s3, v5, v5
	v_add3_u32 v8, v5, v8, 0x7fff
	s_delay_alu instid0(VALU_DEP_1) | instskip(NEXT) | instid1(VALU_DEP_1)
	v_lshrrev_b32_e32 v8, 16, v8
	v_cndmask_b32_e64 v5, 0x7fc0, v8, s3
	global_store_b16 v[0:1], v5, off offset:64
	s_or_b32 exec_lo, exec_lo, s4
	s_and_saveexec_b32 s4, s1
	s_cbranch_execz .LBB657_20
.LBB657_25:
	s_waitcnt vmcnt(0)
	v_fma_f32 v5, -v4, v14, v13
	s_delay_alu instid0(VALU_DEP_1) | instskip(SKIP_1) | instid1(VALU_DEP_2)
	v_bfe_u32 v8, v5, 16, 1
	v_cmp_o_f32_e64 s3, v5, v5
	v_add3_u32 v8, v5, v8, 0x7fff
	s_delay_alu instid0(VALU_DEP_1) | instskip(NEXT) | instid1(VALU_DEP_1)
	v_lshrrev_b32_e32 v8, 16, v8
	v_cndmask_b32_e64 v5, 0x7fc0, v8, s3
	global_store_b16 v[0:1], v5, off offset:128
	s_or_b32 exec_lo, exec_lo, s4
	s_and_saveexec_b32 s4, s2
	s_cbranch_execz .LBB657_21
.LBB657_26:
	s_waitcnt vmcnt(0)
	v_fma_f32 v4, -v4, v16, v10
	s_delay_alu instid0(VALU_DEP_1) | instskip(SKIP_1) | instid1(VALU_DEP_2)
	v_bfe_u32 v5, v4, 16, 1
	v_cmp_o_f32_e64 s3, v4, v4
	v_add3_u32 v5, v4, v5, 0x7fff
	s_delay_alu instid0(VALU_DEP_1) | instskip(NEXT) | instid1(VALU_DEP_1)
	v_lshrrev_b32_e32 v5, 16, v5
	v_cndmask_b32_e64 v4, 0x7fc0, v5, s3
	global_store_b16 v[0:1], v4, off offset:192
	s_or_b32 exec_lo, exec_lo, s4
	v_cmp_ne_u32_e64 s3, 1, v7
	s_delay_alu instid0(VALU_DEP_1)
	s_and_b32 exec_lo, exec_lo, s3
	s_cbranch_execz .LBB657_22
.LBB657_27:
	s_ashr_i32 s7, s6, 31
	s_waitcnt lgkmcnt(0)
	v_add_f32_e32 v2, v2, v3
	s_lshl_b64 s[4:5], s[6:7], 1
	s_delay_alu instid0(SALU_CYCLE_1) | instskip(NEXT) | instid1(VALU_DEP_1)
	v_add_co_u32 v0, s3, v0, s4
	v_add_co_ci_u32_e64 v1, s3, s5, v1, s3
	s_and_saveexec_b32 s3, vcc_lo
	s_cbranch_execnz .LBB657_31
; %bb.28:
	s_or_b32 exec_lo, exec_lo, s3
	s_and_saveexec_b32 s3, s0
	s_cbranch_execnz .LBB657_32
.LBB657_29:
	s_or_b32 exec_lo, exec_lo, s3
	s_and_saveexec_b32 s0, s1
	s_cbranch_execnz .LBB657_33
.LBB657_30:
	s_or_b32 exec_lo, exec_lo, s0
	s_delay_alu instid0(SALU_CYCLE_1)
	s_and_b32 exec_lo, exec_lo, s2
	s_cbranch_execz .LBB657_22
	s_branch .LBB657_34
.LBB657_31:
	s_waitcnt vmcnt(0)
	v_fma_f32 v3, -v2, v17, v15
	s_delay_alu instid0(VALU_DEP_1) | instskip(SKIP_1) | instid1(VALU_DEP_2)
	v_bfe_u32 v4, v3, 16, 1
	v_cmp_o_f32_e32 vcc_lo, v3, v3
	v_add3_u32 v4, v3, v4, 0x7fff
	s_delay_alu instid0(VALU_DEP_1) | instskip(NEXT) | instid1(VALU_DEP_1)
	v_lshrrev_b32_e32 v4, 16, v4
	v_cndmask_b32_e32 v3, 0x7fc0, v4, vcc_lo
	global_store_b16 v[0:1], v3, off
	s_or_b32 exec_lo, exec_lo, s3
	s_and_saveexec_b32 s3, s0
	s_cbranch_execz .LBB657_29
.LBB657_32:
	s_waitcnt vmcnt(0)
	v_fma_f32 v3, -v2, v19, v6
	s_delay_alu instid0(VALU_DEP_1) | instskip(SKIP_1) | instid1(VALU_DEP_2)
	v_bfe_u32 v4, v3, 16, 1
	v_cmp_o_f32_e32 vcc_lo, v3, v3
	v_add3_u32 v4, v3, v4, 0x7fff
	s_delay_alu instid0(VALU_DEP_1) | instskip(NEXT) | instid1(VALU_DEP_1)
	v_lshrrev_b32_e32 v4, 16, v4
	v_cndmask_b32_e32 v3, 0x7fc0, v4, vcc_lo
	global_store_b16 v[0:1], v3, off offset:64
	s_or_b32 exec_lo, exec_lo, s3
	s_and_saveexec_b32 s0, s1
	s_cbranch_execz .LBB657_30
.LBB657_33:
	s_waitcnt vmcnt(0)
	v_fma_f32 v3, -v2, v21, v20
	s_delay_alu instid0(VALU_DEP_1) | instskip(SKIP_1) | instid1(VALU_DEP_2)
	v_bfe_u32 v4, v3, 16, 1
	v_cmp_o_f32_e32 vcc_lo, v3, v3
	v_add3_u32 v4, v3, v4, 0x7fff
	s_delay_alu instid0(VALU_DEP_1) | instskip(NEXT) | instid1(VALU_DEP_1)
	v_lshrrev_b32_e32 v4, 16, v4
	v_cndmask_b32_e32 v3, 0x7fc0, v4, vcc_lo
	global_store_b16 v[0:1], v3, off offset:128
	s_or_b32 exec_lo, exec_lo, s0
	s_delay_alu instid0(SALU_CYCLE_1)
	s_and_b32 exec_lo, exec_lo, s2
	s_cbranch_execz .LBB657_22
.LBB657_34:
	s_waitcnt vmcnt(0)
	v_fma_f32 v2, -v2, v22, v18
	s_delay_alu instid0(VALU_DEP_1) | instskip(SKIP_1) | instid1(VALU_DEP_2)
	v_bfe_u32 v3, v2, 16, 1
	v_cmp_o_f32_e32 vcc_lo, v2, v2
	v_add3_u32 v3, v2, v3, 0x7fff
	s_delay_alu instid0(VALU_DEP_1) | instskip(NEXT) | instid1(VALU_DEP_1)
	v_lshrrev_b32_e32 v3, 16, v3
	v_cndmask_b32_e32 v2, 0x7fc0, v3, vcc_lo
	global_store_b16 v[0:1], v2, off offset:192
	s_nop 0
	s_sendmsg sendmsg(MSG_DEALLOC_VGPRS)
	s_endpgm
	.section	.rodata,"a",@progbits
	.p2align	6, 0x0
	.amdhsa_kernel _ZN12_GLOBAL__N_121softmax_warp_backwardIfN3c108BFloat16EfLi7ELb0ELb0ELi32EEEvPT0_PKT_S7_iiiPKb
		.amdhsa_group_segment_fixed_size 0
		.amdhsa_private_segment_fixed_size 0
		.amdhsa_kernarg_size 304
		.amdhsa_user_sgpr_count 15
		.amdhsa_user_sgpr_dispatch_ptr 0
		.amdhsa_user_sgpr_queue_ptr 0
		.amdhsa_user_sgpr_kernarg_segment_ptr 1
		.amdhsa_user_sgpr_dispatch_id 0
		.amdhsa_user_sgpr_private_segment_size 0
		.amdhsa_wavefront_size32 1
		.amdhsa_uses_dynamic_stack 0
		.amdhsa_enable_private_segment 0
		.amdhsa_system_sgpr_workgroup_id_x 1
		.amdhsa_system_sgpr_workgroup_id_y 0
		.amdhsa_system_sgpr_workgroup_id_z 0
		.amdhsa_system_sgpr_workgroup_info 0
		.amdhsa_system_vgpr_workitem_id 1
		.amdhsa_next_free_vgpr 25
		.amdhsa_next_free_sgpr 16
		.amdhsa_reserve_vcc 1
		.amdhsa_float_round_mode_32 0
		.amdhsa_float_round_mode_16_64 0
		.amdhsa_float_denorm_mode_32 3
		.amdhsa_float_denorm_mode_16_64 3
		.amdhsa_dx10_clamp 1
		.amdhsa_ieee_mode 1
		.amdhsa_fp16_overflow 0
		.amdhsa_workgroup_processor_mode 1
		.amdhsa_memory_ordered 1
		.amdhsa_forward_progress 0
		.amdhsa_shared_vgpr_count 0
		.amdhsa_exception_fp_ieee_invalid_op 0
		.amdhsa_exception_fp_denorm_src 0
		.amdhsa_exception_fp_ieee_div_zero 0
		.amdhsa_exception_fp_ieee_overflow 0
		.amdhsa_exception_fp_ieee_underflow 0
		.amdhsa_exception_fp_ieee_inexact 0
		.amdhsa_exception_int_div_zero 0
	.end_amdhsa_kernel
	.section	.text._ZN12_GLOBAL__N_121softmax_warp_backwardIfN3c108BFloat16EfLi7ELb0ELb0ELi32EEEvPT0_PKT_S7_iiiPKb,"axG",@progbits,_ZN12_GLOBAL__N_121softmax_warp_backwardIfN3c108BFloat16EfLi7ELb0ELb0ELi32EEEvPT0_PKT_S7_iiiPKb,comdat
.Lfunc_end657:
	.size	_ZN12_GLOBAL__N_121softmax_warp_backwardIfN3c108BFloat16EfLi7ELb0ELb0ELi32EEEvPT0_PKT_S7_iiiPKb, .Lfunc_end657-_ZN12_GLOBAL__N_121softmax_warp_backwardIfN3c108BFloat16EfLi7ELb0ELb0ELi32EEEvPT0_PKT_S7_iiiPKb
                                        ; -- End function
	.section	.AMDGPU.csdata,"",@progbits
; Kernel info:
; codeLenInByte = 1964
; NumSgprs: 18
; NumVgprs: 25
; ScratchSize: 0
; MemoryBound: 0
; FloatMode: 240
; IeeeMode: 1
; LDSByteSize: 0 bytes/workgroup (compile time only)
; SGPRBlocks: 2
; VGPRBlocks: 3
; NumSGPRsForWavesPerEU: 18
; NumVGPRsForWavesPerEU: 25
; Occupancy: 16
; WaveLimiterHint : 0
; COMPUTE_PGM_RSRC2:SCRATCH_EN: 0
; COMPUTE_PGM_RSRC2:USER_SGPR: 15
; COMPUTE_PGM_RSRC2:TRAP_HANDLER: 0
; COMPUTE_PGM_RSRC2:TGID_X_EN: 1
; COMPUTE_PGM_RSRC2:TGID_Y_EN: 0
; COMPUTE_PGM_RSRC2:TGID_Z_EN: 0
; COMPUTE_PGM_RSRC2:TIDIG_COMP_CNT: 1
	.section	.text._ZN12_GLOBAL__N_121softmax_warp_backwardIfN3c108BFloat16EfLi8ELb0ELb0ELi64EEEvPT0_PKT_S7_iiiPKb,"axG",@progbits,_ZN12_GLOBAL__N_121softmax_warp_backwardIfN3c108BFloat16EfLi8ELb0ELb0ELi64EEEvPT0_PKT_S7_iiiPKb,comdat
	.globl	_ZN12_GLOBAL__N_121softmax_warp_backwardIfN3c108BFloat16EfLi8ELb0ELb0ELi64EEEvPT0_PKT_S7_iiiPKb ; -- Begin function _ZN12_GLOBAL__N_121softmax_warp_backwardIfN3c108BFloat16EfLi8ELb0ELb0ELi64EEEvPT0_PKT_S7_iiiPKb
	.p2align	8
	.type	_ZN12_GLOBAL__N_121softmax_warp_backwardIfN3c108BFloat16EfLi8ELb0ELb0ELi64EEEvPT0_PKT_S7_iiiPKb,@function
_ZN12_GLOBAL__N_121softmax_warp_backwardIfN3c108BFloat16EfLi8ELb0ELb0ELi64EEEvPT0_PKT_S7_iiiPKb: ; @_ZN12_GLOBAL__N_121softmax_warp_backwardIfN3c108BFloat16EfLi8ELb0ELb0ELi64EEEvPT0_PKT_S7_iiiPKb
; %bb.0:
	s_clause 0x1
	s_load_b32 s2, s[0:1], 0x3c
	s_load_b128 s[8:11], s[0:1], 0x18
	v_bfe_u32 v1, v0, 10, 10
	s_clause 0x1
	s_load_b128 s[4:7], s[0:1], 0x0
	s_load_b64 s[12:13], s[0:1], 0x10
	v_dual_mov_b32 v8, 0 :: v_dual_mov_b32 v11, 0
	v_mov_b32_e32 v7, 0
	s_waitcnt lgkmcnt(0)
	s_lshr_b32 s2, s2, 16
	s_delay_alu instid0(SALU_CYCLE_1) | instskip(SKIP_1) | instid1(VALU_DEP_1)
	v_mad_u64_u32 v[3:4], null, s15, s2, v[1:2]
	v_and_b32_e32 v2, 63, v0
	v_cmp_gt_i32_e32 vcc_lo, s10, v2
	s_delay_alu instid0(VALU_DEP_3) | instskip(SKIP_1) | instid1(VALU_DEP_1)
	v_mad_u64_u32 v[0:1], null, v3, s9, v[2:3]
	v_sub_nc_u32_e32 v10, s8, v3
	v_cmp_lt_i32_e64 s3, 0, v10
	s_delay_alu instid0(VALU_DEP_3) | instskip(NEXT) | instid1(VALU_DEP_2)
	v_ashrrev_i32_e32 v1, 31, v0
	s_and_b32 s1, s3, vcc_lo
	s_delay_alu instid0(VALU_DEP_1) | instskip(NEXT) | instid1(VALU_DEP_1)
	v_lshlrev_b64 v[5:6], 2, v[0:1]
	v_add_co_u32 v3, s0, s6, v5
	s_delay_alu instid0(VALU_DEP_1) | instskip(SKIP_1) | instid1(VALU_DEP_1)
	v_add_co_ci_u32_e64 v4, s0, s7, v6, s0
	v_add_co_u32 v5, s0, s12, v5
	v_add_co_ci_u32_e64 v6, s0, s13, v6, s0
	s_and_saveexec_b32 s0, s1
	s_cbranch_execz .LBB658_2
; %bb.1:
	global_load_b32 v8, v[3:4], off
	global_load_b32 v11, v[5:6], off
.LBB658_2:
	s_or_b32 exec_lo, exec_lo, s0
	v_or_b32_e32 v9, 64, v2
	v_mov_b32_e32 v12, 0
	s_delay_alu instid0(VALU_DEP_2) | instskip(NEXT) | instid1(VALU_DEP_1)
	v_cmp_gt_i32_e64 s0, s10, v9
	s_and_b32 s2, s3, s0
	s_delay_alu instid0(SALU_CYCLE_1)
	s_and_saveexec_b32 s1, s2
	s_cbranch_execz .LBB658_4
; %bb.3:
	global_load_b32 v7, v[3:4], off offset:256
	global_load_b32 v12, v[5:6], off offset:256
.LBB658_4:
	s_or_b32 exec_lo, exec_lo, s1
	v_or_b32_e32 v9, 0x80, v2
	v_dual_mov_b32 v13, 0 :: v_dual_mov_b32 v14, 0
	s_delay_alu instid0(VALU_DEP_2) | instskip(SKIP_1) | instid1(VALU_DEP_2)
	v_cmp_gt_i32_e64 s1, s10, v9
	v_mov_b32_e32 v9, 0
	s_and_b32 s6, s3, s1
	s_delay_alu instid0(SALU_CYCLE_1)
	s_and_saveexec_b32 s2, s6
	s_cbranch_execz .LBB658_6
; %bb.5:
	global_load_b32 v13, v[3:4], off offset:512
	global_load_b32 v14, v[5:6], off offset:512
.LBB658_6:
	s_or_b32 exec_lo, exec_lo, s2
	v_or_b32_e32 v2, 0xc0, v2
	s_delay_alu instid0(VALU_DEP_1) | instskip(SKIP_1) | instid1(VALU_DEP_2)
	v_cmp_gt_i32_e64 s2, s10, v2
	v_mov_b32_e32 v2, 0
	s_and_b32 s6, s3, s2
	s_delay_alu instid0(SALU_CYCLE_1)
	s_and_saveexec_b32 s3, s6
	s_cbranch_execz .LBB658_8
; %bb.7:
	global_load_b32 v9, v[3:4], off offset:768
	global_load_b32 v2, v[5:6], off offset:768
.LBB658_8:
	s_or_b32 exec_lo, exec_lo, s3
	v_mbcnt_lo_u32_b32 v4, -1, 0
	s_mov_b32 s6, exec_lo
	s_delay_alu instid0(VALU_DEP_1) | instskip(SKIP_1) | instid1(VALU_DEP_2)
	v_or_b32_e32 v5, 32, v4
	v_xor_b32_e32 v6, 16, v4
	v_cmp_gt_i32_e64 s3, 64, v5
	s_delay_alu instid0(VALU_DEP_1) | instskip(NEXT) | instid1(VALU_DEP_3)
	v_cndmask_b32_e64 v5, v4, v5, s3
	v_cmp_gt_i32_e64 s3, 64, v6
	s_delay_alu instid0(VALU_DEP_2) | instskip(NEXT) | instid1(VALU_DEP_2)
	v_lshlrev_b32_e32 v5, 2, v5
	v_cndmask_b32_e64 v6, v4, v6, s3
	s_waitcnt vmcnt(1)
	s_delay_alu instid0(VALU_DEP_1) | instskip(NEXT) | instid1(VALU_DEP_1)
	v_dual_add_f32 v3, 0, v8 :: v_dual_lshlrev_b32 v6, 2, v6
	v_add_f32_e32 v3, v3, v7
	s_delay_alu instid0(VALU_DEP_1) | instskip(NEXT) | instid1(VALU_DEP_1)
	v_add_f32_e32 v3, v3, v13
	v_add_f32_e32 v3, v3, v9
	ds_bpermute_b32 v5, v5, v3
	s_waitcnt lgkmcnt(0)
	v_add_f32_e32 v3, v3, v5
	ds_bpermute_b32 v5, v6, v3
	v_xor_b32_e32 v6, 8, v4
	s_delay_alu instid0(VALU_DEP_1) | instskip(NEXT) | instid1(VALU_DEP_1)
	v_cmp_gt_i32_e64 s3, 64, v6
	v_cndmask_b32_e64 v6, v4, v6, s3
	s_waitcnt lgkmcnt(0)
	s_delay_alu instid0(VALU_DEP_1) | instskip(SKIP_2) | instid1(VALU_DEP_1)
	v_dual_add_f32 v3, v3, v5 :: v_dual_lshlrev_b32 v6, 2, v6
	ds_bpermute_b32 v5, v6, v3
	v_xor_b32_e32 v6, 4, v4
	v_cmp_gt_i32_e64 s3, 64, v6
	s_delay_alu instid0(VALU_DEP_1) | instskip(SKIP_1) | instid1(VALU_DEP_1)
	v_cndmask_b32_e64 v6, v4, v6, s3
	s_waitcnt lgkmcnt(0)
	v_dual_add_f32 v3, v3, v5 :: v_dual_lshlrev_b32 v6, 2, v6
	ds_bpermute_b32 v5, v6, v3
	v_xor_b32_e32 v6, 2, v4
	s_delay_alu instid0(VALU_DEP_1) | instskip(NEXT) | instid1(VALU_DEP_1)
	v_cmp_gt_i32_e64 s3, 64, v6
	v_cndmask_b32_e64 v6, v4, v6, s3
	s_waitcnt lgkmcnt(0)
	s_delay_alu instid0(VALU_DEP_1) | instskip(SKIP_2) | instid1(VALU_DEP_1)
	v_dual_add_f32 v3, v3, v5 :: v_dual_lshlrev_b32 v6, 2, v6
	ds_bpermute_b32 v5, v6, v3
	v_xor_b32_e32 v6, 1, v4
	v_cmp_gt_i32_e64 s3, 64, v6
	s_delay_alu instid0(VALU_DEP_1) | instskip(SKIP_1) | instid1(VALU_DEP_1)
	v_cndmask_b32_e64 v4, v4, v6, s3
	s_waitcnt lgkmcnt(0)
	v_dual_add_f32 v3, v3, v5 :: v_dual_lshlrev_b32 v4, 2, v4
	ds_bpermute_b32 v4, v4, v3
	v_cmpx_lt_i32_e32 0, v10
	s_cbranch_execz .LBB658_14
; %bb.9:
	v_lshlrev_b64 v[0:1], 1, v[0:1]
	s_waitcnt lgkmcnt(0)
	v_add_f32_e32 v3, v3, v4
	s_delay_alu instid0(VALU_DEP_2) | instskip(NEXT) | instid1(VALU_DEP_1)
	v_add_co_u32 v0, s3, s4, v0
	v_add_co_ci_u32_e64 v1, s3, s5, v1, s3
	s_and_saveexec_b32 s3, vcc_lo
	s_cbranch_execnz .LBB658_15
; %bb.10:
	s_or_b32 exec_lo, exec_lo, s3
	s_and_saveexec_b32 s3, s0
	s_cbranch_execnz .LBB658_16
.LBB658_11:
	s_or_b32 exec_lo, exec_lo, s3
	s_and_saveexec_b32 s0, s1
	s_cbranch_execnz .LBB658_17
.LBB658_12:
	s_or_b32 exec_lo, exec_lo, s0
	s_delay_alu instid0(SALU_CYCLE_1)
	s_and_b32 exec_lo, exec_lo, s2
	s_cbranch_execz .LBB658_14
.LBB658_13:
	s_waitcnt vmcnt(0)
	v_fma_f32 v2, -v3, v2, v9
	s_delay_alu instid0(VALU_DEP_1) | instskip(SKIP_1) | instid1(VALU_DEP_2)
	v_bfe_u32 v3, v2, 16, 1
	v_cmp_o_f32_e32 vcc_lo, v2, v2
	v_add3_u32 v3, v2, v3, 0x7fff
	s_delay_alu instid0(VALU_DEP_1) | instskip(NEXT) | instid1(VALU_DEP_1)
	v_lshrrev_b32_e32 v3, 16, v3
	v_cndmask_b32_e32 v2, 0x7fc0, v3, vcc_lo
	global_store_b16 v[0:1], v2, off offset:384
.LBB658_14:
	s_nop 0
	s_sendmsg sendmsg(MSG_DEALLOC_VGPRS)
	s_endpgm
.LBB658_15:
	s_waitcnt vmcnt(0)
	v_fma_f32 v4, -v3, v11, v8
	s_delay_alu instid0(VALU_DEP_1) | instskip(SKIP_1) | instid1(VALU_DEP_2)
	v_bfe_u32 v5, v4, 16, 1
	v_cmp_o_f32_e32 vcc_lo, v4, v4
	v_add3_u32 v5, v4, v5, 0x7fff
	s_delay_alu instid0(VALU_DEP_1) | instskip(NEXT) | instid1(VALU_DEP_1)
	v_lshrrev_b32_e32 v5, 16, v5
	v_cndmask_b32_e32 v4, 0x7fc0, v5, vcc_lo
	global_store_b16 v[0:1], v4, off
	s_or_b32 exec_lo, exec_lo, s3
	s_and_saveexec_b32 s3, s0
	s_cbranch_execz .LBB658_11
.LBB658_16:
	s_waitcnt vmcnt(0)
	v_fma_f32 v4, -v3, v12, v7
	s_delay_alu instid0(VALU_DEP_1) | instskip(SKIP_1) | instid1(VALU_DEP_2)
	v_bfe_u32 v5, v4, 16, 1
	v_cmp_o_f32_e32 vcc_lo, v4, v4
	v_add3_u32 v5, v4, v5, 0x7fff
	s_delay_alu instid0(VALU_DEP_1) | instskip(NEXT) | instid1(VALU_DEP_1)
	v_lshrrev_b32_e32 v5, 16, v5
	v_cndmask_b32_e32 v4, 0x7fc0, v5, vcc_lo
	global_store_b16 v[0:1], v4, off offset:128
	s_or_b32 exec_lo, exec_lo, s3
	s_and_saveexec_b32 s0, s1
	s_cbranch_execz .LBB658_12
.LBB658_17:
	s_waitcnt vmcnt(0)
	v_fma_f32 v4, -v3, v14, v13
	s_delay_alu instid0(VALU_DEP_1) | instskip(SKIP_1) | instid1(VALU_DEP_2)
	v_bfe_u32 v5, v4, 16, 1
	v_cmp_o_f32_e32 vcc_lo, v4, v4
	v_add3_u32 v5, v4, v5, 0x7fff
	s_delay_alu instid0(VALU_DEP_1) | instskip(NEXT) | instid1(VALU_DEP_1)
	v_lshrrev_b32_e32 v5, 16, v5
	v_cndmask_b32_e32 v4, 0x7fc0, v5, vcc_lo
	global_store_b16 v[0:1], v4, off offset:256
	s_or_b32 exec_lo, exec_lo, s0
	s_delay_alu instid0(SALU_CYCLE_1)
	s_and_b32 exec_lo, exec_lo, s2
	s_cbranch_execnz .LBB658_13
	s_branch .LBB658_14
	.section	.rodata,"a",@progbits
	.p2align	6, 0x0
	.amdhsa_kernel _ZN12_GLOBAL__N_121softmax_warp_backwardIfN3c108BFloat16EfLi8ELb0ELb0ELi64EEEvPT0_PKT_S7_iiiPKb
		.amdhsa_group_segment_fixed_size 0
		.amdhsa_private_segment_fixed_size 0
		.amdhsa_kernarg_size 304
		.amdhsa_user_sgpr_count 15
		.amdhsa_user_sgpr_dispatch_ptr 0
		.amdhsa_user_sgpr_queue_ptr 0
		.amdhsa_user_sgpr_kernarg_segment_ptr 1
		.amdhsa_user_sgpr_dispatch_id 0
		.amdhsa_user_sgpr_private_segment_size 0
		.amdhsa_wavefront_size32 1
		.amdhsa_uses_dynamic_stack 0
		.amdhsa_enable_private_segment 0
		.amdhsa_system_sgpr_workgroup_id_x 1
		.amdhsa_system_sgpr_workgroup_id_y 0
		.amdhsa_system_sgpr_workgroup_id_z 0
		.amdhsa_system_sgpr_workgroup_info 0
		.amdhsa_system_vgpr_workitem_id 1
		.amdhsa_next_free_vgpr 15
		.amdhsa_next_free_sgpr 16
		.amdhsa_reserve_vcc 1
		.amdhsa_float_round_mode_32 0
		.amdhsa_float_round_mode_16_64 0
		.amdhsa_float_denorm_mode_32 3
		.amdhsa_float_denorm_mode_16_64 3
		.amdhsa_dx10_clamp 1
		.amdhsa_ieee_mode 1
		.amdhsa_fp16_overflow 0
		.amdhsa_workgroup_processor_mode 1
		.amdhsa_memory_ordered 1
		.amdhsa_forward_progress 0
		.amdhsa_shared_vgpr_count 0
		.amdhsa_exception_fp_ieee_invalid_op 0
		.amdhsa_exception_fp_denorm_src 0
		.amdhsa_exception_fp_ieee_div_zero 0
		.amdhsa_exception_fp_ieee_overflow 0
		.amdhsa_exception_fp_ieee_underflow 0
		.amdhsa_exception_fp_ieee_inexact 0
		.amdhsa_exception_int_div_zero 0
	.end_amdhsa_kernel
	.section	.text._ZN12_GLOBAL__N_121softmax_warp_backwardIfN3c108BFloat16EfLi8ELb0ELb0ELi64EEEvPT0_PKT_S7_iiiPKb,"axG",@progbits,_ZN12_GLOBAL__N_121softmax_warp_backwardIfN3c108BFloat16EfLi8ELb0ELb0ELi64EEEvPT0_PKT_S7_iiiPKb,comdat
.Lfunc_end658:
	.size	_ZN12_GLOBAL__N_121softmax_warp_backwardIfN3c108BFloat16EfLi8ELb0ELb0ELi64EEEvPT0_PKT_S7_iiiPKb, .Lfunc_end658-_ZN12_GLOBAL__N_121softmax_warp_backwardIfN3c108BFloat16EfLi8ELb0ELb0ELi64EEEvPT0_PKT_S7_iiiPKb
                                        ; -- End function
	.section	.AMDGPU.csdata,"",@progbits
; Kernel info:
; codeLenInByte = 1096
; NumSgprs: 18
; NumVgprs: 15
; ScratchSize: 0
; MemoryBound: 0
; FloatMode: 240
; IeeeMode: 1
; LDSByteSize: 0 bytes/workgroup (compile time only)
; SGPRBlocks: 2
; VGPRBlocks: 1
; NumSGPRsForWavesPerEU: 18
; NumVGPRsForWavesPerEU: 15
; Occupancy: 16
; WaveLimiterHint : 0
; COMPUTE_PGM_RSRC2:SCRATCH_EN: 0
; COMPUTE_PGM_RSRC2:USER_SGPR: 15
; COMPUTE_PGM_RSRC2:TRAP_HANDLER: 0
; COMPUTE_PGM_RSRC2:TGID_X_EN: 1
; COMPUTE_PGM_RSRC2:TGID_Y_EN: 0
; COMPUTE_PGM_RSRC2:TGID_Z_EN: 0
; COMPUTE_PGM_RSRC2:TIDIG_COMP_CNT: 1
	.section	.text._ZN12_GLOBAL__N_121softmax_warp_backwardIfN3c108BFloat16EfLi8ELb0ELb0ELi32EEEvPT0_PKT_S7_iiiPKb,"axG",@progbits,_ZN12_GLOBAL__N_121softmax_warp_backwardIfN3c108BFloat16EfLi8ELb0ELb0ELi32EEEvPT0_PKT_S7_iiiPKb,comdat
	.globl	_ZN12_GLOBAL__N_121softmax_warp_backwardIfN3c108BFloat16EfLi8ELb0ELb0ELi32EEEvPT0_PKT_S7_iiiPKb ; -- Begin function _ZN12_GLOBAL__N_121softmax_warp_backwardIfN3c108BFloat16EfLi8ELb0ELb0ELi32EEEvPT0_PKT_S7_iiiPKb
	.p2align	8
	.type	_ZN12_GLOBAL__N_121softmax_warp_backwardIfN3c108BFloat16EfLi8ELb0ELb0ELi32EEEvPT0_PKT_S7_iiiPKb,@function
_ZN12_GLOBAL__N_121softmax_warp_backwardIfN3c108BFloat16EfLi8ELb0ELb0ELi32EEEvPT0_PKT_S7_iiiPKb: ; @_ZN12_GLOBAL__N_121softmax_warp_backwardIfN3c108BFloat16EfLi8ELb0ELb0ELi32EEEvPT0_PKT_S7_iiiPKb
; %bb.0:
	s_clause 0x1
	s_load_b32 s2, s[0:1], 0x3c
	s_load_b128 s[4:7], s[0:1], 0x18
	v_bfe_u32 v1, v0, 10, 10
	s_load_b128 s[8:11], s[0:1], 0x0
	v_dual_mov_b32 v8, 0 :: v_dual_mov_b32 v11, 0
	v_mov_b32_e32 v7, 0
	s_waitcnt lgkmcnt(0)
	s_lshr_b32 s2, s2, 16
	s_delay_alu instid0(SALU_CYCLE_1) | instskip(SKIP_2) | instid1(VALU_DEP_1)
	v_mad_u64_u32 v[3:4], null, s15, s2, v[1:2]
	v_and_b32_e32 v2, 31, v0
	s_load_b64 s[2:3], s[0:1], 0x10
	v_cmp_gt_i32_e32 vcc_lo, s6, v2
	s_delay_alu instid0(VALU_DEP_3) | instskip(SKIP_1) | instid1(VALU_DEP_1)
	v_mad_u64_u32 v[0:1], null, v3, s5, v[2:3]
	v_sub_nc_u32_e32 v10, s4, v3
	v_cmp_lt_i32_e64 s7, 0, v10
	s_delay_alu instid0(VALU_DEP_3) | instskip(NEXT) | instid1(VALU_DEP_2)
	v_ashrrev_i32_e32 v1, 31, v0
	s_and_b32 s1, s7, vcc_lo
	s_delay_alu instid0(VALU_DEP_1) | instskip(NEXT) | instid1(VALU_DEP_1)
	v_lshlrev_b64 v[5:6], 2, v[0:1]
	v_add_co_u32 v3, s0, s10, v5
	s_delay_alu instid0(VALU_DEP_1) | instskip(SKIP_2) | instid1(VALU_DEP_1)
	v_add_co_ci_u32_e64 v4, s0, s11, v6, s0
	s_waitcnt lgkmcnt(0)
	v_add_co_u32 v5, s0, s2, v5
	v_add_co_ci_u32_e64 v6, s0, s3, v6, s0
	s_and_saveexec_b32 s0, s1
	s_cbranch_execz .LBB659_2
; %bb.1:
	global_load_b32 v8, v[3:4], off
	global_load_b32 v11, v[5:6], off
.LBB659_2:
	s_or_b32 exec_lo, exec_lo, s0
	v_or_b32_e32 v9, 32, v2
	v_mov_b32_e32 v13, 0
	s_delay_alu instid0(VALU_DEP_2) | instskip(NEXT) | instid1(VALU_DEP_1)
	v_cmp_gt_i32_e64 s0, s6, v9
	s_and_b32 s2, s7, s0
	s_delay_alu instid0(SALU_CYCLE_1)
	s_and_saveexec_b32 s1, s2
	s_cbranch_execz .LBB659_4
; %bb.3:
	global_load_b32 v7, v[3:4], off offset:128
	global_load_b32 v13, v[5:6], off offset:128
.LBB659_4:
	s_or_b32 exec_lo, exec_lo, s1
	v_or_b32_e32 v9, 64, v2
	v_dual_mov_b32 v15, 0 :: v_dual_mov_b32 v14, 0
	s_delay_alu instid0(VALU_DEP_2) | instskip(SKIP_1) | instid1(VALU_DEP_2)
	v_cmp_gt_i32_e64 s1, s6, v9
	v_mov_b32_e32 v9, 0
	s_and_b32 s3, s7, s1
	s_delay_alu instid0(SALU_CYCLE_1)
	s_and_saveexec_b32 s2, s3
	s_cbranch_execz .LBB659_6
; %bb.5:
	global_load_b32 v14, v[3:4], off offset:256
	global_load_b32 v15, v[5:6], off offset:256
.LBB659_6:
	s_or_b32 exec_lo, exec_lo, s2
	v_or_b32_e32 v12, 0x60, v2
	v_mov_b32_e32 v17, 0
	s_delay_alu instid0(VALU_DEP_2) | instskip(NEXT) | instid1(VALU_DEP_1)
	v_cmp_gt_i32_e64 s2, s6, v12
	s_and_b32 s4, s7, s2
	s_delay_alu instid0(SALU_CYCLE_1)
	s_and_saveexec_b32 s3, s4
	s_cbranch_execz .LBB659_8
; %bb.7:
	global_load_b32 v9, v[3:4], off offset:384
	global_load_b32 v17, v[5:6], off offset:384
.LBB659_8:
	s_or_b32 exec_lo, exec_lo, s3
	v_or_b32_e32 v12, 0x80, v2
	v_dual_mov_b32 v18, 0 :: v_dual_mov_b32 v19, 0
	s_delay_alu instid0(VALU_DEP_2) | instskip(SKIP_1) | instid1(VALU_DEP_2)
	v_cmp_gt_i32_e64 s3, s6, v12
	v_mov_b32_e32 v12, 0
	s_and_b32 s5, s7, s3
	s_delay_alu instid0(SALU_CYCLE_1)
	s_and_saveexec_b32 s4, s5
	s_cbranch_execz .LBB659_10
; %bb.9:
	global_load_b32 v18, v[3:4], off offset:512
	global_load_b32 v19, v[5:6], off offset:512
.LBB659_10:
	;; [unrolled: 27-line block ×3, first 2 shown]
	s_or_b32 exec_lo, exec_lo, s10
	v_or_b32_e32 v2, 0xe0, v2
	s_delay_alu instid0(VALU_DEP_1) | instskip(SKIP_1) | instid1(VALU_DEP_2)
	v_cmp_gt_i32_e64 s6, s6, v2
	v_mov_b32_e32 v2, 0
	s_and_b32 s10, s7, s6
	s_delay_alu instid0(SALU_CYCLE_1)
	s_and_saveexec_b32 s7, s10
	s_cbranch_execz .LBB659_16
; %bb.15:
	global_load_b32 v16, v[3:4], off offset:896
	global_load_b32 v2, v[5:6], off offset:896
.LBB659_16:
	s_or_b32 exec_lo, exec_lo, s7
	v_mbcnt_lo_u32_b32 v4, -1, 0
	s_mov_b32 s10, exec_lo
	s_delay_alu instid0(VALU_DEP_1) | instskip(SKIP_1) | instid1(VALU_DEP_2)
	v_xor_b32_e32 v5, 16, v4
	v_xor_b32_e32 v6, 8, v4
	v_cmp_gt_i32_e64 s7, 32, v5
	s_delay_alu instid0(VALU_DEP_1) | instskip(NEXT) | instid1(VALU_DEP_3)
	v_cndmask_b32_e64 v5, v4, v5, s7
	v_cmp_gt_i32_e64 s7, 32, v6
	s_delay_alu instid0(VALU_DEP_2) | instskip(NEXT) | instid1(VALU_DEP_2)
	v_lshlrev_b32_e32 v5, 2, v5
	v_cndmask_b32_e64 v6, v4, v6, s7
	s_waitcnt vmcnt(1)
	s_delay_alu instid0(VALU_DEP_1) | instskip(NEXT) | instid1(VALU_DEP_1)
	v_dual_add_f32 v3, 0, v8 :: v_dual_lshlrev_b32 v6, 2, v6
	v_add_f32_e32 v3, v3, v7
	s_delay_alu instid0(VALU_DEP_1) | instskip(NEXT) | instid1(VALU_DEP_1)
	v_add_f32_e32 v3, v3, v14
	v_add_f32_e32 v3, v3, v9
	s_delay_alu instid0(VALU_DEP_1) | instskip(NEXT) | instid1(VALU_DEP_1)
	v_add_f32_e32 v3, v3, v18
	;; [unrolled: 3-line block ×3, first 2 shown]
	v_add_f32_e32 v3, v3, v16
	ds_bpermute_b32 v5, v5, v3
	s_waitcnt lgkmcnt(0)
	v_add_f32_e32 v3, v3, v5
	ds_bpermute_b32 v5, v6, v3
	v_xor_b32_e32 v6, 4, v4
	s_delay_alu instid0(VALU_DEP_1) | instskip(NEXT) | instid1(VALU_DEP_1)
	v_cmp_gt_i32_e64 s7, 32, v6
	v_cndmask_b32_e64 v6, v4, v6, s7
	s_waitcnt lgkmcnt(0)
	s_delay_alu instid0(VALU_DEP_1) | instskip(SKIP_2) | instid1(VALU_DEP_1)
	v_dual_add_f32 v3, v3, v5 :: v_dual_lshlrev_b32 v6, 2, v6
	ds_bpermute_b32 v5, v6, v3
	v_xor_b32_e32 v6, 2, v4
	v_cmp_gt_i32_e64 s7, 32, v6
	s_delay_alu instid0(VALU_DEP_1) | instskip(SKIP_1) | instid1(VALU_DEP_1)
	v_cndmask_b32_e64 v6, v4, v6, s7
	s_waitcnt lgkmcnt(0)
	v_dual_add_f32 v3, v3, v5 :: v_dual_lshlrev_b32 v6, 2, v6
	ds_bpermute_b32 v5, v6, v3
	v_xor_b32_e32 v6, 1, v4
	s_delay_alu instid0(VALU_DEP_1) | instskip(NEXT) | instid1(VALU_DEP_1)
	v_cmp_gt_i32_e64 s7, 32, v6
	v_cndmask_b32_e64 v4, v4, v6, s7
	s_waitcnt lgkmcnt(0)
	s_delay_alu instid0(VALU_DEP_1)
	v_dual_add_f32 v3, v3, v5 :: v_dual_lshlrev_b32 v4, 2, v4
	ds_bpermute_b32 v4, v4, v3
	v_cmpx_lt_i32_e32 0, v10
	s_cbranch_execz .LBB659_26
; %bb.17:
	v_lshlrev_b64 v[0:1], 1, v[0:1]
	s_waitcnt lgkmcnt(0)
	v_add_f32_e32 v3, v3, v4
	s_delay_alu instid0(VALU_DEP_2) | instskip(NEXT) | instid1(VALU_DEP_1)
	v_add_co_u32 v0, s7, s8, v0
	v_add_co_ci_u32_e64 v1, s7, s9, v1, s7
	s_and_saveexec_b32 s7, vcc_lo
	s_cbranch_execnz .LBB659_27
; %bb.18:
	s_or_b32 exec_lo, exec_lo, s7
	s_and_saveexec_b32 s7, s0
	s_cbranch_execnz .LBB659_28
.LBB659_19:
	s_or_b32 exec_lo, exec_lo, s7
	s_and_saveexec_b32 s0, s1
	s_cbranch_execnz .LBB659_29
.LBB659_20:
	s_or_b32 exec_lo, exec_lo, s0
	s_and_saveexec_b32 s0, s2
	s_cbranch_execnz .LBB659_30
.LBB659_21:
	s_or_b32 exec_lo, exec_lo, s0
	s_and_saveexec_b32 s0, s3
	s_cbranch_execnz .LBB659_31
.LBB659_22:
	s_or_b32 exec_lo, exec_lo, s0
	s_and_saveexec_b32 s0, s4
	s_cbranch_execnz .LBB659_32
.LBB659_23:
	s_or_b32 exec_lo, exec_lo, s0
	s_and_saveexec_b32 s0, s5
	s_cbranch_execnz .LBB659_33
.LBB659_24:
	s_or_b32 exec_lo, exec_lo, s0
	s_delay_alu instid0(SALU_CYCLE_1)
	s_and_b32 exec_lo, exec_lo, s6
	s_cbranch_execz .LBB659_26
.LBB659_25:
	s_waitcnt vmcnt(0)
	v_fma_f32 v2, -v3, v2, v16
	s_delay_alu instid0(VALU_DEP_1) | instskip(SKIP_1) | instid1(VALU_DEP_2)
	v_bfe_u32 v3, v2, 16, 1
	v_cmp_o_f32_e32 vcc_lo, v2, v2
	v_add3_u32 v3, v2, v3, 0x7fff
	s_delay_alu instid0(VALU_DEP_1) | instskip(NEXT) | instid1(VALU_DEP_1)
	v_lshrrev_b32_e32 v3, 16, v3
	v_cndmask_b32_e32 v2, 0x7fc0, v3, vcc_lo
	global_store_b16 v[0:1], v2, off offset:448
.LBB659_26:
	s_nop 0
	s_sendmsg sendmsg(MSG_DEALLOC_VGPRS)
	s_endpgm
.LBB659_27:
	s_waitcnt vmcnt(0)
	v_fma_f32 v4, -v3, v11, v8
	s_delay_alu instid0(VALU_DEP_1) | instskip(SKIP_1) | instid1(VALU_DEP_2)
	v_bfe_u32 v5, v4, 16, 1
	v_cmp_o_f32_e32 vcc_lo, v4, v4
	v_add3_u32 v5, v4, v5, 0x7fff
	s_delay_alu instid0(VALU_DEP_1) | instskip(NEXT) | instid1(VALU_DEP_1)
	v_lshrrev_b32_e32 v5, 16, v5
	v_cndmask_b32_e32 v4, 0x7fc0, v5, vcc_lo
	global_store_b16 v[0:1], v4, off
	s_or_b32 exec_lo, exec_lo, s7
	s_and_saveexec_b32 s7, s0
	s_cbranch_execz .LBB659_19
.LBB659_28:
	s_waitcnt vmcnt(0)
	v_fma_f32 v4, -v3, v13, v7
	s_delay_alu instid0(VALU_DEP_1) | instskip(SKIP_1) | instid1(VALU_DEP_2)
	v_bfe_u32 v5, v4, 16, 1
	v_cmp_o_f32_e32 vcc_lo, v4, v4
	v_add3_u32 v5, v4, v5, 0x7fff
	s_delay_alu instid0(VALU_DEP_1) | instskip(NEXT) | instid1(VALU_DEP_1)
	v_lshrrev_b32_e32 v5, 16, v5
	v_cndmask_b32_e32 v4, 0x7fc0, v5, vcc_lo
	global_store_b16 v[0:1], v4, off offset:64
	s_or_b32 exec_lo, exec_lo, s7
	s_and_saveexec_b32 s0, s1
	s_cbranch_execz .LBB659_20
.LBB659_29:
	s_waitcnt vmcnt(0)
	v_fma_f32 v4, -v3, v15, v14
	s_delay_alu instid0(VALU_DEP_1) | instskip(SKIP_1) | instid1(VALU_DEP_2)
	v_bfe_u32 v5, v4, 16, 1
	v_cmp_o_f32_e32 vcc_lo, v4, v4
	v_add3_u32 v5, v4, v5, 0x7fff
	s_delay_alu instid0(VALU_DEP_1) | instskip(NEXT) | instid1(VALU_DEP_1)
	v_lshrrev_b32_e32 v5, 16, v5
	v_cndmask_b32_e32 v4, 0x7fc0, v5, vcc_lo
	global_store_b16 v[0:1], v4, off offset:128
	s_or_b32 exec_lo, exec_lo, s0
	s_and_saveexec_b32 s0, s2
	s_cbranch_execz .LBB659_21
.LBB659_30:
	s_waitcnt vmcnt(0)
	v_fma_f32 v4, -v3, v17, v9
	s_delay_alu instid0(VALU_DEP_1) | instskip(SKIP_1) | instid1(VALU_DEP_2)
	v_bfe_u32 v5, v4, 16, 1
	v_cmp_o_f32_e32 vcc_lo, v4, v4
	v_add3_u32 v5, v4, v5, 0x7fff
	s_delay_alu instid0(VALU_DEP_1) | instskip(NEXT) | instid1(VALU_DEP_1)
	v_lshrrev_b32_e32 v5, 16, v5
	v_cndmask_b32_e32 v4, 0x7fc0, v5, vcc_lo
	global_store_b16 v[0:1], v4, off offset:192
	s_or_b32 exec_lo, exec_lo, s0
	s_and_saveexec_b32 s0, s3
	s_cbranch_execz .LBB659_22
.LBB659_31:
	s_waitcnt vmcnt(0)
	v_fma_f32 v4, -v3, v19, v18
	s_delay_alu instid0(VALU_DEP_1) | instskip(SKIP_1) | instid1(VALU_DEP_2)
	v_bfe_u32 v5, v4, 16, 1
	v_cmp_o_f32_e32 vcc_lo, v4, v4
	v_add3_u32 v5, v4, v5, 0x7fff
	s_delay_alu instid0(VALU_DEP_1) | instskip(NEXT) | instid1(VALU_DEP_1)
	v_lshrrev_b32_e32 v5, 16, v5
	v_cndmask_b32_e32 v4, 0x7fc0, v5, vcc_lo
	global_store_b16 v[0:1], v4, off offset:256
	s_or_b32 exec_lo, exec_lo, s0
	s_and_saveexec_b32 s0, s4
	s_cbranch_execz .LBB659_23
.LBB659_32:
	s_waitcnt vmcnt(0)
	v_fma_f32 v4, -v3, v20, v12
	s_delay_alu instid0(VALU_DEP_1) | instskip(SKIP_1) | instid1(VALU_DEP_2)
	v_bfe_u32 v5, v4, 16, 1
	v_cmp_o_f32_e32 vcc_lo, v4, v4
	v_add3_u32 v5, v4, v5, 0x7fff
	s_delay_alu instid0(VALU_DEP_1) | instskip(NEXT) | instid1(VALU_DEP_1)
	v_lshrrev_b32_e32 v5, 16, v5
	v_cndmask_b32_e32 v4, 0x7fc0, v5, vcc_lo
	global_store_b16 v[0:1], v4, off offset:320
	s_or_b32 exec_lo, exec_lo, s0
	s_and_saveexec_b32 s0, s5
	s_cbranch_execz .LBB659_24
.LBB659_33:
	s_waitcnt vmcnt(0)
	v_fma_f32 v4, -v3, v22, v21
	s_delay_alu instid0(VALU_DEP_1) | instskip(SKIP_1) | instid1(VALU_DEP_2)
	v_bfe_u32 v5, v4, 16, 1
	v_cmp_o_f32_e32 vcc_lo, v4, v4
	v_add3_u32 v5, v4, v5, 0x7fff
	s_delay_alu instid0(VALU_DEP_1) | instskip(NEXT) | instid1(VALU_DEP_1)
	v_lshrrev_b32_e32 v5, 16, v5
	v_cndmask_b32_e32 v4, 0x7fc0, v5, vcc_lo
	global_store_b16 v[0:1], v4, off offset:384
	s_or_b32 exec_lo, exec_lo, s0
	s_delay_alu instid0(SALU_CYCLE_1)
	s_and_b32 exec_lo, exec_lo, s6
	s_cbranch_execnz .LBB659_25
	s_branch .LBB659_26
	.section	.rodata,"a",@progbits
	.p2align	6, 0x0
	.amdhsa_kernel _ZN12_GLOBAL__N_121softmax_warp_backwardIfN3c108BFloat16EfLi8ELb0ELb0ELi32EEEvPT0_PKT_S7_iiiPKb
		.amdhsa_group_segment_fixed_size 0
		.amdhsa_private_segment_fixed_size 0
		.amdhsa_kernarg_size 304
		.amdhsa_user_sgpr_count 15
		.amdhsa_user_sgpr_dispatch_ptr 0
		.amdhsa_user_sgpr_queue_ptr 0
		.amdhsa_user_sgpr_kernarg_segment_ptr 1
		.amdhsa_user_sgpr_dispatch_id 0
		.amdhsa_user_sgpr_private_segment_size 0
		.amdhsa_wavefront_size32 1
		.amdhsa_uses_dynamic_stack 0
		.amdhsa_enable_private_segment 0
		.amdhsa_system_sgpr_workgroup_id_x 1
		.amdhsa_system_sgpr_workgroup_id_y 0
		.amdhsa_system_sgpr_workgroup_id_z 0
		.amdhsa_system_sgpr_workgroup_info 0
		.amdhsa_system_vgpr_workitem_id 1
		.amdhsa_next_free_vgpr 23
		.amdhsa_next_free_sgpr 16
		.amdhsa_reserve_vcc 1
		.amdhsa_float_round_mode_32 0
		.amdhsa_float_round_mode_16_64 0
		.amdhsa_float_denorm_mode_32 3
		.amdhsa_float_denorm_mode_16_64 3
		.amdhsa_dx10_clamp 1
		.amdhsa_ieee_mode 1
		.amdhsa_fp16_overflow 0
		.amdhsa_workgroup_processor_mode 1
		.amdhsa_memory_ordered 1
		.amdhsa_forward_progress 0
		.amdhsa_shared_vgpr_count 0
		.amdhsa_exception_fp_ieee_invalid_op 0
		.amdhsa_exception_fp_denorm_src 0
		.amdhsa_exception_fp_ieee_div_zero 0
		.amdhsa_exception_fp_ieee_overflow 0
		.amdhsa_exception_fp_ieee_underflow 0
		.amdhsa_exception_fp_ieee_inexact 0
		.amdhsa_exception_int_div_zero 0
	.end_amdhsa_kernel
	.section	.text._ZN12_GLOBAL__N_121softmax_warp_backwardIfN3c108BFloat16EfLi8ELb0ELb0ELi32EEEvPT0_PKT_S7_iiiPKb,"axG",@progbits,_ZN12_GLOBAL__N_121softmax_warp_backwardIfN3c108BFloat16EfLi8ELb0ELb0ELi32EEEvPT0_PKT_S7_iiiPKb,comdat
.Lfunc_end659:
	.size	_ZN12_GLOBAL__N_121softmax_warp_backwardIfN3c108BFloat16EfLi8ELb0ELb0ELi32EEEvPT0_PKT_S7_iiiPKb, .Lfunc_end659-_ZN12_GLOBAL__N_121softmax_warp_backwardIfN3c108BFloat16EfLi8ELb0ELb0ELi32EEEvPT0_PKT_S7_iiiPKb
                                        ; -- End function
	.section	.AMDGPU.csdata,"",@progbits
; Kernel info:
; codeLenInByte = 1680
; NumSgprs: 18
; NumVgprs: 23
; ScratchSize: 0
; MemoryBound: 0
; FloatMode: 240
; IeeeMode: 1
; LDSByteSize: 0 bytes/workgroup (compile time only)
; SGPRBlocks: 2
; VGPRBlocks: 2
; NumSGPRsForWavesPerEU: 18
; NumVGPRsForWavesPerEU: 23
; Occupancy: 16
; WaveLimiterHint : 0
; COMPUTE_PGM_RSRC2:SCRATCH_EN: 0
; COMPUTE_PGM_RSRC2:USER_SGPR: 15
; COMPUTE_PGM_RSRC2:TRAP_HANDLER: 0
; COMPUTE_PGM_RSRC2:TGID_X_EN: 1
; COMPUTE_PGM_RSRC2:TGID_Y_EN: 0
; COMPUTE_PGM_RSRC2:TGID_Z_EN: 0
; COMPUTE_PGM_RSRC2:TIDIG_COMP_CNT: 1
	.section	.text._ZN12_GLOBAL__N_121softmax_warp_backwardIfN3c108BFloat16EfLi9ELb0ELb0ELi64EEEvPT0_PKT_S7_iiiPKb,"axG",@progbits,_ZN12_GLOBAL__N_121softmax_warp_backwardIfN3c108BFloat16EfLi9ELb0ELb0ELi64EEEvPT0_PKT_S7_iiiPKb,comdat
	.globl	_ZN12_GLOBAL__N_121softmax_warp_backwardIfN3c108BFloat16EfLi9ELb0ELb0ELi64EEEvPT0_PKT_S7_iiiPKb ; -- Begin function _ZN12_GLOBAL__N_121softmax_warp_backwardIfN3c108BFloat16EfLi9ELb0ELb0ELi64EEEvPT0_PKT_S7_iiiPKb
	.p2align	8
	.type	_ZN12_GLOBAL__N_121softmax_warp_backwardIfN3c108BFloat16EfLi9ELb0ELb0ELi64EEEvPT0_PKT_S7_iiiPKb,@function
_ZN12_GLOBAL__N_121softmax_warp_backwardIfN3c108BFloat16EfLi9ELb0ELb0ELi64EEEvPT0_PKT_S7_iiiPKb: ; @_ZN12_GLOBAL__N_121softmax_warp_backwardIfN3c108BFloat16EfLi9ELb0ELb0ELi64EEEvPT0_PKT_S7_iiiPKb
; %bb.0:
	s_clause 0x1
	s_load_b32 s2, s[0:1], 0x3c
	s_load_b128 s[4:7], s[0:1], 0x18
	v_bfe_u32 v1, v0, 10, 10
	s_load_b128 s[8:11], s[0:1], 0x0
	v_dual_mov_b32 v8, 0 :: v_dual_mov_b32 v11, 0
	v_mov_b32_e32 v7, 0
	s_waitcnt lgkmcnt(0)
	s_lshr_b32 s2, s2, 16
	s_delay_alu instid0(SALU_CYCLE_1) | instskip(SKIP_2) | instid1(VALU_DEP_1)
	v_mad_u64_u32 v[3:4], null, s15, s2, v[1:2]
	v_and_b32_e32 v2, 63, v0
	s_load_b64 s[2:3], s[0:1], 0x10
	v_cmp_gt_i32_e32 vcc_lo, s6, v2
	s_delay_alu instid0(VALU_DEP_3) | instskip(SKIP_1) | instid1(VALU_DEP_1)
	v_mad_u64_u32 v[0:1], null, v3, s5, v[2:3]
	v_sub_nc_u32_e32 v10, s4, v3
	v_cmp_lt_i32_e64 s7, 0, v10
	s_delay_alu instid0(VALU_DEP_3) | instskip(NEXT) | instid1(VALU_DEP_2)
	v_ashrrev_i32_e32 v1, 31, v0
	s_and_b32 s1, s7, vcc_lo
	s_delay_alu instid0(VALU_DEP_1) | instskip(NEXT) | instid1(VALU_DEP_1)
	v_lshlrev_b64 v[5:6], 2, v[0:1]
	v_add_co_u32 v3, s0, s10, v5
	s_delay_alu instid0(VALU_DEP_1) | instskip(SKIP_2) | instid1(VALU_DEP_1)
	v_add_co_ci_u32_e64 v4, s0, s11, v6, s0
	s_waitcnt lgkmcnt(0)
	v_add_co_u32 v5, s0, s2, v5
	v_add_co_ci_u32_e64 v6, s0, s3, v6, s0
	s_and_saveexec_b32 s0, s1
	s_cbranch_execz .LBB660_2
; %bb.1:
	global_load_b32 v8, v[3:4], off
	global_load_b32 v11, v[5:6], off
.LBB660_2:
	s_or_b32 exec_lo, exec_lo, s0
	v_or_b32_e32 v9, 64, v2
	v_mov_b32_e32 v13, 0
	s_delay_alu instid0(VALU_DEP_2) | instskip(NEXT) | instid1(VALU_DEP_1)
	v_cmp_gt_i32_e64 s0, s6, v9
	s_and_b32 s2, s7, s0
	s_delay_alu instid0(SALU_CYCLE_1)
	s_and_saveexec_b32 s1, s2
	s_cbranch_execz .LBB660_4
; %bb.3:
	global_load_b32 v7, v[3:4], off offset:256
	global_load_b32 v13, v[5:6], off offset:256
.LBB660_4:
	s_or_b32 exec_lo, exec_lo, s1
	v_or_b32_e32 v9, 0x80, v2
	v_dual_mov_b32 v15, 0 :: v_dual_mov_b32 v14, 0
	s_delay_alu instid0(VALU_DEP_2) | instskip(SKIP_1) | instid1(VALU_DEP_2)
	v_cmp_gt_i32_e64 s1, s6, v9
	v_mov_b32_e32 v9, 0
	s_and_b32 s3, s7, s1
	s_delay_alu instid0(SALU_CYCLE_1)
	s_and_saveexec_b32 s2, s3
	s_cbranch_execz .LBB660_6
; %bb.5:
	global_load_b32 v14, v[3:4], off offset:512
	global_load_b32 v15, v[5:6], off offset:512
.LBB660_6:
	s_or_b32 exec_lo, exec_lo, s2
	v_or_b32_e32 v12, 0xc0, v2
	v_mov_b32_e32 v17, 0
	s_delay_alu instid0(VALU_DEP_2) | instskip(NEXT) | instid1(VALU_DEP_1)
	v_cmp_gt_i32_e64 s2, s6, v12
	s_and_b32 s4, s7, s2
	s_delay_alu instid0(SALU_CYCLE_1)
	s_and_saveexec_b32 s3, s4
	s_cbranch_execz .LBB660_8
; %bb.7:
	global_load_b32 v9, v[3:4], off offset:768
	global_load_b32 v17, v[5:6], off offset:768
.LBB660_8:
	s_or_b32 exec_lo, exec_lo, s3
	v_or_b32_e32 v12, 0x100, v2
	v_dual_mov_b32 v18, 0 :: v_dual_mov_b32 v19, 0
	s_delay_alu instid0(VALU_DEP_2) | instskip(SKIP_1) | instid1(VALU_DEP_2)
	v_cmp_gt_i32_e64 s3, s6, v12
	v_mov_b32_e32 v12, 0
	s_and_b32 s5, s7, s3
	s_delay_alu instid0(SALU_CYCLE_1)
	s_and_saveexec_b32 s4, s5
	s_cbranch_execz .LBB660_10
; %bb.9:
	global_load_b32 v18, v[3:4], off offset:1024
	global_load_b32 v19, v[5:6], off offset:1024
.LBB660_10:
	;; [unrolled: 27-line block ×3, first 2 shown]
	s_or_b32 exec_lo, exec_lo, s10
	v_or_b32_e32 v2, 0x1c0, v2
	s_delay_alu instid0(VALU_DEP_1) | instskip(SKIP_1) | instid1(VALU_DEP_2)
	v_cmp_gt_i32_e64 s6, s6, v2
	v_mov_b32_e32 v2, 0
	s_and_b32 s10, s7, s6
	s_delay_alu instid0(SALU_CYCLE_1)
	s_and_saveexec_b32 s7, s10
	s_cbranch_execz .LBB660_16
; %bb.15:
	global_load_b32 v16, v[3:4], off offset:1792
	global_load_b32 v2, v[5:6], off offset:1792
.LBB660_16:
	s_or_b32 exec_lo, exec_lo, s7
	v_mbcnt_lo_u32_b32 v4, -1, 0
	s_mov_b32 s10, exec_lo
	s_delay_alu instid0(VALU_DEP_1) | instskip(SKIP_1) | instid1(VALU_DEP_2)
	v_or_b32_e32 v5, 32, v4
	v_xor_b32_e32 v6, 16, v4
	v_cmp_gt_i32_e64 s7, 64, v5
	s_delay_alu instid0(VALU_DEP_1) | instskip(NEXT) | instid1(VALU_DEP_3)
	v_cndmask_b32_e64 v5, v4, v5, s7
	v_cmp_gt_i32_e64 s7, 64, v6
	s_delay_alu instid0(VALU_DEP_2) | instskip(NEXT) | instid1(VALU_DEP_2)
	v_lshlrev_b32_e32 v5, 2, v5
	v_cndmask_b32_e64 v6, v4, v6, s7
	s_waitcnt vmcnt(1)
	s_delay_alu instid0(VALU_DEP_1) | instskip(NEXT) | instid1(VALU_DEP_1)
	v_dual_add_f32 v3, 0, v8 :: v_dual_lshlrev_b32 v6, 2, v6
	v_add_f32_e32 v3, v3, v7
	s_delay_alu instid0(VALU_DEP_1) | instskip(NEXT) | instid1(VALU_DEP_1)
	v_add_f32_e32 v3, v3, v14
	v_add_f32_e32 v3, v3, v9
	s_delay_alu instid0(VALU_DEP_1) | instskip(NEXT) | instid1(VALU_DEP_1)
	v_add_f32_e32 v3, v3, v18
	;; [unrolled: 3-line block ×3, first 2 shown]
	v_add_f32_e32 v3, v3, v16
	ds_bpermute_b32 v5, v5, v3
	s_waitcnt lgkmcnt(0)
	v_add_f32_e32 v3, v3, v5
	ds_bpermute_b32 v5, v6, v3
	v_xor_b32_e32 v6, 8, v4
	s_delay_alu instid0(VALU_DEP_1) | instskip(NEXT) | instid1(VALU_DEP_1)
	v_cmp_gt_i32_e64 s7, 64, v6
	v_cndmask_b32_e64 v6, v4, v6, s7
	s_waitcnt lgkmcnt(0)
	s_delay_alu instid0(VALU_DEP_1) | instskip(SKIP_2) | instid1(VALU_DEP_1)
	v_dual_add_f32 v3, v3, v5 :: v_dual_lshlrev_b32 v6, 2, v6
	ds_bpermute_b32 v5, v6, v3
	v_xor_b32_e32 v6, 4, v4
	v_cmp_gt_i32_e64 s7, 64, v6
	s_delay_alu instid0(VALU_DEP_1) | instskip(SKIP_1) | instid1(VALU_DEP_1)
	v_cndmask_b32_e64 v6, v4, v6, s7
	s_waitcnt lgkmcnt(0)
	v_dual_add_f32 v3, v3, v5 :: v_dual_lshlrev_b32 v6, 2, v6
	ds_bpermute_b32 v5, v6, v3
	v_xor_b32_e32 v6, 2, v4
	s_delay_alu instid0(VALU_DEP_1) | instskip(NEXT) | instid1(VALU_DEP_1)
	v_cmp_gt_i32_e64 s7, 64, v6
	v_cndmask_b32_e64 v6, v4, v6, s7
	s_waitcnt lgkmcnt(0)
	s_delay_alu instid0(VALU_DEP_1) | instskip(SKIP_2) | instid1(VALU_DEP_1)
	v_dual_add_f32 v3, v3, v5 :: v_dual_lshlrev_b32 v6, 2, v6
	ds_bpermute_b32 v5, v6, v3
	v_xor_b32_e32 v6, 1, v4
	v_cmp_gt_i32_e64 s7, 64, v6
	s_delay_alu instid0(VALU_DEP_1) | instskip(SKIP_1) | instid1(VALU_DEP_1)
	v_cndmask_b32_e64 v4, v4, v6, s7
	s_waitcnt lgkmcnt(0)
	v_dual_add_f32 v3, v3, v5 :: v_dual_lshlrev_b32 v4, 2, v4
	ds_bpermute_b32 v4, v4, v3
	v_cmpx_lt_i32_e32 0, v10
	s_cbranch_execz .LBB660_26
; %bb.17:
	v_lshlrev_b64 v[0:1], 1, v[0:1]
	s_waitcnt lgkmcnt(0)
	v_add_f32_e32 v3, v3, v4
	s_delay_alu instid0(VALU_DEP_2) | instskip(NEXT) | instid1(VALU_DEP_1)
	v_add_co_u32 v0, s7, s8, v0
	v_add_co_ci_u32_e64 v1, s7, s9, v1, s7
	s_and_saveexec_b32 s7, vcc_lo
	s_cbranch_execnz .LBB660_27
; %bb.18:
	s_or_b32 exec_lo, exec_lo, s7
	s_and_saveexec_b32 s7, s0
	s_cbranch_execnz .LBB660_28
.LBB660_19:
	s_or_b32 exec_lo, exec_lo, s7
	s_and_saveexec_b32 s0, s1
	s_cbranch_execnz .LBB660_29
.LBB660_20:
	s_or_b32 exec_lo, exec_lo, s0
	s_and_saveexec_b32 s0, s2
	s_cbranch_execnz .LBB660_30
.LBB660_21:
	s_or_b32 exec_lo, exec_lo, s0
	s_and_saveexec_b32 s0, s3
	s_cbranch_execnz .LBB660_31
.LBB660_22:
	s_or_b32 exec_lo, exec_lo, s0
	s_and_saveexec_b32 s0, s4
	s_cbranch_execnz .LBB660_32
.LBB660_23:
	s_or_b32 exec_lo, exec_lo, s0
	s_and_saveexec_b32 s0, s5
	s_cbranch_execnz .LBB660_33
.LBB660_24:
	s_or_b32 exec_lo, exec_lo, s0
	s_delay_alu instid0(SALU_CYCLE_1)
	s_and_b32 exec_lo, exec_lo, s6
	s_cbranch_execz .LBB660_26
.LBB660_25:
	s_waitcnt vmcnt(0)
	v_fma_f32 v2, -v3, v2, v16
	s_delay_alu instid0(VALU_DEP_1) | instskip(SKIP_1) | instid1(VALU_DEP_2)
	v_bfe_u32 v3, v2, 16, 1
	v_cmp_o_f32_e32 vcc_lo, v2, v2
	v_add3_u32 v3, v2, v3, 0x7fff
	s_delay_alu instid0(VALU_DEP_1) | instskip(NEXT) | instid1(VALU_DEP_1)
	v_lshrrev_b32_e32 v3, 16, v3
	v_cndmask_b32_e32 v2, 0x7fc0, v3, vcc_lo
	global_store_b16 v[0:1], v2, off offset:896
.LBB660_26:
	s_nop 0
	s_sendmsg sendmsg(MSG_DEALLOC_VGPRS)
	s_endpgm
.LBB660_27:
	s_waitcnt vmcnt(0)
	v_fma_f32 v4, -v3, v11, v8
	s_delay_alu instid0(VALU_DEP_1) | instskip(SKIP_1) | instid1(VALU_DEP_2)
	v_bfe_u32 v5, v4, 16, 1
	v_cmp_o_f32_e32 vcc_lo, v4, v4
	v_add3_u32 v5, v4, v5, 0x7fff
	s_delay_alu instid0(VALU_DEP_1) | instskip(NEXT) | instid1(VALU_DEP_1)
	v_lshrrev_b32_e32 v5, 16, v5
	v_cndmask_b32_e32 v4, 0x7fc0, v5, vcc_lo
	global_store_b16 v[0:1], v4, off
	s_or_b32 exec_lo, exec_lo, s7
	s_and_saveexec_b32 s7, s0
	s_cbranch_execz .LBB660_19
.LBB660_28:
	s_waitcnt vmcnt(0)
	v_fma_f32 v4, -v3, v13, v7
	s_delay_alu instid0(VALU_DEP_1) | instskip(SKIP_1) | instid1(VALU_DEP_2)
	v_bfe_u32 v5, v4, 16, 1
	v_cmp_o_f32_e32 vcc_lo, v4, v4
	v_add3_u32 v5, v4, v5, 0x7fff
	s_delay_alu instid0(VALU_DEP_1) | instskip(NEXT) | instid1(VALU_DEP_1)
	v_lshrrev_b32_e32 v5, 16, v5
	v_cndmask_b32_e32 v4, 0x7fc0, v5, vcc_lo
	global_store_b16 v[0:1], v4, off offset:128
	s_or_b32 exec_lo, exec_lo, s7
	s_and_saveexec_b32 s0, s1
	s_cbranch_execz .LBB660_20
.LBB660_29:
	s_waitcnt vmcnt(0)
	v_fma_f32 v4, -v3, v15, v14
	s_delay_alu instid0(VALU_DEP_1) | instskip(SKIP_1) | instid1(VALU_DEP_2)
	v_bfe_u32 v5, v4, 16, 1
	v_cmp_o_f32_e32 vcc_lo, v4, v4
	v_add3_u32 v5, v4, v5, 0x7fff
	s_delay_alu instid0(VALU_DEP_1) | instskip(NEXT) | instid1(VALU_DEP_1)
	v_lshrrev_b32_e32 v5, 16, v5
	v_cndmask_b32_e32 v4, 0x7fc0, v5, vcc_lo
	global_store_b16 v[0:1], v4, off offset:256
	s_or_b32 exec_lo, exec_lo, s0
	s_and_saveexec_b32 s0, s2
	s_cbranch_execz .LBB660_21
.LBB660_30:
	s_waitcnt vmcnt(0)
	v_fma_f32 v4, -v3, v17, v9
	s_delay_alu instid0(VALU_DEP_1) | instskip(SKIP_1) | instid1(VALU_DEP_2)
	v_bfe_u32 v5, v4, 16, 1
	v_cmp_o_f32_e32 vcc_lo, v4, v4
	v_add3_u32 v5, v4, v5, 0x7fff
	s_delay_alu instid0(VALU_DEP_1) | instskip(NEXT) | instid1(VALU_DEP_1)
	v_lshrrev_b32_e32 v5, 16, v5
	v_cndmask_b32_e32 v4, 0x7fc0, v5, vcc_lo
	global_store_b16 v[0:1], v4, off offset:384
	s_or_b32 exec_lo, exec_lo, s0
	s_and_saveexec_b32 s0, s3
	s_cbranch_execz .LBB660_22
.LBB660_31:
	s_waitcnt vmcnt(0)
	v_fma_f32 v4, -v3, v19, v18
	s_delay_alu instid0(VALU_DEP_1) | instskip(SKIP_1) | instid1(VALU_DEP_2)
	v_bfe_u32 v5, v4, 16, 1
	v_cmp_o_f32_e32 vcc_lo, v4, v4
	v_add3_u32 v5, v4, v5, 0x7fff
	s_delay_alu instid0(VALU_DEP_1) | instskip(NEXT) | instid1(VALU_DEP_1)
	v_lshrrev_b32_e32 v5, 16, v5
	v_cndmask_b32_e32 v4, 0x7fc0, v5, vcc_lo
	global_store_b16 v[0:1], v4, off offset:512
	s_or_b32 exec_lo, exec_lo, s0
	s_and_saveexec_b32 s0, s4
	s_cbranch_execz .LBB660_23
.LBB660_32:
	s_waitcnt vmcnt(0)
	v_fma_f32 v4, -v3, v20, v12
	s_delay_alu instid0(VALU_DEP_1) | instskip(SKIP_1) | instid1(VALU_DEP_2)
	v_bfe_u32 v5, v4, 16, 1
	v_cmp_o_f32_e32 vcc_lo, v4, v4
	v_add3_u32 v5, v4, v5, 0x7fff
	s_delay_alu instid0(VALU_DEP_1) | instskip(NEXT) | instid1(VALU_DEP_1)
	v_lshrrev_b32_e32 v5, 16, v5
	v_cndmask_b32_e32 v4, 0x7fc0, v5, vcc_lo
	global_store_b16 v[0:1], v4, off offset:640
	s_or_b32 exec_lo, exec_lo, s0
	s_and_saveexec_b32 s0, s5
	s_cbranch_execz .LBB660_24
.LBB660_33:
	s_waitcnt vmcnt(0)
	v_fma_f32 v4, -v3, v22, v21
	s_delay_alu instid0(VALU_DEP_1) | instskip(SKIP_1) | instid1(VALU_DEP_2)
	v_bfe_u32 v5, v4, 16, 1
	v_cmp_o_f32_e32 vcc_lo, v4, v4
	v_add3_u32 v5, v4, v5, 0x7fff
	s_delay_alu instid0(VALU_DEP_1) | instskip(NEXT) | instid1(VALU_DEP_1)
	v_lshrrev_b32_e32 v5, 16, v5
	v_cndmask_b32_e32 v4, 0x7fc0, v5, vcc_lo
	global_store_b16 v[0:1], v4, off offset:768
	s_or_b32 exec_lo, exec_lo, s0
	s_delay_alu instid0(SALU_CYCLE_1)
	s_and_b32 exec_lo, exec_lo, s6
	s_cbranch_execnz .LBB660_25
	s_branch .LBB660_26
	.section	.rodata,"a",@progbits
	.p2align	6, 0x0
	.amdhsa_kernel _ZN12_GLOBAL__N_121softmax_warp_backwardIfN3c108BFloat16EfLi9ELb0ELb0ELi64EEEvPT0_PKT_S7_iiiPKb
		.amdhsa_group_segment_fixed_size 0
		.amdhsa_private_segment_fixed_size 0
		.amdhsa_kernarg_size 304
		.amdhsa_user_sgpr_count 15
		.amdhsa_user_sgpr_dispatch_ptr 0
		.amdhsa_user_sgpr_queue_ptr 0
		.amdhsa_user_sgpr_kernarg_segment_ptr 1
		.amdhsa_user_sgpr_dispatch_id 0
		.amdhsa_user_sgpr_private_segment_size 0
		.amdhsa_wavefront_size32 1
		.amdhsa_uses_dynamic_stack 0
		.amdhsa_enable_private_segment 0
		.amdhsa_system_sgpr_workgroup_id_x 1
		.amdhsa_system_sgpr_workgroup_id_y 0
		.amdhsa_system_sgpr_workgroup_id_z 0
		.amdhsa_system_sgpr_workgroup_info 0
		.amdhsa_system_vgpr_workitem_id 1
		.amdhsa_next_free_vgpr 23
		.amdhsa_next_free_sgpr 16
		.amdhsa_reserve_vcc 1
		.amdhsa_float_round_mode_32 0
		.amdhsa_float_round_mode_16_64 0
		.amdhsa_float_denorm_mode_32 3
		.amdhsa_float_denorm_mode_16_64 3
		.amdhsa_dx10_clamp 1
		.amdhsa_ieee_mode 1
		.amdhsa_fp16_overflow 0
		.amdhsa_workgroup_processor_mode 1
		.amdhsa_memory_ordered 1
		.amdhsa_forward_progress 0
		.amdhsa_shared_vgpr_count 0
		.amdhsa_exception_fp_ieee_invalid_op 0
		.amdhsa_exception_fp_denorm_src 0
		.amdhsa_exception_fp_ieee_div_zero 0
		.amdhsa_exception_fp_ieee_overflow 0
		.amdhsa_exception_fp_ieee_underflow 0
		.amdhsa_exception_fp_ieee_inexact 0
		.amdhsa_exception_int_div_zero 0
	.end_amdhsa_kernel
	.section	.text._ZN12_GLOBAL__N_121softmax_warp_backwardIfN3c108BFloat16EfLi9ELb0ELb0ELi64EEEvPT0_PKT_S7_iiiPKb,"axG",@progbits,_ZN12_GLOBAL__N_121softmax_warp_backwardIfN3c108BFloat16EfLi9ELb0ELb0ELi64EEEvPT0_PKT_S7_iiiPKb,comdat
.Lfunc_end660:
	.size	_ZN12_GLOBAL__N_121softmax_warp_backwardIfN3c108BFloat16EfLi9ELb0ELb0ELi64EEEvPT0_PKT_S7_iiiPKb, .Lfunc_end660-_ZN12_GLOBAL__N_121softmax_warp_backwardIfN3c108BFloat16EfLi9ELb0ELb0ELi64EEEvPT0_PKT_S7_iiiPKb
                                        ; -- End function
	.section	.AMDGPU.csdata,"",@progbits
; Kernel info:
; codeLenInByte = 1728
; NumSgprs: 18
; NumVgprs: 23
; ScratchSize: 0
; MemoryBound: 0
; FloatMode: 240
; IeeeMode: 1
; LDSByteSize: 0 bytes/workgroup (compile time only)
; SGPRBlocks: 2
; VGPRBlocks: 2
; NumSGPRsForWavesPerEU: 18
; NumVGPRsForWavesPerEU: 23
; Occupancy: 16
; WaveLimiterHint : 0
; COMPUTE_PGM_RSRC2:SCRATCH_EN: 0
; COMPUTE_PGM_RSRC2:USER_SGPR: 15
; COMPUTE_PGM_RSRC2:TRAP_HANDLER: 0
; COMPUTE_PGM_RSRC2:TGID_X_EN: 1
; COMPUTE_PGM_RSRC2:TGID_Y_EN: 0
; COMPUTE_PGM_RSRC2:TGID_Z_EN: 0
; COMPUTE_PGM_RSRC2:TIDIG_COMP_CNT: 1
	.section	.text._ZN12_GLOBAL__N_121softmax_warp_backwardIfN3c108BFloat16EfLi9ELb0ELb0ELi32EEEvPT0_PKT_S7_iiiPKb,"axG",@progbits,_ZN12_GLOBAL__N_121softmax_warp_backwardIfN3c108BFloat16EfLi9ELb0ELb0ELi32EEEvPT0_PKT_S7_iiiPKb,comdat
	.globl	_ZN12_GLOBAL__N_121softmax_warp_backwardIfN3c108BFloat16EfLi9ELb0ELb0ELi32EEEvPT0_PKT_S7_iiiPKb ; -- Begin function _ZN12_GLOBAL__N_121softmax_warp_backwardIfN3c108BFloat16EfLi9ELb0ELb0ELi32EEEvPT0_PKT_S7_iiiPKb
	.p2align	8
	.type	_ZN12_GLOBAL__N_121softmax_warp_backwardIfN3c108BFloat16EfLi9ELb0ELb0ELi32EEEvPT0_PKT_S7_iiiPKb,@function
_ZN12_GLOBAL__N_121softmax_warp_backwardIfN3c108BFloat16EfLi9ELb0ELb0ELi32EEEvPT0_PKT_S7_iiiPKb: ; @_ZN12_GLOBAL__N_121softmax_warp_backwardIfN3c108BFloat16EfLi9ELb0ELb0ELi32EEEvPT0_PKT_S7_iiiPKb
; %bb.0:
	s_clause 0x1
	s_load_b32 s2, s[0:1], 0x3c
	s_load_b128 s[20:23], s[0:1], 0x18
	v_bfe_u32 v1, v0, 10, 10
	s_load_b128 s[16:19], s[0:1], 0x0
	v_dual_mov_b32 v8, 0 :: v_dual_mov_b32 v11, 0
	v_mov_b32_e32 v7, 0
	s_waitcnt lgkmcnt(0)
	s_lshr_b32 s2, s2, 16
	s_delay_alu instid0(SALU_CYCLE_1) | instskip(SKIP_2) | instid1(VALU_DEP_1)
	v_mad_u64_u32 v[3:4], null, s15, s2, v[1:2]
	v_and_b32_e32 v2, 31, v0
	s_load_b64 s[2:3], s[0:1], 0x10
	v_cmp_gt_i32_e32 vcc_lo, s22, v2
	s_delay_alu instid0(VALU_DEP_3) | instskip(SKIP_1) | instid1(VALU_DEP_1)
	v_mad_u64_u32 v[0:1], null, v3, s21, v[2:3]
	v_sub_nc_u32_e32 v10, s20, v3
	v_cmp_lt_i32_e64 s14, 0, v10
	s_delay_alu instid0(VALU_DEP_3) | instskip(NEXT) | instid1(VALU_DEP_2)
	v_ashrrev_i32_e32 v1, 31, v0
	s_and_b32 s1, s14, vcc_lo
	s_delay_alu instid0(VALU_DEP_1) | instskip(NEXT) | instid1(VALU_DEP_1)
	v_lshlrev_b64 v[5:6], 2, v[0:1]
	v_add_co_u32 v3, s0, s18, v5
	s_delay_alu instid0(VALU_DEP_1) | instskip(SKIP_2) | instid1(VALU_DEP_1)
	v_add_co_ci_u32_e64 v4, s0, s19, v6, s0
	s_waitcnt lgkmcnt(0)
	v_add_co_u32 v5, s0, s2, v5
	v_add_co_ci_u32_e64 v6, s0, s3, v6, s0
	s_and_saveexec_b32 s0, s1
	s_cbranch_execz .LBB661_2
; %bb.1:
	global_load_b32 v8, v[3:4], off
	global_load_b32 v11, v[5:6], off
.LBB661_2:
	s_or_b32 exec_lo, exec_lo, s0
	v_or_b32_e32 v9, 32, v2
	v_mov_b32_e32 v13, 0
	s_delay_alu instid0(VALU_DEP_2) | instskip(NEXT) | instid1(VALU_DEP_1)
	v_cmp_gt_i32_e64 s0, s22, v9
	s_and_b32 s2, s14, s0
	s_delay_alu instid0(SALU_CYCLE_1)
	s_and_saveexec_b32 s1, s2
	s_cbranch_execz .LBB661_4
; %bb.3:
	global_load_b32 v7, v[3:4], off offset:128
	global_load_b32 v13, v[5:6], off offset:128
.LBB661_4:
	s_or_b32 exec_lo, exec_lo, s1
	v_or_b32_e32 v9, 64, v2
	v_dual_mov_b32 v15, 0 :: v_dual_mov_b32 v14, 0
	s_delay_alu instid0(VALU_DEP_2) | instskip(SKIP_1) | instid1(VALU_DEP_2)
	v_cmp_gt_i32_e64 s1, s22, v9
	v_mov_b32_e32 v9, 0
	s_and_b32 s3, s14, s1
	s_delay_alu instid0(SALU_CYCLE_1)
	s_and_saveexec_b32 s2, s3
	s_cbranch_execz .LBB661_6
; %bb.5:
	global_load_b32 v14, v[3:4], off offset:256
	global_load_b32 v15, v[5:6], off offset:256
.LBB661_6:
	s_or_b32 exec_lo, exec_lo, s2
	v_or_b32_e32 v12, 0x60, v2
	v_mov_b32_e32 v17, 0
	s_delay_alu instid0(VALU_DEP_2) | instskip(NEXT) | instid1(VALU_DEP_1)
	v_cmp_gt_i32_e64 s2, s22, v12
	s_and_b32 s4, s14, s2
	s_delay_alu instid0(SALU_CYCLE_1)
	s_and_saveexec_b32 s3, s4
	s_cbranch_execz .LBB661_8
; %bb.7:
	global_load_b32 v9, v[3:4], off offset:384
	global_load_b32 v17, v[5:6], off offset:384
.LBB661_8:
	s_or_b32 exec_lo, exec_lo, s3
	v_or_b32_e32 v12, 0x80, v2
	v_dual_mov_b32 v18, 0 :: v_dual_mov_b32 v19, 0
	s_delay_alu instid0(VALU_DEP_2) | instskip(SKIP_1) | instid1(VALU_DEP_2)
	v_cmp_gt_i32_e64 s3, s22, v12
	v_mov_b32_e32 v12, 0
	s_and_b32 s5, s14, s3
	s_delay_alu instid0(SALU_CYCLE_1)
	s_and_saveexec_b32 s4, s5
	s_cbranch_execz .LBB661_10
; %bb.9:
	global_load_b32 v18, v[3:4], off offset:512
	global_load_b32 v19, v[5:6], off offset:512
.LBB661_10:
	;; [unrolled: 27-line block ×7, first 2 shown]
	s_or_b32 exec_lo, exec_lo, s15
	v_or_b32_e32 v2, 0x1e0, v2
	s_delay_alu instid0(VALU_DEP_1) | instskip(SKIP_1) | instid1(VALU_DEP_2)
	v_cmp_gt_i32_e64 s15, s22, v2
	v_mov_b32_e32 v2, 0
	s_and_b32 s18, s14, s15
	s_delay_alu instid0(SALU_CYCLE_1)
	s_and_saveexec_b32 s14, s18
	s_cbranch_execz .LBB661_32
; %bb.31:
	global_load_b32 v32, v[3:4], off offset:1920
	global_load_b32 v2, v[5:6], off offset:1920
.LBB661_32:
	s_or_b32 exec_lo, exec_lo, s14
	v_mbcnt_lo_u32_b32 v4, -1, 0
	s_mov_b32 s18, exec_lo
	s_delay_alu instid0(VALU_DEP_1) | instskip(SKIP_1) | instid1(VALU_DEP_2)
	v_xor_b32_e32 v5, 16, v4
	v_xor_b32_e32 v6, 8, v4
	v_cmp_gt_i32_e64 s14, 32, v5
	s_delay_alu instid0(VALU_DEP_1) | instskip(NEXT) | instid1(VALU_DEP_3)
	v_cndmask_b32_e64 v5, v4, v5, s14
	v_cmp_gt_i32_e64 s14, 32, v6
	s_delay_alu instid0(VALU_DEP_2) | instskip(NEXT) | instid1(VALU_DEP_2)
	v_lshlrev_b32_e32 v5, 2, v5
	v_cndmask_b32_e64 v6, v4, v6, s14
	s_waitcnt vmcnt(1)
	s_delay_alu instid0(VALU_DEP_1) | instskip(NEXT) | instid1(VALU_DEP_1)
	v_dual_add_f32 v3, 0, v8 :: v_dual_lshlrev_b32 v6, 2, v6
	v_add_f32_e32 v3, v3, v7
	s_delay_alu instid0(VALU_DEP_1) | instskip(NEXT) | instid1(VALU_DEP_1)
	v_add_f32_e32 v3, v3, v14
	v_add_f32_e32 v3, v3, v9
	s_delay_alu instid0(VALU_DEP_1) | instskip(NEXT) | instid1(VALU_DEP_1)
	v_add_f32_e32 v3, v3, v18
	;; [unrolled: 3-line block ×7, first 2 shown]
	v_add_f32_e32 v3, v3, v32
	ds_bpermute_b32 v5, v5, v3
	s_waitcnt lgkmcnt(0)
	v_add_f32_e32 v3, v3, v5
	ds_bpermute_b32 v5, v6, v3
	v_xor_b32_e32 v6, 4, v4
	s_delay_alu instid0(VALU_DEP_1) | instskip(NEXT) | instid1(VALU_DEP_1)
	v_cmp_gt_i32_e64 s14, 32, v6
	v_cndmask_b32_e64 v6, v4, v6, s14
	s_waitcnt lgkmcnt(0)
	s_delay_alu instid0(VALU_DEP_1) | instskip(SKIP_2) | instid1(VALU_DEP_1)
	v_dual_add_f32 v3, v3, v5 :: v_dual_lshlrev_b32 v6, 2, v6
	ds_bpermute_b32 v5, v6, v3
	v_xor_b32_e32 v6, 2, v4
	v_cmp_gt_i32_e64 s14, 32, v6
	s_delay_alu instid0(VALU_DEP_1) | instskip(SKIP_1) | instid1(VALU_DEP_1)
	v_cndmask_b32_e64 v6, v4, v6, s14
	s_waitcnt lgkmcnt(0)
	v_dual_add_f32 v3, v3, v5 :: v_dual_lshlrev_b32 v6, 2, v6
	ds_bpermute_b32 v5, v6, v3
	v_xor_b32_e32 v6, 1, v4
	s_delay_alu instid0(VALU_DEP_1) | instskip(NEXT) | instid1(VALU_DEP_1)
	v_cmp_gt_i32_e64 s14, 32, v6
	v_cndmask_b32_e64 v4, v4, v6, s14
	s_waitcnt lgkmcnt(0)
	s_delay_alu instid0(VALU_DEP_1)
	v_dual_add_f32 v3, v3, v5 :: v_dual_lshlrev_b32 v4, 2, v4
	ds_bpermute_b32 v4, v4, v3
	v_cmpx_lt_i32_e32 0, v10
	s_cbranch_execz .LBB661_50
; %bb.33:
	v_lshlrev_b64 v[0:1], 1, v[0:1]
	s_waitcnt lgkmcnt(0)
	v_add_f32_e32 v3, v3, v4
	s_delay_alu instid0(VALU_DEP_2) | instskip(NEXT) | instid1(VALU_DEP_1)
	v_add_co_u32 v0, s14, s16, v0
	v_add_co_ci_u32_e64 v1, s14, s17, v1, s14
	s_and_saveexec_b32 s14, vcc_lo
	s_cbranch_execnz .LBB661_51
; %bb.34:
	s_or_b32 exec_lo, exec_lo, s14
	s_and_saveexec_b32 s14, s0
	s_cbranch_execnz .LBB661_52
.LBB661_35:
	s_or_b32 exec_lo, exec_lo, s14
	s_and_saveexec_b32 s0, s1
	s_cbranch_execnz .LBB661_53
.LBB661_36:
	s_or_b32 exec_lo, exec_lo, s0
	s_and_saveexec_b32 s0, s2
	s_cbranch_execnz .LBB661_54
.LBB661_37:
	s_or_b32 exec_lo, exec_lo, s0
	s_and_saveexec_b32 s0, s3
	s_cbranch_execnz .LBB661_55
.LBB661_38:
	s_or_b32 exec_lo, exec_lo, s0
	s_and_saveexec_b32 s0, s4
	s_cbranch_execnz .LBB661_56
.LBB661_39:
	s_or_b32 exec_lo, exec_lo, s0
	s_and_saveexec_b32 s0, s5
	s_cbranch_execnz .LBB661_57
.LBB661_40:
	s_or_b32 exec_lo, exec_lo, s0
	s_and_saveexec_b32 s0, s6
	s_cbranch_execnz .LBB661_58
.LBB661_41:
	s_or_b32 exec_lo, exec_lo, s0
	s_and_saveexec_b32 s0, s7
	s_cbranch_execnz .LBB661_59
.LBB661_42:
	s_or_b32 exec_lo, exec_lo, s0
	s_and_saveexec_b32 s0, s8
	s_cbranch_execnz .LBB661_60
.LBB661_43:
	s_or_b32 exec_lo, exec_lo, s0
	s_and_saveexec_b32 s0, s9
	s_cbranch_execnz .LBB661_61
.LBB661_44:
	s_or_b32 exec_lo, exec_lo, s0
	s_and_saveexec_b32 s0, s10
	s_cbranch_execnz .LBB661_62
.LBB661_45:
	s_or_b32 exec_lo, exec_lo, s0
	s_and_saveexec_b32 s0, s11
	s_cbranch_execnz .LBB661_63
.LBB661_46:
	s_or_b32 exec_lo, exec_lo, s0
	s_and_saveexec_b32 s0, s12
	s_cbranch_execnz .LBB661_64
.LBB661_47:
	s_or_b32 exec_lo, exec_lo, s0
	s_and_saveexec_b32 s0, s13
	s_cbranch_execnz .LBB661_65
.LBB661_48:
	s_or_b32 exec_lo, exec_lo, s0
	s_delay_alu instid0(SALU_CYCLE_1)
	s_and_b32 exec_lo, exec_lo, s15
	s_cbranch_execz .LBB661_50
.LBB661_49:
	s_waitcnt vmcnt(0)
	v_fma_f32 v2, -v3, v2, v32
	s_delay_alu instid0(VALU_DEP_1) | instskip(SKIP_1) | instid1(VALU_DEP_2)
	v_bfe_u32 v3, v2, 16, 1
	v_cmp_o_f32_e32 vcc_lo, v2, v2
	v_add3_u32 v3, v2, v3, 0x7fff
	s_delay_alu instid0(VALU_DEP_1) | instskip(NEXT) | instid1(VALU_DEP_1)
	v_lshrrev_b32_e32 v3, 16, v3
	v_cndmask_b32_e32 v2, 0x7fc0, v3, vcc_lo
	global_store_b16 v[0:1], v2, off offset:960
.LBB661_50:
	s_nop 0
	s_sendmsg sendmsg(MSG_DEALLOC_VGPRS)
	s_endpgm
.LBB661_51:
	s_waitcnt vmcnt(0)
	v_fma_f32 v4, -v3, v11, v8
	s_delay_alu instid0(VALU_DEP_1) | instskip(SKIP_1) | instid1(VALU_DEP_2)
	v_bfe_u32 v5, v4, 16, 1
	v_cmp_o_f32_e32 vcc_lo, v4, v4
	v_add3_u32 v5, v4, v5, 0x7fff
	s_delay_alu instid0(VALU_DEP_1) | instskip(NEXT) | instid1(VALU_DEP_1)
	v_lshrrev_b32_e32 v5, 16, v5
	v_cndmask_b32_e32 v4, 0x7fc0, v5, vcc_lo
	global_store_b16 v[0:1], v4, off
	s_or_b32 exec_lo, exec_lo, s14
	s_and_saveexec_b32 s14, s0
	s_cbranch_execz .LBB661_35
.LBB661_52:
	s_waitcnt vmcnt(0)
	v_fma_f32 v4, -v3, v13, v7
	s_delay_alu instid0(VALU_DEP_1) | instskip(SKIP_1) | instid1(VALU_DEP_2)
	v_bfe_u32 v5, v4, 16, 1
	v_cmp_o_f32_e32 vcc_lo, v4, v4
	v_add3_u32 v5, v4, v5, 0x7fff
	s_delay_alu instid0(VALU_DEP_1) | instskip(NEXT) | instid1(VALU_DEP_1)
	v_lshrrev_b32_e32 v5, 16, v5
	v_cndmask_b32_e32 v4, 0x7fc0, v5, vcc_lo
	global_store_b16 v[0:1], v4, off offset:64
	s_or_b32 exec_lo, exec_lo, s14
	s_and_saveexec_b32 s0, s1
	s_cbranch_execz .LBB661_36
.LBB661_53:
	s_waitcnt vmcnt(0)
	v_fma_f32 v4, -v3, v15, v14
	s_delay_alu instid0(VALU_DEP_1) | instskip(SKIP_1) | instid1(VALU_DEP_2)
	v_bfe_u32 v5, v4, 16, 1
	v_cmp_o_f32_e32 vcc_lo, v4, v4
	v_add3_u32 v5, v4, v5, 0x7fff
	s_delay_alu instid0(VALU_DEP_1) | instskip(NEXT) | instid1(VALU_DEP_1)
	v_lshrrev_b32_e32 v5, 16, v5
	v_cndmask_b32_e32 v4, 0x7fc0, v5, vcc_lo
	global_store_b16 v[0:1], v4, off offset:128
	s_or_b32 exec_lo, exec_lo, s0
	s_and_saveexec_b32 s0, s2
	s_cbranch_execz .LBB661_37
.LBB661_54:
	s_waitcnt vmcnt(0)
	v_fma_f32 v4, -v3, v17, v9
	s_delay_alu instid0(VALU_DEP_1) | instskip(SKIP_1) | instid1(VALU_DEP_2)
	v_bfe_u32 v5, v4, 16, 1
	v_cmp_o_f32_e32 vcc_lo, v4, v4
	v_add3_u32 v5, v4, v5, 0x7fff
	s_delay_alu instid0(VALU_DEP_1) | instskip(NEXT) | instid1(VALU_DEP_1)
	v_lshrrev_b32_e32 v5, 16, v5
	v_cndmask_b32_e32 v4, 0x7fc0, v5, vcc_lo
	global_store_b16 v[0:1], v4, off offset:192
	s_or_b32 exec_lo, exec_lo, s0
	s_and_saveexec_b32 s0, s3
	s_cbranch_execz .LBB661_38
.LBB661_55:
	s_waitcnt vmcnt(0)
	v_fma_f32 v4, -v3, v19, v18
	s_delay_alu instid0(VALU_DEP_1) | instskip(SKIP_1) | instid1(VALU_DEP_2)
	v_bfe_u32 v5, v4, 16, 1
	v_cmp_o_f32_e32 vcc_lo, v4, v4
	v_add3_u32 v5, v4, v5, 0x7fff
	s_delay_alu instid0(VALU_DEP_1) | instskip(NEXT) | instid1(VALU_DEP_1)
	v_lshrrev_b32_e32 v5, 16, v5
	v_cndmask_b32_e32 v4, 0x7fc0, v5, vcc_lo
	global_store_b16 v[0:1], v4, off offset:256
	s_or_b32 exec_lo, exec_lo, s0
	s_and_saveexec_b32 s0, s4
	s_cbranch_execz .LBB661_39
.LBB661_56:
	s_waitcnt vmcnt(0)
	v_fma_f32 v4, -v3, v21, v12
	s_delay_alu instid0(VALU_DEP_1) | instskip(SKIP_1) | instid1(VALU_DEP_2)
	v_bfe_u32 v5, v4, 16, 1
	v_cmp_o_f32_e32 vcc_lo, v4, v4
	v_add3_u32 v5, v4, v5, 0x7fff
	s_delay_alu instid0(VALU_DEP_1) | instskip(NEXT) | instid1(VALU_DEP_1)
	v_lshrrev_b32_e32 v5, 16, v5
	v_cndmask_b32_e32 v4, 0x7fc0, v5, vcc_lo
	global_store_b16 v[0:1], v4, off offset:320
	s_or_b32 exec_lo, exec_lo, s0
	s_and_saveexec_b32 s0, s5
	s_cbranch_execz .LBB661_40
.LBB661_57:
	s_waitcnt vmcnt(0)
	v_fma_f32 v4, -v3, v23, v22
	s_delay_alu instid0(VALU_DEP_1) | instskip(SKIP_1) | instid1(VALU_DEP_2)
	v_bfe_u32 v5, v4, 16, 1
	v_cmp_o_f32_e32 vcc_lo, v4, v4
	v_add3_u32 v5, v4, v5, 0x7fff
	s_delay_alu instid0(VALU_DEP_1) | instskip(NEXT) | instid1(VALU_DEP_1)
	v_lshrrev_b32_e32 v5, 16, v5
	v_cndmask_b32_e32 v4, 0x7fc0, v5, vcc_lo
	global_store_b16 v[0:1], v4, off offset:384
	s_or_b32 exec_lo, exec_lo, s0
	s_and_saveexec_b32 s0, s6
	s_cbranch_execz .LBB661_41
.LBB661_58:
	s_waitcnt vmcnt(0)
	v_fma_f32 v4, -v3, v25, v16
	s_delay_alu instid0(VALU_DEP_1) | instskip(SKIP_1) | instid1(VALU_DEP_2)
	v_bfe_u32 v5, v4, 16, 1
	v_cmp_o_f32_e32 vcc_lo, v4, v4
	v_add3_u32 v5, v4, v5, 0x7fff
	s_delay_alu instid0(VALU_DEP_1) | instskip(NEXT) | instid1(VALU_DEP_1)
	v_lshrrev_b32_e32 v5, 16, v5
	v_cndmask_b32_e32 v4, 0x7fc0, v5, vcc_lo
	global_store_b16 v[0:1], v4, off offset:448
	s_or_b32 exec_lo, exec_lo, s0
	s_and_saveexec_b32 s0, s7
	s_cbranch_execz .LBB661_42
.LBB661_59:
	s_waitcnt vmcnt(0)
	v_fma_f32 v4, -v3, v27, v26
	s_delay_alu instid0(VALU_DEP_1) | instskip(SKIP_1) | instid1(VALU_DEP_2)
	v_bfe_u32 v5, v4, 16, 1
	v_cmp_o_f32_e32 vcc_lo, v4, v4
	v_add3_u32 v5, v4, v5, 0x7fff
	s_delay_alu instid0(VALU_DEP_1) | instskip(NEXT) | instid1(VALU_DEP_1)
	v_lshrrev_b32_e32 v5, 16, v5
	v_cndmask_b32_e32 v4, 0x7fc0, v5, vcc_lo
	global_store_b16 v[0:1], v4, off offset:512
	s_or_b32 exec_lo, exec_lo, s0
	s_and_saveexec_b32 s0, s8
	s_cbranch_execz .LBB661_43
.LBB661_60:
	s_waitcnt vmcnt(0)
	v_fma_f32 v4, -v3, v29, v20
	s_delay_alu instid0(VALU_DEP_1) | instskip(SKIP_1) | instid1(VALU_DEP_2)
	v_bfe_u32 v5, v4, 16, 1
	v_cmp_o_f32_e32 vcc_lo, v4, v4
	v_add3_u32 v5, v4, v5, 0x7fff
	s_delay_alu instid0(VALU_DEP_1) | instskip(NEXT) | instid1(VALU_DEP_1)
	v_lshrrev_b32_e32 v5, 16, v5
	v_cndmask_b32_e32 v4, 0x7fc0, v5, vcc_lo
	global_store_b16 v[0:1], v4, off offset:576
	s_or_b32 exec_lo, exec_lo, s0
	s_and_saveexec_b32 s0, s9
	s_cbranch_execz .LBB661_44
.LBB661_61:
	s_waitcnt vmcnt(0)
	v_fma_f32 v4, -v3, v31, v30
	s_delay_alu instid0(VALU_DEP_1) | instskip(SKIP_1) | instid1(VALU_DEP_2)
	v_bfe_u32 v5, v4, 16, 1
	v_cmp_o_f32_e32 vcc_lo, v4, v4
	v_add3_u32 v5, v4, v5, 0x7fff
	s_delay_alu instid0(VALU_DEP_1) | instskip(NEXT) | instid1(VALU_DEP_1)
	v_lshrrev_b32_e32 v5, 16, v5
	v_cndmask_b32_e32 v4, 0x7fc0, v5, vcc_lo
	global_store_b16 v[0:1], v4, off offset:640
	s_or_b32 exec_lo, exec_lo, s0
	s_and_saveexec_b32 s0, s10
	s_cbranch_execz .LBB661_45
.LBB661_62:
	s_waitcnt vmcnt(0)
	v_fma_f32 v4, -v3, v33, v24
	s_delay_alu instid0(VALU_DEP_1) | instskip(SKIP_1) | instid1(VALU_DEP_2)
	v_bfe_u32 v5, v4, 16, 1
	v_cmp_o_f32_e32 vcc_lo, v4, v4
	v_add3_u32 v5, v4, v5, 0x7fff
	s_delay_alu instid0(VALU_DEP_1) | instskip(NEXT) | instid1(VALU_DEP_1)
	v_lshrrev_b32_e32 v5, 16, v5
	v_cndmask_b32_e32 v4, 0x7fc0, v5, vcc_lo
	global_store_b16 v[0:1], v4, off offset:704
	s_or_b32 exec_lo, exec_lo, s0
	s_and_saveexec_b32 s0, s11
	s_cbranch_execz .LBB661_46
.LBB661_63:
	s_waitcnt vmcnt(0)
	v_fma_f32 v4, -v3, v35, v34
	s_delay_alu instid0(VALU_DEP_1) | instskip(SKIP_1) | instid1(VALU_DEP_2)
	v_bfe_u32 v5, v4, 16, 1
	v_cmp_o_f32_e32 vcc_lo, v4, v4
	v_add3_u32 v5, v4, v5, 0x7fff
	s_delay_alu instid0(VALU_DEP_1) | instskip(NEXT) | instid1(VALU_DEP_1)
	v_lshrrev_b32_e32 v5, 16, v5
	v_cndmask_b32_e32 v4, 0x7fc0, v5, vcc_lo
	global_store_b16 v[0:1], v4, off offset:768
	s_or_b32 exec_lo, exec_lo, s0
	s_and_saveexec_b32 s0, s12
	s_cbranch_execz .LBB661_47
.LBB661_64:
	s_waitcnt vmcnt(0)
	v_fma_f32 v4, -v3, v36, v28
	s_delay_alu instid0(VALU_DEP_1) | instskip(SKIP_1) | instid1(VALU_DEP_2)
	v_bfe_u32 v5, v4, 16, 1
	v_cmp_o_f32_e32 vcc_lo, v4, v4
	v_add3_u32 v5, v4, v5, 0x7fff
	s_delay_alu instid0(VALU_DEP_1) | instskip(NEXT) | instid1(VALU_DEP_1)
	v_lshrrev_b32_e32 v5, 16, v5
	v_cndmask_b32_e32 v4, 0x7fc0, v5, vcc_lo
	global_store_b16 v[0:1], v4, off offset:832
	s_or_b32 exec_lo, exec_lo, s0
	s_and_saveexec_b32 s0, s13
	s_cbranch_execz .LBB661_48
.LBB661_65:
	s_waitcnt vmcnt(0)
	v_fma_f32 v4, -v3, v38, v37
	s_delay_alu instid0(VALU_DEP_1) | instskip(SKIP_1) | instid1(VALU_DEP_2)
	v_bfe_u32 v5, v4, 16, 1
	v_cmp_o_f32_e32 vcc_lo, v4, v4
	v_add3_u32 v5, v4, v5, 0x7fff
	s_delay_alu instid0(VALU_DEP_1) | instskip(NEXT) | instid1(VALU_DEP_1)
	v_lshrrev_b32_e32 v5, 16, v5
	v_cndmask_b32_e32 v4, 0x7fc0, v5, vcc_lo
	global_store_b16 v[0:1], v4, off offset:896
	s_or_b32 exec_lo, exec_lo, s0
	s_delay_alu instid0(SALU_CYCLE_1)
	s_and_b32 exec_lo, exec_lo, s15
	s_cbranch_execnz .LBB661_49
	s_branch .LBB661_50
	.section	.rodata,"a",@progbits
	.p2align	6, 0x0
	.amdhsa_kernel _ZN12_GLOBAL__N_121softmax_warp_backwardIfN3c108BFloat16EfLi9ELb0ELb0ELi32EEEvPT0_PKT_S7_iiiPKb
		.amdhsa_group_segment_fixed_size 0
		.amdhsa_private_segment_fixed_size 0
		.amdhsa_kernarg_size 304
		.amdhsa_user_sgpr_count 15
		.amdhsa_user_sgpr_dispatch_ptr 0
		.amdhsa_user_sgpr_queue_ptr 0
		.amdhsa_user_sgpr_kernarg_segment_ptr 1
		.amdhsa_user_sgpr_dispatch_id 0
		.amdhsa_user_sgpr_private_segment_size 0
		.amdhsa_wavefront_size32 1
		.amdhsa_uses_dynamic_stack 0
		.amdhsa_enable_private_segment 0
		.amdhsa_system_sgpr_workgroup_id_x 1
		.amdhsa_system_sgpr_workgroup_id_y 0
		.amdhsa_system_sgpr_workgroup_id_z 0
		.amdhsa_system_sgpr_workgroup_info 0
		.amdhsa_system_vgpr_workitem_id 1
		.amdhsa_next_free_vgpr 39
		.amdhsa_next_free_sgpr 24
		.amdhsa_reserve_vcc 1
		.amdhsa_float_round_mode_32 0
		.amdhsa_float_round_mode_16_64 0
		.amdhsa_float_denorm_mode_32 3
		.amdhsa_float_denorm_mode_16_64 3
		.amdhsa_dx10_clamp 1
		.amdhsa_ieee_mode 1
		.amdhsa_fp16_overflow 0
		.amdhsa_workgroup_processor_mode 1
		.amdhsa_memory_ordered 1
		.amdhsa_forward_progress 0
		.amdhsa_shared_vgpr_count 0
		.amdhsa_exception_fp_ieee_invalid_op 0
		.amdhsa_exception_fp_denorm_src 0
		.amdhsa_exception_fp_ieee_div_zero 0
		.amdhsa_exception_fp_ieee_overflow 0
		.amdhsa_exception_fp_ieee_underflow 0
		.amdhsa_exception_fp_ieee_inexact 0
		.amdhsa_exception_int_div_zero 0
	.end_amdhsa_kernel
	.section	.text._ZN12_GLOBAL__N_121softmax_warp_backwardIfN3c108BFloat16EfLi9ELb0ELb0ELi32EEEvPT0_PKT_S7_iiiPKb,"axG",@progbits,_ZN12_GLOBAL__N_121softmax_warp_backwardIfN3c108BFloat16EfLi9ELb0ELb0ELi32EEEvPT0_PKT_S7_iiiPKb,comdat
.Lfunc_end661:
	.size	_ZN12_GLOBAL__N_121softmax_warp_backwardIfN3c108BFloat16EfLi9ELb0ELb0ELi32EEEvPT0_PKT_S7_iiiPKb, .Lfunc_end661-_ZN12_GLOBAL__N_121softmax_warp_backwardIfN3c108BFloat16EfLi9ELb0ELb0ELi32EEEvPT0_PKT_S7_iiiPKb
                                        ; -- End function
	.section	.AMDGPU.csdata,"",@progbits
; Kernel info:
; codeLenInByte = 2944
; NumSgprs: 26
; NumVgprs: 39
; ScratchSize: 0
; MemoryBound: 0
; FloatMode: 240
; IeeeMode: 1
; LDSByteSize: 0 bytes/workgroup (compile time only)
; SGPRBlocks: 3
; VGPRBlocks: 4
; NumSGPRsForWavesPerEU: 26
; NumVGPRsForWavesPerEU: 39
; Occupancy: 16
; WaveLimiterHint : 0
; COMPUTE_PGM_RSRC2:SCRATCH_EN: 0
; COMPUTE_PGM_RSRC2:USER_SGPR: 15
; COMPUTE_PGM_RSRC2:TRAP_HANDLER: 0
; COMPUTE_PGM_RSRC2:TGID_X_EN: 1
; COMPUTE_PGM_RSRC2:TGID_Y_EN: 0
; COMPUTE_PGM_RSRC2:TGID_Z_EN: 0
; COMPUTE_PGM_RSRC2:TIDIG_COMP_CNT: 1
	.section	.text._ZN12_GLOBAL__N_121softmax_warp_backwardIfN3c108BFloat16EfLi10ELb0ELb0ELi64EEEvPT0_PKT_S7_iiiPKb,"axG",@progbits,_ZN12_GLOBAL__N_121softmax_warp_backwardIfN3c108BFloat16EfLi10ELb0ELb0ELi64EEEvPT0_PKT_S7_iiiPKb,comdat
	.globl	_ZN12_GLOBAL__N_121softmax_warp_backwardIfN3c108BFloat16EfLi10ELb0ELb0ELi64EEEvPT0_PKT_S7_iiiPKb ; -- Begin function _ZN12_GLOBAL__N_121softmax_warp_backwardIfN3c108BFloat16EfLi10ELb0ELb0ELi64EEEvPT0_PKT_S7_iiiPKb
	.p2align	8
	.type	_ZN12_GLOBAL__N_121softmax_warp_backwardIfN3c108BFloat16EfLi10ELb0ELb0ELi64EEEvPT0_PKT_S7_iiiPKb,@function
_ZN12_GLOBAL__N_121softmax_warp_backwardIfN3c108BFloat16EfLi10ELb0ELb0ELi64EEEvPT0_PKT_S7_iiiPKb: ; @_ZN12_GLOBAL__N_121softmax_warp_backwardIfN3c108BFloat16EfLi10ELb0ELb0ELi64EEEvPT0_PKT_S7_iiiPKb
; %bb.0:
	s_clause 0x1
	s_load_b32 s2, s[0:1], 0x3c
	s_load_b128 s[20:23], s[0:1], 0x18
	v_bfe_u32 v1, v0, 10, 10
	v_dual_mov_b32 v8, 0 :: v_dual_and_b32 v35, 0x3ff, v0
	s_load_b128 s[16:19], s[0:1], 0x0
	s_delay_alu instid0(VALU_DEP_1) | instskip(SKIP_2) | instid1(SALU_CYCLE_1)
	v_dual_mov_b32 v11, 0 :: v_dual_and_b32 v6, 63, v35
	s_waitcnt lgkmcnt(0)
	s_lshr_b32 s2, s2, 16
	v_mad_u64_u32 v[2:3], null, s15, s2, v[1:2]
	s_load_b64 s[2:3], s[0:1], 0x10
	s_delay_alu instid0(VALU_DEP_1) | instskip(SKIP_3) | instid1(VALU_DEP_2)
	v_mad_u64_u32 v[0:1], null, v2, s21, v[6:7]
	v_mov_b32_e32 v7, 0
	v_sub_nc_u32_e32 v10, s20, v2
	v_cmp_gt_i32_e32 vcc_lo, s22, v6
	v_cmp_lt_i32_e64 s15, 0, v10
	v_ashrrev_i32_e32 v1, 31, v0
	s_delay_alu instid0(VALU_DEP_2) | instskip(NEXT) | instid1(VALU_DEP_1)
	s_and_b32 s1, s15, vcc_lo
	v_lshlrev_b64 v[4:5], 2, v[0:1]
	s_delay_alu instid0(VALU_DEP_1) | instskip(NEXT) | instid1(VALU_DEP_1)
	v_add_co_u32 v2, s0, s18, v4
	v_add_co_ci_u32_e64 v3, s0, s19, v5, s0
	s_waitcnt lgkmcnt(0)
	v_add_co_u32 v4, s0, s2, v4
	s_delay_alu instid0(VALU_DEP_1)
	v_add_co_ci_u32_e64 v5, s0, s3, v5, s0
	s_and_saveexec_b32 s0, s1
	s_cbranch_execz .LBB662_2
; %bb.1:
	global_load_b32 v8, v[2:3], off
	global_load_b32 v11, v[4:5], off
.LBB662_2:
	s_or_b32 exec_lo, exec_lo, s0
	v_or_b32_e32 v9, 64, v6
	v_mov_b32_e32 v13, 0
	s_delay_alu instid0(VALU_DEP_2) | instskip(NEXT) | instid1(VALU_DEP_1)
	v_cmp_gt_i32_e64 s0, s22, v9
	s_and_b32 s2, s15, s0
	s_delay_alu instid0(SALU_CYCLE_1)
	s_and_saveexec_b32 s1, s2
	s_cbranch_execz .LBB662_4
; %bb.3:
	global_load_b32 v7, v[2:3], off offset:256
	global_load_b32 v13, v[4:5], off offset:256
.LBB662_4:
	s_or_b32 exec_lo, exec_lo, s1
	v_or_b32_e32 v9, 0x80, v6
	v_dual_mov_b32 v15, 0 :: v_dual_mov_b32 v14, 0
	s_delay_alu instid0(VALU_DEP_2) | instskip(SKIP_1) | instid1(VALU_DEP_2)
	v_cmp_gt_i32_e64 s1, s22, v9
	v_mov_b32_e32 v9, 0
	s_and_b32 s3, s15, s1
	s_delay_alu instid0(SALU_CYCLE_1)
	s_and_saveexec_b32 s2, s3
	s_cbranch_execz .LBB662_6
; %bb.5:
	global_load_b32 v14, v[2:3], off offset:512
	global_load_b32 v15, v[4:5], off offset:512
.LBB662_6:
	s_or_b32 exec_lo, exec_lo, s2
	v_or_b32_e32 v12, 0xc0, v6
	v_mov_b32_e32 v17, 0
	s_delay_alu instid0(VALU_DEP_2) | instskip(NEXT) | instid1(VALU_DEP_1)
	v_cmp_gt_i32_e64 s2, s22, v12
	s_and_b32 s4, s15, s2
	s_delay_alu instid0(SALU_CYCLE_1)
	s_and_saveexec_b32 s3, s4
	s_cbranch_execz .LBB662_8
; %bb.7:
	global_load_b32 v9, v[2:3], off offset:768
	global_load_b32 v17, v[4:5], off offset:768
.LBB662_8:
	s_or_b32 exec_lo, exec_lo, s3
	v_or_b32_e32 v12, 0x100, v6
	v_dual_mov_b32 v18, 0 :: v_dual_mov_b32 v19, 0
	s_delay_alu instid0(VALU_DEP_2) | instskip(SKIP_1) | instid1(VALU_DEP_2)
	v_cmp_gt_i32_e64 s3, s22, v12
	v_mov_b32_e32 v12, 0
	s_and_b32 s5, s15, s3
	s_delay_alu instid0(SALU_CYCLE_1)
	s_and_saveexec_b32 s4, s5
	s_cbranch_execz .LBB662_10
; %bb.9:
	global_load_b32 v18, v[2:3], off offset:1024
	global_load_b32 v19, v[4:5], off offset:1024
.LBB662_10:
	;; [unrolled: 27-line block ×6, first 2 shown]
	s_or_b32 exec_lo, exec_lo, s12
	v_or_b32_e32 v36, 0x340, v6
	s_delay_alu instid0(VALU_DEP_1) | instskip(SKIP_1) | instid1(VALU_DEP_2)
	v_cmp_gt_i32_e64 s12, s22, v36
	v_mov_b32_e32 v36, 0
	s_and_b32 s14, s15, s12
	s_delay_alu instid0(SALU_CYCLE_1)
	s_and_saveexec_b32 s13, s14
	s_cbranch_execz .LBB662_28
; %bb.27:
	global_load_b32 v28, v[2:3], off offset:3328
	global_load_b32 v36, v[4:5], off offset:3328
.LBB662_28:
	s_or_b32 exec_lo, exec_lo, s13
	v_or_b32_e32 v6, 0x380, v6
	v_dual_mov_b32 v38, 0 :: v_dual_mov_b32 v37, 0
	s_delay_alu instid0(VALU_DEP_2) | instskip(SKIP_1) | instid1(VALU_DEP_2)
	v_cmp_gt_i32_e64 s13, s22, v6
	v_mov_b32_e32 v6, 0
	s_and_b32 s18, s15, s13
	s_delay_alu instid0(SALU_CYCLE_1)
	s_and_saveexec_b32 s14, s18
	s_cbranch_execz .LBB662_30
; %bb.29:
	global_load_b32 v37, v[2:3], off offset:3584
	global_load_b32 v38, v[4:5], off offset:3584
.LBB662_30:
	s_or_b32 exec_lo, exec_lo, s14
	v_or_b32_e32 v35, 0x3c0, v35
	s_delay_alu instid0(VALU_DEP_1) | instskip(SKIP_1) | instid1(VALU_DEP_2)
	v_cmp_gt_i32_e64 s14, s22, v35
	v_mov_b32_e32 v35, 0
	s_and_b32 s18, s15, s14
	s_delay_alu instid0(SALU_CYCLE_1)
	s_and_saveexec_b32 s15, s18
	s_cbranch_execz .LBB662_32
; %bb.31:
	global_load_b32 v6, v[2:3], off offset:3840
	global_load_b32 v35, v[4:5], off offset:3840
.LBB662_32:
	s_or_b32 exec_lo, exec_lo, s15
	v_mbcnt_lo_u32_b32 v3, -1, 0
	s_mov_b32 s18, exec_lo
	s_delay_alu instid0(VALU_DEP_1) | instskip(SKIP_1) | instid1(VALU_DEP_2)
	v_or_b32_e32 v4, 32, v3
	v_xor_b32_e32 v5, 16, v3
	v_cmp_gt_i32_e64 s15, 64, v4
	s_delay_alu instid0(VALU_DEP_1) | instskip(NEXT) | instid1(VALU_DEP_3)
	v_cndmask_b32_e64 v4, v3, v4, s15
	v_cmp_gt_i32_e64 s15, 64, v5
	s_delay_alu instid0(VALU_DEP_2) | instskip(NEXT) | instid1(VALU_DEP_2)
	v_lshlrev_b32_e32 v4, 2, v4
	v_cndmask_b32_e64 v5, v3, v5, s15
	s_waitcnt vmcnt(1)
	s_delay_alu instid0(VALU_DEP_1) | instskip(NEXT) | instid1(VALU_DEP_1)
	v_dual_add_f32 v2, 0, v8 :: v_dual_lshlrev_b32 v5, 2, v5
	v_add_f32_e32 v2, v2, v7
	s_delay_alu instid0(VALU_DEP_1) | instskip(NEXT) | instid1(VALU_DEP_1)
	v_add_f32_e32 v2, v2, v14
	v_add_f32_e32 v2, v2, v9
	s_delay_alu instid0(VALU_DEP_1) | instskip(NEXT) | instid1(VALU_DEP_1)
	v_add_f32_e32 v2, v2, v18
	;; [unrolled: 3-line block ×7, first 2 shown]
	v_add_f32_e32 v2, v2, v6
	ds_bpermute_b32 v4, v4, v2
	s_waitcnt lgkmcnt(0)
	v_add_f32_e32 v2, v2, v4
	ds_bpermute_b32 v4, v5, v2
	v_xor_b32_e32 v5, 8, v3
	s_delay_alu instid0(VALU_DEP_1) | instskip(NEXT) | instid1(VALU_DEP_1)
	v_cmp_gt_i32_e64 s15, 64, v5
	v_cndmask_b32_e64 v5, v3, v5, s15
	s_waitcnt lgkmcnt(0)
	s_delay_alu instid0(VALU_DEP_1) | instskip(SKIP_2) | instid1(VALU_DEP_1)
	v_dual_add_f32 v2, v2, v4 :: v_dual_lshlrev_b32 v5, 2, v5
	ds_bpermute_b32 v4, v5, v2
	v_xor_b32_e32 v5, 4, v3
	v_cmp_gt_i32_e64 s15, 64, v5
	s_delay_alu instid0(VALU_DEP_1) | instskip(SKIP_1) | instid1(VALU_DEP_1)
	v_cndmask_b32_e64 v5, v3, v5, s15
	s_waitcnt lgkmcnt(0)
	v_dual_add_f32 v2, v2, v4 :: v_dual_lshlrev_b32 v5, 2, v5
	ds_bpermute_b32 v4, v5, v2
	v_xor_b32_e32 v5, 2, v3
	s_delay_alu instid0(VALU_DEP_1) | instskip(NEXT) | instid1(VALU_DEP_1)
	v_cmp_gt_i32_e64 s15, 64, v5
	v_cndmask_b32_e64 v5, v3, v5, s15
	s_waitcnt lgkmcnt(0)
	s_delay_alu instid0(VALU_DEP_1) | instskip(SKIP_2) | instid1(VALU_DEP_1)
	v_dual_add_f32 v2, v2, v4 :: v_dual_lshlrev_b32 v5, 2, v5
	ds_bpermute_b32 v4, v5, v2
	v_xor_b32_e32 v5, 1, v3
	v_cmp_gt_i32_e64 s15, 64, v5
	s_delay_alu instid0(VALU_DEP_1) | instskip(SKIP_1) | instid1(VALU_DEP_1)
	v_cndmask_b32_e64 v3, v3, v5, s15
	s_waitcnt lgkmcnt(0)
	v_dual_add_f32 v2, v2, v4 :: v_dual_lshlrev_b32 v3, 2, v3
	ds_bpermute_b32 v3, v3, v2
	v_cmpx_lt_i32_e32 0, v10
	s_cbranch_execz .LBB662_50
; %bb.33:
	v_lshlrev_b64 v[0:1], 1, v[0:1]
	s_waitcnt lgkmcnt(0)
	v_add_f32_e32 v2, v2, v3
	s_delay_alu instid0(VALU_DEP_2) | instskip(NEXT) | instid1(VALU_DEP_1)
	v_add_co_u32 v0, s15, s16, v0
	v_add_co_ci_u32_e64 v1, s15, s17, v1, s15
	s_and_saveexec_b32 s15, vcc_lo
	s_cbranch_execnz .LBB662_51
; %bb.34:
	s_or_b32 exec_lo, exec_lo, s15
	s_and_saveexec_b32 s15, s0
	s_cbranch_execnz .LBB662_52
.LBB662_35:
	s_or_b32 exec_lo, exec_lo, s15
	s_and_saveexec_b32 s0, s1
	s_cbranch_execnz .LBB662_53
.LBB662_36:
	s_or_b32 exec_lo, exec_lo, s0
	s_and_saveexec_b32 s0, s2
	s_cbranch_execnz .LBB662_54
.LBB662_37:
	s_or_b32 exec_lo, exec_lo, s0
	s_and_saveexec_b32 s0, s3
	s_cbranch_execnz .LBB662_55
.LBB662_38:
	s_or_b32 exec_lo, exec_lo, s0
	s_and_saveexec_b32 s0, s4
	s_cbranch_execnz .LBB662_56
.LBB662_39:
	s_or_b32 exec_lo, exec_lo, s0
	s_and_saveexec_b32 s0, s5
	s_cbranch_execnz .LBB662_57
.LBB662_40:
	s_or_b32 exec_lo, exec_lo, s0
	s_and_saveexec_b32 s0, s6
	s_cbranch_execnz .LBB662_58
.LBB662_41:
	s_or_b32 exec_lo, exec_lo, s0
	s_and_saveexec_b32 s0, s7
	s_cbranch_execnz .LBB662_59
.LBB662_42:
	s_or_b32 exec_lo, exec_lo, s0
	s_and_saveexec_b32 s0, s8
	s_cbranch_execnz .LBB662_60
.LBB662_43:
	s_or_b32 exec_lo, exec_lo, s0
	s_and_saveexec_b32 s0, s9
	s_cbranch_execnz .LBB662_61
.LBB662_44:
	s_or_b32 exec_lo, exec_lo, s0
	s_and_saveexec_b32 s0, s10
	s_cbranch_execnz .LBB662_62
.LBB662_45:
	s_or_b32 exec_lo, exec_lo, s0
	s_and_saveexec_b32 s0, s11
	s_cbranch_execnz .LBB662_63
.LBB662_46:
	s_or_b32 exec_lo, exec_lo, s0
	s_and_saveexec_b32 s0, s12
	s_cbranch_execnz .LBB662_64
.LBB662_47:
	s_or_b32 exec_lo, exec_lo, s0
	s_and_saveexec_b32 s0, s13
	s_cbranch_execnz .LBB662_65
.LBB662_48:
	s_or_b32 exec_lo, exec_lo, s0
	s_delay_alu instid0(SALU_CYCLE_1)
	s_and_b32 exec_lo, exec_lo, s14
	s_cbranch_execz .LBB662_50
.LBB662_49:
	s_waitcnt vmcnt(0)
	v_fma_f32 v2, -v2, v35, v6
	s_delay_alu instid0(VALU_DEP_1) | instskip(SKIP_1) | instid1(VALU_DEP_2)
	v_bfe_u32 v3, v2, 16, 1
	v_cmp_o_f32_e32 vcc_lo, v2, v2
	v_add3_u32 v3, v2, v3, 0x7fff
	s_delay_alu instid0(VALU_DEP_1) | instskip(NEXT) | instid1(VALU_DEP_1)
	v_lshrrev_b32_e32 v3, 16, v3
	v_cndmask_b32_e32 v2, 0x7fc0, v3, vcc_lo
	global_store_b16 v[0:1], v2, off offset:1920
.LBB662_50:
	s_nop 0
	s_sendmsg sendmsg(MSG_DEALLOC_VGPRS)
	s_endpgm
.LBB662_51:
	s_waitcnt vmcnt(0)
	v_fma_f32 v3, -v2, v11, v8
	s_delay_alu instid0(VALU_DEP_1) | instskip(SKIP_1) | instid1(VALU_DEP_2)
	v_bfe_u32 v4, v3, 16, 1
	v_cmp_o_f32_e32 vcc_lo, v3, v3
	v_add3_u32 v4, v3, v4, 0x7fff
	s_delay_alu instid0(VALU_DEP_1) | instskip(NEXT) | instid1(VALU_DEP_1)
	v_lshrrev_b32_e32 v4, 16, v4
	v_cndmask_b32_e32 v3, 0x7fc0, v4, vcc_lo
	global_store_b16 v[0:1], v3, off
	s_or_b32 exec_lo, exec_lo, s15
	s_and_saveexec_b32 s15, s0
	s_cbranch_execz .LBB662_35
.LBB662_52:
	s_waitcnt vmcnt(0)
	v_fma_f32 v3, -v2, v13, v7
	s_delay_alu instid0(VALU_DEP_1) | instskip(SKIP_1) | instid1(VALU_DEP_2)
	v_bfe_u32 v4, v3, 16, 1
	v_cmp_o_f32_e32 vcc_lo, v3, v3
	v_add3_u32 v4, v3, v4, 0x7fff
	s_delay_alu instid0(VALU_DEP_1) | instskip(NEXT) | instid1(VALU_DEP_1)
	v_lshrrev_b32_e32 v4, 16, v4
	v_cndmask_b32_e32 v3, 0x7fc0, v4, vcc_lo
	global_store_b16 v[0:1], v3, off offset:128
	s_or_b32 exec_lo, exec_lo, s15
	s_and_saveexec_b32 s0, s1
	s_cbranch_execz .LBB662_36
.LBB662_53:
	s_waitcnt vmcnt(0)
	v_fma_f32 v3, -v2, v15, v14
	s_delay_alu instid0(VALU_DEP_1) | instskip(SKIP_1) | instid1(VALU_DEP_2)
	v_bfe_u32 v4, v3, 16, 1
	v_cmp_o_f32_e32 vcc_lo, v3, v3
	v_add3_u32 v4, v3, v4, 0x7fff
	s_delay_alu instid0(VALU_DEP_1) | instskip(NEXT) | instid1(VALU_DEP_1)
	v_lshrrev_b32_e32 v4, 16, v4
	v_cndmask_b32_e32 v3, 0x7fc0, v4, vcc_lo
	global_store_b16 v[0:1], v3, off offset:256
	s_or_b32 exec_lo, exec_lo, s0
	s_and_saveexec_b32 s0, s2
	s_cbranch_execz .LBB662_37
.LBB662_54:
	s_waitcnt vmcnt(0)
	v_fma_f32 v3, -v2, v17, v9
	s_delay_alu instid0(VALU_DEP_1) | instskip(SKIP_1) | instid1(VALU_DEP_2)
	v_bfe_u32 v4, v3, 16, 1
	v_cmp_o_f32_e32 vcc_lo, v3, v3
	v_add3_u32 v4, v3, v4, 0x7fff
	s_delay_alu instid0(VALU_DEP_1) | instskip(NEXT) | instid1(VALU_DEP_1)
	v_lshrrev_b32_e32 v4, 16, v4
	v_cndmask_b32_e32 v3, 0x7fc0, v4, vcc_lo
	global_store_b16 v[0:1], v3, off offset:384
	s_or_b32 exec_lo, exec_lo, s0
	s_and_saveexec_b32 s0, s3
	s_cbranch_execz .LBB662_38
.LBB662_55:
	s_waitcnt vmcnt(0)
	v_fma_f32 v3, -v2, v19, v18
	s_delay_alu instid0(VALU_DEP_1) | instskip(SKIP_1) | instid1(VALU_DEP_2)
	v_bfe_u32 v4, v3, 16, 1
	v_cmp_o_f32_e32 vcc_lo, v3, v3
	v_add3_u32 v4, v3, v4, 0x7fff
	s_delay_alu instid0(VALU_DEP_1) | instskip(NEXT) | instid1(VALU_DEP_1)
	v_lshrrev_b32_e32 v4, 16, v4
	v_cndmask_b32_e32 v3, 0x7fc0, v4, vcc_lo
	global_store_b16 v[0:1], v3, off offset:512
	s_or_b32 exec_lo, exec_lo, s0
	s_and_saveexec_b32 s0, s4
	s_cbranch_execz .LBB662_39
.LBB662_56:
	s_waitcnt vmcnt(0)
	v_fma_f32 v3, -v2, v21, v12
	s_delay_alu instid0(VALU_DEP_1) | instskip(SKIP_1) | instid1(VALU_DEP_2)
	v_bfe_u32 v4, v3, 16, 1
	v_cmp_o_f32_e32 vcc_lo, v3, v3
	v_add3_u32 v4, v3, v4, 0x7fff
	s_delay_alu instid0(VALU_DEP_1) | instskip(NEXT) | instid1(VALU_DEP_1)
	v_lshrrev_b32_e32 v4, 16, v4
	v_cndmask_b32_e32 v3, 0x7fc0, v4, vcc_lo
	global_store_b16 v[0:1], v3, off offset:640
	s_or_b32 exec_lo, exec_lo, s0
	s_and_saveexec_b32 s0, s5
	s_cbranch_execz .LBB662_40
.LBB662_57:
	s_waitcnt vmcnt(0)
	v_fma_f32 v3, -v2, v23, v22
	s_delay_alu instid0(VALU_DEP_1) | instskip(SKIP_1) | instid1(VALU_DEP_2)
	v_bfe_u32 v4, v3, 16, 1
	v_cmp_o_f32_e32 vcc_lo, v3, v3
	v_add3_u32 v4, v3, v4, 0x7fff
	s_delay_alu instid0(VALU_DEP_1) | instskip(NEXT) | instid1(VALU_DEP_1)
	v_lshrrev_b32_e32 v4, 16, v4
	v_cndmask_b32_e32 v3, 0x7fc0, v4, vcc_lo
	global_store_b16 v[0:1], v3, off offset:768
	s_or_b32 exec_lo, exec_lo, s0
	s_and_saveexec_b32 s0, s6
	s_cbranch_execz .LBB662_41
.LBB662_58:
	s_waitcnt vmcnt(0)
	v_fma_f32 v3, -v2, v25, v16
	s_delay_alu instid0(VALU_DEP_1) | instskip(SKIP_1) | instid1(VALU_DEP_2)
	v_bfe_u32 v4, v3, 16, 1
	v_cmp_o_f32_e32 vcc_lo, v3, v3
	v_add3_u32 v4, v3, v4, 0x7fff
	s_delay_alu instid0(VALU_DEP_1) | instskip(NEXT) | instid1(VALU_DEP_1)
	v_lshrrev_b32_e32 v4, 16, v4
	v_cndmask_b32_e32 v3, 0x7fc0, v4, vcc_lo
	global_store_b16 v[0:1], v3, off offset:896
	s_or_b32 exec_lo, exec_lo, s0
	s_and_saveexec_b32 s0, s7
	s_cbranch_execz .LBB662_42
.LBB662_59:
	s_waitcnt vmcnt(0)
	v_fma_f32 v3, -v2, v27, v26
	s_delay_alu instid0(VALU_DEP_1) | instskip(SKIP_1) | instid1(VALU_DEP_2)
	v_bfe_u32 v4, v3, 16, 1
	v_cmp_o_f32_e32 vcc_lo, v3, v3
	v_add3_u32 v4, v3, v4, 0x7fff
	s_delay_alu instid0(VALU_DEP_1) | instskip(NEXT) | instid1(VALU_DEP_1)
	v_lshrrev_b32_e32 v4, 16, v4
	v_cndmask_b32_e32 v3, 0x7fc0, v4, vcc_lo
	global_store_b16 v[0:1], v3, off offset:1024
	s_or_b32 exec_lo, exec_lo, s0
	s_and_saveexec_b32 s0, s8
	s_cbranch_execz .LBB662_43
.LBB662_60:
	s_waitcnt vmcnt(0)
	v_fma_f32 v3, -v2, v29, v20
	s_delay_alu instid0(VALU_DEP_1) | instskip(SKIP_1) | instid1(VALU_DEP_2)
	v_bfe_u32 v4, v3, 16, 1
	v_cmp_o_f32_e32 vcc_lo, v3, v3
	v_add3_u32 v4, v3, v4, 0x7fff
	s_delay_alu instid0(VALU_DEP_1) | instskip(NEXT) | instid1(VALU_DEP_1)
	v_lshrrev_b32_e32 v4, 16, v4
	v_cndmask_b32_e32 v3, 0x7fc0, v4, vcc_lo
	global_store_b16 v[0:1], v3, off offset:1152
	s_or_b32 exec_lo, exec_lo, s0
	s_and_saveexec_b32 s0, s9
	s_cbranch_execz .LBB662_44
.LBB662_61:
	s_waitcnt vmcnt(0)
	v_fma_f32 v3, -v2, v31, v30
	s_delay_alu instid0(VALU_DEP_1) | instskip(SKIP_1) | instid1(VALU_DEP_2)
	v_bfe_u32 v4, v3, 16, 1
	v_cmp_o_f32_e32 vcc_lo, v3, v3
	v_add3_u32 v4, v3, v4, 0x7fff
	s_delay_alu instid0(VALU_DEP_1) | instskip(NEXT) | instid1(VALU_DEP_1)
	v_lshrrev_b32_e32 v4, 16, v4
	v_cndmask_b32_e32 v3, 0x7fc0, v4, vcc_lo
	global_store_b16 v[0:1], v3, off offset:1280
	s_or_b32 exec_lo, exec_lo, s0
	s_and_saveexec_b32 s0, s10
	s_cbranch_execz .LBB662_45
.LBB662_62:
	s_waitcnt vmcnt(0)
	v_fma_f32 v3, -v2, v32, v24
	s_delay_alu instid0(VALU_DEP_1) | instskip(SKIP_1) | instid1(VALU_DEP_2)
	v_bfe_u32 v4, v3, 16, 1
	v_cmp_o_f32_e32 vcc_lo, v3, v3
	v_add3_u32 v4, v3, v4, 0x7fff
	s_delay_alu instid0(VALU_DEP_1) | instskip(NEXT) | instid1(VALU_DEP_1)
	v_lshrrev_b32_e32 v4, 16, v4
	v_cndmask_b32_e32 v3, 0x7fc0, v4, vcc_lo
	global_store_b16 v[0:1], v3, off offset:1408
	s_or_b32 exec_lo, exec_lo, s0
	s_and_saveexec_b32 s0, s11
	s_cbranch_execz .LBB662_46
.LBB662_63:
	s_waitcnt vmcnt(0)
	v_fma_f32 v3, -v2, v34, v33
	s_delay_alu instid0(VALU_DEP_1) | instskip(SKIP_1) | instid1(VALU_DEP_2)
	v_bfe_u32 v4, v3, 16, 1
	v_cmp_o_f32_e32 vcc_lo, v3, v3
	v_add3_u32 v4, v3, v4, 0x7fff
	s_delay_alu instid0(VALU_DEP_1) | instskip(NEXT) | instid1(VALU_DEP_1)
	v_lshrrev_b32_e32 v4, 16, v4
	v_cndmask_b32_e32 v3, 0x7fc0, v4, vcc_lo
	global_store_b16 v[0:1], v3, off offset:1536
	s_or_b32 exec_lo, exec_lo, s0
	s_and_saveexec_b32 s0, s12
	s_cbranch_execz .LBB662_47
.LBB662_64:
	s_waitcnt vmcnt(0)
	v_fma_f32 v3, -v2, v36, v28
	s_delay_alu instid0(VALU_DEP_1) | instskip(SKIP_1) | instid1(VALU_DEP_2)
	v_bfe_u32 v4, v3, 16, 1
	v_cmp_o_f32_e32 vcc_lo, v3, v3
	v_add3_u32 v4, v3, v4, 0x7fff
	s_delay_alu instid0(VALU_DEP_1) | instskip(NEXT) | instid1(VALU_DEP_1)
	v_lshrrev_b32_e32 v4, 16, v4
	v_cndmask_b32_e32 v3, 0x7fc0, v4, vcc_lo
	global_store_b16 v[0:1], v3, off offset:1664
	s_or_b32 exec_lo, exec_lo, s0
	s_and_saveexec_b32 s0, s13
	s_cbranch_execz .LBB662_48
.LBB662_65:
	s_waitcnt vmcnt(0)
	v_fma_f32 v3, -v2, v38, v37
	s_delay_alu instid0(VALU_DEP_1) | instskip(SKIP_1) | instid1(VALU_DEP_2)
	v_bfe_u32 v4, v3, 16, 1
	v_cmp_o_f32_e32 vcc_lo, v3, v3
	v_add3_u32 v4, v3, v4, 0x7fff
	s_delay_alu instid0(VALU_DEP_1) | instskip(NEXT) | instid1(VALU_DEP_1)
	v_lshrrev_b32_e32 v4, 16, v4
	v_cndmask_b32_e32 v3, 0x7fc0, v4, vcc_lo
	global_store_b16 v[0:1], v3, off offset:1792
	s_or_b32 exec_lo, exec_lo, s0
	s_delay_alu instid0(SALU_CYCLE_1)
	s_and_b32 exec_lo, exec_lo, s14
	s_cbranch_execnz .LBB662_49
	s_branch .LBB662_50
	.section	.rodata,"a",@progbits
	.p2align	6, 0x0
	.amdhsa_kernel _ZN12_GLOBAL__N_121softmax_warp_backwardIfN3c108BFloat16EfLi10ELb0ELb0ELi64EEEvPT0_PKT_S7_iiiPKb
		.amdhsa_group_segment_fixed_size 0
		.amdhsa_private_segment_fixed_size 0
		.amdhsa_kernarg_size 304
		.amdhsa_user_sgpr_count 15
		.amdhsa_user_sgpr_dispatch_ptr 0
		.amdhsa_user_sgpr_queue_ptr 0
		.amdhsa_user_sgpr_kernarg_segment_ptr 1
		.amdhsa_user_sgpr_dispatch_id 0
		.amdhsa_user_sgpr_private_segment_size 0
		.amdhsa_wavefront_size32 1
		.amdhsa_uses_dynamic_stack 0
		.amdhsa_enable_private_segment 0
		.amdhsa_system_sgpr_workgroup_id_x 1
		.amdhsa_system_sgpr_workgroup_id_y 0
		.amdhsa_system_sgpr_workgroup_id_z 0
		.amdhsa_system_sgpr_workgroup_info 0
		.amdhsa_system_vgpr_workitem_id 1
		.amdhsa_next_free_vgpr 39
		.amdhsa_next_free_sgpr 24
		.amdhsa_reserve_vcc 1
		.amdhsa_float_round_mode_32 0
		.amdhsa_float_round_mode_16_64 0
		.amdhsa_float_denorm_mode_32 3
		.amdhsa_float_denorm_mode_16_64 3
		.amdhsa_dx10_clamp 1
		.amdhsa_ieee_mode 1
		.amdhsa_fp16_overflow 0
		.amdhsa_workgroup_processor_mode 1
		.amdhsa_memory_ordered 1
		.amdhsa_forward_progress 0
		.amdhsa_shared_vgpr_count 0
		.amdhsa_exception_fp_ieee_invalid_op 0
		.amdhsa_exception_fp_denorm_src 0
		.amdhsa_exception_fp_ieee_div_zero 0
		.amdhsa_exception_fp_ieee_overflow 0
		.amdhsa_exception_fp_ieee_underflow 0
		.amdhsa_exception_fp_ieee_inexact 0
		.amdhsa_exception_int_div_zero 0
	.end_amdhsa_kernel
	.section	.text._ZN12_GLOBAL__N_121softmax_warp_backwardIfN3c108BFloat16EfLi10ELb0ELb0ELi64EEEvPT0_PKT_S7_iiiPKb,"axG",@progbits,_ZN12_GLOBAL__N_121softmax_warp_backwardIfN3c108BFloat16EfLi10ELb0ELb0ELi64EEEvPT0_PKT_S7_iiiPKb,comdat
.Lfunc_end662:
	.size	_ZN12_GLOBAL__N_121softmax_warp_backwardIfN3c108BFloat16EfLi10ELb0ELb0ELi64EEEvPT0_PKT_S7_iiiPKb, .Lfunc_end662-_ZN12_GLOBAL__N_121softmax_warp_backwardIfN3c108BFloat16EfLi10ELb0ELb0ELi64EEEvPT0_PKT_S7_iiiPKb
                                        ; -- End function
	.section	.AMDGPU.csdata,"",@progbits
; Kernel info:
; codeLenInByte = 3000
; NumSgprs: 26
; NumVgprs: 39
; ScratchSize: 0
; MemoryBound: 0
; FloatMode: 240
; IeeeMode: 1
; LDSByteSize: 0 bytes/workgroup (compile time only)
; SGPRBlocks: 3
; VGPRBlocks: 4
; NumSGPRsForWavesPerEU: 26
; NumVGPRsForWavesPerEU: 39
; Occupancy: 16
; WaveLimiterHint : 0
; COMPUTE_PGM_RSRC2:SCRATCH_EN: 0
; COMPUTE_PGM_RSRC2:USER_SGPR: 15
; COMPUTE_PGM_RSRC2:TRAP_HANDLER: 0
; COMPUTE_PGM_RSRC2:TGID_X_EN: 1
; COMPUTE_PGM_RSRC2:TGID_Y_EN: 0
; COMPUTE_PGM_RSRC2:TGID_Z_EN: 0
; COMPUTE_PGM_RSRC2:TIDIG_COMP_CNT: 1
	.section	.text._ZN12_GLOBAL__N_121softmax_warp_backwardIfN3c108BFloat16EfLi10ELb0ELb0ELi32EEEvPT0_PKT_S7_iiiPKb,"axG",@progbits,_ZN12_GLOBAL__N_121softmax_warp_backwardIfN3c108BFloat16EfLi10ELb0ELb0ELi32EEEvPT0_PKT_S7_iiiPKb,comdat
	.globl	_ZN12_GLOBAL__N_121softmax_warp_backwardIfN3c108BFloat16EfLi10ELb0ELb0ELi32EEEvPT0_PKT_S7_iiiPKb ; -- Begin function _ZN12_GLOBAL__N_121softmax_warp_backwardIfN3c108BFloat16EfLi10ELb0ELb0ELi32EEEvPT0_PKT_S7_iiiPKb
	.p2align	8
	.type	_ZN12_GLOBAL__N_121softmax_warp_backwardIfN3c108BFloat16EfLi10ELb0ELb0ELi32EEEvPT0_PKT_S7_iiiPKb,@function
_ZN12_GLOBAL__N_121softmax_warp_backwardIfN3c108BFloat16EfLi10ELb0ELb0ELi32EEEvPT0_PKT_S7_iiiPKb: ; @_ZN12_GLOBAL__N_121softmax_warp_backwardIfN3c108BFloat16EfLi10ELb0ELb0ELi32EEEvPT0_PKT_S7_iiiPKb
; %bb.0:
	s_clause 0x1
	s_load_b32 s2, s[0:1], 0x3c
	s_load_b128 s[40:43], s[0:1], 0x18
	v_bfe_u32 v1, v0, 10, 10
	v_dual_mov_b32 v8, 0 :: v_dual_and_b32 v39, 0x3ff, v0
	s_load_b128 s[36:39], s[0:1], 0x0
	s_delay_alu instid0(VALU_DEP_1) | instskip(SKIP_2) | instid1(SALU_CYCLE_1)
	v_dual_mov_b32 v11, 0 :: v_dual_and_b32 v6, 31, v39
	s_waitcnt lgkmcnt(0)
	s_lshr_b32 s2, s2, 16
	v_mad_u64_u32 v[2:3], null, s15, s2, v[1:2]
	s_load_b64 s[2:3], s[0:1], 0x10
	s_delay_alu instid0(VALU_DEP_1) | instskip(SKIP_3) | instid1(VALU_DEP_2)
	v_mad_u64_u32 v[0:1], null, v2, s41, v[6:7]
	v_mov_b32_e32 v7, 0
	v_sub_nc_u32_e32 v10, s40, v2
	v_cmp_gt_i32_e32 vcc_lo, s42, v6
	v_cmp_lt_i32_e64 s17, 0, v10
	v_ashrrev_i32_e32 v1, 31, v0
	s_delay_alu instid0(VALU_DEP_2) | instskip(NEXT) | instid1(VALU_DEP_1)
	s_and_b32 s1, s17, vcc_lo
	v_lshlrev_b64 v[4:5], 2, v[0:1]
	s_delay_alu instid0(VALU_DEP_1) | instskip(NEXT) | instid1(VALU_DEP_1)
	v_add_co_u32 v2, s0, s38, v4
	v_add_co_ci_u32_e64 v3, s0, s39, v5, s0
	s_waitcnt lgkmcnt(0)
	v_add_co_u32 v4, s0, s2, v4
	s_delay_alu instid0(VALU_DEP_1)
	v_add_co_ci_u32_e64 v5, s0, s3, v5, s0
	s_and_saveexec_b32 s0, s1
	s_cbranch_execz .LBB663_2
; %bb.1:
	global_load_b32 v8, v[2:3], off
	global_load_b32 v11, v[4:5], off
.LBB663_2:
	s_or_b32 exec_lo, exec_lo, s0
	v_or_b32_e32 v9, 32, v6
	v_mov_b32_e32 v13, 0
	s_delay_alu instid0(VALU_DEP_2) | instskip(NEXT) | instid1(VALU_DEP_1)
	v_cmp_gt_i32_e64 s0, s42, v9
	s_and_b32 s2, s17, s0
	s_delay_alu instid0(SALU_CYCLE_1)
	s_and_saveexec_b32 s1, s2
	s_cbranch_execz .LBB663_4
; %bb.3:
	global_load_b32 v7, v[2:3], off offset:128
	global_load_b32 v13, v[4:5], off offset:128
.LBB663_4:
	s_or_b32 exec_lo, exec_lo, s1
	v_or_b32_e32 v9, 64, v6
	v_dual_mov_b32 v15, 0 :: v_dual_mov_b32 v14, 0
	s_delay_alu instid0(VALU_DEP_2) | instskip(SKIP_1) | instid1(VALU_DEP_2)
	v_cmp_gt_i32_e64 s1, s42, v9
	v_mov_b32_e32 v9, 0
	s_and_b32 s3, s17, s1
	s_delay_alu instid0(SALU_CYCLE_1)
	s_and_saveexec_b32 s2, s3
	s_cbranch_execz .LBB663_6
; %bb.5:
	global_load_b32 v14, v[2:3], off offset:256
	global_load_b32 v15, v[4:5], off offset:256
.LBB663_6:
	s_or_b32 exec_lo, exec_lo, s2
	v_or_b32_e32 v12, 0x60, v6
	v_mov_b32_e32 v17, 0
	s_delay_alu instid0(VALU_DEP_2) | instskip(NEXT) | instid1(VALU_DEP_1)
	v_cmp_gt_i32_e64 s2, s42, v12
	s_and_b32 s4, s17, s2
	s_delay_alu instid0(SALU_CYCLE_1)
	s_and_saveexec_b32 s3, s4
	s_cbranch_execz .LBB663_8
; %bb.7:
	global_load_b32 v9, v[2:3], off offset:384
	global_load_b32 v17, v[4:5], off offset:384
.LBB663_8:
	s_or_b32 exec_lo, exec_lo, s3
	v_or_b32_e32 v12, 0x80, v6
	v_dual_mov_b32 v18, 0 :: v_dual_mov_b32 v19, 0
	s_delay_alu instid0(VALU_DEP_2) | instskip(SKIP_1) | instid1(VALU_DEP_2)
	v_cmp_gt_i32_e64 s3, s42, v12
	v_mov_b32_e32 v12, 0
	s_and_b32 s5, s17, s3
	s_delay_alu instid0(SALU_CYCLE_1)
	s_and_saveexec_b32 s4, s5
	s_cbranch_execz .LBB663_10
; %bb.9:
	global_load_b32 v18, v[2:3], off offset:512
	global_load_b32 v19, v[4:5], off offset:512
.LBB663_10:
	;; [unrolled: 27-line block ×6, first 2 shown]
	s_or_b32 exec_lo, exec_lo, s12
	v_or_b32_e32 v32, 0x1a0, v6
	v_mov_b32_e32 v37, 0
	s_delay_alu instid0(VALU_DEP_2) | instskip(NEXT) | instid1(VALU_DEP_1)
	v_cmp_gt_i32_e64 s12, s42, v32
	s_and_b32 s14, s17, s12
	s_delay_alu instid0(SALU_CYCLE_1)
	s_and_saveexec_b32 s13, s14
	s_cbranch_execz .LBB663_28
; %bb.27:
	global_load_b32 v28, v[2:3], off offset:1664
	global_load_b32 v37, v[4:5], off offset:1664
.LBB663_28:
	s_or_b32 exec_lo, exec_lo, s13
	v_or_b32_e32 v32, 0x1c0, v6
	v_mov_b32_e32 v38, 0
	v_mov_b32_e32 v40, 0
	s_delay_alu instid0(VALU_DEP_3) | instskip(SKIP_1) | instid1(VALU_DEP_2)
	v_cmp_gt_i32_e64 s13, s42, v32
	v_mov_b32_e32 v32, 0
	s_and_b32 s15, s17, s13
	s_delay_alu instid0(SALU_CYCLE_1)
	s_and_saveexec_b32 s14, s15
	s_cbranch_execz .LBB663_30
; %bb.29:
	global_load_b32 v38, v[2:3], off offset:1792
	global_load_b32 v40, v[4:5], off offset:1792
.LBB663_30:
	s_or_b32 exec_lo, exec_lo, s14
	v_or_b32_e32 v36, 0x1e0, v6
	v_mov_b32_e32 v42, 0
	s_delay_alu instid0(VALU_DEP_2) | instskip(NEXT) | instid1(VALU_DEP_1)
	v_cmp_gt_i32_e64 s14, s42, v36
	s_and_b32 s16, s17, s14
	s_delay_alu instid0(SALU_CYCLE_1)
	s_and_saveexec_b32 s15, s16
	s_cbranch_execz .LBB663_32
; %bb.31:
	global_load_b32 v32, v[2:3], off offset:1920
	global_load_b32 v42, v[4:5], off offset:1920
.LBB663_32:
	s_or_b32 exec_lo, exec_lo, s15
	v_or_b32_e32 v36, 0x200, v6
	v_dual_mov_b32 v44, 0 :: v_dual_mov_b32 v43, 0
	s_delay_alu instid0(VALU_DEP_2) | instskip(SKIP_1) | instid1(VALU_DEP_2)
	v_cmp_gt_i32_e64 s15, s42, v36
	v_mov_b32_e32 v36, 0
	s_and_b32 s18, s17, s15
	s_delay_alu instid0(SALU_CYCLE_1)
	s_and_saveexec_b32 s16, s18
	s_cbranch_execz .LBB663_34
; %bb.33:
	global_load_b32 v43, v[2:3], off offset:2048
	global_load_b32 v44, v[4:5], off offset:2048
.LBB663_34:
	s_or_b32 exec_lo, exec_lo, s16
	v_or_b32_e32 v41, 0x220, v6
	v_mov_b32_e32 v46, 0
	s_delay_alu instid0(VALU_DEP_2) | instskip(NEXT) | instid1(VALU_DEP_1)
	v_cmp_gt_i32_e64 s16, s42, v41
	s_and_b32 s19, s17, s16
	s_delay_alu instid0(SALU_CYCLE_1)
	s_and_saveexec_b32 s18, s19
	s_cbranch_execz .LBB663_36
; %bb.35:
	global_load_b32 v36, v[2:3], off offset:2176
	global_load_b32 v46, v[4:5], off offset:2176
.LBB663_36:
	s_or_b32 exec_lo, exec_lo, s18
	v_or_b32_e32 v41, 0x240, v6
	v_dual_mov_b32 v47, 0 :: v_dual_mov_b32 v48, 0
	s_delay_alu instid0(VALU_DEP_2) | instskip(SKIP_1) | instid1(VALU_DEP_2)
	;; [unrolled: 27-line block ×7, first 2 shown]
	v_cmp_gt_i32_e64 s28, s42, v61
	v_mov_b32_e32 v61, 0
	s_and_b32 s30, s17, s28
	s_delay_alu instid0(SALU_CYCLE_1)
	s_and_saveexec_b32 s29, s30
	s_cbranch_execz .LBB663_58
; %bb.57:
	global_load_b32 v66, v[2:3], off offset:3584
	global_load_b32 v67, v[4:5], off offset:3584
.LBB663_58:
	s_or_b32 exec_lo, exec_lo, s29
	v_or_b32_e32 v68, 0x3a0, v6
	s_delay_alu instid0(VALU_DEP_1) | instskip(SKIP_1) | instid1(VALU_DEP_2)
	v_cmp_gt_i32_e64 s29, s42, v68
	v_mov_b32_e32 v68, 0
	s_and_b32 s31, s17, s29
	s_delay_alu instid0(SALU_CYCLE_1)
	s_and_saveexec_b32 s30, s31
	s_cbranch_execz .LBB663_60
; %bb.59:
	global_load_b32 v61, v[2:3], off offset:3712
	global_load_b32 v68, v[4:5], off offset:3712
.LBB663_60:
	s_or_b32 exec_lo, exec_lo, s30
	v_or_b32_e32 v6, 0x3c0, v6
	v_dual_mov_b32 v70, 0 :: v_dual_mov_b32 v69, 0
	s_delay_alu instid0(VALU_DEP_2) | instskip(SKIP_1) | instid1(VALU_DEP_2)
	v_cmp_gt_i32_e64 s30, s42, v6
	v_mov_b32_e32 v6, 0
	s_and_b32 s33, s17, s30
	s_delay_alu instid0(SALU_CYCLE_1)
	s_and_saveexec_b32 s31, s33
	s_cbranch_execz .LBB663_62
; %bb.61:
	global_load_b32 v69, v[2:3], off offset:3840
	global_load_b32 v70, v[4:5], off offset:3840
.LBB663_62:
	s_or_b32 exec_lo, exec_lo, s31
	v_or_b32_e32 v39, 0x3e0, v39
	s_delay_alu instid0(VALU_DEP_1) | instskip(SKIP_1) | instid1(VALU_DEP_2)
	v_cmp_gt_i32_e64 s31, s42, v39
	v_mov_b32_e32 v39, 0
	s_and_b32 s33, s17, s31
	s_delay_alu instid0(SALU_CYCLE_1)
	s_and_saveexec_b32 s17, s33
	s_cbranch_execz .LBB663_64
; %bb.63:
	global_load_b32 v6, v[2:3], off offset:3968
	global_load_b32 v39, v[4:5], off offset:3968
.LBB663_64:
	s_or_b32 exec_lo, exec_lo, s17
	v_mbcnt_lo_u32_b32 v3, -1, 0
	s_mov_b32 s33, exec_lo
	s_delay_alu instid0(VALU_DEP_1) | instskip(SKIP_1) | instid1(VALU_DEP_2)
	v_xor_b32_e32 v4, 16, v3
	v_xor_b32_e32 v5, 8, v3
	v_cmp_gt_i32_e64 s17, 32, v4
	s_delay_alu instid0(VALU_DEP_1) | instskip(NEXT) | instid1(VALU_DEP_3)
	v_cndmask_b32_e64 v4, v3, v4, s17
	v_cmp_gt_i32_e64 s17, 32, v5
	s_delay_alu instid0(VALU_DEP_2) | instskip(NEXT) | instid1(VALU_DEP_2)
	v_lshlrev_b32_e32 v4, 2, v4
	v_cndmask_b32_e64 v5, v3, v5, s17
	s_waitcnt vmcnt(1)
	s_delay_alu instid0(VALU_DEP_1) | instskip(NEXT) | instid1(VALU_DEP_1)
	v_dual_add_f32 v2, 0, v8 :: v_dual_lshlrev_b32 v5, 2, v5
	v_add_f32_e32 v2, v2, v7
	s_delay_alu instid0(VALU_DEP_1) | instskip(NEXT) | instid1(VALU_DEP_1)
	v_add_f32_e32 v2, v2, v14
	v_add_f32_e32 v2, v2, v9
	s_delay_alu instid0(VALU_DEP_1) | instskip(NEXT) | instid1(VALU_DEP_1)
	v_add_f32_e32 v2, v2, v18
	;; [unrolled: 3-line block ×15, first 2 shown]
	v_add_f32_e32 v2, v2, v6
	ds_bpermute_b32 v4, v4, v2
	s_waitcnt lgkmcnt(0)
	v_add_f32_e32 v2, v2, v4
	ds_bpermute_b32 v4, v5, v2
	v_xor_b32_e32 v5, 4, v3
	s_delay_alu instid0(VALU_DEP_1) | instskip(NEXT) | instid1(VALU_DEP_1)
	v_cmp_gt_i32_e64 s17, 32, v5
	v_cndmask_b32_e64 v5, v3, v5, s17
	s_waitcnt lgkmcnt(0)
	s_delay_alu instid0(VALU_DEP_1) | instskip(SKIP_2) | instid1(VALU_DEP_1)
	v_dual_add_f32 v2, v2, v4 :: v_dual_lshlrev_b32 v5, 2, v5
	ds_bpermute_b32 v4, v5, v2
	v_xor_b32_e32 v5, 2, v3
	v_cmp_gt_i32_e64 s17, 32, v5
	s_delay_alu instid0(VALU_DEP_1) | instskip(SKIP_1) | instid1(VALU_DEP_1)
	v_cndmask_b32_e64 v5, v3, v5, s17
	s_waitcnt lgkmcnt(0)
	v_dual_add_f32 v2, v2, v4 :: v_dual_lshlrev_b32 v5, 2, v5
	ds_bpermute_b32 v4, v5, v2
	v_xor_b32_e32 v5, 1, v3
	s_delay_alu instid0(VALU_DEP_1) | instskip(NEXT) | instid1(VALU_DEP_1)
	v_cmp_gt_i32_e64 s17, 32, v5
	v_cndmask_b32_e64 v3, v3, v5, s17
	s_waitcnt lgkmcnt(0)
	s_delay_alu instid0(VALU_DEP_1)
	v_dual_add_f32 v2, v2, v4 :: v_dual_lshlrev_b32 v3, 2, v3
	ds_bpermute_b32 v3, v3, v2
	v_cmpx_lt_i32_e32 0, v10
	s_cbranch_execz .LBB663_98
; %bb.65:
	v_lshlrev_b64 v[0:1], 1, v[0:1]
	s_waitcnt lgkmcnt(0)
	v_add_f32_e32 v2, v2, v3
	s_delay_alu instid0(VALU_DEP_2) | instskip(NEXT) | instid1(VALU_DEP_1)
	v_add_co_u32 v0, s17, s36, v0
	v_add_co_ci_u32_e64 v1, s17, s37, v1, s17
	s_and_saveexec_b32 s17, vcc_lo
	s_cbranch_execnz .LBB663_99
; %bb.66:
	s_or_b32 exec_lo, exec_lo, s17
	s_and_saveexec_b32 s17, s0
	s_cbranch_execnz .LBB663_100
.LBB663_67:
	s_or_b32 exec_lo, exec_lo, s17
	s_and_saveexec_b32 s0, s1
	s_cbranch_execnz .LBB663_101
.LBB663_68:
	s_or_b32 exec_lo, exec_lo, s0
	s_and_saveexec_b32 s0, s2
	s_cbranch_execnz .LBB663_102
.LBB663_69:
	s_or_b32 exec_lo, exec_lo, s0
	s_and_saveexec_b32 s0, s3
	s_cbranch_execnz .LBB663_103
.LBB663_70:
	s_or_b32 exec_lo, exec_lo, s0
	s_and_saveexec_b32 s0, s4
	s_cbranch_execnz .LBB663_104
.LBB663_71:
	s_or_b32 exec_lo, exec_lo, s0
	s_and_saveexec_b32 s0, s5
	s_cbranch_execnz .LBB663_105
.LBB663_72:
	s_or_b32 exec_lo, exec_lo, s0
	s_and_saveexec_b32 s0, s6
	s_cbranch_execnz .LBB663_106
.LBB663_73:
	s_or_b32 exec_lo, exec_lo, s0
	s_and_saveexec_b32 s0, s7
	s_cbranch_execnz .LBB663_107
.LBB663_74:
	s_or_b32 exec_lo, exec_lo, s0
	s_and_saveexec_b32 s0, s8
	s_cbranch_execnz .LBB663_108
.LBB663_75:
	s_or_b32 exec_lo, exec_lo, s0
	s_and_saveexec_b32 s0, s9
	s_cbranch_execnz .LBB663_109
.LBB663_76:
	s_or_b32 exec_lo, exec_lo, s0
	s_and_saveexec_b32 s0, s10
	s_cbranch_execnz .LBB663_110
.LBB663_77:
	s_or_b32 exec_lo, exec_lo, s0
	s_and_saveexec_b32 s0, s11
	s_cbranch_execnz .LBB663_111
.LBB663_78:
	s_or_b32 exec_lo, exec_lo, s0
	s_and_saveexec_b32 s0, s12
	s_cbranch_execnz .LBB663_112
.LBB663_79:
	s_or_b32 exec_lo, exec_lo, s0
	s_and_saveexec_b32 s0, s13
	s_cbranch_execnz .LBB663_113
.LBB663_80:
	s_or_b32 exec_lo, exec_lo, s0
	s_and_saveexec_b32 s0, s14
	s_cbranch_execnz .LBB663_114
.LBB663_81:
	s_or_b32 exec_lo, exec_lo, s0
	s_and_saveexec_b32 s0, s15
	s_cbranch_execnz .LBB663_115
.LBB663_82:
	s_or_b32 exec_lo, exec_lo, s0
	s_and_saveexec_b32 s0, s16
	s_cbranch_execnz .LBB663_116
.LBB663_83:
	s_or_b32 exec_lo, exec_lo, s0
	s_and_saveexec_b32 s0, s18
	s_cbranch_execnz .LBB663_117
.LBB663_84:
	s_or_b32 exec_lo, exec_lo, s0
	s_and_saveexec_b32 s0, s19
	s_cbranch_execnz .LBB663_118
.LBB663_85:
	s_or_b32 exec_lo, exec_lo, s0
	s_and_saveexec_b32 s0, s20
	s_cbranch_execnz .LBB663_119
.LBB663_86:
	s_or_b32 exec_lo, exec_lo, s0
	s_and_saveexec_b32 s0, s21
	s_cbranch_execnz .LBB663_120
.LBB663_87:
	s_or_b32 exec_lo, exec_lo, s0
	s_and_saveexec_b32 s0, s22
	s_cbranch_execnz .LBB663_121
.LBB663_88:
	s_or_b32 exec_lo, exec_lo, s0
	s_and_saveexec_b32 s0, s23
	s_cbranch_execnz .LBB663_122
.LBB663_89:
	s_or_b32 exec_lo, exec_lo, s0
	s_and_saveexec_b32 s0, s24
	s_cbranch_execnz .LBB663_123
.LBB663_90:
	s_or_b32 exec_lo, exec_lo, s0
	s_and_saveexec_b32 s0, s25
	s_cbranch_execnz .LBB663_124
.LBB663_91:
	s_or_b32 exec_lo, exec_lo, s0
	s_and_saveexec_b32 s0, s26
	s_cbranch_execnz .LBB663_125
.LBB663_92:
	s_or_b32 exec_lo, exec_lo, s0
	s_and_saveexec_b32 s0, s27
	s_cbranch_execnz .LBB663_126
.LBB663_93:
	s_or_b32 exec_lo, exec_lo, s0
	s_and_saveexec_b32 s0, s28
	s_cbranch_execnz .LBB663_127
.LBB663_94:
	s_or_b32 exec_lo, exec_lo, s0
	s_and_saveexec_b32 s0, s29
	s_cbranch_execnz .LBB663_128
.LBB663_95:
	s_or_b32 exec_lo, exec_lo, s0
	s_and_saveexec_b32 s0, s30
	s_cbranch_execnz .LBB663_129
.LBB663_96:
	s_or_b32 exec_lo, exec_lo, s0
	s_delay_alu instid0(SALU_CYCLE_1)
	s_and_b32 exec_lo, exec_lo, s31
	s_cbranch_execz .LBB663_98
.LBB663_97:
	s_waitcnt vmcnt(0)
	v_fma_f32 v2, -v2, v39, v6
	s_delay_alu instid0(VALU_DEP_1) | instskip(SKIP_1) | instid1(VALU_DEP_2)
	v_bfe_u32 v3, v2, 16, 1
	v_cmp_o_f32_e32 vcc_lo, v2, v2
	v_add3_u32 v3, v2, v3, 0x7fff
	s_delay_alu instid0(VALU_DEP_1) | instskip(NEXT) | instid1(VALU_DEP_1)
	v_lshrrev_b32_e32 v3, 16, v3
	v_cndmask_b32_e32 v2, 0x7fc0, v3, vcc_lo
	global_store_b16 v[0:1], v2, off offset:1984
.LBB663_98:
	s_nop 0
	s_sendmsg sendmsg(MSG_DEALLOC_VGPRS)
	s_endpgm
.LBB663_99:
	s_waitcnt vmcnt(0)
	v_fma_f32 v3, -v2, v11, v8
	s_delay_alu instid0(VALU_DEP_1) | instskip(SKIP_1) | instid1(VALU_DEP_2)
	v_bfe_u32 v4, v3, 16, 1
	v_cmp_o_f32_e32 vcc_lo, v3, v3
	v_add3_u32 v4, v3, v4, 0x7fff
	s_delay_alu instid0(VALU_DEP_1) | instskip(NEXT) | instid1(VALU_DEP_1)
	v_lshrrev_b32_e32 v4, 16, v4
	v_cndmask_b32_e32 v3, 0x7fc0, v4, vcc_lo
	global_store_b16 v[0:1], v3, off
	s_or_b32 exec_lo, exec_lo, s17
	s_and_saveexec_b32 s17, s0
	s_cbranch_execz .LBB663_67
.LBB663_100:
	s_waitcnt vmcnt(0)
	v_fma_f32 v3, -v2, v13, v7
	s_delay_alu instid0(VALU_DEP_1) | instskip(SKIP_1) | instid1(VALU_DEP_2)
	v_bfe_u32 v4, v3, 16, 1
	v_cmp_o_f32_e32 vcc_lo, v3, v3
	v_add3_u32 v4, v3, v4, 0x7fff
	s_delay_alu instid0(VALU_DEP_1) | instskip(NEXT) | instid1(VALU_DEP_1)
	v_lshrrev_b32_e32 v4, 16, v4
	v_cndmask_b32_e32 v3, 0x7fc0, v4, vcc_lo
	global_store_b16 v[0:1], v3, off offset:64
	s_or_b32 exec_lo, exec_lo, s17
	s_and_saveexec_b32 s0, s1
	s_cbranch_execz .LBB663_68
.LBB663_101:
	s_waitcnt vmcnt(0)
	v_fma_f32 v3, -v2, v15, v14
	s_delay_alu instid0(VALU_DEP_1) | instskip(SKIP_1) | instid1(VALU_DEP_2)
	v_bfe_u32 v4, v3, 16, 1
	v_cmp_o_f32_e32 vcc_lo, v3, v3
	v_add3_u32 v4, v3, v4, 0x7fff
	s_delay_alu instid0(VALU_DEP_1) | instskip(NEXT) | instid1(VALU_DEP_1)
	v_lshrrev_b32_e32 v4, 16, v4
	v_cndmask_b32_e32 v3, 0x7fc0, v4, vcc_lo
	global_store_b16 v[0:1], v3, off offset:128
	s_or_b32 exec_lo, exec_lo, s0
	s_and_saveexec_b32 s0, s2
	s_cbranch_execz .LBB663_69
.LBB663_102:
	s_waitcnt vmcnt(0)
	v_fma_f32 v3, -v2, v17, v9
	s_delay_alu instid0(VALU_DEP_1) | instskip(SKIP_1) | instid1(VALU_DEP_2)
	v_bfe_u32 v4, v3, 16, 1
	v_cmp_o_f32_e32 vcc_lo, v3, v3
	v_add3_u32 v4, v3, v4, 0x7fff
	s_delay_alu instid0(VALU_DEP_1) | instskip(NEXT) | instid1(VALU_DEP_1)
	v_lshrrev_b32_e32 v4, 16, v4
	v_cndmask_b32_e32 v3, 0x7fc0, v4, vcc_lo
	global_store_b16 v[0:1], v3, off offset:192
	s_or_b32 exec_lo, exec_lo, s0
	s_and_saveexec_b32 s0, s3
	s_cbranch_execz .LBB663_70
.LBB663_103:
	s_waitcnt vmcnt(0)
	v_fma_f32 v3, -v2, v19, v18
	s_delay_alu instid0(VALU_DEP_1) | instskip(SKIP_1) | instid1(VALU_DEP_2)
	v_bfe_u32 v4, v3, 16, 1
	v_cmp_o_f32_e32 vcc_lo, v3, v3
	v_add3_u32 v4, v3, v4, 0x7fff
	s_delay_alu instid0(VALU_DEP_1) | instskip(NEXT) | instid1(VALU_DEP_1)
	v_lshrrev_b32_e32 v4, 16, v4
	v_cndmask_b32_e32 v3, 0x7fc0, v4, vcc_lo
	global_store_b16 v[0:1], v3, off offset:256
	s_or_b32 exec_lo, exec_lo, s0
	s_and_saveexec_b32 s0, s4
	s_cbranch_execz .LBB663_71
.LBB663_104:
	s_waitcnt vmcnt(0)
	v_fma_f32 v3, -v2, v21, v12
	s_delay_alu instid0(VALU_DEP_1) | instskip(SKIP_1) | instid1(VALU_DEP_2)
	v_bfe_u32 v4, v3, 16, 1
	v_cmp_o_f32_e32 vcc_lo, v3, v3
	v_add3_u32 v4, v3, v4, 0x7fff
	s_delay_alu instid0(VALU_DEP_1) | instskip(NEXT) | instid1(VALU_DEP_1)
	v_lshrrev_b32_e32 v4, 16, v4
	v_cndmask_b32_e32 v3, 0x7fc0, v4, vcc_lo
	global_store_b16 v[0:1], v3, off offset:320
	s_or_b32 exec_lo, exec_lo, s0
	s_and_saveexec_b32 s0, s5
	s_cbranch_execz .LBB663_72
.LBB663_105:
	s_waitcnt vmcnt(0)
	v_fma_f32 v3, -v2, v23, v22
	s_delay_alu instid0(VALU_DEP_1) | instskip(SKIP_1) | instid1(VALU_DEP_2)
	v_bfe_u32 v4, v3, 16, 1
	v_cmp_o_f32_e32 vcc_lo, v3, v3
	v_add3_u32 v4, v3, v4, 0x7fff
	s_delay_alu instid0(VALU_DEP_1) | instskip(NEXT) | instid1(VALU_DEP_1)
	v_lshrrev_b32_e32 v4, 16, v4
	v_cndmask_b32_e32 v3, 0x7fc0, v4, vcc_lo
	global_store_b16 v[0:1], v3, off offset:384
	s_or_b32 exec_lo, exec_lo, s0
	s_and_saveexec_b32 s0, s6
	s_cbranch_execz .LBB663_73
.LBB663_106:
	s_waitcnt vmcnt(0)
	v_fma_f32 v3, -v2, v25, v16
	s_delay_alu instid0(VALU_DEP_1) | instskip(SKIP_1) | instid1(VALU_DEP_2)
	v_bfe_u32 v4, v3, 16, 1
	v_cmp_o_f32_e32 vcc_lo, v3, v3
	v_add3_u32 v4, v3, v4, 0x7fff
	s_delay_alu instid0(VALU_DEP_1) | instskip(NEXT) | instid1(VALU_DEP_1)
	v_lshrrev_b32_e32 v4, 16, v4
	v_cndmask_b32_e32 v3, 0x7fc0, v4, vcc_lo
	global_store_b16 v[0:1], v3, off offset:448
	s_or_b32 exec_lo, exec_lo, s0
	s_and_saveexec_b32 s0, s7
	s_cbranch_execz .LBB663_74
.LBB663_107:
	s_waitcnt vmcnt(0)
	v_fma_f32 v3, -v2, v27, v26
	s_delay_alu instid0(VALU_DEP_1) | instskip(SKIP_1) | instid1(VALU_DEP_2)
	v_bfe_u32 v4, v3, 16, 1
	v_cmp_o_f32_e32 vcc_lo, v3, v3
	v_add3_u32 v4, v3, v4, 0x7fff
	s_delay_alu instid0(VALU_DEP_1) | instskip(NEXT) | instid1(VALU_DEP_1)
	v_lshrrev_b32_e32 v4, 16, v4
	v_cndmask_b32_e32 v3, 0x7fc0, v4, vcc_lo
	global_store_b16 v[0:1], v3, off offset:512
	s_or_b32 exec_lo, exec_lo, s0
	s_and_saveexec_b32 s0, s8
	s_cbranch_execz .LBB663_75
.LBB663_108:
	s_waitcnt vmcnt(0)
	v_fma_f32 v3, -v2, v29, v20
	s_delay_alu instid0(VALU_DEP_1) | instskip(SKIP_1) | instid1(VALU_DEP_2)
	v_bfe_u32 v4, v3, 16, 1
	v_cmp_o_f32_e32 vcc_lo, v3, v3
	v_add3_u32 v4, v3, v4, 0x7fff
	s_delay_alu instid0(VALU_DEP_1) | instskip(NEXT) | instid1(VALU_DEP_1)
	v_lshrrev_b32_e32 v4, 16, v4
	v_cndmask_b32_e32 v3, 0x7fc0, v4, vcc_lo
	global_store_b16 v[0:1], v3, off offset:576
	s_or_b32 exec_lo, exec_lo, s0
	s_and_saveexec_b32 s0, s9
	s_cbranch_execz .LBB663_76
.LBB663_109:
	s_waitcnt vmcnt(0)
	v_fma_f32 v3, -v2, v31, v30
	s_delay_alu instid0(VALU_DEP_1) | instskip(SKIP_1) | instid1(VALU_DEP_2)
	v_bfe_u32 v4, v3, 16, 1
	v_cmp_o_f32_e32 vcc_lo, v3, v3
	v_add3_u32 v4, v3, v4, 0x7fff
	s_delay_alu instid0(VALU_DEP_1) | instskip(NEXT) | instid1(VALU_DEP_1)
	v_lshrrev_b32_e32 v4, 16, v4
	v_cndmask_b32_e32 v3, 0x7fc0, v4, vcc_lo
	global_store_b16 v[0:1], v3, off offset:640
	s_or_b32 exec_lo, exec_lo, s0
	s_and_saveexec_b32 s0, s10
	s_cbranch_execz .LBB663_77
.LBB663_110:
	s_waitcnt vmcnt(0)
	v_fma_f32 v3, -v2, v33, v24
	s_delay_alu instid0(VALU_DEP_1) | instskip(SKIP_1) | instid1(VALU_DEP_2)
	v_bfe_u32 v4, v3, 16, 1
	v_cmp_o_f32_e32 vcc_lo, v3, v3
	v_add3_u32 v4, v3, v4, 0x7fff
	s_delay_alu instid0(VALU_DEP_1) | instskip(NEXT) | instid1(VALU_DEP_1)
	v_lshrrev_b32_e32 v4, 16, v4
	v_cndmask_b32_e32 v3, 0x7fc0, v4, vcc_lo
	global_store_b16 v[0:1], v3, off offset:704
	s_or_b32 exec_lo, exec_lo, s0
	s_and_saveexec_b32 s0, s11
	s_cbranch_execz .LBB663_78
.LBB663_111:
	s_waitcnt vmcnt(0)
	v_fma_f32 v3, -v2, v35, v34
	s_delay_alu instid0(VALU_DEP_1) | instskip(SKIP_1) | instid1(VALU_DEP_2)
	v_bfe_u32 v4, v3, 16, 1
	v_cmp_o_f32_e32 vcc_lo, v3, v3
	v_add3_u32 v4, v3, v4, 0x7fff
	s_delay_alu instid0(VALU_DEP_1) | instskip(NEXT) | instid1(VALU_DEP_1)
	v_lshrrev_b32_e32 v4, 16, v4
	v_cndmask_b32_e32 v3, 0x7fc0, v4, vcc_lo
	global_store_b16 v[0:1], v3, off offset:768
	s_or_b32 exec_lo, exec_lo, s0
	s_and_saveexec_b32 s0, s12
	s_cbranch_execz .LBB663_79
.LBB663_112:
	s_waitcnt vmcnt(0)
	v_fma_f32 v3, -v2, v37, v28
	s_delay_alu instid0(VALU_DEP_1) | instskip(SKIP_1) | instid1(VALU_DEP_2)
	v_bfe_u32 v4, v3, 16, 1
	v_cmp_o_f32_e32 vcc_lo, v3, v3
	v_add3_u32 v4, v3, v4, 0x7fff
	s_delay_alu instid0(VALU_DEP_1) | instskip(NEXT) | instid1(VALU_DEP_1)
	v_lshrrev_b32_e32 v4, 16, v4
	v_cndmask_b32_e32 v3, 0x7fc0, v4, vcc_lo
	global_store_b16 v[0:1], v3, off offset:832
	s_or_b32 exec_lo, exec_lo, s0
	s_and_saveexec_b32 s0, s13
	s_cbranch_execz .LBB663_80
.LBB663_113:
	s_waitcnt vmcnt(0)
	v_fma_f32 v3, -v2, v40, v38
	s_delay_alu instid0(VALU_DEP_1) | instskip(SKIP_1) | instid1(VALU_DEP_2)
	v_bfe_u32 v4, v3, 16, 1
	v_cmp_o_f32_e32 vcc_lo, v3, v3
	v_add3_u32 v4, v3, v4, 0x7fff
	s_delay_alu instid0(VALU_DEP_1) | instskip(NEXT) | instid1(VALU_DEP_1)
	v_lshrrev_b32_e32 v4, 16, v4
	v_cndmask_b32_e32 v3, 0x7fc0, v4, vcc_lo
	global_store_b16 v[0:1], v3, off offset:896
	s_or_b32 exec_lo, exec_lo, s0
	s_and_saveexec_b32 s0, s14
	s_cbranch_execz .LBB663_81
.LBB663_114:
	s_waitcnt vmcnt(0)
	v_fma_f32 v3, -v2, v42, v32
	s_delay_alu instid0(VALU_DEP_1) | instskip(SKIP_1) | instid1(VALU_DEP_2)
	v_bfe_u32 v4, v3, 16, 1
	v_cmp_o_f32_e32 vcc_lo, v3, v3
	v_add3_u32 v4, v3, v4, 0x7fff
	s_delay_alu instid0(VALU_DEP_1) | instskip(NEXT) | instid1(VALU_DEP_1)
	v_lshrrev_b32_e32 v4, 16, v4
	v_cndmask_b32_e32 v3, 0x7fc0, v4, vcc_lo
	global_store_b16 v[0:1], v3, off offset:960
	s_or_b32 exec_lo, exec_lo, s0
	s_and_saveexec_b32 s0, s15
	s_cbranch_execz .LBB663_82
.LBB663_115:
	s_waitcnt vmcnt(0)
	v_fma_f32 v3, -v2, v44, v43
	s_delay_alu instid0(VALU_DEP_1) | instskip(SKIP_1) | instid1(VALU_DEP_2)
	v_bfe_u32 v4, v3, 16, 1
	v_cmp_o_f32_e32 vcc_lo, v3, v3
	v_add3_u32 v4, v3, v4, 0x7fff
	s_delay_alu instid0(VALU_DEP_1) | instskip(NEXT) | instid1(VALU_DEP_1)
	v_lshrrev_b32_e32 v4, 16, v4
	v_cndmask_b32_e32 v3, 0x7fc0, v4, vcc_lo
	global_store_b16 v[0:1], v3, off offset:1024
	s_or_b32 exec_lo, exec_lo, s0
	s_and_saveexec_b32 s0, s16
	s_cbranch_execz .LBB663_83
.LBB663_116:
	s_waitcnt vmcnt(0)
	v_fma_f32 v3, -v2, v46, v36
	s_delay_alu instid0(VALU_DEP_1) | instskip(SKIP_1) | instid1(VALU_DEP_2)
	v_bfe_u32 v4, v3, 16, 1
	v_cmp_o_f32_e32 vcc_lo, v3, v3
	v_add3_u32 v4, v3, v4, 0x7fff
	s_delay_alu instid0(VALU_DEP_1) | instskip(NEXT) | instid1(VALU_DEP_1)
	v_lshrrev_b32_e32 v4, 16, v4
	v_cndmask_b32_e32 v3, 0x7fc0, v4, vcc_lo
	global_store_b16 v[0:1], v3, off offset:1088
	s_or_b32 exec_lo, exec_lo, s0
	s_and_saveexec_b32 s0, s18
	s_cbranch_execz .LBB663_84
.LBB663_117:
	s_waitcnt vmcnt(0)
	v_fma_f32 v3, -v2, v48, v47
	s_delay_alu instid0(VALU_DEP_1) | instskip(SKIP_1) | instid1(VALU_DEP_2)
	v_bfe_u32 v4, v3, 16, 1
	v_cmp_o_f32_e32 vcc_lo, v3, v3
	v_add3_u32 v4, v3, v4, 0x7fff
	s_delay_alu instid0(VALU_DEP_1) | instskip(NEXT) | instid1(VALU_DEP_1)
	v_lshrrev_b32_e32 v4, 16, v4
	v_cndmask_b32_e32 v3, 0x7fc0, v4, vcc_lo
	global_store_b16 v[0:1], v3, off offset:1152
	s_or_b32 exec_lo, exec_lo, s0
	s_and_saveexec_b32 s0, s19
	s_cbranch_execz .LBB663_85
.LBB663_118:
	s_waitcnt vmcnt(0)
	v_fma_f32 v3, -v2, v50, v41
	s_delay_alu instid0(VALU_DEP_1) | instskip(SKIP_1) | instid1(VALU_DEP_2)
	v_bfe_u32 v4, v3, 16, 1
	v_cmp_o_f32_e32 vcc_lo, v3, v3
	v_add3_u32 v4, v3, v4, 0x7fff
	s_delay_alu instid0(VALU_DEP_1) | instskip(NEXT) | instid1(VALU_DEP_1)
	v_lshrrev_b32_e32 v4, 16, v4
	v_cndmask_b32_e32 v3, 0x7fc0, v4, vcc_lo
	global_store_b16 v[0:1], v3, off offset:1216
	s_or_b32 exec_lo, exec_lo, s0
	s_and_saveexec_b32 s0, s20
	s_cbranch_execz .LBB663_86
.LBB663_119:
	s_waitcnt vmcnt(0)
	v_fma_f32 v3, -v2, v52, v51
	s_delay_alu instid0(VALU_DEP_1) | instskip(SKIP_1) | instid1(VALU_DEP_2)
	v_bfe_u32 v4, v3, 16, 1
	v_cmp_o_f32_e32 vcc_lo, v3, v3
	v_add3_u32 v4, v3, v4, 0x7fff
	s_delay_alu instid0(VALU_DEP_1) | instskip(NEXT) | instid1(VALU_DEP_1)
	v_lshrrev_b32_e32 v4, 16, v4
	v_cndmask_b32_e32 v3, 0x7fc0, v4, vcc_lo
	global_store_b16 v[0:1], v3, off offset:1280
	s_or_b32 exec_lo, exec_lo, s0
	s_and_saveexec_b32 s0, s21
	s_cbranch_execz .LBB663_87
.LBB663_120:
	s_waitcnt vmcnt(0)
	v_fma_f32 v3, -v2, v54, v45
	s_delay_alu instid0(VALU_DEP_1) | instskip(SKIP_1) | instid1(VALU_DEP_2)
	v_bfe_u32 v4, v3, 16, 1
	v_cmp_o_f32_e32 vcc_lo, v3, v3
	v_add3_u32 v4, v3, v4, 0x7fff
	s_delay_alu instid0(VALU_DEP_1) | instskip(NEXT) | instid1(VALU_DEP_1)
	v_lshrrev_b32_e32 v4, 16, v4
	v_cndmask_b32_e32 v3, 0x7fc0, v4, vcc_lo
	global_store_b16 v[0:1], v3, off offset:1344
	s_or_b32 exec_lo, exec_lo, s0
	s_and_saveexec_b32 s0, s22
	s_cbranch_execz .LBB663_88
.LBB663_121:
	s_waitcnt vmcnt(0)
	v_fma_f32 v3, -v2, v56, v55
	s_delay_alu instid0(VALU_DEP_1) | instskip(SKIP_1) | instid1(VALU_DEP_2)
	v_bfe_u32 v4, v3, 16, 1
	v_cmp_o_f32_e32 vcc_lo, v3, v3
	v_add3_u32 v4, v3, v4, 0x7fff
	s_delay_alu instid0(VALU_DEP_1) | instskip(NEXT) | instid1(VALU_DEP_1)
	v_lshrrev_b32_e32 v4, 16, v4
	v_cndmask_b32_e32 v3, 0x7fc0, v4, vcc_lo
	global_store_b16 v[0:1], v3, off offset:1408
	s_or_b32 exec_lo, exec_lo, s0
	s_and_saveexec_b32 s0, s23
	s_cbranch_execz .LBB663_89
.LBB663_122:
	s_waitcnt vmcnt(0)
	v_fma_f32 v3, -v2, v58, v49
	s_delay_alu instid0(VALU_DEP_1) | instskip(SKIP_1) | instid1(VALU_DEP_2)
	v_bfe_u32 v4, v3, 16, 1
	v_cmp_o_f32_e32 vcc_lo, v3, v3
	v_add3_u32 v4, v3, v4, 0x7fff
	s_delay_alu instid0(VALU_DEP_1) | instskip(NEXT) | instid1(VALU_DEP_1)
	v_lshrrev_b32_e32 v4, 16, v4
	v_cndmask_b32_e32 v3, 0x7fc0, v4, vcc_lo
	global_store_b16 v[0:1], v3, off offset:1472
	s_or_b32 exec_lo, exec_lo, s0
	s_and_saveexec_b32 s0, s24
	s_cbranch_execz .LBB663_90
.LBB663_123:
	s_waitcnt vmcnt(0)
	v_fma_f32 v3, -v2, v60, v59
	s_delay_alu instid0(VALU_DEP_1) | instskip(SKIP_1) | instid1(VALU_DEP_2)
	v_bfe_u32 v4, v3, 16, 1
	v_cmp_o_f32_e32 vcc_lo, v3, v3
	v_add3_u32 v4, v3, v4, 0x7fff
	s_delay_alu instid0(VALU_DEP_1) | instskip(NEXT) | instid1(VALU_DEP_1)
	v_lshrrev_b32_e32 v4, 16, v4
	v_cndmask_b32_e32 v3, 0x7fc0, v4, vcc_lo
	global_store_b16 v[0:1], v3, off offset:1536
	s_or_b32 exec_lo, exec_lo, s0
	s_and_saveexec_b32 s0, s25
	s_cbranch_execz .LBB663_91
.LBB663_124:
	s_waitcnt vmcnt(0)
	v_fma_f32 v3, -v2, v62, v53
	s_delay_alu instid0(VALU_DEP_1) | instskip(SKIP_1) | instid1(VALU_DEP_2)
	v_bfe_u32 v4, v3, 16, 1
	v_cmp_o_f32_e32 vcc_lo, v3, v3
	v_add3_u32 v4, v3, v4, 0x7fff
	s_delay_alu instid0(VALU_DEP_1) | instskip(NEXT) | instid1(VALU_DEP_1)
	v_lshrrev_b32_e32 v4, 16, v4
	v_cndmask_b32_e32 v3, 0x7fc0, v4, vcc_lo
	global_store_b16 v[0:1], v3, off offset:1600
	s_or_b32 exec_lo, exec_lo, s0
	s_and_saveexec_b32 s0, s26
	s_cbranch_execz .LBB663_92
.LBB663_125:
	s_waitcnt vmcnt(0)
	v_fma_f32 v3, -v2, v64, v63
	s_delay_alu instid0(VALU_DEP_1) | instskip(SKIP_1) | instid1(VALU_DEP_2)
	v_bfe_u32 v4, v3, 16, 1
	v_cmp_o_f32_e32 vcc_lo, v3, v3
	v_add3_u32 v4, v3, v4, 0x7fff
	s_delay_alu instid0(VALU_DEP_1) | instskip(NEXT) | instid1(VALU_DEP_1)
	v_lshrrev_b32_e32 v4, 16, v4
	v_cndmask_b32_e32 v3, 0x7fc0, v4, vcc_lo
	global_store_b16 v[0:1], v3, off offset:1664
	s_or_b32 exec_lo, exec_lo, s0
	s_and_saveexec_b32 s0, s27
	s_cbranch_execz .LBB663_93
.LBB663_126:
	s_waitcnt vmcnt(0)
	v_fma_f32 v3, -v2, v65, v57
	s_delay_alu instid0(VALU_DEP_1) | instskip(SKIP_1) | instid1(VALU_DEP_2)
	v_bfe_u32 v4, v3, 16, 1
	v_cmp_o_f32_e32 vcc_lo, v3, v3
	v_add3_u32 v4, v3, v4, 0x7fff
	s_delay_alu instid0(VALU_DEP_1) | instskip(NEXT) | instid1(VALU_DEP_1)
	v_lshrrev_b32_e32 v4, 16, v4
	v_cndmask_b32_e32 v3, 0x7fc0, v4, vcc_lo
	global_store_b16 v[0:1], v3, off offset:1728
	s_or_b32 exec_lo, exec_lo, s0
	s_and_saveexec_b32 s0, s28
	s_cbranch_execz .LBB663_94
.LBB663_127:
	s_waitcnt vmcnt(0)
	v_fma_f32 v3, -v2, v67, v66
	s_delay_alu instid0(VALU_DEP_1) | instskip(SKIP_1) | instid1(VALU_DEP_2)
	v_bfe_u32 v4, v3, 16, 1
	v_cmp_o_f32_e32 vcc_lo, v3, v3
	v_add3_u32 v4, v3, v4, 0x7fff
	s_delay_alu instid0(VALU_DEP_1) | instskip(NEXT) | instid1(VALU_DEP_1)
	v_lshrrev_b32_e32 v4, 16, v4
	v_cndmask_b32_e32 v3, 0x7fc0, v4, vcc_lo
	global_store_b16 v[0:1], v3, off offset:1792
	s_or_b32 exec_lo, exec_lo, s0
	s_and_saveexec_b32 s0, s29
	s_cbranch_execz .LBB663_95
.LBB663_128:
	s_waitcnt vmcnt(0)
	v_fma_f32 v3, -v2, v68, v61
	s_delay_alu instid0(VALU_DEP_1) | instskip(SKIP_1) | instid1(VALU_DEP_2)
	v_bfe_u32 v4, v3, 16, 1
	v_cmp_o_f32_e32 vcc_lo, v3, v3
	v_add3_u32 v4, v3, v4, 0x7fff
	s_delay_alu instid0(VALU_DEP_1) | instskip(NEXT) | instid1(VALU_DEP_1)
	v_lshrrev_b32_e32 v4, 16, v4
	v_cndmask_b32_e32 v3, 0x7fc0, v4, vcc_lo
	global_store_b16 v[0:1], v3, off offset:1856
	s_or_b32 exec_lo, exec_lo, s0
	s_and_saveexec_b32 s0, s30
	s_cbranch_execz .LBB663_96
.LBB663_129:
	s_waitcnt vmcnt(0)
	v_fma_f32 v3, -v2, v70, v69
	s_delay_alu instid0(VALU_DEP_1) | instskip(SKIP_1) | instid1(VALU_DEP_2)
	v_bfe_u32 v4, v3, 16, 1
	v_cmp_o_f32_e32 vcc_lo, v3, v3
	v_add3_u32 v4, v3, v4, 0x7fff
	s_delay_alu instid0(VALU_DEP_1) | instskip(NEXT) | instid1(VALU_DEP_1)
	v_lshrrev_b32_e32 v4, 16, v4
	v_cndmask_b32_e32 v3, 0x7fc0, v4, vcc_lo
	global_store_b16 v[0:1], v3, off offset:1920
	s_or_b32 exec_lo, exec_lo, s0
	s_delay_alu instid0(SALU_CYCLE_1)
	s_and_b32 exec_lo, exec_lo, s31
	s_cbranch_execnz .LBB663_97
	s_branch .LBB663_98
	.section	.rodata,"a",@progbits
	.p2align	6, 0x0
	.amdhsa_kernel _ZN12_GLOBAL__N_121softmax_warp_backwardIfN3c108BFloat16EfLi10ELb0ELb0ELi32EEEvPT0_PKT_S7_iiiPKb
		.amdhsa_group_segment_fixed_size 0
		.amdhsa_private_segment_fixed_size 0
		.amdhsa_kernarg_size 304
		.amdhsa_user_sgpr_count 15
		.amdhsa_user_sgpr_dispatch_ptr 0
		.amdhsa_user_sgpr_queue_ptr 0
		.amdhsa_user_sgpr_kernarg_segment_ptr 1
		.amdhsa_user_sgpr_dispatch_id 0
		.amdhsa_user_sgpr_private_segment_size 0
		.amdhsa_wavefront_size32 1
		.amdhsa_uses_dynamic_stack 0
		.amdhsa_enable_private_segment 0
		.amdhsa_system_sgpr_workgroup_id_x 1
		.amdhsa_system_sgpr_workgroup_id_y 0
		.amdhsa_system_sgpr_workgroup_id_z 0
		.amdhsa_system_sgpr_workgroup_info 0
		.amdhsa_system_vgpr_workitem_id 1
		.amdhsa_next_free_vgpr 71
		.amdhsa_next_free_sgpr 44
		.amdhsa_reserve_vcc 1
		.amdhsa_float_round_mode_32 0
		.amdhsa_float_round_mode_16_64 0
		.amdhsa_float_denorm_mode_32 3
		.amdhsa_float_denorm_mode_16_64 3
		.amdhsa_dx10_clamp 1
		.amdhsa_ieee_mode 1
		.amdhsa_fp16_overflow 0
		.amdhsa_workgroup_processor_mode 1
		.amdhsa_memory_ordered 1
		.amdhsa_forward_progress 0
		.amdhsa_shared_vgpr_count 0
		.amdhsa_exception_fp_ieee_invalid_op 0
		.amdhsa_exception_fp_denorm_src 0
		.amdhsa_exception_fp_ieee_div_zero 0
		.amdhsa_exception_fp_ieee_overflow 0
		.amdhsa_exception_fp_ieee_underflow 0
		.amdhsa_exception_fp_ieee_inexact 0
		.amdhsa_exception_int_div_zero 0
	.end_amdhsa_kernel
	.section	.text._ZN12_GLOBAL__N_121softmax_warp_backwardIfN3c108BFloat16EfLi10ELb0ELb0ELi32EEEvPT0_PKT_S7_iiiPKb,"axG",@progbits,_ZN12_GLOBAL__N_121softmax_warp_backwardIfN3c108BFloat16EfLi10ELb0ELb0ELi32EEEvPT0_PKT_S7_iiiPKb,comdat
.Lfunc_end663:
	.size	_ZN12_GLOBAL__N_121softmax_warp_backwardIfN3c108BFloat16EfLi10ELb0ELb0ELi32EEEvPT0_PKT_S7_iiiPKb, .Lfunc_end663-_ZN12_GLOBAL__N_121softmax_warp_backwardIfN3c108BFloat16EfLi10ELb0ELb0ELi32EEEvPT0_PKT_S7_iiiPKb
                                        ; -- End function
	.section	.AMDGPU.csdata,"",@progbits
; Kernel info:
; codeLenInByte = 5480
; NumSgprs: 46
; NumVgprs: 71
; ScratchSize: 0
; MemoryBound: 0
; FloatMode: 240
; IeeeMode: 1
; LDSByteSize: 0 bytes/workgroup (compile time only)
; SGPRBlocks: 5
; VGPRBlocks: 8
; NumSGPRsForWavesPerEU: 46
; NumVGPRsForWavesPerEU: 71
; Occupancy: 16
; WaveLimiterHint : 0
; COMPUTE_PGM_RSRC2:SCRATCH_EN: 0
; COMPUTE_PGM_RSRC2:USER_SGPR: 15
; COMPUTE_PGM_RSRC2:TRAP_HANDLER: 0
; COMPUTE_PGM_RSRC2:TGID_X_EN: 1
; COMPUTE_PGM_RSRC2:TGID_Y_EN: 0
; COMPUTE_PGM_RSRC2:TGID_Z_EN: 0
; COMPUTE_PGM_RSRC2:TIDIG_COMP_CNT: 1
	.section	.text._ZN2at6native12_GLOBAL__N_124cunn_SoftMaxBackwardSmemILi4EN3c108BFloat16EffNS1_23SoftMaxBackwardEpilogueEEEvPT0_PKT2_SA_l,"axG",@progbits,_ZN2at6native12_GLOBAL__N_124cunn_SoftMaxBackwardSmemILi4EN3c108BFloat16EffNS1_23SoftMaxBackwardEpilogueEEEvPT0_PKT2_SA_l,comdat
	.globl	_ZN2at6native12_GLOBAL__N_124cunn_SoftMaxBackwardSmemILi4EN3c108BFloat16EffNS1_23SoftMaxBackwardEpilogueEEEvPT0_PKT2_SA_l ; -- Begin function _ZN2at6native12_GLOBAL__N_124cunn_SoftMaxBackwardSmemILi4EN3c108BFloat16EffNS1_23SoftMaxBackwardEpilogueEEEvPT0_PKT2_SA_l
	.p2align	8
	.type	_ZN2at6native12_GLOBAL__N_124cunn_SoftMaxBackwardSmemILi4EN3c108BFloat16EffNS1_23SoftMaxBackwardEpilogueEEEvPT0_PKT2_SA_l,@function
_ZN2at6native12_GLOBAL__N_124cunn_SoftMaxBackwardSmemILi4EN3c108BFloat16EffNS1_23SoftMaxBackwardEpilogueEEEvPT0_PKT2_SA_l: ; @_ZN2at6native12_GLOBAL__N_124cunn_SoftMaxBackwardSmemILi4EN3c108BFloat16EffNS1_23SoftMaxBackwardEpilogueEEEvPT0_PKT2_SA_l
; %bb.0:
	s_load_b256 s[4:11], s[0:1], 0x0
	v_dual_mov_b32 v2, 0 :: v_dual_lshlrev_b32 v1, 2, v0
	v_lshl_add_u32 v5, v0, 4, 0
	s_waitcnt lgkmcnt(0)
	s_delay_alu instid0(VALU_DEP_2)
	v_cmp_gt_i64_e32 vcc_lo, s[10:11], v[1:2]
	s_mul_i32 s2, s15, s11
	s_mul_hi_u32 s3, s15, s10
	s_mul_i32 s12, s15, s10
	s_add_i32 s13, s3, s2
	s_and_saveexec_b32 s3, vcc_lo
	s_cbranch_execz .LBB664_4
; %bb.1:
	s_load_b32 s2, s[0:1], 0x2c
	s_lshl_b64 s[14:15], s[12:13], 2
	v_lshl_add_u32 v6, v0, 4, 0
	s_add_u32 s8, s8, s14
	s_addc_u32 s9, s9, s15
	v_dual_mov_b32 v2, 0 :: v_dual_mov_b32 v3, v0
	s_mov_b32 s15, 0
	s_waitcnt lgkmcnt(0)
	s_and_b32 s14, s2, 0xffff
	s_delay_alu instid0(SALU_CYCLE_1)
	v_add_lshl_u32 v1, v0, s14, 2
	s_lshl_b32 s16, s14, 2
	s_lshl_b32 s17, s14, 4
	.p2align	6
.LBB664_2:                              ; =>This Inner Loop Header: Depth=1
	v_ashrrev_i32_e32 v4, 31, v3
	s_delay_alu instid0(VALU_DEP_1) | instskip(SKIP_1) | instid1(VALU_DEP_2)
	v_lshlrev_b64 v[7:8], 4, v[3:4]
	v_add_nc_u32_e32 v3, s14, v3
	v_add_co_u32 v7, s2, s8, v7
	s_delay_alu instid0(VALU_DEP_1)
	v_add_co_ci_u32_e64 v8, s2, s9, v8, s2
	global_load_b128 v[7:10], v[7:8], off
	s_waitcnt vmcnt(0)
	v_add_f32_e32 v2, v2, v7
	ds_store_b128 v6, v[7:10]
	v_add_nc_u32_e32 v6, s17, v6
	v_add_f32_e32 v4, v2, v8
	v_ashrrev_i32_e32 v2, 31, v1
	s_delay_alu instid0(VALU_DEP_2) | instskip(NEXT) | instid1(VALU_DEP_2)
	v_add_f32_e32 v4, v4, v9
	v_cmp_le_i64_e64 s2, s[10:11], v[1:2]
	s_delay_alu instid0(VALU_DEP_2) | instskip(NEXT) | instid1(VALU_DEP_2)
	v_dual_add_f32 v2, v4, v10 :: v_dual_add_nc_u32 v1, s16, v1
	s_or_b32 s15, s2, s15
	s_delay_alu instid0(SALU_CYCLE_1)
	s_and_not1_b32 exec_lo, exec_lo, s15
	s_cbranch_execnz .LBB664_2
; %bb.3:
	s_or_b32 exec_lo, exec_lo, s15
.LBB664_4:
	s_delay_alu instid0(SALU_CYCLE_1)
	s_or_b32 exec_lo, exec_lo, s3
	v_mbcnt_lo_u32_b32 v6, -1, 0
	s_lshl_b32 s3, s10, 2
	s_mov_b32 s8, exec_lo
	s_add_i32 s3, s3, 0
	s_waitcnt lgkmcnt(0)
	v_cmp_gt_u32_e64 s2, 16, v6
	s_barrier
	buffer_gl0_inv
	v_cndmask_b32_e64 v1, 0, 1, s2
	v_cmp_gt_u32_e64 s2, 24, v6
	s_delay_alu instid0(VALU_DEP_2) | instskip(NEXT) | instid1(VALU_DEP_2)
	v_lshlrev_b32_e32 v1, 4, v1
	v_cndmask_b32_e64 v3, 0, 1, s2
	v_cmp_gt_u32_e64 s2, 28, v6
	s_delay_alu instid0(VALU_DEP_3) | instskip(NEXT) | instid1(VALU_DEP_3)
	v_add_lshl_u32 v1, v1, v6, 2
	v_lshlrev_b32_e32 v3, 3, v3
	ds_bpermute_b32 v4, v1, v2
	v_add_lshl_u32 v3, v3, v6, 2
	s_waitcnt lgkmcnt(0)
	v_add_f32_e32 v4, v2, v4
	v_cndmask_b32_e64 v2, 0, 1, s2
	v_cmp_gt_u32_e64 s2, 30, v6
	ds_bpermute_b32 v7, v3, v4
	s_waitcnt lgkmcnt(0)
	v_dual_add_f32 v7, v4, v7 :: v_dual_lshlrev_b32 v2, 2, v2
	s_delay_alu instid0(VALU_DEP_1) | instskip(SKIP_4) | instid1(VALU_DEP_1)
	v_add_lshl_u32 v2, v2, v6, 2
	v_cndmask_b32_e64 v4, 0, 1, s2
	v_cmp_ne_u32_e64 s2, 31, v6
	ds_bpermute_b32 v8, v2, v7
	v_lshlrev_b32_e32 v4, 1, v4
	v_add_lshl_u32 v4, v4, v6, 2
	v_add_co_ci_u32_e64 v6, s2, 0, v6, s2
	s_waitcnt lgkmcnt(0)
	s_delay_alu instid0(VALU_DEP_1)
	v_dual_add_f32 v7, v7, v8 :: v_dual_lshlrev_b32 v6, 2, v6
	ds_bpermute_b32 v8, v4, v7
	s_waitcnt lgkmcnt(0)
	v_add_f32_e32 v8, v7, v8
	v_and_b32_e32 v7, 31, v0
	ds_bpermute_b32 v9, v6, v8
	v_cmpx_eq_u32_e32 0, v7
	s_cbranch_execz .LBB664_6
; %bb.5:
	v_lshrrev_b32_e32 v10, 3, v0
	s_waitcnt lgkmcnt(0)
	v_add_f32_e32 v8, v8, v9
	s_delay_alu instid0(VALU_DEP_2)
	v_add_nc_u32_e32 v10, s3, v10
	ds_store_b32 v10, v8
.LBB664_6:
	s_or_b32 exec_lo, exec_lo, s8
	s_waitcnt lgkmcnt(0)
	s_barrier
	buffer_gl0_inv
	s_load_b32 s1, s[0:1], 0x2c
	v_mov_b32_e32 v8, 0
	s_mov_b32 s2, exec_lo
	s_waitcnt lgkmcnt(0)
	s_bfe_u32 s0, s1, 0xb0005
	s_delay_alu instid0(SALU_CYCLE_1)
	v_cmpx_gt_u32_e64 s0, v0
	s_cbranch_execz .LBB664_8
; %bb.7:
	v_lshl_add_u32 v7, v7, 2, s3
	ds_load_b32 v8, v7
.LBB664_8:
	s_or_b32 exec_lo, exec_lo, s2
	s_delay_alu instid0(SALU_CYCLE_1)
	s_mov_b32 s2, exec_lo
	v_cmpx_gt_u32_e32 32, v0
	s_cbranch_execz .LBB664_10
; %bb.9:
	s_waitcnt lgkmcnt(0)
	ds_bpermute_b32 v1, v1, v8
	s_waitcnt lgkmcnt(0)
	v_add_f32_e32 v1, v8, v1
	ds_bpermute_b32 v3, v3, v1
	s_waitcnt lgkmcnt(0)
	v_add_f32_e32 v1, v1, v3
	;; [unrolled: 3-line block ×5, first 2 shown]
.LBB664_10:
	s_or_b32 exec_lo, exec_lo, s2
	s_delay_alu instid0(SALU_CYCLE_1)
	s_mov_b32 s2, exec_lo
	v_cmpx_eq_u32_e32 0, v0
	s_cbranch_execz .LBB664_12
; %bb.11:
	v_mov_b32_e32 v1, s3
	s_waitcnt lgkmcnt(0)
	ds_store_b32 v1, v8
.LBB664_12:
	s_or_b32 exec_lo, exec_lo, s2
	s_waitcnt lgkmcnt(0)
	s_barrier
	buffer_gl0_inv
	s_and_saveexec_b32 s0, vcc_lo
	s_cbranch_execz .LBB664_15
; %bb.13:
	v_mov_b32_e32 v1, s3
	s_lshl_b64 s[8:9], s[12:13], 1
	s_and_b32 s3, s1, 0xffff
	s_add_u32 s4, s4, s8
	s_addc_u32 s5, s5, s9
	ds_load_b32 v4, v1
	s_lshl_b64 s[0:1], s[12:13], 2
	v_add_lshl_u32 v2, v0, s3, 2
	s_add_u32 s6, s6, s0
	s_addc_u32 s7, s7, s1
	s_lshl_b32 s8, s3, 2
	s_mov_b32 s9, 0
	s_lshl_b32 s12, s3, 4
.LBB664_14:                             ; =>This Inner Loop Header: Depth=1
	v_ashrrev_i32_e32 v1, 31, v0
	ds_load_b128 v[10:13], v5
	v_ashrrev_i32_e32 v3, 31, v2
	v_add_nc_u32_e32 v5, s12, v5
	v_lshlrev_b64 v[6:7], 4, v[0:1]
	v_lshlrev_b64 v[14:15], 3, v[0:1]
	v_add_nc_u32_e32 v0, s3, v0
	s_delay_alu instid0(VALU_DEP_3) | instskip(NEXT) | instid1(VALU_DEP_4)
	v_add_co_u32 v6, vcc_lo, s6, v6
	v_add_co_ci_u32_e32 v7, vcc_lo, s7, v7, vcc_lo
	v_cmp_le_i64_e32 vcc_lo, s[10:11], v[2:3]
	v_add_nc_u32_e32 v2, s8, v2
	global_load_b128 v[6:9], v[6:7], off
	s_or_b32 s9, vcc_lo, s9
	s_waitcnt vmcnt(0) lgkmcnt(0)
	v_fma_f32 v1, -v4, v6, v10
	v_fma_f32 v3, -v4, v7, v11
	v_fma_f32 v6, -v4, v9, v13
	v_fma_f32 v7, -v4, v8, v12
	s_delay_alu instid0(VALU_DEP_4) | instskip(NEXT) | instid1(VALU_DEP_4)
	v_bfe_u32 v8, v1, 16, 1
	v_bfe_u32 v9, v3, 16, 1
	s_delay_alu instid0(VALU_DEP_4) | instskip(NEXT) | instid1(VALU_DEP_4)
	v_bfe_u32 v10, v6, 16, 1
	v_bfe_u32 v11, v7, 16, 1
	v_cmp_o_f32_e64 s0, v7, v7
	v_add3_u32 v8, v1, v8, 0x7fff
	v_add3_u32 v9, v3, v9, 0x7fff
	;; [unrolled: 1-line block ×4, first 2 shown]
	v_cmp_o_f32_e64 s2, v6, v6
	v_lshrrev_b32_e32 v8, 16, v8
	v_and_b32_e32 v9, 0xffff0000, v9
	v_and_b32_e32 v10, 0xffff0000, v10
	v_lshrrev_b32_e32 v11, 16, v11
	v_cmp_o_f32_e64 s1, v1, v1
	s_delay_alu instid0(VALU_DEP_3) | instskip(NEXT) | instid1(VALU_DEP_3)
	v_cndmask_b32_e64 v1, 0x7fc00000, v10, s2
	v_cndmask_b32_e64 v6, 0x7fc0, v11, s0
	v_cmp_o_f32_e64 s0, v3, v3
	s_delay_alu instid0(VALU_DEP_4) | instskip(NEXT) | instid1(VALU_DEP_3)
	v_cndmask_b32_e64 v8, 0x7fc0, v8, s1
	v_or_b32_e32 v1, v1, v6
	s_delay_alu instid0(VALU_DEP_3) | instskip(SKIP_1) | instid1(VALU_DEP_1)
	v_cndmask_b32_e64 v3, 0x7fc00000, v9, s0
	v_add_co_u32 v6, s0, s4, v14
	v_add_co_ci_u32_e64 v7, s0, s5, v15, s0
	s_delay_alu instid0(VALU_DEP_3)
	v_or3_b32 v8, 0, v3, v8
	v_or3_b32 v9, v1, 0, 0
	global_store_b64 v[6:7], v[8:9], off
	s_and_not1_b32 exec_lo, exec_lo, s9
	s_cbranch_execnz .LBB664_14
.LBB664_15:
	s_nop 0
	s_sendmsg sendmsg(MSG_DEALLOC_VGPRS)
	s_endpgm
	.section	.rodata,"a",@progbits
	.p2align	6, 0x0
	.amdhsa_kernel _ZN2at6native12_GLOBAL__N_124cunn_SoftMaxBackwardSmemILi4EN3c108BFloat16EffNS1_23SoftMaxBackwardEpilogueEEEvPT0_PKT2_SA_l
		.amdhsa_group_segment_fixed_size 0
		.amdhsa_private_segment_fixed_size 0
		.amdhsa_kernarg_size 288
		.amdhsa_user_sgpr_count 15
		.amdhsa_user_sgpr_dispatch_ptr 0
		.amdhsa_user_sgpr_queue_ptr 0
		.amdhsa_user_sgpr_kernarg_segment_ptr 1
		.amdhsa_user_sgpr_dispatch_id 0
		.amdhsa_user_sgpr_private_segment_size 0
		.amdhsa_wavefront_size32 1
		.amdhsa_uses_dynamic_stack 0
		.amdhsa_enable_private_segment 0
		.amdhsa_system_sgpr_workgroup_id_x 1
		.amdhsa_system_sgpr_workgroup_id_y 0
		.amdhsa_system_sgpr_workgroup_id_z 0
		.amdhsa_system_sgpr_workgroup_info 0
		.amdhsa_system_vgpr_workitem_id 0
		.amdhsa_next_free_vgpr 16
		.amdhsa_next_free_sgpr 18
		.amdhsa_reserve_vcc 1
		.amdhsa_float_round_mode_32 0
		.amdhsa_float_round_mode_16_64 0
		.amdhsa_float_denorm_mode_32 3
		.amdhsa_float_denorm_mode_16_64 3
		.amdhsa_dx10_clamp 1
		.amdhsa_ieee_mode 1
		.amdhsa_fp16_overflow 0
		.amdhsa_workgroup_processor_mode 1
		.amdhsa_memory_ordered 1
		.amdhsa_forward_progress 0
		.amdhsa_shared_vgpr_count 0
		.amdhsa_exception_fp_ieee_invalid_op 0
		.amdhsa_exception_fp_denorm_src 0
		.amdhsa_exception_fp_ieee_div_zero 0
		.amdhsa_exception_fp_ieee_overflow 0
		.amdhsa_exception_fp_ieee_underflow 0
		.amdhsa_exception_fp_ieee_inexact 0
		.amdhsa_exception_int_div_zero 0
	.end_amdhsa_kernel
	.section	.text._ZN2at6native12_GLOBAL__N_124cunn_SoftMaxBackwardSmemILi4EN3c108BFloat16EffNS1_23SoftMaxBackwardEpilogueEEEvPT0_PKT2_SA_l,"axG",@progbits,_ZN2at6native12_GLOBAL__N_124cunn_SoftMaxBackwardSmemILi4EN3c108BFloat16EffNS1_23SoftMaxBackwardEpilogueEEEvPT0_PKT2_SA_l,comdat
.Lfunc_end664:
	.size	_ZN2at6native12_GLOBAL__N_124cunn_SoftMaxBackwardSmemILi4EN3c108BFloat16EffNS1_23SoftMaxBackwardEpilogueEEEvPT0_PKT2_SA_l, .Lfunc_end664-_ZN2at6native12_GLOBAL__N_124cunn_SoftMaxBackwardSmemILi4EN3c108BFloat16EffNS1_23SoftMaxBackwardEpilogueEEEvPT0_PKT2_SA_l
                                        ; -- End function
	.section	.AMDGPU.csdata,"",@progbits
; Kernel info:
; codeLenInByte = 1256
; NumSgprs: 20
; NumVgprs: 16
; ScratchSize: 0
; MemoryBound: 0
; FloatMode: 240
; IeeeMode: 1
; LDSByteSize: 0 bytes/workgroup (compile time only)
; SGPRBlocks: 2
; VGPRBlocks: 1
; NumSGPRsForWavesPerEU: 20
; NumVGPRsForWavesPerEU: 16
; Occupancy: 16
; WaveLimiterHint : 0
; COMPUTE_PGM_RSRC2:SCRATCH_EN: 0
; COMPUTE_PGM_RSRC2:USER_SGPR: 15
; COMPUTE_PGM_RSRC2:TRAP_HANDLER: 0
; COMPUTE_PGM_RSRC2:TGID_X_EN: 1
; COMPUTE_PGM_RSRC2:TGID_Y_EN: 0
; COMPUTE_PGM_RSRC2:TGID_Z_EN: 0
; COMPUTE_PGM_RSRC2:TIDIG_COMP_CNT: 0
	.section	.text._ZN2at6native12_GLOBAL__N_120cunn_SoftMaxBackwardILi4EN3c108BFloat16EffNS1_23SoftMaxBackwardEpilogueEEEvPT0_PKT2_SA_l,"axG",@progbits,_ZN2at6native12_GLOBAL__N_120cunn_SoftMaxBackwardILi4EN3c108BFloat16EffNS1_23SoftMaxBackwardEpilogueEEEvPT0_PKT2_SA_l,comdat
	.globl	_ZN2at6native12_GLOBAL__N_120cunn_SoftMaxBackwardILi4EN3c108BFloat16EffNS1_23SoftMaxBackwardEpilogueEEEvPT0_PKT2_SA_l ; -- Begin function _ZN2at6native12_GLOBAL__N_120cunn_SoftMaxBackwardILi4EN3c108BFloat16EffNS1_23SoftMaxBackwardEpilogueEEEvPT0_PKT2_SA_l
	.p2align	8
	.type	_ZN2at6native12_GLOBAL__N_120cunn_SoftMaxBackwardILi4EN3c108BFloat16EffNS1_23SoftMaxBackwardEpilogueEEEvPT0_PKT2_SA_l,@function
_ZN2at6native12_GLOBAL__N_120cunn_SoftMaxBackwardILi4EN3c108BFloat16EffNS1_23SoftMaxBackwardEpilogueEEEvPT0_PKT2_SA_l: ; @_ZN2at6native12_GLOBAL__N_120cunn_SoftMaxBackwardILi4EN3c108BFloat16EffNS1_23SoftMaxBackwardEpilogueEEEvPT0_PKT2_SA_l
; %bb.0:
	s_load_b256 s[4:11], s[0:1], 0x0
	s_mov_b32 s29, 0
	s_waitcnt lgkmcnt(0)
	s_mul_i32 s2, s15, s11
	s_mul_hi_u32 s3, s15, s10
	s_mul_i32 s18, s15, s10
	s_add_i32 s19, s3, s2
	v_cmp_lt_i64_e64 s14, 0x7ffffffe, s[10:11]
	s_lshl_b64 s[26:27], s[18:19], 2
	s_delay_alu instid0(SALU_CYCLE_1) | instskip(SKIP_2) | instid1(SALU_CYCLE_1)
	s_add_u32 s12, s8, s26
	s_addc_u32 s13, s9, s27
	s_bfe_u32 s28, s12, 0x20002
	s_cmp_lg_u32 s28, 0
	s_cselect_b32 s24, -1, 0
	s_and_b32 vcc_lo, exec_lo, s14
	s_cbranch_vccz .LBB665_16
; %bb.1:
	v_mov_b32_e32 v1, 0
	s_and_b32 vcc_lo, exec_lo, s24
	s_cbranch_vccz .LBB665_39
; %bb.2:
	s_lshl_b32 s2, s28, 2
	s_delay_alu instid0(VALU_DEP_1)
	v_mov_b32_e32 v8, v1
	s_sub_u32 s20, s12, s2
	s_mov_b32 s22, 0
	s_subb_u32 s21, s13, 0
	s_mov_b32 s2, exec_lo
	v_cmpx_le_u64_e64 s[28:29], v[0:1]
	s_cbranch_execz .LBB665_4
; %bb.3:
	v_lshlrev_b32_e32 v2, 2, v0
	global_load_b32 v2, v2, s[20:21]
	s_waitcnt vmcnt(0)
	v_add_f32_e32 v8, 0, v2
.LBB665_4:
	s_or_b32 exec_lo, exec_lo, s2
	s_load_b32 s16, s[0:1], 0x2c
	s_add_u32 s17, s28, s10
	s_addc_u32 s23, 0, s11
	s_add_u32 s2, s0, 32
	s_addc_u32 s3, s1, 0
	s_waitcnt lgkmcnt(0)
	s_and_b32 s25, s16, 0xffff
	s_delay_alu instid0(SALU_CYCLE_1) | instskip(SKIP_2) | instid1(SALU_CYCLE_1)
	s_sub_u32 s16, s17, s25
	s_subb_u32 s17, s23, 0
	s_lshl_b32 s23, s25, 2
	s_add_u32 s20, s20, s23
	s_addc_u32 s21, s21, 0
	s_and_b32 vcc_lo, exec_lo, s22
	s_cbranch_vccz .LBB665_6
.LBB665_5:
	v_mov_b32_e32 v8, 0
	s_add_u32 s2, s0, 32
	s_addc_u32 s3, s1, 0
	s_mov_b64 s[16:17], s[10:11]
	s_mov_b64 s[20:21], s[12:13]
.LBB665_6:
	s_load_b32 s22, s[2:3], 0x0
	v_mov_b32_e32 v2, 0
	s_mov_b32 s23, s17
	s_waitcnt lgkmcnt(0)
	s_cmp_lt_u32 s15, s22
	s_cselect_b32 s22, 12, 18
	s_delay_alu instid0(SALU_CYCLE_1)
	s_add_u32 s2, s2, s22
	s_addc_u32 s3, s3, 0
	s_mov_b32 s22, 0
	global_load_u16 v2, v2, s[2:3]
	s_waitcnt vmcnt(0)
	v_readfirstlane_b32 s2, v2
	v_and_b32_e32 v9, 0xffff, v2
	s_delay_alu instid0(VALU_DEP_2) | instskip(NEXT) | instid1(SALU_CYCLE_1)
	s_and_b32 s2, 0xffff, s2
	s_lshl_b32 s3, s2, 2
	s_cmp_lg_u64 s[22:23], 0
	s_cbranch_scc0 .LBB665_40
; %bb.7:
	v_cvt_f32_u32_e32 v2, s3
	s_sub_u32 s25, 0, s3
	s_subb_u32 s30, 0, 0
	s_delay_alu instid0(VALU_DEP_1) | instskip(NEXT) | instid1(VALU_DEP_1)
	v_fmamk_f32 v2, 0, 0x4f800000, v2
	v_rcp_f32_e32 v2, v2
	s_waitcnt_depctr 0xfff
	v_mul_f32_e32 v2, 0x5f7ffffc, v2
	s_delay_alu instid0(VALU_DEP_1) | instskip(NEXT) | instid1(VALU_DEP_1)
	v_mul_f32_e32 v3, 0x2f800000, v2
	v_trunc_f32_e32 v3, v3
	s_delay_alu instid0(VALU_DEP_1) | instskip(SKIP_1) | instid1(VALU_DEP_2)
	v_fmamk_f32 v2, v3, 0xcf800000, v2
	v_cvt_u32_f32_e32 v3, v3
	v_cvt_u32_f32_e32 v2, v2
	s_delay_alu instid0(VALU_DEP_2) | instskip(NEXT) | instid1(VALU_DEP_2)
	v_readfirstlane_b32 s2, v3
	v_readfirstlane_b32 s23, v2
	s_delay_alu instid0(VALU_DEP_2) | instskip(NEXT) | instid1(VALU_DEP_1)
	s_mul_i32 s31, s25, s2
	s_mul_hi_u32 s34, s25, s23
	s_mul_i32 s33, s30, s23
	s_add_i32 s31, s34, s31
	s_mul_i32 s35, s25, s23
	s_add_i32 s31, s31, s33
	s_mul_hi_u32 s34, s23, s35
	s_mul_hi_u32 s36, s2, s35
	s_mul_i32 s33, s2, s35
	s_mul_hi_u32 s35, s23, s31
	s_mul_i32 s23, s23, s31
	s_mul_hi_u32 s37, s2, s31
	s_add_u32 s23, s34, s23
	s_addc_u32 s34, 0, s35
	s_add_u32 s23, s23, s33
	s_mul_i32 s31, s2, s31
	s_addc_u32 s23, s34, s36
	s_addc_u32 s33, s37, 0
	s_add_u32 s23, s23, s31
	s_addc_u32 s31, 0, s33
	v_add_co_u32 v2, s23, v2, s23
	s_delay_alu instid0(VALU_DEP_1) | instskip(SKIP_1) | instid1(VALU_DEP_1)
	s_cmp_lg_u32 s23, 0
	s_addc_u32 s2, s2, s31
	v_readfirstlane_b32 s23, v2
	s_mul_i32 s31, s25, s2
	s_delay_alu instid0(VALU_DEP_1)
	s_mul_hi_u32 s33, s25, s23
	s_mul_i32 s30, s30, s23
	s_add_i32 s31, s33, s31
	s_mul_i32 s25, s25, s23
	s_add_i32 s31, s31, s30
	s_mul_hi_u32 s33, s2, s25
	s_mul_i32 s34, s2, s25
	s_mul_hi_u32 s25, s23, s25
	s_mul_hi_u32 s35, s23, s31
	s_mul_i32 s23, s23, s31
	s_mul_hi_u32 s30, s2, s31
	s_add_u32 s23, s25, s23
	s_addc_u32 s25, 0, s35
	s_add_u32 s23, s23, s34
	s_mul_i32 s31, s2, s31
	s_addc_u32 s23, s25, s33
	s_addc_u32 s25, s30, 0
	s_add_u32 s23, s23, s31
	s_addc_u32 s25, 0, s25
	v_add_co_u32 v2, s23, v2, s23
	s_delay_alu instid0(VALU_DEP_1) | instskip(SKIP_1) | instid1(VALU_DEP_1)
	s_cmp_lg_u32 s23, 0
	s_addc_u32 s2, s2, s25
	v_readfirstlane_b32 s23, v2
	s_mul_i32 s30, s16, s2
	s_mul_hi_u32 s25, s16, s2
	s_mul_hi_u32 s31, s17, s2
	s_mul_i32 s2, s17, s2
	s_mul_hi_u32 s33, s16, s23
	s_mul_hi_u32 s34, s17, s23
	s_mul_i32 s23, s17, s23
	s_add_u32 s30, s33, s30
	s_addc_u32 s25, 0, s25
	s_add_u32 s23, s30, s23
	s_addc_u32 s23, s25, s34
	s_addc_u32 s25, s31, 0
	s_add_u32 s2, s23, s2
	s_addc_u32 s23, 0, s25
	s_mul_hi_u32 s25, s3, s2
	s_mul_i32 s2, s3, s2
	s_mul_i32 s23, s3, s23
	v_sub_co_u32 v2, s2, s16, s2
	s_add_i32 s25, s25, s23
	s_cmp_lg_u32 s2, 0
	s_delay_alu instid0(VALU_DEP_1) | instskip(SKIP_2) | instid1(VALU_DEP_1)
	v_sub_co_u32 v3, s2, v2, s3
	s_subb_u32 s23, s17, s25
	s_cmp_lg_u32 s2, 0
	v_cmp_le_u32_e32 vcc_lo, s3, v3
	v_sub_co_u32 v4, s2, v3, s3
	s_subb_u32 s25, s23, 0
	s_cmp_lg_u32 s2, 0
	v_cndmask_b32_e64 v5, 0, -1, vcc_lo
	s_subb_u32 s2, s25, 0
	s_cmp_eq_u32 s25, 0
	v_mov_b32_e32 v7, s2
	s_cselect_b32 vcc_lo, -1, 0
	s_cmp_eq_u32 s23, 0
	v_cndmask_b32_e32 v5, -1, v5, vcc_lo
	v_cmp_le_u32_e32 vcc_lo, s3, v2
	s_cselect_b32 s2, -1, 0
	v_cndmask_b32_e64 v6, 0, -1, vcc_lo
	s_delay_alu instid0(VALU_DEP_3) | instskip(NEXT) | instid1(VALU_DEP_2)
	v_cmp_ne_u32_e32 vcc_lo, 0, v5
	v_cndmask_b32_e64 v5, -1, v6, s2
	v_cndmask_b32_e32 v6, s25, v7, vcc_lo
	v_cndmask_b32_e32 v4, v3, v4, vcc_lo
	s_delay_alu instid0(VALU_DEP_3) | instskip(NEXT) | instid1(VALU_DEP_2)
	v_cmp_ne_u32_e32 vcc_lo, 0, v5
	v_cndmask_b32_e32 v2, v2, v4, vcc_lo
	s_delay_alu instid0(VALU_DEP_4)
	v_cndmask_b32_e32 v3, s23, v6, vcc_lo
	s_and_not1_b32 vcc_lo, exec_lo, s22
	s_cbranch_vccnz .LBB665_9
.LBB665_8:
	v_cvt_f32_u32_e32 v2, s3
	s_sub_i32 s2, 0, s3
	s_delay_alu instid0(VALU_DEP_1) | instskip(SKIP_2) | instid1(VALU_DEP_1)
	v_rcp_iflag_f32_e32 v2, v2
	s_waitcnt_depctr 0xfff
	v_mul_f32_e32 v2, 0x4f7ffffe, v2
	v_cvt_u32_f32_e32 v2, v2
	s_delay_alu instid0(VALU_DEP_1) | instskip(NEXT) | instid1(VALU_DEP_1)
	v_mul_lo_u32 v3, s2, v2
	v_mul_hi_u32 v3, v2, v3
	s_delay_alu instid0(VALU_DEP_1) | instskip(NEXT) | instid1(VALU_DEP_1)
	v_add_nc_u32_e32 v2, v2, v3
	v_mul_hi_u32 v2, s16, v2
	s_delay_alu instid0(VALU_DEP_1) | instskip(NEXT) | instid1(VALU_DEP_1)
	v_mul_lo_u32 v2, v2, s3
	v_sub_nc_u32_e32 v2, s16, v2
	s_delay_alu instid0(VALU_DEP_1) | instskip(SKIP_1) | instid1(VALU_DEP_2)
	v_subrev_nc_u32_e32 v3, s3, v2
	v_cmp_le_u32_e32 vcc_lo, s3, v2
	v_cndmask_b32_e32 v2, v2, v3, vcc_lo
	s_delay_alu instid0(VALU_DEP_1) | instskip(SKIP_1) | instid1(VALU_DEP_2)
	v_subrev_nc_u32_e32 v3, s3, v2
	v_cmp_le_u32_e32 vcc_lo, s3, v2
	v_dual_cndmask_b32 v2, v2, v3 :: v_dual_mov_b32 v3, 0
.LBB665_9:
	v_dual_mov_b32 v7, v1 :: v_dual_lshlrev_b32 v4, 4, v0
	s_delay_alu instid0(VALU_DEP_2) | instskip(NEXT) | instid1(VALU_DEP_3)
	v_sub_co_u32 v2, vcc_lo, s16, v2
	v_sub_co_ci_u32_e32 v3, vcc_lo, s17, v3, vcc_lo
	s_delay_alu instid0(VALU_DEP_3) | instskip(NEXT) | instid1(VALU_DEP_1)
	v_add_co_u32 v4, s2, v4, s20
	v_add_co_ci_u32_e64 v5, null, 0, s21, s2
	v_lshlrev_b32_e32 v10, 4, v9
	s_delay_alu instid0(VALU_DEP_3) | instskip(NEXT) | instid1(VALU_DEP_3)
	v_add_co_u32 v4, vcc_lo, v4, 8
	v_add_co_ci_u32_e32 v5, vcc_lo, 0, v5, vcc_lo
	v_mov_b32_e32 v6, v0
	s_mov_b32 s3, 0
	.p2align	6
.LBB665_10:                             ; =>This Inner Loop Header: Depth=1
	global_load_b128 v[11:14], v[4:5], off offset:-8
	v_add_co_u32 v6, vcc_lo, v6, v9
	v_add_co_ci_u32_e32 v7, vcc_lo, 0, v7, vcc_lo
	v_add_co_u32 v4, s2, v4, v10
	s_delay_alu instid0(VALU_DEP_1) | instskip(NEXT) | instid1(VALU_DEP_3)
	v_add_co_ci_u32_e64 v5, s2, 0, v5, s2
	v_lshlrev_b64 v[15:16], 2, v[6:7]
	s_delay_alu instid0(VALU_DEP_1) | instskip(SKIP_3) | instid1(VALU_DEP_1)
	v_cmp_ge_i64_e32 vcc_lo, v[15:16], v[2:3]
	s_or_b32 s3, vcc_lo, s3
	s_waitcnt vmcnt(0)
	v_add_f32_e32 v1, v8, v11
	v_add_f32_e32 v1, v1, v12
	s_delay_alu instid0(VALU_DEP_1) | instskip(NEXT) | instid1(VALU_DEP_1)
	v_add_f32_e32 v1, v1, v13
	v_add_f32_e32 v8, v1, v14
	s_and_not1_b32 exec_lo, exec_lo, s3
	s_cbranch_execnz .LBB665_10
; %bb.11:
	s_or_b32 exec_lo, exec_lo, s3
	v_add_co_u32 v1, vcc_lo, v2, v0
	v_add_co_ci_u32_e32 v2, vcc_lo, 0, v3, vcc_lo
	s_mov_b32 s2, exec_lo
	s_delay_alu instid0(VALU_DEP_1)
	v_cmpx_gt_i64_e64 s[16:17], v[1:2]
	s_cbranch_execz .LBB665_15
; %bb.12:
	s_mov_b32 s3, 0
.LBB665_13:                             ; =>This Inner Loop Header: Depth=1
	v_lshlrev_b64 v[3:4], 2, v[1:2]
	s_delay_alu instid0(VALU_DEP_1) | instskip(NEXT) | instid1(VALU_DEP_2)
	v_add_co_u32 v3, vcc_lo, s20, v3
	v_add_co_ci_u32_e32 v4, vcc_lo, s21, v4, vcc_lo
	v_add_co_u32 v1, vcc_lo, v1, v9
	v_add_co_ci_u32_e32 v2, vcc_lo, 0, v2, vcc_lo
	global_load_b32 v3, v[3:4], off
	v_cmp_le_i64_e32 vcc_lo, s[16:17], v[1:2]
	s_or_b32 s3, vcc_lo, s3
	s_waitcnt vmcnt(0)
	v_add_f32_e32 v8, v8, v3
	s_and_not1_b32 exec_lo, exec_lo, s3
	s_cbranch_execnz .LBB665_13
; %bb.14:
	s_or_b32 exec_lo, exec_lo, s3
.LBB665_15:
	s_delay_alu instid0(SALU_CYCLE_1)
	s_or_b32 exec_lo, exec_lo, s2
	s_branch .LBB665_31
.LBB665_16:
                                        ; implicit-def: $vgpr8
	s_cbranch_execz .LBB665_31
; %bb.17:
	s_and_b32 vcc_lo, exec_lo, s24
	s_cbranch_vccz .LBB665_41
; %bb.18:
	s_lshl_b64 s[2:3], s[28:29], 2
	v_cmp_le_u32_e32 vcc_lo, s28, v0
	s_sub_u32 s20, s12, s2
	s_subb_u32 s21, s13, s3
	s_add_i32 s3, s28, s10
	v_mov_b32_e32 v8, 0
	v_cmp_gt_i32_e64 s2, s3, v0
	s_delay_alu instid0(VALU_DEP_1) | instskip(NEXT) | instid1(SALU_CYCLE_1)
	s_and_b32 s16, vcc_lo, s2
	s_and_saveexec_b32 s2, s16
	s_cbranch_execz .LBB665_20
; %bb.19:
	v_lshlrev_b32_e32 v1, 2, v0
	global_load_b32 v1, v1, s[20:21]
	s_waitcnt vmcnt(0)
	v_add_f32_e32 v8, 0, v1
.LBB665_20:
	s_or_b32 exec_lo, exec_lo, s2
	s_load_b32 s2, s[0:1], 0x2c
	s_add_u32 s16, s0, 32
	s_addc_u32 s17, s1, 0
	s_waitcnt lgkmcnt(0)
	s_and_b32 s2, s2, 0xffff
	s_delay_alu instid0(SALU_CYCLE_1) | instskip(SKIP_1) | instid1(SALU_CYCLE_1)
	v_sub_nc_u32_e64 v1, s3, s2 clamp
	s_lshl_b32 s2, s2, 2
	s_add_u32 s2, s20, s2
	s_addc_u32 s3, s21, 0
	s_delay_alu instid0(VALU_DEP_1)
	v_readfirstlane_b32 s22, v1
	s_branch .LBB665_22
.LBB665_21:
	v_mov_b32_e32 v8, 0
	s_add_u32 s16, s0, 32
	s_addc_u32 s17, s1, 0
	s_mov_b32 s22, s10
	s_mov_b64 s[2:3], s[12:13]
.LBB665_22:
	s_load_b32 s20, s[16:17], 0x0
	v_mov_b32_e32 v1, 0
	s_waitcnt lgkmcnt(0)
	s_cmp_lt_u32 s15, s20
	s_cselect_b32 s20, 12, 18
	s_delay_alu instid0(SALU_CYCLE_1) | instskip(SKIP_4) | instid1(VALU_DEP_1)
	s_add_u32 s16, s16, s20
	s_addc_u32 s17, s17, 0
	global_load_u16 v3, v1, s[16:17]
	s_waitcnt vmcnt(0)
	v_readfirstlane_b32 s16, v3
	s_lshl_b32 s16, s16, 2
	s_delay_alu instid0(SALU_CYCLE_1) | instskip(SKIP_1) | instid1(VALU_DEP_1)
	v_cvt_f32_u32_e32 v1, s16
	s_sub_i32 s20, 0, s16
	v_rcp_iflag_f32_e32 v1, v1
	s_waitcnt_depctr 0xfff
	v_mul_f32_e32 v1, 0x4f7ffffe, v1
	s_delay_alu instid0(VALU_DEP_1) | instskip(NEXT) | instid1(VALU_DEP_1)
	v_cvt_u32_f32_e32 v1, v1
	v_readfirstlane_b32 s17, v1
	v_lshlrev_b32_e32 v1, 2, v0
	s_delay_alu instid0(VALU_DEP_2) | instskip(NEXT) | instid1(SALU_CYCLE_1)
	s_mul_i32 s20, s20, s17
	s_mul_hi_u32 s20, s17, s20
	s_delay_alu instid0(SALU_CYCLE_1) | instskip(NEXT) | instid1(SALU_CYCLE_1)
	s_add_i32 s17, s17, s20
	s_mul_hi_u32 s17, s22, s17
	s_delay_alu instid0(SALU_CYCLE_1) | instskip(NEXT) | instid1(SALU_CYCLE_1)
	s_mul_i32 s17, s17, s16
	s_sub_i32 s17, s22, s17
	s_delay_alu instid0(SALU_CYCLE_1) | instskip(SKIP_2) | instid1(SALU_CYCLE_1)
	s_sub_i32 s20, s17, s16
	s_cmp_ge_u32 s17, s16
	s_cselect_b32 s17, s20, s17
	s_sub_i32 s20, s17, s16
	s_cmp_ge_u32 s17, s16
	s_cselect_b32 s16, s20, s17
	s_mov_b32 s20, 0
	s_sub_i32 s16, s22, s16
	s_mov_b32 s17, exec_lo
	v_cmpx_gt_i32_e64 s16, v1
	s_cbranch_execz .LBB665_26
; %bb.23:
	v_mov_b32_e32 v1, v0
	.p2align	6
.LBB665_24:                             ; =>This Inner Loop Header: Depth=1
	s_delay_alu instid0(VALU_DEP_1) | instskip(NEXT) | instid1(VALU_DEP_1)
	v_ashrrev_i32_e32 v2, 31, v1
	v_lshlrev_b64 v[4:5], 4, v[1:2]
	v_add_nc_u32_e32 v1, v1, v3
	s_delay_alu instid0(VALU_DEP_2) | instskip(NEXT) | instid1(VALU_DEP_3)
	v_add_co_u32 v4, vcc_lo, s2, v4
	v_add_co_ci_u32_e32 v5, vcc_lo, s3, v5, vcc_lo
	global_load_b128 v[4:7], v[4:5], off
	s_waitcnt vmcnt(0)
	v_add_f32_e32 v2, v8, v4
	v_lshlrev_b32_e32 v4, 2, v1
	s_delay_alu instid0(VALU_DEP_2) | instskip(NEXT) | instid1(VALU_DEP_2)
	v_add_f32_e32 v2, v2, v5
	v_cmp_le_i32_e32 vcc_lo, s16, v4
	s_delay_alu instid0(VALU_DEP_2) | instskip(SKIP_1) | instid1(VALU_DEP_1)
	v_add_f32_e32 v2, v2, v6
	s_or_b32 s20, vcc_lo, s20
	v_add_f32_e32 v8, v2, v7
	s_and_not1_b32 exec_lo, exec_lo, s20
	s_cbranch_execnz .LBB665_24
; %bb.25:
	s_or_b32 exec_lo, exec_lo, s20
.LBB665_26:
	s_delay_alu instid0(SALU_CYCLE_1) | instskip(SKIP_2) | instid1(VALU_DEP_1)
	s_or_b32 exec_lo, exec_lo, s17
	v_add_nc_u32_e32 v1, s16, v0
	s_mov_b32 s16, exec_lo
	v_cmpx_gt_i32_e64 s22, v1
	s_cbranch_execz .LBB665_30
; %bb.27:
	s_mov_b32 s17, 0
.LBB665_28:                             ; =>This Inner Loop Header: Depth=1
	v_ashrrev_i32_e32 v2, 31, v1
	s_delay_alu instid0(VALU_DEP_1) | instskip(NEXT) | instid1(VALU_DEP_1)
	v_lshlrev_b64 v[4:5], 2, v[1:2]
	v_add_co_u32 v4, vcc_lo, s2, v4
	s_delay_alu instid0(VALU_DEP_2) | instskip(SKIP_3) | instid1(VALU_DEP_1)
	v_add_co_ci_u32_e32 v5, vcc_lo, s3, v5, vcc_lo
	global_load_b32 v2, v[4:5], off
	s_waitcnt vmcnt(0)
	v_dual_add_f32 v8, v8, v2 :: v_dual_add_nc_u32 v1, v1, v3
	v_cmp_le_i32_e32 vcc_lo, s22, v1
	s_or_b32 s17, vcc_lo, s17
	s_delay_alu instid0(SALU_CYCLE_1)
	s_and_not1_b32 exec_lo, exec_lo, s17
	s_cbranch_execnz .LBB665_28
; %bb.29:
	s_or_b32 exec_lo, exec_lo, s17
.LBB665_30:
	s_delay_alu instid0(SALU_CYCLE_1)
	s_or_b32 exec_lo, exec_lo, s16
.LBB665_31:
	v_lshl_add_u32 v1, v0, 2, 0
	s_barrier
	buffer_gl0_inv
	s_add_u32 s16, s0, 32
	ds_store_b32 v1, v8
	s_waitcnt lgkmcnt(0)
	s_barrier
	buffer_gl0_inv
	s_load_b32 s2, s[0:1], 0x2c
	s_addc_u32 s17, s1, 0
	s_waitcnt lgkmcnt(0)
	s_bfe_u32 s0, s2, 0xb0005
	s_delay_alu instid0(SALU_CYCLE_1) | instskip(NEXT) | instid1(SALU_CYCLE_1)
	s_min_u32 s1, s0, 32
	v_cmp_gt_u32_e32 vcc_lo, s1, v0
	s_and_saveexec_b32 s1, vcc_lo
	s_cbranch_execz .LBB665_33
; %bb.32:
	v_mad_u32_u24 v10, 0x7c, v0, v1
	ds_load_2addr_b32 v[2:3], v10 offset1:1
	ds_load_2addr_b32 v[4:5], v10 offset0:2 offset1:3
	ds_load_2addr_b32 v[6:7], v10 offset0:4 offset1:5
	;; [unrolled: 1-line block ×3, first 2 shown]
	s_waitcnt lgkmcnt(3)
	v_add_f32_e32 v2, 0, v2
	s_delay_alu instid0(VALU_DEP_1) | instskip(SKIP_1) | instid1(VALU_DEP_1)
	v_add_f32_e32 v2, v2, v3
	s_waitcnt lgkmcnt(2)
	v_add_f32_e32 v2, v2, v4
	s_delay_alu instid0(VALU_DEP_1) | instskip(SKIP_1) | instid1(VALU_DEP_1)
	v_add_f32_e32 v2, v2, v5
	s_waitcnt lgkmcnt(1)
	v_add_f32_e32 v4, v2, v6
	ds_load_2addr_b32 v[2:3], v10 offset0:8 offset1:9
	v_add_f32_e32 v4, v4, v7
	s_waitcnt lgkmcnt(1)
	s_delay_alu instid0(VALU_DEP_1)
	v_add_f32_e32 v6, v4, v8
	ds_load_2addr_b32 v[4:5], v10 offset0:10 offset1:11
	v_add_f32_e32 v11, v6, v9
	ds_load_2addr_b32 v[6:7], v10 offset0:12 offset1:13
	ds_load_2addr_b32 v[8:9], v10 offset0:14 offset1:15
	s_waitcnt lgkmcnt(3)
	v_add_f32_e32 v2, v11, v2
	s_delay_alu instid0(VALU_DEP_1) | instskip(SKIP_1) | instid1(VALU_DEP_1)
	v_add_f32_e32 v2, v2, v3
	s_waitcnt lgkmcnt(2)
	v_add_f32_e32 v2, v2, v4
	s_delay_alu instid0(VALU_DEP_1) | instskip(SKIP_1) | instid1(VALU_DEP_1)
	v_add_f32_e32 v2, v2, v5
	s_waitcnt lgkmcnt(1)
	v_add_f32_e32 v4, v2, v6
	ds_load_2addr_b32 v[2:3], v10 offset0:16 offset1:17
	v_add_f32_e32 v4, v4, v7
	s_waitcnt lgkmcnt(1)
	s_delay_alu instid0(VALU_DEP_1)
	v_add_f32_e32 v6, v4, v8
	ds_load_2addr_b32 v[4:5], v10 offset0:18 offset1:19
	v_add_f32_e32 v11, v6, v9
	ds_load_2addr_b32 v[6:7], v10 offset0:20 offset1:21
	ds_load_2addr_b32 v[8:9], v10 offset0:22 offset1:23
	;; [unrolled: 19-line block ×3, first 2 shown]
	s_waitcnt lgkmcnt(3)
	v_add_f32_e32 v2, v11, v2
	s_delay_alu instid0(VALU_DEP_1) | instskip(SKIP_1) | instid1(VALU_DEP_1)
	v_add_f32_e32 v2, v2, v3
	s_waitcnt lgkmcnt(2)
	v_add_f32_e32 v2, v2, v4
	s_delay_alu instid0(VALU_DEP_1) | instskip(SKIP_1) | instid1(VALU_DEP_1)
	v_add_f32_e32 v2, v2, v5
	;; [unrolled: 4-line block ×3, first 2 shown]
	s_waitcnt lgkmcnt(0)
	v_add_f32_e32 v2, v2, v8
	s_delay_alu instid0(VALU_DEP_1)
	v_add_f32_e32 v2, v2, v9
	ds_store_b32 v1, v2
.LBB665_33:
	s_or_b32 exec_lo, exec_lo, s1
	s_and_b32 s22, s2, 0xffff
	s_mov_b32 s1, exec_lo
	s_waitcnt lgkmcnt(0)
	s_barrier
	buffer_gl0_inv
	v_cmpx_eq_u32_e32 0, v0
	s_cbranch_execz .LBB665_46
; %bb.34:
	v_mov_b32_e32 v1, 0
	s_cmp_lt_u32 s22, 32
	s_cbranch_scc1 .LBB665_45
; %bb.35:
	v_mov_b32_e32 v1, 0
	s_add_i32 s2, s0, -1
	s_delay_alu instid0(SALU_CYCLE_1)
	s_cmp_lt_u32 s2, 7
	s_cbranch_scc1 .LBB665_42
; %bb.36:
	s_and_b32 s2, s0, 0x7f8
	s_mov_b32 s3, 0
	s_mov_b32 s20, 0
	.p2align	6
.LBB665_37:                             ; =>This Inner Loop Header: Depth=1
	s_delay_alu instid0(SALU_CYCLE_1)
	v_mov_b32_e32 v8, s20
	s_add_i32 s3, s3, 8
	s_add_i32 s20, s20, 32
	s_cmp_eq_u32 s2, s3
	ds_load_2addr_b32 v[2:3], v8 offset1:1
	ds_load_2addr_b32 v[4:5], v8 offset0:2 offset1:3
	ds_load_2addr_b32 v[6:7], v8 offset0:4 offset1:5
	;; [unrolled: 1-line block ×3, first 2 shown]
	s_waitcnt lgkmcnt(3)
	v_add_f32_e32 v1, v1, v2
	s_delay_alu instid0(VALU_DEP_1) | instskip(SKIP_1) | instid1(VALU_DEP_1)
	v_add_f32_e32 v1, v1, v3
	s_waitcnt lgkmcnt(2)
	v_add_f32_e32 v1, v1, v4
	s_delay_alu instid0(VALU_DEP_1) | instskip(SKIP_1) | instid1(VALU_DEP_1)
	v_add_f32_e32 v1, v1, v5
	;; [unrolled: 4-line block ×3, first 2 shown]
	s_waitcnt lgkmcnt(0)
	v_add_f32_e32 v1, v1, v8
	s_delay_alu instid0(VALU_DEP_1)
	v_add_f32_e32 v1, v1, v9
	s_cbranch_scc0 .LBB665_37
; %bb.38:
	s_and_b32 s0, s0, 7
	s_delay_alu instid0(SALU_CYCLE_1)
	s_cmp_eq_u32 s0, 0
	s_cbranch_scc0 .LBB665_43
	s_branch .LBB665_45
.LBB665_39:
                                        ; implicit-def: $sgpr20_sgpr21
                                        ; implicit-def: $sgpr16_sgpr17
                                        ; implicit-def: $vgpr8
                                        ; implicit-def: $sgpr2_sgpr3
	s_cbranch_execnz .LBB665_5
	s_branch .LBB665_6
.LBB665_40:
                                        ; implicit-def: $vgpr2_vgpr3
	s_branch .LBB665_8
.LBB665_41:
                                        ; implicit-def: $sgpr2_sgpr3
                                        ; implicit-def: $sgpr22
                                        ; implicit-def: $vgpr8
                                        ; implicit-def: $sgpr16_sgpr17
	s_cbranch_execnz .LBB665_21
	s_branch .LBB665_22
.LBB665_42:
	s_mov_b32 s2, 0
	s_and_b32 s0, s0, 7
	s_delay_alu instid0(SALU_CYCLE_1)
	s_cmp_eq_u32 s0, 0
	s_cbranch_scc1 .LBB665_45
.LBB665_43:
	s_lshl_b32 s2, s2, 2
	s_delay_alu instid0(SALU_CYCLE_1)
	s_add_i32 s2, s2, 0
.LBB665_44:                             ; =>This Inner Loop Header: Depth=1
	s_delay_alu instid0(SALU_CYCLE_1)
	v_mov_b32_e32 v2, s2
	s_add_i32 s0, s0, -1
	s_add_i32 s2, s2, 4
	s_cmp_lg_u32 s0, 0
	ds_load_b32 v2, v2
	s_waitcnt lgkmcnt(0)
	v_add_f32_e32 v1, v1, v2
	s_cbranch_scc1 .LBB665_44
.LBB665_45:
	v_mov_b32_e32 v2, 0
	ds_store_b32 v2, v1
.LBB665_46:
	s_or_b32 exec_lo, exec_lo, s1
	v_mov_b32_e32 v1, 0
	s_waitcnt lgkmcnt(0)
	s_barrier
	buffer_gl0_inv
	s_lshl_b64 s[30:31], s[18:19], 1
	ds_load_b32 v10, v1
	s_add_u32 s18, s4, s30
	s_addc_u32 s19, s5, s31
	s_add_u32 s20, s6, s26
	s_mov_b32 s25, 0
	s_addc_u32 s21, s7, s27
	s_bfe_u32 s24, s18, 0x30001
	s_bfe_u32 s0, s20, 0x20002
	s_mov_b32 s1, s25
	s_delay_alu instid0(SALU_CYCLE_1) | instskip(SKIP_3) | instid1(SALU_CYCLE_1)
	s_cmp_eq_u64 s[24:25], s[0:1]
	s_cselect_b32 s0, -1, 0
	s_cmp_eq_u64 s[24:25], s[28:29]
	s_cselect_b32 s1, -1, 0
	s_and_b32 s0, s0, s1
	s_delay_alu instid0(SALU_CYCLE_1)
	s_and_not1_b32 vcc_lo, exec_lo, s0
	s_mov_b32 s0, -1
	s_cbranch_vccz .LBB665_65
; %bb.47:
	s_and_b32 vcc_lo, exec_lo, s14
	s_cbranch_vccz .LBB665_56
; %bb.48:
	s_lshl_b32 s23, s22, 2
	s_mov_b32 s40, 0
	v_cvt_f32_u32_e32 v1, s23
	s_sub_i32 s1, 0, s23
	s_mov_b32 s33, exec_lo
	s_delay_alu instid0(VALU_DEP_1) | instskip(SKIP_2) | instid1(VALU_DEP_1)
	v_rcp_iflag_f32_e32 v1, v1
	s_waitcnt_depctr 0xfff
	v_mul_f32_e32 v1, 0x4f7ffffe, v1
	v_cvt_u32_f32_e32 v1, v1
	s_delay_alu instid0(VALU_DEP_1) | instskip(SKIP_1) | instid1(VALU_DEP_2)
	v_readfirstlane_b32 s0, v1
	v_mov_b32_e32 v1, 0
	s_mul_i32 s1, s1, s0
	s_delay_alu instid0(VALU_DEP_1) | instskip(SKIP_1) | instid1(SALU_CYCLE_1)
	v_dual_mov_b32 v3, v1 :: v_dual_mov_b32 v2, v0
	s_mul_hi_u32 s1, s0, s1
	s_add_i32 s0, s0, s1
	s_delay_alu instid0(SALU_CYCLE_1) | instskip(NEXT) | instid1(SALU_CYCLE_1)
	s_mul_hi_u32 s0, s10, s0
	s_mul_i32 s0, s0, s23
	s_delay_alu instid0(SALU_CYCLE_1) | instskip(NEXT) | instid1(SALU_CYCLE_1)
	s_sub_i32 s0, s10, s0
	s_sub_i32 s1, s0, s23
	s_cmp_ge_u32 s0, s23
	s_cselect_b32 s0, s1, s0
	s_delay_alu instid0(SALU_CYCLE_1) | instskip(SKIP_3) | instid1(SALU_CYCLE_1)
	s_sub_i32 s1, s0, s23
	s_cmp_ge_u32 s0, s23
	s_cselect_b32 s0, s1, s0
	s_bfe_i64 s[28:29], s[10:11], 0x200000
	s_sub_u32 s34, s28, s0
	s_subb_u32 s35, s29, 0
	s_delay_alu instid0(SALU_CYCLE_1)
	v_cmpx_gt_i64_e64 s[34:35], v[0:1]
	s_cbranch_execz .LBB665_52
; %bb.49:
	s_lshl_b32 s41, s22, 1
	s_lshl_b32 s42, s22, 4
	s_add_u32 s0, s26, s23
	s_addc_u32 s1, s27, 0
	s_add_u32 s43, s6, s0
	s_addc_u32 s44, s7, s1
	s_lshl_b32 s45, s22, 3
	s_mul_i32 s36, s22, 12
	s_add_u32 s2, s26, s45
	s_addc_u32 s3, s27, 0
	s_add_u32 s46, s6, s2
	s_addc_u32 s47, s7, s3
	;; [unrolled: 2-line block ×5, first 2 shown]
	s_add_u32 s52, s8, s2
	v_lshlrev_b64 v[2:3], 1, v[0:1]
	s_addc_u32 s53, s9, s3
	s_add_u32 s54, s8, s36
	s_addc_u32 s55, s9, s37
	s_add_u32 s0, s4, s30
	s_addc_u32 s1, s5, s31
	v_add_co_u32 v6, vcc_lo, s0, v2
	v_lshlrev_b64 v[4:5], 2, v[0:1]
	v_add_co_ci_u32_e32 v7, vcc_lo, s1, v3, vcc_lo
	v_dual_mov_b32 v3, v1 :: v_dual_mov_b32 v2, v0
	s_mul_i32 s56, s22, 6
	s_mov_b64 s[36:37], s[12:13]
	s_mov_b64 s[38:39], s[20:21]
.LBB665_50:                             ; =>This Inner Loop Header: Depth=1
	s_delay_alu instid0(SALU_CYCLE_1)
	v_add_co_u32 v8, vcc_lo, s38, v4
	v_add_co_ci_u32_e32 v9, vcc_lo, s39, v5, vcc_lo
	v_add_co_u32 v11, vcc_lo, s36, v4
	v_add_co_ci_u32_e32 v12, vcc_lo, s37, v5, vcc_lo
	v_add_co_u32 v13, vcc_lo, s43, v4
	v_add_co_ci_u32_e32 v14, vcc_lo, s44, v5, vcc_lo
	v_add_co_u32 v15, vcc_lo, s50, v4
	v_add_co_ci_u32_e32 v16, vcc_lo, s51, v5, vcc_lo
	v_add_co_u32 v17, vcc_lo, s46, v4
	v_add_co_ci_u32_e32 v18, vcc_lo, s47, v5, vcc_lo
	v_add_co_u32 v19, vcc_lo, s52, v4
	v_add_co_ci_u32_e32 v20, vcc_lo, s53, v5, vcc_lo
	v_add_co_u32 v21, vcc_lo, s48, v4
	v_add_co_ci_u32_e32 v22, vcc_lo, s49, v5, vcc_lo
	v_add_co_u32 v23, vcc_lo, s54, v4
	v_add_co_ci_u32_e32 v24, vcc_lo, s55, v5, vcc_lo
	global_load_b32 v1, v[8:9], off
	global_load_b32 v25, v[11:12], off
	;; [unrolled: 1-line block ×8, first 2 shown]
	v_add_co_u32 v8, vcc_lo, v6, s41
	v_add_co_ci_u32_e32 v9, vcc_lo, 0, v7, vcc_lo
	v_add_co_u32 v11, vcc_lo, v6, s23
	v_add_co_ci_u32_e32 v12, vcc_lo, 0, v7, vcc_lo
	v_add_co_u32 v13, vcc_lo, v6, s56
	s_add_u32 s38, s38, s42
	s_addc_u32 s39, s39, 0
	v_add_co_ci_u32_e32 v14, vcc_lo, 0, v7, vcc_lo
	s_add_u32 s43, s43, s42
	v_add_co_u32 v2, vcc_lo, v2, s23
	s_addc_u32 s44, s44, 0
	s_add_u32 s46, s46, s42
	v_add_co_ci_u32_e32 v3, vcc_lo, 0, v3, vcc_lo
	s_addc_u32 s47, s47, 0
	s_add_u32 s48, s48, s42
	s_addc_u32 s49, s49, 0
	s_add_u32 s36, s36, s42
	s_addc_u32 s37, s37, 0
	v_cmp_le_i64_e32 vcc_lo, s[34:35], v[2:3]
	s_add_u32 s50, s50, s42
	s_addc_u32 s51, s51, 0
	s_add_u32 s52, s52, s42
	s_addc_u32 s53, s53, 0
	;; [unrolled: 2-line block ×3, first 2 shown]
	s_or_b32 s40, vcc_lo, s40
	s_waitcnt vmcnt(6) lgkmcnt(0)
	v_fma_f32 v1, -v10, v1, v25
	s_waitcnt vmcnt(4)
	v_fma_f32 v15, -v10, v26, v15
	s_waitcnt vmcnt(2)
	v_fma_f32 v16, -v10, v16, v17
	v_cmp_o_f32_e64 s3, v1, v1
	s_waitcnt vmcnt(0)
	v_fma_f32 v17, -v10, v18, v19
	v_bfe_u32 v18, v1, 16, 1
	v_bfe_u32 v19, v15, 16, 1
	;; [unrolled: 1-line block ×3, first 2 shown]
	v_cmp_o_f32_e64 s0, v15, v15
	v_bfe_u32 v21, v17, 16, 1
	v_add3_u32 v18, v1, v18, 0x7fff
	v_add3_u32 v19, v15, v19, 0x7fff
	;; [unrolled: 1-line block ×3, first 2 shown]
	v_cmp_o_f32_e64 s1, v16, v16
	v_add3_u32 v21, v17, v21, 0x7fff
	v_lshrrev_b32_e32 v18, 16, v18
	v_lshrrev_b32_e32 v19, 16, v19
	;; [unrolled: 1-line block ×3, first 2 shown]
	v_cmp_o_f32_e64 s2, v17, v17
	v_lshrrev_b32_e32 v16, 16, v21
	v_cndmask_b32_e64 v1, 0x7fc0, v18, s3
	v_cndmask_b32_e64 v17, 0x7fc0, v19, s0
	;; [unrolled: 1-line block ×3, first 2 shown]
	s_delay_alu instid0(VALU_DEP_4) | instskip(SKIP_2) | instid1(VALU_DEP_1)
	v_cndmask_b32_e64 v16, 0x7fc0, v16, s2
	global_store_b16 v[6:7], v1, off
	v_add_co_u32 v6, s0, v6, s45
	v_add_co_ci_u32_e64 v7, s0, 0, v7, s0
	s_clause 0x2
	global_store_b16 v[8:9], v17, off
	global_store_b16 v[11:12], v15, off
	;; [unrolled: 1-line block ×3, first 2 shown]
	s_and_not1_b32 exec_lo, exec_lo, s40
	s_cbranch_execnz .LBB665_50
; %bb.51:
	s_or_b32 exec_lo, exec_lo, s40
.LBB665_52:
	s_delay_alu instid0(SALU_CYCLE_1) | instskip(NEXT) | instid1(SALU_CYCLE_1)
	s_or_b32 exec_lo, exec_lo, s33
	s_mov_b32 s1, exec_lo
	v_cmpx_gt_i64_e64 s[28:29], v[2:3]
	s_cbranch_execz .LBB665_55
; %bb.53:
	v_lshlrev_b64 v[4:5], 2, v[2:3]
	v_lshlrev_b64 v[7:8], 1, v[2:3]
	s_add_u32 s0, s4, s30
	s_addc_u32 s2, s5, s31
	s_lshl_b32 s3, s22, 1
	s_delay_alu instid0(VALU_DEP_2)
	v_add_co_u32 v1, vcc_lo, s26, v4
	v_add_co_ci_u32_e32 v6, vcc_lo, s27, v5, vcc_lo
	v_add_co_u32 v4, vcc_lo, s0, v7
	v_add_co_ci_u32_e32 v5, vcc_lo, s2, v8, vcc_lo
	s_mov_b32 s2, 0
	s_set_inst_prefetch_distance 0x1
	.p2align	6
.LBB665_54:                             ; =>This Inner Loop Header: Depth=1
	v_add_co_u32 v7, vcc_lo, s8, v1
	v_add_co_ci_u32_e32 v8, vcc_lo, s9, v6, vcc_lo
	v_add_co_u32 v11, vcc_lo, s6, v1
	v_add_co_ci_u32_e32 v12, vcc_lo, s7, v6, vcc_lo
	v_add_co_u32 v2, vcc_lo, v2, s22
	global_load_b32 v7, v[7:8], off
	global_load_b32 v8, v[11:12], off
	v_add_co_ci_u32_e32 v3, vcc_lo, 0, v3, vcc_lo
	v_add_co_u32 v1, vcc_lo, v1, s23
	v_add_co_ci_u32_e32 v6, vcc_lo, 0, v6, vcc_lo
	s_delay_alu instid0(VALU_DEP_3) | instskip(SKIP_3) | instid1(VALU_DEP_1)
	v_cmp_le_i64_e32 vcc_lo, s[28:29], v[2:3]
	s_or_b32 s2, vcc_lo, s2
	s_waitcnt vmcnt(0) lgkmcnt(0)
	v_fma_f32 v7, -v10, v8, v7
	v_bfe_u32 v8, v7, 16, 1
	v_cmp_o_f32_e64 s0, v7, v7
	s_delay_alu instid0(VALU_DEP_2) | instskip(NEXT) | instid1(VALU_DEP_1)
	v_add3_u32 v8, v7, v8, 0x7fff
	v_lshrrev_b32_e32 v8, 16, v8
	s_delay_alu instid0(VALU_DEP_1) | instskip(SKIP_2) | instid1(VALU_DEP_1)
	v_cndmask_b32_e64 v7, 0x7fc0, v8, s0
	global_store_b16 v[4:5], v7, off
	v_add_co_u32 v4, s0, v4, s3
	v_add_co_ci_u32_e64 v5, s0, 0, v5, s0
	s_and_not1_b32 exec_lo, exec_lo, s2
	s_cbranch_execnz .LBB665_54
.LBB665_55:
	s_set_inst_prefetch_distance 0x2
	s_or_b32 exec_lo, exec_lo, s1
	s_mov_b32 s0, 0
.LBB665_56:
	s_delay_alu instid0(SALU_CYCLE_1)
	s_and_b32 vcc_lo, exec_lo, s0
	s_cbranch_vccz .LBB665_92
; %bb.57:
	s_lshl_b32 s0, s22, 2
	s_mov_b32 s5, 0
	v_cvt_f32_u32_e32 v1, s0
	s_sub_i32 s2, 0, s0
	s_mov_b32 s3, exec_lo
	s_delay_alu instid0(VALU_DEP_1) | instskip(SKIP_2) | instid1(VALU_DEP_1)
	v_rcp_iflag_f32_e32 v1, v1
	s_waitcnt_depctr 0xfff
	v_mul_f32_e32 v1, 0x4f7ffffe, v1
	v_cvt_u32_f32_e32 v1, v1
	s_delay_alu instid0(VALU_DEP_1) | instskip(SKIP_1) | instid1(VALU_DEP_2)
	v_readfirstlane_b32 s1, v1
	v_mov_b32_e32 v1, v0
	s_mul_i32 s2, s2, s1
	s_delay_alu instid0(SALU_CYCLE_1) | instskip(NEXT) | instid1(SALU_CYCLE_1)
	s_mul_hi_u32 s2, s1, s2
	s_add_i32 s1, s1, s2
	s_delay_alu instid0(SALU_CYCLE_1) | instskip(NEXT) | instid1(SALU_CYCLE_1)
	s_mul_hi_u32 s1, s10, s1
	s_mul_i32 s1, s1, s0
	s_delay_alu instid0(SALU_CYCLE_1) | instskip(NEXT) | instid1(SALU_CYCLE_1)
	s_sub_i32 s1, s10, s1
	s_sub_i32 s2, s1, s0
	s_cmp_ge_u32 s1, s0
	s_cselect_b32 s1, s2, s1
	s_delay_alu instid0(SALU_CYCLE_1) | instskip(SKIP_2) | instid1(SALU_CYCLE_1)
	s_sub_i32 s2, s1, s0
	s_cmp_ge_u32 s1, s0
	s_cselect_b32 s0, s2, s1
	s_sub_i32 s4, s10, s0
	s_delay_alu instid0(SALU_CYCLE_1)
	v_cmpx_gt_i32_e64 s4, v0
	s_cbranch_execz .LBB665_61
; %bb.58:
	v_dual_mov_b32 v2, 0 :: v_dual_mov_b32 v1, v0
	s_lshl_b32 s6, s22, 1
	s_mul_i32 s7, s22, 3
	s_add_i32 s8, s22, s22
.LBB665_59:                             ; =>This Inner Loop Header: Depth=1
	s_delay_alu instid0(VALU_DEP_1) | instskip(SKIP_3) | instid1(VALU_DEP_4)
	v_lshlrev_b64 v[11:12], 2, v[1:2]
	v_dual_mov_b32 v4, v2 :: v_dual_add_nc_u32 v3, s22, v1
	v_dual_mov_b32 v6, v2 :: v_dual_add_nc_u32 v5, s6, v1
	v_dual_mov_b32 v8, v2 :: v_dual_add_nc_u32 v7, s7, v1
	v_add_co_u32 v19, vcc_lo, s20, v11
	v_add_co_ci_u32_e32 v20, vcc_lo, s21, v12, vcc_lo
	v_lshlrev_b64 v[13:14], 2, v[3:4]
	v_add_co_u32 v11, vcc_lo, s12, v11
	v_add_co_ci_u32_e32 v12, vcc_lo, s13, v12, vcc_lo
	v_lshlrev_b64 v[15:16], 2, v[5:6]
	global_load_b32 v23, v[19:20], off
	global_load_b32 v24, v[11:12], off
	v_add_co_u32 v11, vcc_lo, s20, v13
	v_add_co_ci_u32_e32 v12, vcc_lo, s21, v14, vcc_lo
	v_add_co_u32 v13, vcc_lo, s12, v13
	v_add_co_ci_u32_e32 v14, vcc_lo, s13, v14, vcc_lo
	v_lshlrev_b64 v[17:18], 2, v[7:8]
	v_add_co_u32 v19, vcc_lo, s20, v15
	v_add_co_ci_u32_e32 v20, vcc_lo, s21, v16, vcc_lo
	v_add_co_u32 v15, vcc_lo, s12, v15
	v_add_co_ci_u32_e32 v16, vcc_lo, s13, v16, vcc_lo
	;; [unrolled: 2-line block ×4, first 2 shown]
	global_load_b32 v25, v[11:12], off
	global_load_b32 v26, v[13:14], off
	;; [unrolled: 1-line block ×6, first 2 shown]
	v_lshlrev_b64 v[11:12], 1, v[1:2]
	v_lshlrev_b64 v[13:14], 1, v[3:4]
	;; [unrolled: 1-line block ×4, first 2 shown]
	v_add3_u32 v1, s8, s22, v3
	v_add_co_u32 v8, vcc_lo, s18, v11
	v_add_co_u32 v11, s0, s18, v13
	v_add_co_ci_u32_e32 v9, vcc_lo, s19, v12, vcc_lo
	v_add_co_ci_u32_e64 v12, s0, s19, v14, s0
	v_add_co_u32 v3, s0, s18, v4
	s_delay_alu instid0(VALU_DEP_1) | instskip(SKIP_1) | instid1(VALU_DEP_1)
	v_add_co_ci_u32_e64 v4, s0, s19, v5, s0
	v_add_co_u32 v5, s0, s18, v6
	v_add_co_ci_u32_e64 v6, s0, s19, v7, s0
	v_cmp_le_i32_e32 vcc_lo, s4, v1
	s_or_b32 s5, vcc_lo, s5
	s_waitcnt vmcnt(6) lgkmcnt(0)
	v_fma_f32 v7, -v10, v23, v24
	s_delay_alu instid0(VALU_DEP_1) | instskip(SKIP_1) | instid1(VALU_DEP_2)
	v_bfe_u32 v13, v7, 16, 1
	v_cmp_o_f32_e64 s0, v7, v7
	v_add3_u32 v13, v7, v13, 0x7fff
	s_delay_alu instid0(VALU_DEP_1) | instskip(NEXT) | instid1(VALU_DEP_1)
	v_lshrrev_b32_e32 v13, 16, v13
	v_cndmask_b32_e64 v7, 0x7fc0, v13, s0
	s_waitcnt vmcnt(4)
	v_fma_f32 v14, -v10, v25, v26
	s_waitcnt vmcnt(2)
	v_fma_f32 v15, -v10, v19, v15
	;; [unrolled: 2-line block ×3, first 2 shown]
	v_bfe_u32 v17, v14, 16, 1
	v_cmp_o_f32_e64 s2, v14, v14
	v_bfe_u32 v18, v15, 16, 1
	v_cmp_o_f32_e64 s0, v15, v15
	v_bfe_u32 v19, v16, 16, 1
	v_add3_u32 v17, v14, v17, 0x7fff
	v_cmp_o_f32_e64 s1, v16, v16
	v_add3_u32 v18, v15, v18, 0x7fff
	s_delay_alu instid0(VALU_DEP_4) | instskip(NEXT) | instid1(VALU_DEP_4)
	v_add3_u32 v19, v16, v19, 0x7fff
	v_lshrrev_b32_e32 v13, 16, v17
	s_delay_alu instid0(VALU_DEP_3) | instskip(NEXT) | instid1(VALU_DEP_3)
	v_lshrrev_b32_e32 v17, 16, v18
	v_lshrrev_b32_e32 v15, 16, v19
	s_delay_alu instid0(VALU_DEP_3) | instskip(NEXT) | instid1(VALU_DEP_3)
	v_cndmask_b32_e64 v13, 0x7fc0, v13, s2
	v_cndmask_b32_e64 v14, 0x7fc0, v17, s0
	s_delay_alu instid0(VALU_DEP_3)
	v_cndmask_b32_e64 v15, 0x7fc0, v15, s1
	s_clause 0x3
	global_store_b16 v[8:9], v7, off
	global_store_b16 v[11:12], v13, off
	;; [unrolled: 1-line block ×4, first 2 shown]
	s_and_not1_b32 exec_lo, exec_lo, s5
	s_cbranch_execnz .LBB665_59
; %bb.60:
	s_or_b32 exec_lo, exec_lo, s5
.LBB665_61:
	s_delay_alu instid0(SALU_CYCLE_1) | instskip(NEXT) | instid1(SALU_CYCLE_1)
	s_or_b32 exec_lo, exec_lo, s3
	s_mov_b32 s1, exec_lo
	v_cmpx_gt_i32_e64 s10, v1
	s_cbranch_execz .LBB665_64
; %bb.62:
	s_mov_b32 s2, 0
	s_set_inst_prefetch_distance 0x1
	.p2align	6
.LBB665_63:                             ; =>This Inner Loop Header: Depth=1
	v_ashrrev_i32_e32 v2, 31, v1
	s_delay_alu instid0(VALU_DEP_1) | instskip(NEXT) | instid1(VALU_DEP_1)
	v_lshlrev_b64 v[3:4], 2, v[1:2]
	v_add_co_u32 v5, vcc_lo, s12, v3
	s_delay_alu instid0(VALU_DEP_2)
	v_add_co_ci_u32_e32 v6, vcc_lo, s13, v4, vcc_lo
	v_add_co_u32 v3, vcc_lo, s20, v3
	v_add_co_ci_u32_e32 v4, vcc_lo, s21, v4, vcc_lo
	global_load_b32 v5, v[5:6], off
	global_load_b32 v3, v[3:4], off
	s_waitcnt vmcnt(0) lgkmcnt(0)
	v_fma_f32 v4, -v10, v3, v5
	s_delay_alu instid0(VALU_DEP_1) | instskip(SKIP_1) | instid1(VALU_DEP_2)
	v_bfe_u32 v3, v4, 16, 1
	v_cmp_o_f32_e64 s0, v4, v4
	v_add3_u32 v5, v4, v3, 0x7fff
	v_lshlrev_b64 v[2:3], 1, v[1:2]
	v_add_nc_u32_e32 v1, s22, v1
	s_delay_alu instid0(VALU_DEP_3) | instskip(NEXT) | instid1(VALU_DEP_2)
	v_lshrrev_b32_e32 v5, 16, v5
	v_cmp_le_i32_e32 vcc_lo, s10, v1
	s_delay_alu instid0(VALU_DEP_2) | instskip(SKIP_1) | instid1(VALU_DEP_1)
	v_cndmask_b32_e64 v4, 0x7fc0, v5, s0
	v_add_co_u32 v2, s0, s18, v2
	v_add_co_ci_u32_e64 v3, s0, s19, v3, s0
	s_or_b32 s2, vcc_lo, s2
	global_store_b16 v[2:3], v4, off
	s_and_not1_b32 exec_lo, exec_lo, s2
	s_cbranch_execnz .LBB665_63
.LBB665_64:
	s_set_inst_prefetch_distance 0x2
	s_or_b32 exec_lo, exec_lo, s1
	s_mov_b32 s0, 0
.LBB665_65:
	s_delay_alu instid0(SALU_CYCLE_1)
	s_and_not1_b32 vcc_lo, exec_lo, s0
	s_cbranch_vccnz .LBB665_93
.LBB665_66:
	s_cmp_lg_u64 s[24:25], 0
	s_mov_b32 s1, -1
	s_cselect_b32 s33, -1, 0
	s_and_b32 vcc_lo, exec_lo, s14
	v_cndmask_b32_e64 v1, 0, 1, s33
	s_delay_alu instid0(VALU_DEP_1)
	v_cmp_ne_u32_e64 s0, 1, v1
	s_cbranch_vccz .LBB665_81
; %bb.67:
	v_mov_b32_e32 v1, 0
	s_delay_alu instid0(VALU_DEP_2)
	s_and_b32 vcc_lo, exec_lo, s0
	s_mov_b64 s[4:5], s[10:11]
	s_mov_b64 s[26:27], s[18:19]
	;; [unrolled: 1-line block ×4, first 2 shown]
	s_cbranch_vccnz .LBB665_71
; %bb.68:
	s_lshl_b32 s0, s24, 1
	s_mov_b32 s23, 0
	s_sub_u32 s0, s18, s0
	s_subb_u32 s1, s19, 0
	s_lshl_b32 s2, s24, 2
	s_mov_b32 s4, exec_lo
	s_sub_u32 s6, s20, s2
	s_subb_u32 s7, s21, 0
	s_sub_u32 s2, s12, s2
	s_subb_u32 s3, s13, 0
	v_cmpx_le_u64_e64 s[24:25], v[0:1]
	s_cbranch_execz .LBB665_70
; %bb.69:
	v_lshlrev_b64 v[2:3], 2, v[0:1]
	s_delay_alu instid0(VALU_DEP_1) | instskip(NEXT) | instid1(VALU_DEP_2)
	v_add_co_u32 v4, vcc_lo, s2, v2
	v_add_co_ci_u32_e32 v5, vcc_lo, s3, v3, vcc_lo
	v_add_co_u32 v2, vcc_lo, s6, v2
	v_add_co_ci_u32_e32 v3, vcc_lo, s7, v3, vcc_lo
	global_load_b32 v4, v[4:5], off
	global_load_b32 v2, v[2:3], off
	s_waitcnt vmcnt(0) lgkmcnt(0)
	v_fma_f32 v4, -v10, v2, v4
	s_delay_alu instid0(VALU_DEP_1) | instskip(SKIP_1) | instid1(VALU_DEP_2)
	v_bfe_u32 v2, v4, 16, 1
	v_cmp_o_f32_e32 vcc_lo, v4, v4
	v_add3_u32 v2, v4, v2, 0x7fff
	s_delay_alu instid0(VALU_DEP_1) | instskip(SKIP_1) | instid1(VALU_DEP_2)
	v_lshrrev_b32_e32 v5, 16, v2
	v_lshlrev_b64 v[2:3], 1, v[0:1]
	v_cndmask_b32_e32 v4, 0x7fc0, v5, vcc_lo
	s_delay_alu instid0(VALU_DEP_2) | instskip(NEXT) | instid1(VALU_DEP_3)
	v_add_co_u32 v2, vcc_lo, s0, v2
	v_add_co_ci_u32_e32 v3, vcc_lo, s1, v3, vcc_lo
	global_store_b16 v[2:3], v4, off
.LBB665_70:
	s_or_b32 exec_lo, exec_lo, s4
	s_add_u32 s4, s24, s10
	s_addc_u32 s5, 0, s11
	s_delay_alu instid0(SALU_CYCLE_1) | instskip(NEXT) | instid1(VALU_DEP_1)
	v_cmp_lt_i64_e64 s8, s[4:5], s[22:23]
	s_and_b32 s8, s8, exec_lo
	s_cselect_b32 s8, s4, s22
	s_cselect_b32 s9, s5, 0
	s_sub_u32 s4, s4, s8
	s_subb_u32 s5, s5, s9
	s_lshl_b32 s8, s22, 1
	s_delay_alu instid0(SALU_CYCLE_1) | instskip(SKIP_2) | instid1(SALU_CYCLE_1)
	s_add_u32 s26, s0, s8
	s_addc_u32 s27, s1, 0
	s_lshl_b32 s0, s22, 2
	s_add_u32 s6, s6, s0
	s_addc_u32 s7, s7, 0
	s_add_u32 s8, s2, s0
	s_addc_u32 s9, s3, 0
.LBB665_71:
	s_load_b32 s0, s[16:17], 0x0
	v_mov_b32_e32 v2, 0
	s_mov_b32 s2, 0
	s_mov_b32 s3, s5
	s_waitcnt lgkmcnt(0)
	s_cmp_lt_u32 s15, s0
	s_cselect_b32 s0, 12, 18
	s_delay_alu instid0(SALU_CYCLE_1) | instskip(SKIP_4) | instid1(VALU_DEP_1)
	s_add_u32 s0, s16, s0
	s_addc_u32 s1, s17, 0
	global_load_u16 v2, v2, s[0:1]
	s_waitcnt vmcnt(0)
	v_readfirstlane_b32 s0, v2
	s_and_b32 s11, s0, 0xffff
	s_delay_alu instid0(SALU_CYCLE_1)
	s_lshl_b32 s14, s11, 2
	s_cmp_lg_u64 s[2:3], 0
	s_cbranch_scc0 .LBB665_94
; %bb.72:
	v_cvt_f32_ubyte0_e32 v2, 0
	v_cvt_f32_u32_e32 v3, s14
	s_sub_u32 s3, 0, s14
	s_subb_u32 s23, 0, 0
	s_delay_alu instid0(VALU_DEP_1) | instskip(NEXT) | instid1(VALU_DEP_1)
	v_fmamk_f32 v2, v2, 0x4f800000, v3
	v_rcp_f32_e32 v2, v2
	s_waitcnt_depctr 0xfff
	v_mul_f32_e32 v2, 0x5f7ffffc, v2
	s_delay_alu instid0(VALU_DEP_1) | instskip(NEXT) | instid1(VALU_DEP_1)
	v_mul_f32_e32 v3, 0x2f800000, v2
	v_trunc_f32_e32 v3, v3
	s_delay_alu instid0(VALU_DEP_1) | instskip(SKIP_1) | instid1(VALU_DEP_2)
	v_fmamk_f32 v2, v3, 0xcf800000, v2
	v_cvt_u32_f32_e32 v3, v3
	v_cvt_u32_f32_e32 v2, v2
	s_delay_alu instid0(VALU_DEP_2) | instskip(NEXT) | instid1(VALU_DEP_2)
	v_readfirstlane_b32 s0, v3
	v_readfirstlane_b32 s1, v2
	s_delay_alu instid0(VALU_DEP_2) | instskip(NEXT) | instid1(VALU_DEP_1)
	s_mul_i32 s25, s3, s0
	s_mul_hi_u32 s29, s3, s1
	s_mul_i32 s28, s23, s1
	s_add_i32 s25, s29, s25
	s_mul_i32 s30, s3, s1
	s_add_i32 s25, s25, s28
	s_mul_hi_u32 s29, s1, s30
	s_mul_hi_u32 s31, s0, s30
	s_mul_i32 s28, s0, s30
	s_mul_hi_u32 s30, s1, s25
	s_mul_i32 s1, s1, s25
	s_mul_hi_u32 s34, s0, s25
	s_add_u32 s1, s29, s1
	s_addc_u32 s29, 0, s30
	s_add_u32 s1, s1, s28
	s_mul_i32 s25, s0, s25
	s_addc_u32 s1, s29, s31
	s_addc_u32 s28, s34, 0
	s_add_u32 s1, s1, s25
	s_addc_u32 s25, 0, s28
	v_add_co_u32 v2, s1, v2, s1
	s_delay_alu instid0(VALU_DEP_1) | instskip(SKIP_1) | instid1(VALU_DEP_1)
	s_cmp_lg_u32 s1, 0
	s_addc_u32 s0, s0, s25
	v_readfirstlane_b32 s1, v2
	s_mul_i32 s25, s3, s0
	s_delay_alu instid0(VALU_DEP_1)
	s_mul_hi_u32 s28, s3, s1
	s_mul_i32 s23, s23, s1
	s_add_i32 s25, s28, s25
	s_mul_i32 s3, s3, s1
	s_add_i32 s25, s25, s23
	s_mul_hi_u32 s28, s0, s3
	s_mul_i32 s29, s0, s3
	s_mul_hi_u32 s3, s1, s3
	s_mul_hi_u32 s30, s1, s25
	s_mul_i32 s1, s1, s25
	s_mul_hi_u32 s23, s0, s25
	s_add_u32 s1, s3, s1
	s_addc_u32 s3, 0, s30
	s_add_u32 s1, s1, s29
	s_mul_i32 s25, s0, s25
	s_addc_u32 s1, s3, s28
	s_addc_u32 s3, s23, 0
	s_add_u32 s1, s1, s25
	s_addc_u32 s3, 0, s3
	v_add_co_u32 v2, s1, v2, s1
	s_delay_alu instid0(VALU_DEP_1) | instskip(SKIP_2) | instid1(VALU_DEP_1)
	s_cmp_lg_u32 s1, 0
	s_addc_u32 s3, s0, s3
	s_ashr_i32 s28, s5, 31
	v_readfirstlane_b32 s23, v2
	s_add_u32 s0, s4, s28
	s_mov_b32 s29, s28
	s_addc_u32 s1, s5, s28
	s_delay_alu instid0(SALU_CYCLE_1) | instskip(NEXT) | instid1(SALU_CYCLE_1)
	s_xor_b64 s[0:1], s[0:1], s[28:29]
	s_mul_i32 s29, s0, s3
	s_mul_hi_u32 s30, s0, s23
	s_mul_hi_u32 s25, s0, s3
	;; [unrolled: 1-line block ×3, first 2 shown]
	s_mul_i32 s23, s1, s23
	s_add_u32 s29, s30, s29
	s_addc_u32 s25, 0, s25
	s_mul_hi_u32 s31, s1, s3
	s_add_u32 s23, s29, s23
	s_mul_i32 s3, s1, s3
	s_addc_u32 s23, s25, s34
	s_addc_u32 s25, s31, 0
	s_add_u32 s3, s23, s3
	s_addc_u32 s23, 0, s25
	s_mul_hi_u32 s25, s14, s3
	s_mul_i32 s3, s14, s3
	s_mul_i32 s23, s14, s23
	v_sub_co_u32 v2, s0, s0, s3
	s_add_i32 s25, s25, s23
	s_cmp_lg_u32 s0, 0
	s_delay_alu instid0(VALU_DEP_1) | instskip(SKIP_2) | instid1(VALU_DEP_1)
	v_sub_co_u32 v3, s0, v2, s14
	s_subb_u32 s1, s1, s25
	s_cmp_lg_u32 s0, 0
	v_cmp_le_u32_e32 vcc_lo, s14, v3
	v_sub_co_u32 v4, s0, v3, s14
	s_subb_u32 s3, s1, 0
	s_cmp_lg_u32 s0, 0
	v_cndmask_b32_e64 v5, 0, -1, vcc_lo
	s_subb_u32 s0, s3, 0
	s_cmp_eq_u32 s3, 0
	v_mov_b32_e32 v7, s0
	s_cselect_b32 vcc_lo, -1, 0
	s_cmp_eq_u32 s1, 0
	v_cndmask_b32_e32 v5, -1, v5, vcc_lo
	v_cmp_le_u32_e32 vcc_lo, s14, v2
	s_cselect_b32 s0, -1, 0
	v_cndmask_b32_e64 v6, 0, -1, vcc_lo
	s_delay_alu instid0(VALU_DEP_3) | instskip(NEXT) | instid1(VALU_DEP_2)
	v_cmp_ne_u32_e32 vcc_lo, 0, v5
	v_cndmask_b32_e64 v5, -1, v6, s0
	v_cndmask_b32_e32 v6, s3, v7, vcc_lo
	v_cndmask_b32_e32 v3, v3, v4, vcc_lo
	s_delay_alu instid0(VALU_DEP_3) | instskip(NEXT) | instid1(VALU_DEP_2)
	v_cmp_ne_u32_e32 vcc_lo, 0, v5
	v_cndmask_b32_e32 v2, v2, v3, vcc_lo
	s_delay_alu instid0(VALU_DEP_4) | instskip(NEXT) | instid1(VALU_DEP_2)
	v_cndmask_b32_e32 v4, s1, v6, vcc_lo
	v_xor_b32_e32 v2, s28, v2
	s_delay_alu instid0(VALU_DEP_2) | instskip(NEXT) | instid1(VALU_DEP_2)
	v_xor_b32_e32 v3, s28, v4
	v_sub_co_u32 v2, vcc_lo, v2, s28
	s_delay_alu instid0(VALU_DEP_2)
	v_subrev_co_ci_u32_e32 v3, vcc_lo, s28, v3, vcc_lo
	s_and_not1_b32 vcc_lo, exec_lo, s2
	s_cbranch_vccnz .LBB665_74
.LBB665_73:
	v_cvt_f32_u32_e32 v2, s14
	s_sub_i32 s0, 0, s14
	s_delay_alu instid0(VALU_DEP_1) | instskip(SKIP_2) | instid1(VALU_DEP_1)
	v_rcp_iflag_f32_e32 v2, v2
	s_waitcnt_depctr 0xfff
	v_mul_f32_e32 v2, 0x4f7ffffe, v2
	v_cvt_u32_f32_e32 v2, v2
	s_delay_alu instid0(VALU_DEP_1) | instskip(NEXT) | instid1(VALU_DEP_1)
	v_mul_lo_u32 v3, s0, v2
	v_mul_hi_u32 v3, v2, v3
	s_delay_alu instid0(VALU_DEP_1) | instskip(NEXT) | instid1(VALU_DEP_1)
	v_add_nc_u32_e32 v2, v2, v3
	v_mul_hi_u32 v2, s4, v2
	s_delay_alu instid0(VALU_DEP_1) | instskip(NEXT) | instid1(VALU_DEP_1)
	v_mul_lo_u32 v2, v2, s14
	v_sub_nc_u32_e32 v2, s4, v2
	s_delay_alu instid0(VALU_DEP_1) | instskip(SKIP_1) | instid1(VALU_DEP_2)
	v_subrev_nc_u32_e32 v3, s14, v2
	v_cmp_le_u32_e32 vcc_lo, s14, v2
	v_cndmask_b32_e32 v2, v2, v3, vcc_lo
	s_delay_alu instid0(VALU_DEP_1) | instskip(SKIP_1) | instid1(VALU_DEP_2)
	v_subrev_nc_u32_e32 v3, s14, v2
	v_cmp_le_u32_e32 vcc_lo, s14, v2
	v_dual_cndmask_b32 v2, v2, v3 :: v_dual_mov_b32 v3, 0
.LBB665_74:
	s_delay_alu instid0(VALU_DEP_1) | instskip(SKIP_1) | instid1(VALU_DEP_3)
	v_sub_co_u32 v2, vcc_lo, s4, v2
	v_lshlrev_b64 v[4:5], 2, v[0:1]
	v_sub_co_ci_u32_e32 v3, vcc_lo, s5, v3, vcc_lo
	s_mov_b32 s23, exec_lo
	s_delay_alu instid0(VALU_DEP_1)
	v_cmpx_lt_i64_e64 v[4:5], v[2:3]
	s_cbranch_execz .LBB665_77
; %bb.75:
	v_lshlrev_b64 v[4:5], 3, v[0:1]
	v_lshlrev_b64 v[6:7], 4, v[0:1]
	v_dual_mov_b32 v9, v1 :: v_dual_mov_b32 v8, v0
	s_lshl_b32 s25, s11, 3
	s_mov_b32 s34, 0
	s_delay_alu instid0(VALU_DEP_3)
	v_add_co_u32 v4, vcc_lo, s26, v4
	v_add_co_ci_u32_e32 v5, vcc_lo, s27, v5, vcc_lo
	s_lshl_b32 s35, s11, 4
	s_mov_b64 s[28:29], s[8:9]
	s_mov_b64 s[30:31], s[6:7]
.LBB665_76:                             ; =>This Inner Loop Header: Depth=1
	s_delay_alu instid0(SALU_CYCLE_1)
	v_add_co_u32 v11, vcc_lo, s30, v6
	v_add_co_ci_u32_e32 v12, vcc_lo, s31, v7, vcc_lo
	v_add_co_u32 v15, vcc_lo, s28, v6
	v_add_co_ci_u32_e32 v16, vcc_lo, s29, v7, vcc_lo
	v_add_co_u32 v8, vcc_lo, v8, s11
	global_load_b128 v[11:14], v[11:12], off
	global_load_b128 v[15:18], v[15:16], off
	v_add_co_ci_u32_e32 v9, vcc_lo, 0, v9, vcc_lo
	s_add_u32 s30, s30, s35
	s_addc_u32 s31, s31, 0
	s_add_u32 s28, s28, s35
	s_delay_alu instid0(VALU_DEP_1) | instskip(SKIP_1) | instid1(VALU_DEP_1)
	v_lshlrev_b64 v[19:20], 2, v[8:9]
	s_addc_u32 s29, s29, 0
	v_cmp_ge_i64_e32 vcc_lo, v[19:20], v[2:3]
	s_or_b32 s34, vcc_lo, s34
	s_waitcnt vmcnt(0)
	v_fma_f32 v1, -v10, v11, v15
	v_fma_f32 v11, -v10, v12, v16
	;; [unrolled: 1-line block ×4, first 2 shown]
	s_delay_alu instid0(VALU_DEP_4) | instskip(NEXT) | instid1(VALU_DEP_4)
	v_bfe_u32 v14, v1, 16, 1
	v_bfe_u32 v15, v11, 16, 1
	s_delay_alu instid0(VALU_DEP_4) | instskip(NEXT) | instid1(VALU_DEP_4)
	v_bfe_u32 v16, v12, 16, 1
	v_bfe_u32 v17, v13, 16, 1
	v_cmp_o_f32_e64 s2, v1, v1
	v_add3_u32 v14, v1, v14, 0x7fff
	v_add3_u32 v15, v11, v15, 0x7fff
	;; [unrolled: 1-line block ×4, first 2 shown]
	v_cmp_o_f32_e64 s3, v11, v11
	v_lshrrev_b32_e32 v14, 16, v14
	v_and_b32_e32 v15, 0xffff0000, v15
	v_lshrrev_b32_e32 v16, 16, v16
	v_and_b32_e32 v17, 0xffff0000, v17
	v_cmp_o_f32_e64 s0, v13, v13
	v_cmp_o_f32_e64 s1, v12, v12
	v_cndmask_b32_e64 v1, 0x7fc00000, v15, s3
	v_cndmask_b32_e64 v11, 0x7fc0, v14, s2
	s_delay_alu instid0(VALU_DEP_4) | instskip(NEXT) | instid1(VALU_DEP_4)
	v_cndmask_b32_e64 v12, 0x7fc00000, v17, s0
	v_cndmask_b32_e64 v13, 0x7fc0, v16, s1
	s_delay_alu instid0(VALU_DEP_3) | instskip(NEXT) | instid1(VALU_DEP_2)
	v_or_b32_e32 v1, v1, v11
	v_or3_b32 v12, 0, v13, v12
	s_delay_alu instid0(VALU_DEP_2) | instskip(SKIP_2) | instid1(VALU_DEP_1)
	v_or3_b32 v11, v1, 0, 0
	global_store_b64 v[4:5], v[11:12], off
	v_add_co_u32 v4, s0, v4, s25
	v_add_co_ci_u32_e64 v5, s0, 0, v5, s0
	s_and_not1_b32 exec_lo, exec_lo, s34
	s_cbranch_execnz .LBB665_76
.LBB665_77:
	s_or_b32 exec_lo, exec_lo, s23
	v_add_co_u32 v1, vcc_lo, v2, v0
	v_add_co_ci_u32_e32 v2, vcc_lo, 0, v3, vcc_lo
	s_mov_b32 s1, exec_lo
	s_delay_alu instid0(VALU_DEP_1)
	v_cmpx_gt_i64_e64 s[4:5], v[1:2]
	s_cbranch_execz .LBB665_80
; %bb.78:
	v_lshlrev_b64 v[5:6], 1, v[1:2]
	v_lshlrev_b64 v[3:4], 2, v[1:2]
	s_lshl_b32 s2, s11, 1
	s_mov_b32 s3, 0
	s_delay_alu instid0(VALU_DEP_2) | instskip(NEXT) | instid1(VALU_DEP_3)
	v_add_co_u32 v5, vcc_lo, s26, v5
	v_add_co_ci_u32_e32 v6, vcc_lo, s27, v6, vcc_lo
	s_set_inst_prefetch_distance 0x1
	.p2align	6
.LBB665_79:                             ; =>This Inner Loop Header: Depth=1
	v_add_co_u32 v7, vcc_lo, s8, v3
	v_add_co_ci_u32_e32 v8, vcc_lo, s9, v4, vcc_lo
	v_add_co_u32 v11, vcc_lo, s6, v3
	v_add_co_ci_u32_e32 v12, vcc_lo, s7, v4, vcc_lo
	v_add_co_u32 v1, vcc_lo, v1, s11
	global_load_b32 v7, v[7:8], off
	global_load_b32 v8, v[11:12], off
	v_add_co_ci_u32_e32 v2, vcc_lo, 0, v2, vcc_lo
	v_add_co_u32 v3, vcc_lo, v3, s14
	v_add_co_ci_u32_e32 v4, vcc_lo, 0, v4, vcc_lo
	s_delay_alu instid0(VALU_DEP_3) | instskip(SKIP_3) | instid1(VALU_DEP_1)
	v_cmp_le_i64_e32 vcc_lo, s[4:5], v[1:2]
	s_or_b32 s3, vcc_lo, s3
	s_waitcnt vmcnt(0)
	v_fma_f32 v7, -v10, v8, v7
	v_bfe_u32 v8, v7, 16, 1
	v_cmp_o_f32_e64 s0, v7, v7
	s_delay_alu instid0(VALU_DEP_2) | instskip(NEXT) | instid1(VALU_DEP_1)
	v_add3_u32 v8, v7, v8, 0x7fff
	v_lshrrev_b32_e32 v8, 16, v8
	s_delay_alu instid0(VALU_DEP_1) | instskip(SKIP_2) | instid1(VALU_DEP_1)
	v_cndmask_b32_e64 v7, 0x7fc0, v8, s0
	global_store_b16 v[5:6], v7, off
	v_add_co_u32 v5, s0, v5, s2
	v_add_co_ci_u32_e64 v6, s0, 0, v6, s0
	s_and_not1_b32 exec_lo, exec_lo, s3
	s_cbranch_execnz .LBB665_79
.LBB665_80:
	s_set_inst_prefetch_distance 0x2
	s_or_b32 exec_lo, exec_lo, s1
	s_mov_b32 s1, 0
.LBB665_81:
	s_delay_alu instid0(SALU_CYCLE_1)
	s_and_b32 vcc_lo, exec_lo, s1
	s_cbranch_vccz .LBB665_93
; %bb.82:
	s_and_not1_b32 vcc_lo, exec_lo, s33
	s_cbranch_vccnz .LBB665_86
; %bb.83:
	s_lshl_b32 s0, s24, 1
	s_mov_b32 s6, exec_lo
	s_sub_u32 s3, s18, s0
	s_subb_u32 s4, s19, 0
	s_lshl_b32 s1, s24, 2
	s_delay_alu instid0(SALU_CYCLE_1)
	s_sub_u32 s0, s20, s1
	s_subb_u32 s5, s21, 0
	s_sub_u32 s1, s12, s1
	s_subb_u32 s2, s13, 0
	v_cmpx_le_u32_e64 s24, v0
	s_cbranch_execz .LBB665_85
; %bb.84:
	v_mov_b32_e32 v1, 0
	s_delay_alu instid0(VALU_DEP_1) | instskip(NEXT) | instid1(VALU_DEP_1)
	v_lshlrev_b64 v[2:3], 2, v[0:1]
	v_add_co_u32 v4, vcc_lo, s1, v2
	s_delay_alu instid0(VALU_DEP_2)
	v_add_co_ci_u32_e32 v5, vcc_lo, s2, v3, vcc_lo
	v_add_co_u32 v2, vcc_lo, s0, v2
	v_add_co_ci_u32_e32 v3, vcc_lo, s5, v3, vcc_lo
	global_load_b32 v4, v[4:5], off
	global_load_b32 v2, v[2:3], off
	s_waitcnt vmcnt(0) lgkmcnt(0)
	v_fma_f32 v3, -v10, v2, v4
	s_delay_alu instid0(VALU_DEP_1) | instskip(SKIP_1) | instid1(VALU_DEP_2)
	v_bfe_u32 v2, v3, 16, 1
	v_cmp_o_f32_e32 vcc_lo, v3, v3
	v_add3_u32 v2, v3, v2, 0x7fff
	s_delay_alu instid0(VALU_DEP_1) | instskip(SKIP_1) | instid1(VALU_DEP_2)
	v_lshrrev_b32_e32 v4, 16, v2
	v_lshlrev_b64 v[1:2], 1, v[0:1]
	v_cndmask_b32_e32 v3, 0x7fc0, v4, vcc_lo
	s_delay_alu instid0(VALU_DEP_2) | instskip(NEXT) | instid1(VALU_DEP_3)
	v_add_co_u32 v1, vcc_lo, s3, v1
	v_add_co_ci_u32_e32 v2, vcc_lo, s4, v2, vcc_lo
	global_store_b16 v[1:2], v3, off
.LBB665_85:
	s_or_b32 exec_lo, exec_lo, s6
	s_add_i32 s6, s24, s10
	s_lshl_b32 s7, s22, 1
	v_sub_nc_u32_e64 v1, s6, s22 clamp
	s_add_u32 s18, s3, s7
	s_addc_u32 s19, s4, 0
	s_lshl_b32 s3, s22, 2
	s_delay_alu instid0(SALU_CYCLE_1)
	s_add_u32 s20, s0, s3
	v_readfirstlane_b32 s10, v1
	s_addc_u32 s21, s5, 0
	s_add_u32 s12, s1, s3
	s_addc_u32 s13, s2, 0
.LBB665_86:
	s_load_b32 s0, s[16:17], 0x0
	v_mov_b32_e32 v1, 0
	s_waitcnt lgkmcnt(0)
	s_cmp_lt_u32 s15, s0
	s_cselect_b32 s0, 12, 18
	s_delay_alu instid0(SALU_CYCLE_1) | instskip(SKIP_4) | instid1(VALU_DEP_1)
	s_add_u32 s0, s16, s0
	s_addc_u32 s1, s17, 0
	global_load_u16 v3, v1, s[0:1]
	s_waitcnt vmcnt(0)
	v_readfirstlane_b32 s0, v3
	s_lshl_b32 s0, s0, 2
	s_delay_alu instid0(SALU_CYCLE_1) | instskip(SKIP_1) | instid1(VALU_DEP_1)
	v_cvt_f32_u32_e32 v1, s0
	s_sub_i32 s2, 0, s0
	v_rcp_iflag_f32_e32 v1, v1
	s_waitcnt_depctr 0xfff
	v_mul_f32_e32 v1, 0x4f7ffffe, v1
	s_delay_alu instid0(VALU_DEP_1) | instskip(NEXT) | instid1(VALU_DEP_1)
	v_cvt_u32_f32_e32 v1, v1
	v_readfirstlane_b32 s1, v1
	v_lshlrev_b32_e32 v1, 2, v0
	s_delay_alu instid0(VALU_DEP_2) | instskip(NEXT) | instid1(SALU_CYCLE_1)
	s_mul_i32 s2, s2, s1
	s_mul_hi_u32 s2, s1, s2
	s_delay_alu instid0(SALU_CYCLE_1) | instskip(NEXT) | instid1(SALU_CYCLE_1)
	s_add_i32 s1, s1, s2
	s_mul_hi_u32 s1, s10, s1
	s_delay_alu instid0(SALU_CYCLE_1) | instskip(NEXT) | instid1(SALU_CYCLE_1)
	s_mul_i32 s1, s1, s0
	s_sub_i32 s1, s10, s1
	s_delay_alu instid0(SALU_CYCLE_1) | instskip(SKIP_2) | instid1(SALU_CYCLE_1)
	s_sub_i32 s2, s1, s0
	s_cmp_ge_u32 s1, s0
	s_cselect_b32 s1, s2, s1
	s_sub_i32 s2, s1, s0
	s_cmp_ge_u32 s1, s0
	s_cselect_b32 s0, s2, s1
	s_mov_b32 s2, 0
	s_sub_i32 s0, s10, s0
	s_mov_b32 s1, exec_lo
	v_cmpx_gt_i32_e64 s0, v1
	s_cbranch_execz .LBB665_89
; %bb.87:
	v_mov_b32_e32 v1, v0
.LBB665_88:                             ; =>This Inner Loop Header: Depth=1
	s_delay_alu instid0(VALU_DEP_1) | instskip(NEXT) | instid1(VALU_DEP_1)
	v_ashrrev_i32_e32 v2, 31, v1
	v_lshlrev_b64 v[4:5], 4, v[1:2]
	s_delay_alu instid0(VALU_DEP_1) | instskip(NEXT) | instid1(VALU_DEP_2)
	v_add_co_u32 v6, vcc_lo, s20, v4
	v_add_co_ci_u32_e32 v7, vcc_lo, s21, v5, vcc_lo
	v_add_co_u32 v8, vcc_lo, s12, v4
	v_add_co_ci_u32_e32 v9, vcc_lo, s13, v5, vcc_lo
	global_load_b128 v[4:7], v[6:7], off
	global_load_b128 v[11:14], v[8:9], off
	s_waitcnt vmcnt(0)
	v_fma_f32 v8, -v10, v5, v12
	v_fma_f32 v9, -v10, v4, v11
	v_lshlrev_b64 v[4:5], 3, v[1:2]
	v_fma_f32 v7, -v10, v7, v14
	v_fma_f32 v6, -v10, v6, v13
	v_bfe_u32 v2, v8, 16, 1
	v_bfe_u32 v11, v9, 16, 1
	v_cmp_o_f32_e32 vcc_lo, v8, v8
	v_bfe_u32 v13, v7, 16, 1
	v_bfe_u32 v12, v6, 16, 1
	v_add3_u32 v2, v8, v2, 0x7fff
	v_add3_u32 v11, v9, v11, 0x7fff
	s_delay_alu instid0(VALU_DEP_4) | instskip(NEXT) | instid1(VALU_DEP_4)
	v_add3_u32 v13, v7, v13, 0x7fff
	v_add3_u32 v12, v6, v12, 0x7fff
	s_delay_alu instid0(VALU_DEP_4)
	v_and_b32_e32 v2, 0xffff0000, v2
	v_add_nc_u32_e32 v1, v1, v3
	v_lshrrev_b32_e32 v11, 16, v11
	v_and_b32_e32 v13, 0xffff0000, v13
	v_lshrrev_b32_e32 v12, 16, v12
	v_cndmask_b32_e32 v2, 0x7fc00000, v2, vcc_lo
	v_cmp_o_f32_e32 vcc_lo, v9, v9
	v_lshlrev_b32_e32 v14, 2, v1
	v_cndmask_b32_e32 v8, 0x7fc0, v11, vcc_lo
	v_cmp_o_f32_e32 vcc_lo, v7, v7
	s_delay_alu instid0(VALU_DEP_2)
	v_or_b32_e32 v2, v2, v8
	v_cndmask_b32_e32 v7, 0x7fc00000, v13, vcc_lo
	v_cmp_o_f32_e32 vcc_lo, v6, v6
	v_cndmask_b32_e32 v6, 0x7fc0, v12, vcc_lo
	v_add_co_u32 v4, vcc_lo, s18, v4
	v_add_co_ci_u32_e32 v5, vcc_lo, s19, v5, vcc_lo
	v_cmp_le_i32_e32 vcc_lo, s0, v14
	s_delay_alu instid0(VALU_DEP_4)
	v_or3_b32 v7, 0, v6, v7
	v_or3_b32 v6, v2, 0, 0
	s_or_b32 s2, vcc_lo, s2
	global_store_b64 v[4:5], v[6:7], off
	s_and_not1_b32 exec_lo, exec_lo, s2
	s_cbranch_execnz .LBB665_88
.LBB665_89:
	s_or_b32 exec_lo, exec_lo, s1
	v_add_nc_u32_e32 v0, s0, v0
	s_mov_b32 s0, exec_lo
	s_delay_alu instid0(VALU_DEP_1)
	v_cmpx_gt_i32_e64 s10, v0
	s_cbranch_execz .LBB665_93
; %bb.90:
	s_mov_b32 s1, 0
	s_set_inst_prefetch_distance 0x1
	.p2align	6
.LBB665_91:                             ; =>This Inner Loop Header: Depth=1
	v_ashrrev_i32_e32 v1, 31, v0
	s_delay_alu instid0(VALU_DEP_1) | instskip(NEXT) | instid1(VALU_DEP_1)
	v_lshlrev_b64 v[4:5], 2, v[0:1]
	v_add_co_u32 v6, vcc_lo, s12, v4
	s_delay_alu instid0(VALU_DEP_2)
	v_add_co_ci_u32_e32 v7, vcc_lo, s13, v5, vcc_lo
	v_add_co_u32 v4, vcc_lo, s20, v4
	v_add_co_ci_u32_e32 v5, vcc_lo, s21, v5, vcc_lo
	global_load_b32 v2, v[6:7], off
	global_load_b32 v4, v[4:5], off
	s_waitcnt vmcnt(0)
	v_fma_f32 v4, -v10, v4, v2
	s_delay_alu instid0(VALU_DEP_1) | instskip(SKIP_1) | instid1(VALU_DEP_2)
	v_bfe_u32 v2, v4, 16, 1
	v_cmp_o_f32_e64 s0, v4, v4
	v_add3_u32 v5, v4, v2, 0x7fff
	v_lshlrev_b64 v[1:2], 1, v[0:1]
	v_add_nc_u32_e32 v0, v0, v3
	s_delay_alu instid0(VALU_DEP_3) | instskip(NEXT) | instid1(VALU_DEP_2)
	v_lshrrev_b32_e32 v5, 16, v5
	v_cmp_le_i32_e32 vcc_lo, s10, v0
	s_delay_alu instid0(VALU_DEP_2) | instskip(SKIP_1) | instid1(VALU_DEP_1)
	v_cndmask_b32_e64 v4, 0x7fc0, v5, s0
	v_add_co_u32 v1, s0, s18, v1
	v_add_co_ci_u32_e64 v2, s0, s19, v2, s0
	s_or_b32 s1, vcc_lo, s1
	global_store_b16 v[1:2], v4, off
	s_and_not1_b32 exec_lo, exec_lo, s1
	s_cbranch_execnz .LBB665_91
	s_branch .LBB665_93
.LBB665_92:
	s_cbranch_execz .LBB665_66
.LBB665_93:
	s_set_inst_prefetch_distance 0x2
	s_nop 0
	s_sendmsg sendmsg(MSG_DEALLOC_VGPRS)
	s_endpgm
.LBB665_94:
                                        ; implicit-def: $vgpr2_vgpr3
	s_branch .LBB665_73
	.section	.rodata,"a",@progbits
	.p2align	6, 0x0
	.amdhsa_kernel _ZN2at6native12_GLOBAL__N_120cunn_SoftMaxBackwardILi4EN3c108BFloat16EffNS1_23SoftMaxBackwardEpilogueEEEvPT0_PKT2_SA_l
		.amdhsa_group_segment_fixed_size 0
		.amdhsa_private_segment_fixed_size 0
		.amdhsa_kernarg_size 288
		.amdhsa_user_sgpr_count 15
		.amdhsa_user_sgpr_dispatch_ptr 0
		.amdhsa_user_sgpr_queue_ptr 0
		.amdhsa_user_sgpr_kernarg_segment_ptr 1
		.amdhsa_user_sgpr_dispatch_id 0
		.amdhsa_user_sgpr_private_segment_size 0
		.amdhsa_wavefront_size32 1
		.amdhsa_uses_dynamic_stack 0
		.amdhsa_enable_private_segment 0
		.amdhsa_system_sgpr_workgroup_id_x 1
		.amdhsa_system_sgpr_workgroup_id_y 0
		.amdhsa_system_sgpr_workgroup_id_z 0
		.amdhsa_system_sgpr_workgroup_info 0
		.amdhsa_system_vgpr_workitem_id 0
		.amdhsa_next_free_vgpr 27
		.amdhsa_next_free_sgpr 57
		.amdhsa_reserve_vcc 1
		.amdhsa_float_round_mode_32 0
		.amdhsa_float_round_mode_16_64 0
		.amdhsa_float_denorm_mode_32 3
		.amdhsa_float_denorm_mode_16_64 3
		.amdhsa_dx10_clamp 1
		.amdhsa_ieee_mode 1
		.amdhsa_fp16_overflow 0
		.amdhsa_workgroup_processor_mode 1
		.amdhsa_memory_ordered 1
		.amdhsa_forward_progress 0
		.amdhsa_shared_vgpr_count 0
		.amdhsa_exception_fp_ieee_invalid_op 0
		.amdhsa_exception_fp_denorm_src 0
		.amdhsa_exception_fp_ieee_div_zero 0
		.amdhsa_exception_fp_ieee_overflow 0
		.amdhsa_exception_fp_ieee_underflow 0
		.amdhsa_exception_fp_ieee_inexact 0
		.amdhsa_exception_int_div_zero 0
	.end_amdhsa_kernel
	.section	.text._ZN2at6native12_GLOBAL__N_120cunn_SoftMaxBackwardILi4EN3c108BFloat16EffNS1_23SoftMaxBackwardEpilogueEEEvPT0_PKT2_SA_l,"axG",@progbits,_ZN2at6native12_GLOBAL__N_120cunn_SoftMaxBackwardILi4EN3c108BFloat16EffNS1_23SoftMaxBackwardEpilogueEEEvPT0_PKT2_SA_l,comdat
.Lfunc_end665:
	.size	_ZN2at6native12_GLOBAL__N_120cunn_SoftMaxBackwardILi4EN3c108BFloat16EffNS1_23SoftMaxBackwardEpilogueEEEvPT0_PKT2_SA_l, .Lfunc_end665-_ZN2at6native12_GLOBAL__N_120cunn_SoftMaxBackwardILi4EN3c108BFloat16EffNS1_23SoftMaxBackwardEpilogueEEEvPT0_PKT2_SA_l
                                        ; -- End function
	.section	.AMDGPU.csdata,"",@progbits
; Kernel info:
; codeLenInByte = 7908
; NumSgprs: 59
; NumVgprs: 27
; ScratchSize: 0
; MemoryBound: 0
; FloatMode: 240
; IeeeMode: 1
; LDSByteSize: 0 bytes/workgroup (compile time only)
; SGPRBlocks: 7
; VGPRBlocks: 3
; NumSGPRsForWavesPerEU: 59
; NumVGPRsForWavesPerEU: 27
; Occupancy: 16
; WaveLimiterHint : 0
; COMPUTE_PGM_RSRC2:SCRATCH_EN: 0
; COMPUTE_PGM_RSRC2:USER_SGPR: 15
; COMPUTE_PGM_RSRC2:TRAP_HANDLER: 0
; COMPUTE_PGM_RSRC2:TGID_X_EN: 1
; COMPUTE_PGM_RSRC2:TGID_Y_EN: 0
; COMPUTE_PGM_RSRC2:TGID_Z_EN: 0
; COMPUTE_PGM_RSRC2:TIDIG_COMP_CNT: 0
	.section	.text._ZN2at6native12_GLOBAL__N_127cunn_SpatialSoftMaxBackwardIdddNS1_23SoftMaxBackwardEpilogueEEEvPT_PKT1_S8_jjj,"axG",@progbits,_ZN2at6native12_GLOBAL__N_127cunn_SpatialSoftMaxBackwardIdddNS1_23SoftMaxBackwardEpilogueEEEvPT_PKT1_S8_jjj,comdat
	.globl	_ZN2at6native12_GLOBAL__N_127cunn_SpatialSoftMaxBackwardIdddNS1_23SoftMaxBackwardEpilogueEEEvPT_PKT1_S8_jjj ; -- Begin function _ZN2at6native12_GLOBAL__N_127cunn_SpatialSoftMaxBackwardIdddNS1_23SoftMaxBackwardEpilogueEEEvPT_PKT1_S8_jjj
	.p2align	8
	.type	_ZN2at6native12_GLOBAL__N_127cunn_SpatialSoftMaxBackwardIdddNS1_23SoftMaxBackwardEpilogueEEEvPT_PKT1_S8_jjj,@function
_ZN2at6native12_GLOBAL__N_127cunn_SpatialSoftMaxBackwardIdddNS1_23SoftMaxBackwardEpilogueEEEvPT_PKT1_S8_jjj: ; @_ZN2at6native12_GLOBAL__N_127cunn_SpatialSoftMaxBackwardIdddNS1_23SoftMaxBackwardEpilogueEEEvPT_PKT1_S8_jjj
; %bb.0:
	s_load_b128 s[4:7], s[0:1], 0x18
	s_waitcnt lgkmcnt(0)
	s_cmp_ge_u32 s14, s4
	s_cbranch_scc1 .LBB666_26
; %bb.1:
	s_clause 0x1
	s_load_b32 s2, s[0:1], 0x34
	s_load_b64 s[12:13], s[0:1], 0x28
	v_and_b32_e32 v4, 0x3ff, v0
	s_mul_i32 s3, s14, s5
	s_clause 0x1
	s_load_b128 s[8:11], s[0:1], 0x0
	s_load_b64 s[16:17], s[0:1], 0x10
	s_add_u32 s18, s0, 40
	v_bfe_u32 v5, v0, 10, 10
	v_add_nc_u32_e32 v1, s3, v4
	s_addc_u32 s19, s1, 0
	s_mul_i32 s1, s3, s6
	s_delay_alu instid0(VALU_DEP_1)
	v_mul_lo_u32 v0, s6, v1
	v_mov_b32_e32 v1, 0
	v_cmp_gt_u32_e64 s0, s5, v4
	s_waitcnt lgkmcnt(0)
	s_lshr_b32 s2, s2, 16
	s_cmp_lg_u32 s5, 0
	s_mul_i32 s15, s15, s2
	s_cselect_b32 s3, -1, 0
	v_add_nc_u32_e32 v6, s15, v5
	v_add3_u32 v7, s15, s1, v5
	v_add3_u32 v8, v5, v0, s15
	s_mul_i32 s15, s12, s6
	s_mul_i32 s7, s13, s2
	v_cmp_gt_u32_e64 s1, s6, v6
	s_mul_i32 s13, s15, s5
	s_branch .LBB666_3
.LBB666_2:                              ;   in Loop: Header=BB666_3 Depth=1
	s_or_b32 exec_lo, exec_lo, s15
	v_add_nc_u32_e32 v7, s13, v7
	v_add_nc_u32_e32 v8, s13, v8
	s_add_i32 s14, s12, s14
	s_delay_alu instid0(SALU_CYCLE_1)
	s_cmp_ge_u32 s14, s4
	s_cbranch_scc1 .LBB666_26
.LBB666_3:                              ; =>This Loop Header: Depth=1
                                        ;     Child Loop BB666_7 Depth 2
                                        ;       Child Loop BB666_10 Depth 3
                                        ;       Child Loop BB666_12 Depth 3
	;; [unrolled: 1-line block ×5, first 2 shown]
	s_delay_alu instid0(VALU_DEP_1)
	s_and_saveexec_b32 s15, s1
	s_cbranch_execz .LBB666_2
; %bb.4:                                ;   in Loop: Header=BB666_3 Depth=1
	s_load_b32 s2, s[18:19], 0xc
	v_mov_b32_e32 v9, v8
	v_mov_b32_e32 v11, v7
	;; [unrolled: 1-line block ×3, first 2 shown]
	s_mov_b32 s23, 0
	s_waitcnt lgkmcnt(0)
	s_and_b32 s20, s2, 0xffff
	s_delay_alu instid0(SALU_CYCLE_1) | instskip(SKIP_3) | instid1(VALU_DEP_1)
	v_mul_u32_u24_e32 v0, s20, v5
	s_cmp_lt_u32 s20, 2
	s_mul_i32 s22, s6, s20
	s_cselect_b32 s21, -1, 0
	v_lshl_add_u32 v10, v0, 3, 0
	s_delay_alu instid0(VALU_DEP_1)
	v_lshl_add_u32 v12, v4, 3, v10
	s_branch .LBB666_7
.LBB666_5:                              ;   in Loop: Header=BB666_7 Depth=2
	s_or_b32 exec_lo, exec_lo, s24
.LBB666_6:                              ;   in Loop: Header=BB666_7 Depth=2
	v_add_nc_u32_e32 v13, s7, v13
	v_add_nc_u32_e32 v11, s7, v11
	;; [unrolled: 1-line block ×3, first 2 shown]
	s_delay_alu instid0(VALU_DEP_3) | instskip(SKIP_1) | instid1(SALU_CYCLE_1)
	v_cmp_le_u32_e32 vcc_lo, s6, v13
	s_or_b32 s23, vcc_lo, s23
	s_and_not1_b32 exec_lo, exec_lo, s23
	s_cbranch_execz .LBB666_2
.LBB666_7:                              ;   Parent Loop BB666_3 Depth=1
                                        ; =>  This Loop Header: Depth=2
                                        ;       Child Loop BB666_10 Depth 3
                                        ;       Child Loop BB666_12 Depth 3
	;; [unrolled: 1-line block ×5, first 2 shown]
	s_and_not1_b32 vcc_lo, exec_lo, s21
	s_mov_b32 s2, -1
	s_cbranch_vccnz .LBB666_14
; %bb.8:                                ;   in Loop: Header=BB666_7 Depth=2
	v_mov_b32_e32 v2, 0
	v_mov_b32_e32 v3, 0
	s_and_not1_b32 vcc_lo, exec_lo, s3
	s_cbranch_vccnz .LBB666_11
; %bb.9:                                ;   in Loop: Header=BB666_7 Depth=2
	v_mov_b32_e32 v0, v11
	s_mov_b32 s2, s5
.LBB666_10:                             ;   Parent Loop BB666_3 Depth=1
                                        ;     Parent Loop BB666_7 Depth=2
                                        ; =>    This Inner Loop Header: Depth=3
	s_delay_alu instid0(VALU_DEP_1) | instskip(SKIP_2) | instid1(SALU_CYCLE_1)
	v_lshlrev_b64 v[14:15], 3, v[0:1]
	v_add_nc_u32_e32 v0, s6, v0
	s_add_i32 s2, s2, -1
	s_cmp_eq_u32 s2, 0
	s_delay_alu instid0(VALU_DEP_2) | instskip(NEXT) | instid1(VALU_DEP_3)
	v_add_co_u32 v14, vcc_lo, s16, v14
	v_add_co_ci_u32_e32 v15, vcc_lo, s17, v15, vcc_lo
	global_load_b64 v[14:15], v[14:15], off
	s_waitcnt vmcnt(0)
	v_add_f64 v[2:3], v[2:3], v[14:15]
	s_cbranch_scc0 .LBB666_10
.LBB666_11:                             ;   in Loop: Header=BB666_7 Depth=2
	v_mov_b32_e32 v0, v11
	s_and_not1_b32 vcc_lo, exec_lo, s3
	s_mov_b32 s2, s5
	s_cbranch_vccnz .LBB666_13
	.p2align	6
.LBB666_12:                             ;   Parent Loop BB666_3 Depth=1
                                        ;     Parent Loop BB666_7 Depth=2
                                        ; =>    This Inner Loop Header: Depth=3
	s_delay_alu instid0(VALU_DEP_1) | instskip(SKIP_2) | instid1(SALU_CYCLE_1)
	v_lshlrev_b64 v[14:15], 3, v[0:1]
	v_add_nc_u32_e32 v0, s6, v0
	s_add_i32 s2, s2, -1
	s_cmp_lg_u32 s2, 0
	s_delay_alu instid0(VALU_DEP_2) | instskip(NEXT) | instid1(VALU_DEP_3)
	v_add_co_u32 v16, vcc_lo, s16, v14
	v_add_co_ci_u32_e32 v17, vcc_lo, s17, v15, vcc_lo
	v_add_co_u32 v18, vcc_lo, s10, v14
	v_add_co_ci_u32_e32 v19, vcc_lo, s11, v15, vcc_lo
	v_add_co_u32 v14, vcc_lo, s8, v14
	global_load_b64 v[16:17], v[16:17], off
	global_load_b64 v[18:19], v[18:19], off
	v_add_co_ci_u32_e32 v15, vcc_lo, s9, v15, vcc_lo
	s_waitcnt vmcnt(0)
	v_fma_f64 v[16:17], -v[2:3], v[18:19], v[16:17]
	global_store_b64 v[14:15], v[16:17], off
	s_cbranch_scc1 .LBB666_12
.LBB666_13:                             ;   in Loop: Header=BB666_7 Depth=2
	s_mov_b32 s2, 0
.LBB666_14:                             ;   in Loop: Header=BB666_7 Depth=2
	s_delay_alu instid0(SALU_CYCLE_1)
	s_and_b32 vcc_lo, exec_lo, s2
	s_cbranch_vccz .LBB666_6
; %bb.15:                               ;   in Loop: Header=BB666_7 Depth=2
	v_mov_b32_e32 v2, 0
	v_mov_b32_e32 v3, 0
	s_and_saveexec_b32 s2, s0
	s_cbranch_execz .LBB666_19
; %bb.16:                               ;   in Loop: Header=BB666_7 Depth=2
	v_mov_b32_e32 v2, 0
	v_dual_mov_b32 v3, 0 :: v_dual_mov_b32 v0, v9
	v_mov_b32_e32 v14, v4
	s_mov_b32 s24, 0
.LBB666_17:                             ;   Parent Loop BB666_3 Depth=1
                                        ;     Parent Loop BB666_7 Depth=2
                                        ; =>    This Inner Loop Header: Depth=3
	s_delay_alu instid0(VALU_DEP_2) | instskip(NEXT) | instid1(VALU_DEP_2)
	v_lshlrev_b64 v[15:16], 3, v[0:1]
	v_add_nc_u32_e32 v14, s20, v14
	v_add_nc_u32_e32 v0, s22, v0
	s_delay_alu instid0(VALU_DEP_3) | instskip(NEXT) | instid1(VALU_DEP_4)
	v_add_co_u32 v15, vcc_lo, s16, v15
	v_add_co_ci_u32_e32 v16, vcc_lo, s17, v16, vcc_lo
	s_delay_alu instid0(VALU_DEP_4)
	v_cmp_le_u32_e32 vcc_lo, s5, v14
	global_load_b64 v[15:16], v[15:16], off
	s_or_b32 s24, vcc_lo, s24
	s_waitcnt vmcnt(0)
	v_add_f64 v[2:3], v[2:3], v[15:16]
	s_and_not1_b32 exec_lo, exec_lo, s24
	s_cbranch_execnz .LBB666_17
; %bb.18:                               ;   in Loop: Header=BB666_7 Depth=2
	s_or_b32 exec_lo, exec_lo, s24
.LBB666_19:                             ;   in Loop: Header=BB666_7 Depth=2
	s_delay_alu instid0(SALU_CYCLE_1)
	s_or_b32 exec_lo, exec_lo, s2
	s_mov_b32 s2, s20
	s_waitcnt_vscnt null, 0x0
	s_barrier
	buffer_gl0_inv
	ds_store_b64 v12, v[2:3]
	s_branch .LBB666_21
	.p2align	6
.LBB666_20:                             ;   in Loop: Header=BB666_21 Depth=3
	s_or_b32 exec_lo, exec_lo, s25
	s_cmp_gt_u32 s2, 3
	s_mov_b32 s2, s24
	s_cbranch_scc0 .LBB666_23
.LBB666_21:                             ;   Parent Loop BB666_3 Depth=1
                                        ;     Parent Loop BB666_7 Depth=2
                                        ; =>    This Inner Loop Header: Depth=3
	s_lshr_b32 s24, s2, 1
	s_mov_b32 s25, exec_lo
	s_waitcnt lgkmcnt(0)
	s_barrier
	buffer_gl0_inv
	v_cmpx_gt_u32_e64 s24, v4
	s_cbranch_execz .LBB666_20
; %bb.22:                               ;   in Loop: Header=BB666_21 Depth=3
	v_lshl_add_u32 v0, s24, 3, v12
	ds_load_b64 v[2:3], v12
	ds_load_b64 v[14:15], v0
	s_waitcnt lgkmcnt(0)
	v_add_f64 v[2:3], v[2:3], v[14:15]
	ds_store_b64 v12, v[2:3]
	s_branch .LBB666_20
.LBB666_23:                             ;   in Loop: Header=BB666_7 Depth=2
	s_waitcnt lgkmcnt(0)
	s_barrier
	buffer_gl0_inv
	s_and_saveexec_b32 s24, s0
	s_cbranch_execz .LBB666_5
; %bb.24:                               ;   in Loop: Header=BB666_7 Depth=2
	ds_load_b64 v[2:3], v10
	v_mov_b32_e32 v0, v9
	v_mov_b32_e32 v14, v4
	s_mov_b32 s25, 0
	.p2align	6
.LBB666_25:                             ;   Parent Loop BB666_3 Depth=1
                                        ;     Parent Loop BB666_7 Depth=2
                                        ; =>    This Inner Loop Header: Depth=3
	s_delay_alu instid0(VALU_DEP_2) | instskip(NEXT) | instid1(VALU_DEP_2)
	v_lshlrev_b64 v[15:16], 3, v[0:1]
	v_add_nc_u32_e32 v14, s20, v14
	v_add_nc_u32_e32 v0, s22, v0
	s_delay_alu instid0(VALU_DEP_3) | instskip(NEXT) | instid1(VALU_DEP_4)
	v_add_co_u32 v17, vcc_lo, s16, v15
	v_add_co_ci_u32_e32 v18, vcc_lo, s17, v16, vcc_lo
	v_add_co_u32 v19, vcc_lo, s10, v15
	v_add_co_ci_u32_e32 v20, vcc_lo, s11, v16, vcc_lo
	v_cmp_le_u32_e32 vcc_lo, s5, v14
	global_load_b64 v[17:18], v[17:18], off
	global_load_b64 v[19:20], v[19:20], off
	v_add_co_u32 v15, s2, s8, v15
	s_delay_alu instid0(VALU_DEP_1)
	v_add_co_ci_u32_e64 v16, s2, s9, v16, s2
	s_or_b32 s25, vcc_lo, s25
	s_waitcnt vmcnt(0) lgkmcnt(0)
	v_fma_f64 v[17:18], -v[2:3], v[19:20], v[17:18]
	global_store_b64 v[15:16], v[17:18], off
	s_and_not1_b32 exec_lo, exec_lo, s25
	s_cbranch_execnz .LBB666_25
	s_branch .LBB666_5
.LBB666_26:
	s_nop 0
	s_sendmsg sendmsg(MSG_DEALLOC_VGPRS)
	s_endpgm
	.section	.rodata,"a",@progbits
	.p2align	6, 0x0
	.amdhsa_kernel _ZN2at6native12_GLOBAL__N_127cunn_SpatialSoftMaxBackwardIdddNS1_23SoftMaxBackwardEpilogueEEEvPT_PKT1_S8_jjj
		.amdhsa_group_segment_fixed_size 0
		.amdhsa_private_segment_fixed_size 0
		.amdhsa_kernarg_size 296
		.amdhsa_user_sgpr_count 14
		.amdhsa_user_sgpr_dispatch_ptr 0
		.amdhsa_user_sgpr_queue_ptr 0
		.amdhsa_user_sgpr_kernarg_segment_ptr 1
		.amdhsa_user_sgpr_dispatch_id 0
		.amdhsa_user_sgpr_private_segment_size 0
		.amdhsa_wavefront_size32 1
		.amdhsa_uses_dynamic_stack 0
		.amdhsa_enable_private_segment 0
		.amdhsa_system_sgpr_workgroup_id_x 1
		.amdhsa_system_sgpr_workgroup_id_y 1
		.amdhsa_system_sgpr_workgroup_id_z 0
		.amdhsa_system_sgpr_workgroup_info 0
		.amdhsa_system_vgpr_workitem_id 1
		.amdhsa_next_free_vgpr 21
		.amdhsa_next_free_sgpr 26
		.amdhsa_reserve_vcc 1
		.amdhsa_float_round_mode_32 0
		.amdhsa_float_round_mode_16_64 0
		.amdhsa_float_denorm_mode_32 3
		.amdhsa_float_denorm_mode_16_64 3
		.amdhsa_dx10_clamp 1
		.amdhsa_ieee_mode 1
		.amdhsa_fp16_overflow 0
		.amdhsa_workgroup_processor_mode 1
		.amdhsa_memory_ordered 1
		.amdhsa_forward_progress 0
		.amdhsa_shared_vgpr_count 0
		.amdhsa_exception_fp_ieee_invalid_op 0
		.amdhsa_exception_fp_denorm_src 0
		.amdhsa_exception_fp_ieee_div_zero 0
		.amdhsa_exception_fp_ieee_overflow 0
		.amdhsa_exception_fp_ieee_underflow 0
		.amdhsa_exception_fp_ieee_inexact 0
		.amdhsa_exception_int_div_zero 0
	.end_amdhsa_kernel
	.section	.text._ZN2at6native12_GLOBAL__N_127cunn_SpatialSoftMaxBackwardIdddNS1_23SoftMaxBackwardEpilogueEEEvPT_PKT1_S8_jjj,"axG",@progbits,_ZN2at6native12_GLOBAL__N_127cunn_SpatialSoftMaxBackwardIdddNS1_23SoftMaxBackwardEpilogueEEEvPT_PKT1_S8_jjj,comdat
.Lfunc_end666:
	.size	_ZN2at6native12_GLOBAL__N_127cunn_SpatialSoftMaxBackwardIdddNS1_23SoftMaxBackwardEpilogueEEEvPT_PKT1_S8_jjj, .Lfunc_end666-_ZN2at6native12_GLOBAL__N_127cunn_SpatialSoftMaxBackwardIdddNS1_23SoftMaxBackwardEpilogueEEEvPT_PKT1_S8_jjj
                                        ; -- End function
	.section	.AMDGPU.csdata,"",@progbits
; Kernel info:
; codeLenInByte = 1012
; NumSgprs: 28
; NumVgprs: 21
; ScratchSize: 0
; MemoryBound: 0
; FloatMode: 240
; IeeeMode: 1
; LDSByteSize: 0 bytes/workgroup (compile time only)
; SGPRBlocks: 3
; VGPRBlocks: 2
; NumSGPRsForWavesPerEU: 28
; NumVGPRsForWavesPerEU: 21
; Occupancy: 16
; WaveLimiterHint : 0
; COMPUTE_PGM_RSRC2:SCRATCH_EN: 0
; COMPUTE_PGM_RSRC2:USER_SGPR: 14
; COMPUTE_PGM_RSRC2:TRAP_HANDLER: 0
; COMPUTE_PGM_RSRC2:TGID_X_EN: 1
; COMPUTE_PGM_RSRC2:TGID_Y_EN: 1
; COMPUTE_PGM_RSRC2:TGID_Z_EN: 0
; COMPUTE_PGM_RSRC2:TIDIG_COMP_CNT: 1
	.section	.text._ZN2at6native12_GLOBAL__N_127cunn_SpatialSoftMaxBackwardIfffNS1_23SoftMaxBackwardEpilogueEEEvPT_PKT1_S8_jjj,"axG",@progbits,_ZN2at6native12_GLOBAL__N_127cunn_SpatialSoftMaxBackwardIfffNS1_23SoftMaxBackwardEpilogueEEEvPT_PKT1_S8_jjj,comdat
	.globl	_ZN2at6native12_GLOBAL__N_127cunn_SpatialSoftMaxBackwardIfffNS1_23SoftMaxBackwardEpilogueEEEvPT_PKT1_S8_jjj ; -- Begin function _ZN2at6native12_GLOBAL__N_127cunn_SpatialSoftMaxBackwardIfffNS1_23SoftMaxBackwardEpilogueEEEvPT_PKT1_S8_jjj
	.p2align	8
	.type	_ZN2at6native12_GLOBAL__N_127cunn_SpatialSoftMaxBackwardIfffNS1_23SoftMaxBackwardEpilogueEEEvPT_PKT1_S8_jjj,@function
_ZN2at6native12_GLOBAL__N_127cunn_SpatialSoftMaxBackwardIfffNS1_23SoftMaxBackwardEpilogueEEEvPT_PKT1_S8_jjj: ; @_ZN2at6native12_GLOBAL__N_127cunn_SpatialSoftMaxBackwardIfffNS1_23SoftMaxBackwardEpilogueEEEvPT_PKT1_S8_jjj
; %bb.0:
	s_load_b128 s[4:7], s[0:1], 0x18
	s_waitcnt lgkmcnt(0)
	s_cmp_ge_u32 s14, s4
	s_cbranch_scc1 .LBB667_26
; %bb.1:
	s_clause 0x1
	s_load_b32 s2, s[0:1], 0x34
	s_load_b64 s[12:13], s[0:1], 0x28
	v_and_b32_e32 v2, 0x3ff, v0
	s_mul_i32 s3, s14, s5
	s_clause 0x1
	s_load_b128 s[8:11], s[0:1], 0x0
	s_load_b64 s[16:17], s[0:1], 0x10
	s_add_u32 s18, s0, 40
	v_bfe_u32 v3, v0, 10, 10
	v_add_nc_u32_e32 v1, s3, v2
	s_addc_u32 s19, s1, 0
	s_mul_i32 s1, s3, s6
	s_delay_alu instid0(VALU_DEP_1)
	v_mul_lo_u32 v0, s6, v1
	v_mov_b32_e32 v1, 0
	v_cmp_gt_u32_e64 s0, s5, v2
	s_waitcnt lgkmcnt(0)
	s_lshr_b32 s2, s2, 16
	s_cmp_lg_u32 s5, 0
	s_mul_i32 s15, s15, s2
	s_cselect_b32 s3, -1, 0
	v_add_nc_u32_e32 v4, s15, v3
	v_add3_u32 v5, s15, s1, v3
	v_add3_u32 v6, v3, v0, s15
	s_mul_i32 s15, s12, s6
	s_mul_i32 s7, s13, s2
	v_cmp_gt_u32_e64 s1, s6, v4
	s_mul_i32 s13, s15, s5
	s_branch .LBB667_3
.LBB667_2:                              ;   in Loop: Header=BB667_3 Depth=1
	s_or_b32 exec_lo, exec_lo, s15
	v_add_nc_u32_e32 v5, s13, v5
	v_add_nc_u32_e32 v6, s13, v6
	s_add_i32 s14, s12, s14
	s_delay_alu instid0(SALU_CYCLE_1)
	s_cmp_ge_u32 s14, s4
	s_cbranch_scc1 .LBB667_26
.LBB667_3:                              ; =>This Loop Header: Depth=1
                                        ;     Child Loop BB667_7 Depth 2
                                        ;       Child Loop BB667_10 Depth 3
                                        ;       Child Loop BB667_12 Depth 3
	;; [unrolled: 1-line block ×5, first 2 shown]
	s_delay_alu instid0(VALU_DEP_1)
	s_and_saveexec_b32 s15, s1
	s_cbranch_execz .LBB667_2
; %bb.4:                                ;   in Loop: Header=BB667_3 Depth=1
	s_load_b32 s2, s[18:19], 0xc
	v_mov_b32_e32 v7, v6
	v_mov_b32_e32 v9, v5
	v_mov_b32_e32 v11, v4
	s_mov_b32 s23, 0
	s_waitcnt lgkmcnt(0)
	s_and_b32 s20, s2, 0xffff
	s_delay_alu instid0(SALU_CYCLE_1) | instskip(SKIP_3) | instid1(VALU_DEP_1)
	v_mul_u32_u24_e32 v0, s20, v3
	s_cmp_lt_u32 s20, 2
	s_mul_i32 s22, s6, s20
	s_cselect_b32 s21, -1, 0
	v_lshl_add_u32 v8, v0, 2, 0
	s_delay_alu instid0(VALU_DEP_1)
	v_lshl_add_u32 v10, v2, 2, v8
	s_branch .LBB667_7
.LBB667_5:                              ;   in Loop: Header=BB667_7 Depth=2
	s_or_b32 exec_lo, exec_lo, s24
.LBB667_6:                              ;   in Loop: Header=BB667_7 Depth=2
	v_add_nc_u32_e32 v11, s7, v11
	v_add_nc_u32_e32 v9, s7, v9
	;; [unrolled: 1-line block ×3, first 2 shown]
	s_delay_alu instid0(VALU_DEP_3) | instskip(SKIP_1) | instid1(SALU_CYCLE_1)
	v_cmp_le_u32_e32 vcc_lo, s6, v11
	s_or_b32 s23, vcc_lo, s23
	s_and_not1_b32 exec_lo, exec_lo, s23
	s_cbranch_execz .LBB667_2
.LBB667_7:                              ;   Parent Loop BB667_3 Depth=1
                                        ; =>  This Loop Header: Depth=2
                                        ;       Child Loop BB667_10 Depth 3
                                        ;       Child Loop BB667_12 Depth 3
	;; [unrolled: 1-line block ×5, first 2 shown]
	s_and_not1_b32 vcc_lo, exec_lo, s21
	s_mov_b32 s2, -1
	s_cbranch_vccnz .LBB667_14
; %bb.8:                                ;   in Loop: Header=BB667_7 Depth=2
	v_mov_b32_e32 v12, 0
	s_and_not1_b32 vcc_lo, exec_lo, s3
	s_cbranch_vccnz .LBB667_11
; %bb.9:                                ;   in Loop: Header=BB667_7 Depth=2
	v_mov_b32_e32 v0, v9
	s_mov_b32 s2, s5
.LBB667_10:                             ;   Parent Loop BB667_3 Depth=1
                                        ;     Parent Loop BB667_7 Depth=2
                                        ; =>    This Inner Loop Header: Depth=3
	s_delay_alu instid0(VALU_DEP_1) | instskip(SKIP_2) | instid1(SALU_CYCLE_1)
	v_lshlrev_b64 v[13:14], 2, v[0:1]
	v_add_nc_u32_e32 v0, s6, v0
	s_add_i32 s2, s2, -1
	s_cmp_eq_u32 s2, 0
	s_delay_alu instid0(VALU_DEP_2) | instskip(NEXT) | instid1(VALU_DEP_3)
	v_add_co_u32 v13, vcc_lo, s16, v13
	v_add_co_ci_u32_e32 v14, vcc_lo, s17, v14, vcc_lo
	global_load_b32 v13, v[13:14], off
	s_waitcnt vmcnt(0)
	v_add_f32_e32 v12, v12, v13
	s_cbranch_scc0 .LBB667_10
.LBB667_11:                             ;   in Loop: Header=BB667_7 Depth=2
	v_mov_b32_e32 v0, v9
	s_and_not1_b32 vcc_lo, exec_lo, s3
	s_mov_b32 s2, s5
	s_cbranch_vccnz .LBB667_13
	.p2align	6
.LBB667_12:                             ;   Parent Loop BB667_3 Depth=1
                                        ;     Parent Loop BB667_7 Depth=2
                                        ; =>    This Inner Loop Header: Depth=3
	s_delay_alu instid0(VALU_DEP_1) | instskip(SKIP_2) | instid1(SALU_CYCLE_1)
	v_lshlrev_b64 v[13:14], 2, v[0:1]
	v_add_nc_u32_e32 v0, s6, v0
	s_add_i32 s2, s2, -1
	s_cmp_lg_u32 s2, 0
	s_delay_alu instid0(VALU_DEP_2) | instskip(NEXT) | instid1(VALU_DEP_3)
	v_add_co_u32 v15, vcc_lo, s16, v13
	v_add_co_ci_u32_e32 v16, vcc_lo, s17, v14, vcc_lo
	v_add_co_u32 v17, vcc_lo, s10, v13
	v_add_co_ci_u32_e32 v18, vcc_lo, s11, v14, vcc_lo
	v_add_co_u32 v13, vcc_lo, s8, v13
	global_load_b32 v15, v[15:16], off
	global_load_b32 v16, v[17:18], off
	v_add_co_ci_u32_e32 v14, vcc_lo, s9, v14, vcc_lo
	s_waitcnt vmcnt(0)
	v_fma_f32 v15, -v12, v16, v15
	global_store_b32 v[13:14], v15, off
	s_cbranch_scc1 .LBB667_12
.LBB667_13:                             ;   in Loop: Header=BB667_7 Depth=2
	s_mov_b32 s2, 0
.LBB667_14:                             ;   in Loop: Header=BB667_7 Depth=2
	s_delay_alu instid0(SALU_CYCLE_1)
	s_and_b32 vcc_lo, exec_lo, s2
	s_cbranch_vccz .LBB667_6
; %bb.15:                               ;   in Loop: Header=BB667_7 Depth=2
	v_mov_b32_e32 v12, 0
	s_and_saveexec_b32 s2, s0
	s_cbranch_execz .LBB667_19
; %bb.16:                               ;   in Loop: Header=BB667_7 Depth=2
	v_dual_mov_b32 v12, 0 :: v_dual_mov_b32 v13, v2
	v_mov_b32_e32 v0, v7
	s_mov_b32 s24, 0
.LBB667_17:                             ;   Parent Loop BB667_3 Depth=1
                                        ;     Parent Loop BB667_7 Depth=2
                                        ; =>    This Inner Loop Header: Depth=3
	s_delay_alu instid0(VALU_DEP_1) | instskip(SKIP_1) | instid1(VALU_DEP_2)
	v_lshlrev_b64 v[14:15], 2, v[0:1]
	v_add_nc_u32_e32 v0, s22, v0
	v_add_co_u32 v14, vcc_lo, s16, v14
	s_delay_alu instid0(VALU_DEP_3) | instskip(SKIP_3) | instid1(VALU_DEP_1)
	v_add_co_ci_u32_e32 v15, vcc_lo, s17, v15, vcc_lo
	global_load_b32 v14, v[14:15], off
	s_waitcnt vmcnt(0)
	v_dual_add_f32 v12, v12, v14 :: v_dual_add_nc_u32 v13, s20, v13
	v_cmp_le_u32_e32 vcc_lo, s5, v13
	s_or_b32 s24, vcc_lo, s24
	s_delay_alu instid0(SALU_CYCLE_1)
	s_and_not1_b32 exec_lo, exec_lo, s24
	s_cbranch_execnz .LBB667_17
; %bb.18:                               ;   in Loop: Header=BB667_7 Depth=2
	s_or_b32 exec_lo, exec_lo, s24
.LBB667_19:                             ;   in Loop: Header=BB667_7 Depth=2
	s_delay_alu instid0(SALU_CYCLE_1)
	s_or_b32 exec_lo, exec_lo, s2
	s_mov_b32 s2, s20
	s_waitcnt_vscnt null, 0x0
	s_barrier
	buffer_gl0_inv
	ds_store_b32 v10, v12
	s_branch .LBB667_21
	.p2align	6
.LBB667_20:                             ;   in Loop: Header=BB667_21 Depth=3
	s_or_b32 exec_lo, exec_lo, s25
	s_cmp_gt_u32 s2, 3
	s_mov_b32 s2, s24
	s_cbranch_scc0 .LBB667_23
.LBB667_21:                             ;   Parent Loop BB667_3 Depth=1
                                        ;     Parent Loop BB667_7 Depth=2
                                        ; =>    This Inner Loop Header: Depth=3
	s_lshr_b32 s24, s2, 1
	s_mov_b32 s25, exec_lo
	s_waitcnt lgkmcnt(0)
	s_barrier
	buffer_gl0_inv
	v_cmpx_gt_u32_e64 s24, v2
	s_cbranch_execz .LBB667_20
; %bb.22:                               ;   in Loop: Header=BB667_21 Depth=3
	v_lshl_add_u32 v0, s24, 2, v10
	ds_load_b32 v12, v10
	ds_load_b32 v0, v0
	s_waitcnt lgkmcnt(0)
	v_add_f32_e32 v0, v12, v0
	ds_store_b32 v10, v0
	s_branch .LBB667_20
.LBB667_23:                             ;   in Loop: Header=BB667_7 Depth=2
	s_waitcnt lgkmcnt(0)
	s_barrier
	buffer_gl0_inv
	s_and_saveexec_b32 s24, s0
	s_cbranch_execz .LBB667_5
; %bb.24:                               ;   in Loop: Header=BB667_7 Depth=2
	ds_load_b32 v12, v8
	v_dual_mov_b32 v0, v7 :: v_dual_mov_b32 v13, v2
	s_mov_b32 s25, 0
	.p2align	6
.LBB667_25:                             ;   Parent Loop BB667_3 Depth=1
                                        ;     Parent Loop BB667_7 Depth=2
                                        ; =>    This Inner Loop Header: Depth=3
	s_delay_alu instid0(VALU_DEP_1) | instskip(NEXT) | instid1(VALU_DEP_2)
	v_lshlrev_b64 v[14:15], 2, v[0:1]
	v_add_nc_u32_e32 v13, s20, v13
	v_add_nc_u32_e32 v0, s22, v0
	s_delay_alu instid0(VALU_DEP_3) | instskip(NEXT) | instid1(VALU_DEP_4)
	v_add_co_u32 v16, vcc_lo, s16, v14
	v_add_co_ci_u32_e32 v17, vcc_lo, s17, v15, vcc_lo
	v_add_co_u32 v18, vcc_lo, s10, v14
	v_add_co_ci_u32_e32 v19, vcc_lo, s11, v15, vcc_lo
	v_cmp_le_u32_e32 vcc_lo, s5, v13
	global_load_b32 v16, v[16:17], off
	global_load_b32 v17, v[18:19], off
	v_add_co_u32 v14, s2, s8, v14
	s_delay_alu instid0(VALU_DEP_1)
	v_add_co_ci_u32_e64 v15, s2, s9, v15, s2
	s_or_b32 s25, vcc_lo, s25
	s_waitcnt vmcnt(0) lgkmcnt(0)
	v_fma_f32 v16, -v12, v17, v16
	global_store_b32 v[14:15], v16, off
	s_and_not1_b32 exec_lo, exec_lo, s25
	s_cbranch_execnz .LBB667_25
	s_branch .LBB667_5
.LBB667_26:
	s_nop 0
	s_sendmsg sendmsg(MSG_DEALLOC_VGPRS)
	s_endpgm
	.section	.rodata,"a",@progbits
	.p2align	6, 0x0
	.amdhsa_kernel _ZN2at6native12_GLOBAL__N_127cunn_SpatialSoftMaxBackwardIfffNS1_23SoftMaxBackwardEpilogueEEEvPT_PKT1_S8_jjj
		.amdhsa_group_segment_fixed_size 0
		.amdhsa_private_segment_fixed_size 0
		.amdhsa_kernarg_size 296
		.amdhsa_user_sgpr_count 14
		.amdhsa_user_sgpr_dispatch_ptr 0
		.amdhsa_user_sgpr_queue_ptr 0
		.amdhsa_user_sgpr_kernarg_segment_ptr 1
		.amdhsa_user_sgpr_dispatch_id 0
		.amdhsa_user_sgpr_private_segment_size 0
		.amdhsa_wavefront_size32 1
		.amdhsa_uses_dynamic_stack 0
		.amdhsa_enable_private_segment 0
		.amdhsa_system_sgpr_workgroup_id_x 1
		.amdhsa_system_sgpr_workgroup_id_y 1
		.amdhsa_system_sgpr_workgroup_id_z 0
		.amdhsa_system_sgpr_workgroup_info 0
		.amdhsa_system_vgpr_workitem_id 1
		.amdhsa_next_free_vgpr 20
		.amdhsa_next_free_sgpr 26
		.amdhsa_reserve_vcc 1
		.amdhsa_float_round_mode_32 0
		.amdhsa_float_round_mode_16_64 0
		.amdhsa_float_denorm_mode_32 3
		.amdhsa_float_denorm_mode_16_64 3
		.amdhsa_dx10_clamp 1
		.amdhsa_ieee_mode 1
		.amdhsa_fp16_overflow 0
		.amdhsa_workgroup_processor_mode 1
		.amdhsa_memory_ordered 1
		.amdhsa_forward_progress 0
		.amdhsa_shared_vgpr_count 0
		.amdhsa_exception_fp_ieee_invalid_op 0
		.amdhsa_exception_fp_denorm_src 0
		.amdhsa_exception_fp_ieee_div_zero 0
		.amdhsa_exception_fp_ieee_overflow 0
		.amdhsa_exception_fp_ieee_underflow 0
		.amdhsa_exception_fp_ieee_inexact 0
		.amdhsa_exception_int_div_zero 0
	.end_amdhsa_kernel
	.section	.text._ZN2at6native12_GLOBAL__N_127cunn_SpatialSoftMaxBackwardIfffNS1_23SoftMaxBackwardEpilogueEEEvPT_PKT1_S8_jjj,"axG",@progbits,_ZN2at6native12_GLOBAL__N_127cunn_SpatialSoftMaxBackwardIfffNS1_23SoftMaxBackwardEpilogueEEEvPT_PKT1_S8_jjj,comdat
.Lfunc_end667:
	.size	_ZN2at6native12_GLOBAL__N_127cunn_SpatialSoftMaxBackwardIfffNS1_23SoftMaxBackwardEpilogueEEEvPT_PKT1_S8_jjj, .Lfunc_end667-_ZN2at6native12_GLOBAL__N_127cunn_SpatialSoftMaxBackwardIfffNS1_23SoftMaxBackwardEpilogueEEEvPT_PKT1_S8_jjj
                                        ; -- End function
	.section	.AMDGPU.csdata,"",@progbits
; Kernel info:
; codeLenInByte = 988
; NumSgprs: 28
; NumVgprs: 20
; ScratchSize: 0
; MemoryBound: 0
; FloatMode: 240
; IeeeMode: 1
; LDSByteSize: 0 bytes/workgroup (compile time only)
; SGPRBlocks: 3
; VGPRBlocks: 2
; NumSGPRsForWavesPerEU: 28
; NumVGPRsForWavesPerEU: 20
; Occupancy: 16
; WaveLimiterHint : 0
; COMPUTE_PGM_RSRC2:SCRATCH_EN: 0
; COMPUTE_PGM_RSRC2:USER_SGPR: 14
; COMPUTE_PGM_RSRC2:TRAP_HANDLER: 0
; COMPUTE_PGM_RSRC2:TGID_X_EN: 1
; COMPUTE_PGM_RSRC2:TGID_Y_EN: 1
; COMPUTE_PGM_RSRC2:TGID_Z_EN: 0
; COMPUTE_PGM_RSRC2:TIDIG_COMP_CNT: 1
	.section	.text._ZN2at6native12_GLOBAL__N_127cunn_SpatialSoftMaxBackwardIN3c104HalfEfS4_NS1_23SoftMaxBackwardEpilogueEEEvPT_PKT1_SA_jjj,"axG",@progbits,_ZN2at6native12_GLOBAL__N_127cunn_SpatialSoftMaxBackwardIN3c104HalfEfS4_NS1_23SoftMaxBackwardEpilogueEEEvPT_PKT1_SA_jjj,comdat
	.globl	_ZN2at6native12_GLOBAL__N_127cunn_SpatialSoftMaxBackwardIN3c104HalfEfS4_NS1_23SoftMaxBackwardEpilogueEEEvPT_PKT1_SA_jjj ; -- Begin function _ZN2at6native12_GLOBAL__N_127cunn_SpatialSoftMaxBackwardIN3c104HalfEfS4_NS1_23SoftMaxBackwardEpilogueEEEvPT_PKT1_SA_jjj
	.p2align	8
	.type	_ZN2at6native12_GLOBAL__N_127cunn_SpatialSoftMaxBackwardIN3c104HalfEfS4_NS1_23SoftMaxBackwardEpilogueEEEvPT_PKT1_SA_jjj,@function
_ZN2at6native12_GLOBAL__N_127cunn_SpatialSoftMaxBackwardIN3c104HalfEfS4_NS1_23SoftMaxBackwardEpilogueEEEvPT_PKT1_SA_jjj: ; @_ZN2at6native12_GLOBAL__N_127cunn_SpatialSoftMaxBackwardIN3c104HalfEfS4_NS1_23SoftMaxBackwardEpilogueEEEvPT_PKT1_SA_jjj
; %bb.0:
	s_load_b128 s[4:7], s[0:1], 0x18
	s_waitcnt lgkmcnt(0)
	s_cmp_ge_u32 s14, s4
	s_cbranch_scc1 .LBB668_26
; %bb.1:
	s_clause 0x1
	s_load_b32 s2, s[0:1], 0x34
	s_load_b64 s[12:13], s[0:1], 0x28
	v_and_b32_e32 v2, 0x3ff, v0
	s_mul_i32 s3, s14, s5
	s_clause 0x1
	s_load_b128 s[8:11], s[0:1], 0x0
	s_load_b64 s[16:17], s[0:1], 0x10
	s_add_u32 s18, s0, 40
	v_bfe_u32 v3, v0, 10, 10
	v_add_nc_u32_e32 v1, s3, v2
	s_addc_u32 s19, s1, 0
	s_mul_i32 s1, s3, s6
	s_delay_alu instid0(VALU_DEP_1)
	v_mul_lo_u32 v0, s6, v1
	v_mov_b32_e32 v1, 0
	v_cmp_gt_u32_e64 s0, s5, v2
	s_waitcnt lgkmcnt(0)
	s_lshr_b32 s2, s2, 16
	s_cmp_lg_u32 s5, 0
	s_mul_i32 s15, s15, s2
	s_cselect_b32 s3, -1, 0
	v_add_nc_u32_e32 v4, s15, v3
	v_add3_u32 v5, s15, s1, v3
	v_add3_u32 v6, v3, v0, s15
	s_mul_i32 s15, s12, s6
	s_mul_i32 s7, s13, s2
	v_cmp_gt_u32_e64 s1, s6, v4
	s_mul_i32 s13, s15, s5
	s_branch .LBB668_3
.LBB668_2:                              ;   in Loop: Header=BB668_3 Depth=1
	s_or_b32 exec_lo, exec_lo, s15
	v_add_nc_u32_e32 v5, s13, v5
	v_add_nc_u32_e32 v6, s13, v6
	s_add_i32 s14, s12, s14
	s_delay_alu instid0(SALU_CYCLE_1)
	s_cmp_ge_u32 s14, s4
	s_cbranch_scc1 .LBB668_26
.LBB668_3:                              ; =>This Loop Header: Depth=1
                                        ;     Child Loop BB668_7 Depth 2
                                        ;       Child Loop BB668_10 Depth 3
                                        ;       Child Loop BB668_12 Depth 3
	;; [unrolled: 1-line block ×5, first 2 shown]
	s_delay_alu instid0(VALU_DEP_1)
	s_and_saveexec_b32 s15, s1
	s_cbranch_execz .LBB668_2
; %bb.4:                                ;   in Loop: Header=BB668_3 Depth=1
	s_load_b32 s2, s[18:19], 0xc
	v_mov_b32_e32 v7, v6
	v_mov_b32_e32 v9, v5
	v_mov_b32_e32 v11, v4
	s_mov_b32 s23, 0
	s_waitcnt lgkmcnt(0)
	s_and_b32 s20, s2, 0xffff
	s_delay_alu instid0(SALU_CYCLE_1) | instskip(SKIP_3) | instid1(VALU_DEP_1)
	v_mul_u32_u24_e32 v0, s20, v3
	s_cmp_lt_u32 s20, 2
	s_mul_i32 s22, s6, s20
	s_cselect_b32 s21, -1, 0
	v_lshl_add_u32 v8, v0, 2, 0
	s_delay_alu instid0(VALU_DEP_1)
	v_lshl_add_u32 v10, v2, 2, v8
	s_branch .LBB668_7
.LBB668_5:                              ;   in Loop: Header=BB668_7 Depth=2
	s_or_b32 exec_lo, exec_lo, s24
.LBB668_6:                              ;   in Loop: Header=BB668_7 Depth=2
	v_add_nc_u32_e32 v11, s7, v11
	v_add_nc_u32_e32 v9, s7, v9
	;; [unrolled: 1-line block ×3, first 2 shown]
	s_delay_alu instid0(VALU_DEP_3) | instskip(SKIP_1) | instid1(SALU_CYCLE_1)
	v_cmp_le_u32_e32 vcc_lo, s6, v11
	s_or_b32 s23, vcc_lo, s23
	s_and_not1_b32 exec_lo, exec_lo, s23
	s_cbranch_execz .LBB668_2
.LBB668_7:                              ;   Parent Loop BB668_3 Depth=1
                                        ; =>  This Loop Header: Depth=2
                                        ;       Child Loop BB668_10 Depth 3
                                        ;       Child Loop BB668_12 Depth 3
	;; [unrolled: 1-line block ×5, first 2 shown]
	s_and_not1_b32 vcc_lo, exec_lo, s21
	s_mov_b32 s2, -1
	s_cbranch_vccnz .LBB668_14
; %bb.8:                                ;   in Loop: Header=BB668_7 Depth=2
	v_mov_b32_e32 v12, 0
	s_and_not1_b32 vcc_lo, exec_lo, s3
	s_cbranch_vccnz .LBB668_11
; %bb.9:                                ;   in Loop: Header=BB668_7 Depth=2
	v_mov_b32_e32 v0, v9
	s_mov_b32 s2, s5
.LBB668_10:                             ;   Parent Loop BB668_3 Depth=1
                                        ;     Parent Loop BB668_7 Depth=2
                                        ; =>    This Inner Loop Header: Depth=3
	s_delay_alu instid0(VALU_DEP_1) | instskip(SKIP_2) | instid1(SALU_CYCLE_1)
	v_lshlrev_b64 v[13:14], 1, v[0:1]
	v_add_nc_u32_e32 v0, s6, v0
	s_add_i32 s2, s2, -1
	s_cmp_eq_u32 s2, 0
	s_delay_alu instid0(VALU_DEP_2) | instskip(NEXT) | instid1(VALU_DEP_3)
	v_add_co_u32 v13, vcc_lo, s16, v13
	v_add_co_ci_u32_e32 v14, vcc_lo, s17, v14, vcc_lo
	global_load_u16 v13, v[13:14], off
	s_waitcnt vmcnt(0)
	v_cvt_f32_f16_e32 v13, v13
	s_delay_alu instid0(VALU_DEP_1)
	v_add_f32_e32 v12, v12, v13
	s_cbranch_scc0 .LBB668_10
.LBB668_11:                             ;   in Loop: Header=BB668_7 Depth=2
	v_mov_b32_e32 v0, v9
	s_and_not1_b32 vcc_lo, exec_lo, s3
	s_mov_b32 s2, s5
	s_cbranch_vccnz .LBB668_13
	.p2align	6
.LBB668_12:                             ;   Parent Loop BB668_3 Depth=1
                                        ;     Parent Loop BB668_7 Depth=2
                                        ; =>    This Inner Loop Header: Depth=3
	s_delay_alu instid0(VALU_DEP_1) | instskip(SKIP_2) | instid1(SALU_CYCLE_1)
	v_lshlrev_b64 v[13:14], 1, v[0:1]
	v_add_nc_u32_e32 v0, s6, v0
	s_add_i32 s2, s2, -1
	s_cmp_lg_u32 s2, 0
	s_delay_alu instid0(VALU_DEP_2) | instskip(NEXT) | instid1(VALU_DEP_3)
	v_add_co_u32 v15, vcc_lo, s16, v13
	v_add_co_ci_u32_e32 v16, vcc_lo, s17, v14, vcc_lo
	v_add_co_u32 v17, vcc_lo, s10, v13
	v_add_co_ci_u32_e32 v18, vcc_lo, s11, v14, vcc_lo
	v_add_co_u32 v13, vcc_lo, s8, v13
	global_load_u16 v15, v[15:16], off
	global_load_u16 v16, v[17:18], off
	v_add_co_ci_u32_e32 v14, vcc_lo, s9, v14, vcc_lo
	s_waitcnt vmcnt(0)
	v_fma_mixlo_f16 v15, -v12, v16, v15 op_sel_hi:[0,1,1]
	global_store_b16 v[13:14], v15, off
	s_cbranch_scc1 .LBB668_12
.LBB668_13:                             ;   in Loop: Header=BB668_7 Depth=2
	s_mov_b32 s2, 0
.LBB668_14:                             ;   in Loop: Header=BB668_7 Depth=2
	s_delay_alu instid0(SALU_CYCLE_1)
	s_and_b32 vcc_lo, exec_lo, s2
	s_cbranch_vccz .LBB668_6
; %bb.15:                               ;   in Loop: Header=BB668_7 Depth=2
	v_mov_b32_e32 v12, 0
	s_and_saveexec_b32 s2, s0
	s_cbranch_execz .LBB668_19
; %bb.16:                               ;   in Loop: Header=BB668_7 Depth=2
	v_dual_mov_b32 v12, 0 :: v_dual_mov_b32 v13, v2
	v_mov_b32_e32 v0, v7
	s_mov_b32 s24, 0
.LBB668_17:                             ;   Parent Loop BB668_3 Depth=1
                                        ;     Parent Loop BB668_7 Depth=2
                                        ; =>    This Inner Loop Header: Depth=3
	s_delay_alu instid0(VALU_DEP_1) | instskip(SKIP_1) | instid1(VALU_DEP_2)
	v_lshlrev_b64 v[14:15], 1, v[0:1]
	v_add_nc_u32_e32 v0, s22, v0
	v_add_co_u32 v14, vcc_lo, s16, v14
	s_delay_alu instid0(VALU_DEP_3) | instskip(SKIP_3) | instid1(VALU_DEP_1)
	v_add_co_ci_u32_e32 v15, vcc_lo, s17, v15, vcc_lo
	global_load_u16 v14, v[14:15], off
	s_waitcnt vmcnt(0)
	v_cvt_f32_f16_e32 v14, v14
	v_dual_add_f32 v12, v12, v14 :: v_dual_add_nc_u32 v13, s20, v13
	s_delay_alu instid0(VALU_DEP_1) | instskip(SKIP_1) | instid1(SALU_CYCLE_1)
	v_cmp_le_u32_e32 vcc_lo, s5, v13
	s_or_b32 s24, vcc_lo, s24
	s_and_not1_b32 exec_lo, exec_lo, s24
	s_cbranch_execnz .LBB668_17
; %bb.18:                               ;   in Loop: Header=BB668_7 Depth=2
	s_or_b32 exec_lo, exec_lo, s24
.LBB668_19:                             ;   in Loop: Header=BB668_7 Depth=2
	s_delay_alu instid0(SALU_CYCLE_1)
	s_or_b32 exec_lo, exec_lo, s2
	s_mov_b32 s2, s20
	s_waitcnt_vscnt null, 0x0
	s_barrier
	buffer_gl0_inv
	ds_store_b32 v10, v12
	s_branch .LBB668_21
	.p2align	6
.LBB668_20:                             ;   in Loop: Header=BB668_21 Depth=3
	s_or_b32 exec_lo, exec_lo, s25
	s_cmp_gt_u32 s2, 3
	s_mov_b32 s2, s24
	s_cbranch_scc0 .LBB668_23
.LBB668_21:                             ;   Parent Loop BB668_3 Depth=1
                                        ;     Parent Loop BB668_7 Depth=2
                                        ; =>    This Inner Loop Header: Depth=3
	s_lshr_b32 s24, s2, 1
	s_mov_b32 s25, exec_lo
	s_waitcnt lgkmcnt(0)
	s_barrier
	buffer_gl0_inv
	v_cmpx_gt_u32_e64 s24, v2
	s_cbranch_execz .LBB668_20
; %bb.22:                               ;   in Loop: Header=BB668_21 Depth=3
	v_lshl_add_u32 v0, s24, 2, v10
	ds_load_b32 v12, v10
	ds_load_b32 v0, v0
	s_waitcnt lgkmcnt(0)
	v_add_f32_e32 v0, v12, v0
	ds_store_b32 v10, v0
	s_branch .LBB668_20
.LBB668_23:                             ;   in Loop: Header=BB668_7 Depth=2
	s_waitcnt lgkmcnt(0)
	s_barrier
	buffer_gl0_inv
	s_and_saveexec_b32 s24, s0
	s_cbranch_execz .LBB668_5
; %bb.24:                               ;   in Loop: Header=BB668_7 Depth=2
	ds_load_b32 v12, v8
	v_dual_mov_b32 v0, v7 :: v_dual_mov_b32 v13, v2
	s_mov_b32 s25, 0
	.p2align	6
.LBB668_25:                             ;   Parent Loop BB668_3 Depth=1
                                        ;     Parent Loop BB668_7 Depth=2
                                        ; =>    This Inner Loop Header: Depth=3
	s_delay_alu instid0(VALU_DEP_1) | instskip(NEXT) | instid1(VALU_DEP_2)
	v_lshlrev_b64 v[14:15], 1, v[0:1]
	v_add_nc_u32_e32 v13, s20, v13
	v_add_nc_u32_e32 v0, s22, v0
	s_delay_alu instid0(VALU_DEP_3) | instskip(NEXT) | instid1(VALU_DEP_4)
	v_add_co_u32 v16, vcc_lo, s16, v14
	v_add_co_ci_u32_e32 v17, vcc_lo, s17, v15, vcc_lo
	v_add_co_u32 v18, vcc_lo, s10, v14
	v_add_co_ci_u32_e32 v19, vcc_lo, s11, v15, vcc_lo
	v_cmp_le_u32_e32 vcc_lo, s5, v13
	global_load_u16 v16, v[16:17], off
	global_load_u16 v17, v[18:19], off
	v_add_co_u32 v14, s2, s8, v14
	s_delay_alu instid0(VALU_DEP_1)
	v_add_co_ci_u32_e64 v15, s2, s9, v15, s2
	s_or_b32 s25, vcc_lo, s25
	s_waitcnt vmcnt(0) lgkmcnt(0)
	v_fma_mixlo_f16 v16, -v12, v17, v16 op_sel_hi:[0,1,1]
	global_store_b16 v[14:15], v16, off
	s_and_not1_b32 exec_lo, exec_lo, s25
	s_cbranch_execnz .LBB668_25
	s_branch .LBB668_5
.LBB668_26:
	s_nop 0
	s_sendmsg sendmsg(MSG_DEALLOC_VGPRS)
	s_endpgm
	.section	.rodata,"a",@progbits
	.p2align	6, 0x0
	.amdhsa_kernel _ZN2at6native12_GLOBAL__N_127cunn_SpatialSoftMaxBackwardIN3c104HalfEfS4_NS1_23SoftMaxBackwardEpilogueEEEvPT_PKT1_SA_jjj
		.amdhsa_group_segment_fixed_size 0
		.amdhsa_private_segment_fixed_size 0
		.amdhsa_kernarg_size 296
		.amdhsa_user_sgpr_count 14
		.amdhsa_user_sgpr_dispatch_ptr 0
		.amdhsa_user_sgpr_queue_ptr 0
		.amdhsa_user_sgpr_kernarg_segment_ptr 1
		.amdhsa_user_sgpr_dispatch_id 0
		.amdhsa_user_sgpr_private_segment_size 0
		.amdhsa_wavefront_size32 1
		.amdhsa_uses_dynamic_stack 0
		.amdhsa_enable_private_segment 0
		.amdhsa_system_sgpr_workgroup_id_x 1
		.amdhsa_system_sgpr_workgroup_id_y 1
		.amdhsa_system_sgpr_workgroup_id_z 0
		.amdhsa_system_sgpr_workgroup_info 0
		.amdhsa_system_vgpr_workitem_id 1
		.amdhsa_next_free_vgpr 20
		.amdhsa_next_free_sgpr 26
		.amdhsa_reserve_vcc 1
		.amdhsa_float_round_mode_32 0
		.amdhsa_float_round_mode_16_64 0
		.amdhsa_float_denorm_mode_32 3
		.amdhsa_float_denorm_mode_16_64 3
		.amdhsa_dx10_clamp 1
		.amdhsa_ieee_mode 1
		.amdhsa_fp16_overflow 0
		.amdhsa_workgroup_processor_mode 1
		.amdhsa_memory_ordered 1
		.amdhsa_forward_progress 0
		.amdhsa_shared_vgpr_count 0
		.amdhsa_exception_fp_ieee_invalid_op 0
		.amdhsa_exception_fp_denorm_src 0
		.amdhsa_exception_fp_ieee_div_zero 0
		.amdhsa_exception_fp_ieee_overflow 0
		.amdhsa_exception_fp_ieee_underflow 0
		.amdhsa_exception_fp_ieee_inexact 0
		.amdhsa_exception_int_div_zero 0
	.end_amdhsa_kernel
	.section	.text._ZN2at6native12_GLOBAL__N_127cunn_SpatialSoftMaxBackwardIN3c104HalfEfS4_NS1_23SoftMaxBackwardEpilogueEEEvPT_PKT1_SA_jjj,"axG",@progbits,_ZN2at6native12_GLOBAL__N_127cunn_SpatialSoftMaxBackwardIN3c104HalfEfS4_NS1_23SoftMaxBackwardEpilogueEEEvPT_PKT1_SA_jjj,comdat
.Lfunc_end668:
	.size	_ZN2at6native12_GLOBAL__N_127cunn_SpatialSoftMaxBackwardIN3c104HalfEfS4_NS1_23SoftMaxBackwardEpilogueEEEvPT_PKT1_SA_jjj, .Lfunc_end668-_ZN2at6native12_GLOBAL__N_127cunn_SpatialSoftMaxBackwardIN3c104HalfEfS4_NS1_23SoftMaxBackwardEpilogueEEEvPT_PKT1_SA_jjj
                                        ; -- End function
	.section	.AMDGPU.csdata,"",@progbits
; Kernel info:
; codeLenInByte = 1000
; NumSgprs: 28
; NumVgprs: 20
; ScratchSize: 0
; MemoryBound: 0
; FloatMode: 240
; IeeeMode: 1
; LDSByteSize: 0 bytes/workgroup (compile time only)
; SGPRBlocks: 3
; VGPRBlocks: 2
; NumSGPRsForWavesPerEU: 28
; NumVGPRsForWavesPerEU: 20
; Occupancy: 16
; WaveLimiterHint : 0
; COMPUTE_PGM_RSRC2:SCRATCH_EN: 0
; COMPUTE_PGM_RSRC2:USER_SGPR: 14
; COMPUTE_PGM_RSRC2:TRAP_HANDLER: 0
; COMPUTE_PGM_RSRC2:TGID_X_EN: 1
; COMPUTE_PGM_RSRC2:TGID_Y_EN: 1
; COMPUTE_PGM_RSRC2:TGID_Z_EN: 0
; COMPUTE_PGM_RSRC2:TIDIG_COMP_CNT: 1
	.section	.text._ZN2at6native12_GLOBAL__N_127cunn_SpatialSoftMaxBackwardIN3c104HalfEffNS1_23SoftMaxBackwardEpilogueEEEvPT_PKT1_SA_jjj,"axG",@progbits,_ZN2at6native12_GLOBAL__N_127cunn_SpatialSoftMaxBackwardIN3c104HalfEffNS1_23SoftMaxBackwardEpilogueEEEvPT_PKT1_SA_jjj,comdat
	.globl	_ZN2at6native12_GLOBAL__N_127cunn_SpatialSoftMaxBackwardIN3c104HalfEffNS1_23SoftMaxBackwardEpilogueEEEvPT_PKT1_SA_jjj ; -- Begin function _ZN2at6native12_GLOBAL__N_127cunn_SpatialSoftMaxBackwardIN3c104HalfEffNS1_23SoftMaxBackwardEpilogueEEEvPT_PKT1_SA_jjj
	.p2align	8
	.type	_ZN2at6native12_GLOBAL__N_127cunn_SpatialSoftMaxBackwardIN3c104HalfEffNS1_23SoftMaxBackwardEpilogueEEEvPT_PKT1_SA_jjj,@function
_ZN2at6native12_GLOBAL__N_127cunn_SpatialSoftMaxBackwardIN3c104HalfEffNS1_23SoftMaxBackwardEpilogueEEEvPT_PKT1_SA_jjj: ; @_ZN2at6native12_GLOBAL__N_127cunn_SpatialSoftMaxBackwardIN3c104HalfEffNS1_23SoftMaxBackwardEpilogueEEEvPT_PKT1_SA_jjj
; %bb.0:
	s_load_b128 s[4:7], s[0:1], 0x18
	s_waitcnt lgkmcnt(0)
	s_cmp_ge_u32 s14, s4
	s_cbranch_scc1 .LBB669_26
; %bb.1:
	s_clause 0x1
	s_load_b32 s2, s[0:1], 0x34
	s_load_b64 s[12:13], s[0:1], 0x28
	v_and_b32_e32 v2, 0x3ff, v0
	s_mul_i32 s3, s14, s5
	s_clause 0x1
	s_load_b128 s[8:11], s[0:1], 0x0
	s_load_b64 s[16:17], s[0:1], 0x10
	s_add_u32 s18, s0, 40
	v_bfe_u32 v3, v0, 10, 10
	v_add_nc_u32_e32 v1, s3, v2
	s_addc_u32 s19, s1, 0
	s_mul_i32 s1, s3, s6
	s_delay_alu instid0(VALU_DEP_1)
	v_mul_lo_u32 v0, s6, v1
	v_mov_b32_e32 v1, 0
	v_cmp_gt_u32_e64 s0, s5, v2
	s_waitcnt lgkmcnt(0)
	s_lshr_b32 s2, s2, 16
	s_cmp_lg_u32 s5, 0
	s_mul_i32 s15, s15, s2
	s_cselect_b32 s3, -1, 0
	v_add_nc_u32_e32 v4, s15, v3
	v_add3_u32 v5, s15, s1, v3
	v_add3_u32 v6, v3, v0, s15
	s_mul_i32 s15, s12, s6
	s_mul_i32 s7, s13, s2
	v_cmp_gt_u32_e64 s1, s6, v4
	s_mul_i32 s13, s15, s5
	s_branch .LBB669_3
.LBB669_2:                              ;   in Loop: Header=BB669_3 Depth=1
	s_or_b32 exec_lo, exec_lo, s15
	v_add_nc_u32_e32 v5, s13, v5
	v_add_nc_u32_e32 v6, s13, v6
	s_add_i32 s14, s12, s14
	s_delay_alu instid0(SALU_CYCLE_1)
	s_cmp_ge_u32 s14, s4
	s_cbranch_scc1 .LBB669_26
.LBB669_3:                              ; =>This Loop Header: Depth=1
                                        ;     Child Loop BB669_7 Depth 2
                                        ;       Child Loop BB669_10 Depth 3
                                        ;       Child Loop BB669_12 Depth 3
	;; [unrolled: 1-line block ×5, first 2 shown]
	s_delay_alu instid0(VALU_DEP_1)
	s_and_saveexec_b32 s15, s1
	s_cbranch_execz .LBB669_2
; %bb.4:                                ;   in Loop: Header=BB669_3 Depth=1
	s_load_b32 s2, s[18:19], 0xc
	v_mov_b32_e32 v7, v6
	v_mov_b32_e32 v9, v5
	;; [unrolled: 1-line block ×3, first 2 shown]
	s_mov_b32 s23, 0
	s_waitcnt lgkmcnt(0)
	s_and_b32 s20, s2, 0xffff
	s_delay_alu instid0(SALU_CYCLE_1) | instskip(SKIP_3) | instid1(VALU_DEP_1)
	v_mul_u32_u24_e32 v0, s20, v3
	s_cmp_lt_u32 s20, 2
	s_mul_i32 s22, s6, s20
	s_cselect_b32 s21, -1, 0
	v_lshl_add_u32 v8, v0, 2, 0
	s_delay_alu instid0(VALU_DEP_1)
	v_lshl_add_u32 v10, v2, 2, v8
	s_branch .LBB669_7
.LBB669_5:                              ;   in Loop: Header=BB669_7 Depth=2
	s_or_b32 exec_lo, exec_lo, s24
.LBB669_6:                              ;   in Loop: Header=BB669_7 Depth=2
	v_add_nc_u32_e32 v11, s7, v11
	v_add_nc_u32_e32 v9, s7, v9
	;; [unrolled: 1-line block ×3, first 2 shown]
	s_delay_alu instid0(VALU_DEP_3) | instskip(SKIP_1) | instid1(SALU_CYCLE_1)
	v_cmp_le_u32_e32 vcc_lo, s6, v11
	s_or_b32 s23, vcc_lo, s23
	s_and_not1_b32 exec_lo, exec_lo, s23
	s_cbranch_execz .LBB669_2
.LBB669_7:                              ;   Parent Loop BB669_3 Depth=1
                                        ; =>  This Loop Header: Depth=2
                                        ;       Child Loop BB669_10 Depth 3
                                        ;       Child Loop BB669_12 Depth 3
	;; [unrolled: 1-line block ×5, first 2 shown]
	s_and_not1_b32 vcc_lo, exec_lo, s21
	s_mov_b32 s2, -1
	s_cbranch_vccnz .LBB669_14
; %bb.8:                                ;   in Loop: Header=BB669_7 Depth=2
	v_mov_b32_e32 v12, 0
	s_and_not1_b32 vcc_lo, exec_lo, s3
	s_cbranch_vccnz .LBB669_11
; %bb.9:                                ;   in Loop: Header=BB669_7 Depth=2
	v_mov_b32_e32 v0, v9
	s_mov_b32 s2, s5
.LBB669_10:                             ;   Parent Loop BB669_3 Depth=1
                                        ;     Parent Loop BB669_7 Depth=2
                                        ; =>    This Inner Loop Header: Depth=3
	s_delay_alu instid0(VALU_DEP_1) | instskip(SKIP_2) | instid1(SALU_CYCLE_1)
	v_lshlrev_b64 v[13:14], 2, v[0:1]
	v_add_nc_u32_e32 v0, s6, v0
	s_add_i32 s2, s2, -1
	s_cmp_eq_u32 s2, 0
	s_delay_alu instid0(VALU_DEP_2) | instskip(NEXT) | instid1(VALU_DEP_3)
	v_add_co_u32 v13, vcc_lo, s16, v13
	v_add_co_ci_u32_e32 v14, vcc_lo, s17, v14, vcc_lo
	global_load_b32 v13, v[13:14], off
	s_waitcnt vmcnt(0)
	v_add_f32_e32 v12, v12, v13
	s_cbranch_scc0 .LBB669_10
.LBB669_11:                             ;   in Loop: Header=BB669_7 Depth=2
	v_mov_b32_e32 v0, v9
	s_and_not1_b32 vcc_lo, exec_lo, s3
	s_mov_b32 s2, s5
	s_cbranch_vccnz .LBB669_13
	.p2align	6
.LBB669_12:                             ;   Parent Loop BB669_3 Depth=1
                                        ;     Parent Loop BB669_7 Depth=2
                                        ; =>    This Inner Loop Header: Depth=3
	s_delay_alu instid0(VALU_DEP_1) | instskip(SKIP_1) | instid1(SALU_CYCLE_1)
	v_lshlrev_b64 v[13:14], 2, v[0:1]
	s_add_i32 s2, s2, -1
	s_cmp_lg_u32 s2, 0
	s_delay_alu instid0(VALU_DEP_1) | instskip(NEXT) | instid1(VALU_DEP_2)
	v_add_co_u32 v15, vcc_lo, s16, v13
	v_add_co_ci_u32_e32 v16, vcc_lo, s17, v14, vcc_lo
	v_add_co_u32 v13, vcc_lo, s10, v13
	v_add_co_ci_u32_e32 v14, vcc_lo, s11, v14, vcc_lo
	global_load_b32 v15, v[15:16], off
	global_load_b32 v16, v[13:14], off
	v_lshlrev_b64 v[13:14], 1, v[0:1]
	v_add_nc_u32_e32 v0, s6, v0
	s_delay_alu instid0(VALU_DEP_2) | instskip(NEXT) | instid1(VALU_DEP_3)
	v_add_co_u32 v13, vcc_lo, s8, v13
	v_add_co_ci_u32_e32 v14, vcc_lo, s9, v14, vcc_lo
	s_waitcnt vmcnt(0)
	v_fma_mixlo_f16 v15, -v12, v16, v15
	global_store_b16 v[13:14], v15, off
	s_cbranch_scc1 .LBB669_12
.LBB669_13:                             ;   in Loop: Header=BB669_7 Depth=2
	s_mov_b32 s2, 0
.LBB669_14:                             ;   in Loop: Header=BB669_7 Depth=2
	s_delay_alu instid0(SALU_CYCLE_1)
	s_and_b32 vcc_lo, exec_lo, s2
	s_cbranch_vccz .LBB669_6
; %bb.15:                               ;   in Loop: Header=BB669_7 Depth=2
	v_mov_b32_e32 v12, 0
	s_and_saveexec_b32 s2, s0
	s_cbranch_execz .LBB669_19
; %bb.16:                               ;   in Loop: Header=BB669_7 Depth=2
	v_dual_mov_b32 v12, 0 :: v_dual_mov_b32 v13, v2
	v_mov_b32_e32 v0, v7
	s_mov_b32 s24, 0
.LBB669_17:                             ;   Parent Loop BB669_3 Depth=1
                                        ;     Parent Loop BB669_7 Depth=2
                                        ; =>    This Inner Loop Header: Depth=3
	s_delay_alu instid0(VALU_DEP_1) | instskip(SKIP_1) | instid1(VALU_DEP_2)
	v_lshlrev_b64 v[14:15], 2, v[0:1]
	v_add_nc_u32_e32 v0, s22, v0
	v_add_co_u32 v14, vcc_lo, s16, v14
	s_delay_alu instid0(VALU_DEP_3) | instskip(SKIP_3) | instid1(VALU_DEP_1)
	v_add_co_ci_u32_e32 v15, vcc_lo, s17, v15, vcc_lo
	global_load_b32 v14, v[14:15], off
	s_waitcnt vmcnt(0)
	v_dual_add_f32 v12, v12, v14 :: v_dual_add_nc_u32 v13, s20, v13
	v_cmp_le_u32_e32 vcc_lo, s5, v13
	s_or_b32 s24, vcc_lo, s24
	s_delay_alu instid0(SALU_CYCLE_1)
	s_and_not1_b32 exec_lo, exec_lo, s24
	s_cbranch_execnz .LBB669_17
; %bb.18:                               ;   in Loop: Header=BB669_7 Depth=2
	s_or_b32 exec_lo, exec_lo, s24
.LBB669_19:                             ;   in Loop: Header=BB669_7 Depth=2
	s_delay_alu instid0(SALU_CYCLE_1)
	s_or_b32 exec_lo, exec_lo, s2
	s_mov_b32 s2, s20
	s_waitcnt_vscnt null, 0x0
	s_barrier
	buffer_gl0_inv
	ds_store_b32 v10, v12
	s_branch .LBB669_21
	.p2align	6
.LBB669_20:                             ;   in Loop: Header=BB669_21 Depth=3
	s_or_b32 exec_lo, exec_lo, s25
	s_cmp_gt_u32 s2, 3
	s_mov_b32 s2, s24
	s_cbranch_scc0 .LBB669_23
.LBB669_21:                             ;   Parent Loop BB669_3 Depth=1
                                        ;     Parent Loop BB669_7 Depth=2
                                        ; =>    This Inner Loop Header: Depth=3
	s_lshr_b32 s24, s2, 1
	s_mov_b32 s25, exec_lo
	s_waitcnt lgkmcnt(0)
	s_barrier
	buffer_gl0_inv
	v_cmpx_gt_u32_e64 s24, v2
	s_cbranch_execz .LBB669_20
; %bb.22:                               ;   in Loop: Header=BB669_21 Depth=3
	v_lshl_add_u32 v0, s24, 2, v10
	ds_load_b32 v12, v10
	ds_load_b32 v0, v0
	s_waitcnt lgkmcnt(0)
	v_add_f32_e32 v0, v12, v0
	ds_store_b32 v10, v0
	s_branch .LBB669_20
.LBB669_23:                             ;   in Loop: Header=BB669_7 Depth=2
	s_waitcnt lgkmcnt(0)
	s_barrier
	buffer_gl0_inv
	s_and_saveexec_b32 s24, s0
	s_cbranch_execz .LBB669_5
; %bb.24:                               ;   in Loop: Header=BB669_7 Depth=2
	ds_load_b32 v12, v8
	v_dual_mov_b32 v0, v7 :: v_dual_mov_b32 v13, v2
	s_mov_b32 s25, 0
	.p2align	6
.LBB669_25:                             ;   Parent Loop BB669_3 Depth=1
                                        ;     Parent Loop BB669_7 Depth=2
                                        ; =>    This Inner Loop Header: Depth=3
	s_delay_alu instid0(VALU_DEP_1) | instskip(NEXT) | instid1(VALU_DEP_2)
	v_lshlrev_b64 v[14:15], 2, v[0:1]
	v_add_nc_u32_e32 v13, s20, v13
	s_delay_alu instid0(VALU_DEP_2) | instskip(NEXT) | instid1(VALU_DEP_3)
	v_add_co_u32 v16, vcc_lo, s16, v14
	v_add_co_ci_u32_e32 v17, vcc_lo, s17, v15, vcc_lo
	v_add_co_u32 v14, vcc_lo, s10, v14
	v_add_co_ci_u32_e32 v15, vcc_lo, s11, v15, vcc_lo
	v_cmp_le_u32_e32 vcc_lo, s5, v13
	global_load_b32 v16, v[16:17], off
	global_load_b32 v17, v[14:15], off
	v_lshlrev_b64 v[14:15], 1, v[0:1]
	v_add_nc_u32_e32 v0, s22, v0
	s_or_b32 s25, vcc_lo, s25
	s_delay_alu instid0(VALU_DEP_2) | instskip(NEXT) | instid1(VALU_DEP_1)
	v_add_co_u32 v14, s2, s8, v14
	v_add_co_ci_u32_e64 v15, s2, s9, v15, s2
	s_waitcnt vmcnt(0) lgkmcnt(0)
	v_fma_mixlo_f16 v16, -v12, v17, v16
	global_store_b16 v[14:15], v16, off
	s_and_not1_b32 exec_lo, exec_lo, s25
	s_cbranch_execnz .LBB669_25
	s_branch .LBB669_5
.LBB669_26:
	s_nop 0
	s_sendmsg sendmsg(MSG_DEALLOC_VGPRS)
	s_endpgm
	.section	.rodata,"a",@progbits
	.p2align	6, 0x0
	.amdhsa_kernel _ZN2at6native12_GLOBAL__N_127cunn_SpatialSoftMaxBackwardIN3c104HalfEffNS1_23SoftMaxBackwardEpilogueEEEvPT_PKT1_SA_jjj
		.amdhsa_group_segment_fixed_size 0
		.amdhsa_private_segment_fixed_size 0
		.amdhsa_kernarg_size 296
		.amdhsa_user_sgpr_count 14
		.amdhsa_user_sgpr_dispatch_ptr 0
		.amdhsa_user_sgpr_queue_ptr 0
		.amdhsa_user_sgpr_kernarg_segment_ptr 1
		.amdhsa_user_sgpr_dispatch_id 0
		.amdhsa_user_sgpr_private_segment_size 0
		.amdhsa_wavefront_size32 1
		.amdhsa_uses_dynamic_stack 0
		.amdhsa_enable_private_segment 0
		.amdhsa_system_sgpr_workgroup_id_x 1
		.amdhsa_system_sgpr_workgroup_id_y 1
		.amdhsa_system_sgpr_workgroup_id_z 0
		.amdhsa_system_sgpr_workgroup_info 0
		.amdhsa_system_vgpr_workitem_id 1
		.amdhsa_next_free_vgpr 18
		.amdhsa_next_free_sgpr 26
		.amdhsa_reserve_vcc 1
		.amdhsa_float_round_mode_32 0
		.amdhsa_float_round_mode_16_64 0
		.amdhsa_float_denorm_mode_32 3
		.amdhsa_float_denorm_mode_16_64 3
		.amdhsa_dx10_clamp 1
		.amdhsa_ieee_mode 1
		.amdhsa_fp16_overflow 0
		.amdhsa_workgroup_processor_mode 1
		.amdhsa_memory_ordered 1
		.amdhsa_forward_progress 0
		.amdhsa_shared_vgpr_count 0
		.amdhsa_exception_fp_ieee_invalid_op 0
		.amdhsa_exception_fp_denorm_src 0
		.amdhsa_exception_fp_ieee_div_zero 0
		.amdhsa_exception_fp_ieee_overflow 0
		.amdhsa_exception_fp_ieee_underflow 0
		.amdhsa_exception_fp_ieee_inexact 0
		.amdhsa_exception_int_div_zero 0
	.end_amdhsa_kernel
	.section	.text._ZN2at6native12_GLOBAL__N_127cunn_SpatialSoftMaxBackwardIN3c104HalfEffNS1_23SoftMaxBackwardEpilogueEEEvPT_PKT1_SA_jjj,"axG",@progbits,_ZN2at6native12_GLOBAL__N_127cunn_SpatialSoftMaxBackwardIN3c104HalfEffNS1_23SoftMaxBackwardEpilogueEEEvPT_PKT1_SA_jjj,comdat
.Lfunc_end669:
	.size	_ZN2at6native12_GLOBAL__N_127cunn_SpatialSoftMaxBackwardIN3c104HalfEffNS1_23SoftMaxBackwardEpilogueEEEvPT_PKT1_SA_jjj, .Lfunc_end669-_ZN2at6native12_GLOBAL__N_127cunn_SpatialSoftMaxBackwardIN3c104HalfEffNS1_23SoftMaxBackwardEpilogueEEEvPT_PKT1_SA_jjj
                                        ; -- End function
	.section	.AMDGPU.csdata,"",@progbits
; Kernel info:
; codeLenInByte = 1008
; NumSgprs: 28
; NumVgprs: 18
; ScratchSize: 0
; MemoryBound: 0
; FloatMode: 240
; IeeeMode: 1
; LDSByteSize: 0 bytes/workgroup (compile time only)
; SGPRBlocks: 3
; VGPRBlocks: 2
; NumSGPRsForWavesPerEU: 28
; NumVGPRsForWavesPerEU: 18
; Occupancy: 16
; WaveLimiterHint : 0
; COMPUTE_PGM_RSRC2:SCRATCH_EN: 0
; COMPUTE_PGM_RSRC2:USER_SGPR: 14
; COMPUTE_PGM_RSRC2:TRAP_HANDLER: 0
; COMPUTE_PGM_RSRC2:TGID_X_EN: 1
; COMPUTE_PGM_RSRC2:TGID_Y_EN: 1
; COMPUTE_PGM_RSRC2:TGID_Z_EN: 0
; COMPUTE_PGM_RSRC2:TIDIG_COMP_CNT: 1
	.section	.text._ZN2at6native12_GLOBAL__N_127cunn_SpatialSoftMaxBackwardIN3c108BFloat16EfS4_NS1_23SoftMaxBackwardEpilogueEEEvPT_PKT1_SA_jjj,"axG",@progbits,_ZN2at6native12_GLOBAL__N_127cunn_SpatialSoftMaxBackwardIN3c108BFloat16EfS4_NS1_23SoftMaxBackwardEpilogueEEEvPT_PKT1_SA_jjj,comdat
	.globl	_ZN2at6native12_GLOBAL__N_127cunn_SpatialSoftMaxBackwardIN3c108BFloat16EfS4_NS1_23SoftMaxBackwardEpilogueEEEvPT_PKT1_SA_jjj ; -- Begin function _ZN2at6native12_GLOBAL__N_127cunn_SpatialSoftMaxBackwardIN3c108BFloat16EfS4_NS1_23SoftMaxBackwardEpilogueEEEvPT_PKT1_SA_jjj
	.p2align	8
	.type	_ZN2at6native12_GLOBAL__N_127cunn_SpatialSoftMaxBackwardIN3c108BFloat16EfS4_NS1_23SoftMaxBackwardEpilogueEEEvPT_PKT1_SA_jjj,@function
_ZN2at6native12_GLOBAL__N_127cunn_SpatialSoftMaxBackwardIN3c108BFloat16EfS4_NS1_23SoftMaxBackwardEpilogueEEEvPT_PKT1_SA_jjj: ; @_ZN2at6native12_GLOBAL__N_127cunn_SpatialSoftMaxBackwardIN3c108BFloat16EfS4_NS1_23SoftMaxBackwardEpilogueEEEvPT_PKT1_SA_jjj
; %bb.0:
	s_load_b128 s[4:7], s[0:1], 0x18
	s_waitcnt lgkmcnt(0)
	s_cmp_ge_u32 s14, s4
	s_cbranch_scc1 .LBB670_26
; %bb.1:
	s_clause 0x1
	s_load_b32 s2, s[0:1], 0x34
	s_load_b64 s[12:13], s[0:1], 0x28
	v_and_b32_e32 v2, 0x3ff, v0
	s_mul_i32 s3, s14, s5
	s_clause 0x1
	s_load_b128 s[8:11], s[0:1], 0x0
	s_load_b64 s[16:17], s[0:1], 0x10
	s_add_u32 s18, s0, 40
	v_bfe_u32 v3, v0, 10, 10
	v_add_nc_u32_e32 v1, s3, v2
	s_addc_u32 s19, s1, 0
	s_mul_i32 s1, s3, s6
	s_delay_alu instid0(VALU_DEP_1)
	v_mul_lo_u32 v0, s6, v1
	v_mov_b32_e32 v1, 0
	v_cmp_gt_u32_e64 s0, s5, v2
	s_waitcnt lgkmcnt(0)
	s_lshr_b32 s2, s2, 16
	s_cmp_lg_u32 s5, 0
	s_mul_i32 s15, s15, s2
	s_cselect_b32 s3, -1, 0
	v_add_nc_u32_e32 v4, s15, v3
	v_add3_u32 v5, s15, s1, v3
	v_add3_u32 v6, v3, v0, s15
	s_mul_i32 s15, s12, s6
	s_mul_i32 s7, s13, s2
	v_cmp_gt_u32_e64 s1, s6, v4
	s_mul_i32 s13, s15, s5
	s_branch .LBB670_3
.LBB670_2:                              ;   in Loop: Header=BB670_3 Depth=1
	s_or_b32 exec_lo, exec_lo, s15
	v_add_nc_u32_e32 v5, s13, v5
	v_add_nc_u32_e32 v6, s13, v6
	s_add_i32 s14, s12, s14
	s_delay_alu instid0(SALU_CYCLE_1)
	s_cmp_ge_u32 s14, s4
	s_cbranch_scc1 .LBB670_26
.LBB670_3:                              ; =>This Loop Header: Depth=1
                                        ;     Child Loop BB670_7 Depth 2
                                        ;       Child Loop BB670_10 Depth 3
                                        ;       Child Loop BB670_12 Depth 3
	;; [unrolled: 1-line block ×5, first 2 shown]
	s_delay_alu instid0(VALU_DEP_1)
	s_and_saveexec_b32 s15, s1
	s_cbranch_execz .LBB670_2
; %bb.4:                                ;   in Loop: Header=BB670_3 Depth=1
	s_load_b32 s2, s[18:19], 0xc
	v_mov_b32_e32 v7, v6
	v_mov_b32_e32 v9, v5
	;; [unrolled: 1-line block ×3, first 2 shown]
	s_mov_b32 s23, 0
	s_waitcnt lgkmcnt(0)
	s_and_b32 s20, s2, 0xffff
	s_delay_alu instid0(SALU_CYCLE_1) | instskip(SKIP_3) | instid1(VALU_DEP_1)
	v_mul_u32_u24_e32 v0, s20, v3
	s_cmp_lt_u32 s20, 2
	s_mul_i32 s22, s6, s20
	s_cselect_b32 s21, -1, 0
	v_lshl_add_u32 v8, v0, 2, 0
	s_delay_alu instid0(VALU_DEP_1)
	v_lshl_add_u32 v10, v2, 2, v8
	s_branch .LBB670_7
.LBB670_5:                              ;   in Loop: Header=BB670_7 Depth=2
	s_set_inst_prefetch_distance 0x2
	s_or_b32 exec_lo, exec_lo, s24
.LBB670_6:                              ;   in Loop: Header=BB670_7 Depth=2
	v_add_nc_u32_e32 v11, s7, v11
	v_add_nc_u32_e32 v9, s7, v9
	v_add_nc_u32_e32 v7, s7, v7
	s_delay_alu instid0(VALU_DEP_3) | instskip(SKIP_1) | instid1(SALU_CYCLE_1)
	v_cmp_le_u32_e32 vcc_lo, s6, v11
	s_or_b32 s23, vcc_lo, s23
	s_and_not1_b32 exec_lo, exec_lo, s23
	s_cbranch_execz .LBB670_2
.LBB670_7:                              ;   Parent Loop BB670_3 Depth=1
                                        ; =>  This Loop Header: Depth=2
                                        ;       Child Loop BB670_10 Depth 3
                                        ;       Child Loop BB670_12 Depth 3
	;; [unrolled: 1-line block ×5, first 2 shown]
	s_and_not1_b32 vcc_lo, exec_lo, s21
	s_mov_b32 s2, -1
	s_cbranch_vccnz .LBB670_14
; %bb.8:                                ;   in Loop: Header=BB670_7 Depth=2
	v_mov_b32_e32 v12, 0
	s_and_not1_b32 vcc_lo, exec_lo, s3
	s_cbranch_vccnz .LBB670_11
; %bb.9:                                ;   in Loop: Header=BB670_7 Depth=2
	v_mov_b32_e32 v0, v9
	s_mov_b32 s2, s5
.LBB670_10:                             ;   Parent Loop BB670_3 Depth=1
                                        ;     Parent Loop BB670_7 Depth=2
                                        ; =>    This Inner Loop Header: Depth=3
	s_delay_alu instid0(VALU_DEP_1) | instskip(SKIP_2) | instid1(SALU_CYCLE_1)
	v_lshlrev_b64 v[13:14], 1, v[0:1]
	v_add_nc_u32_e32 v0, s6, v0
	s_add_i32 s2, s2, -1
	s_cmp_eq_u32 s2, 0
	s_delay_alu instid0(VALU_DEP_2) | instskip(NEXT) | instid1(VALU_DEP_3)
	v_add_co_u32 v13, vcc_lo, s16, v13
	v_add_co_ci_u32_e32 v14, vcc_lo, s17, v14, vcc_lo
	global_load_u16 v13, v[13:14], off
	s_waitcnt vmcnt(0)
	v_lshlrev_b32_e32 v13, 16, v13
	s_delay_alu instid0(VALU_DEP_1)
	v_add_f32_e32 v12, v12, v13
	s_cbranch_scc0 .LBB670_10
.LBB670_11:                             ;   in Loop: Header=BB670_7 Depth=2
	v_mov_b32_e32 v0, v9
	s_and_not1_b32 vcc_lo, exec_lo, s3
	s_mov_b32 s2, s5
	s_cbranch_vccnz .LBB670_13
	.p2align	6
.LBB670_12:                             ;   Parent Loop BB670_3 Depth=1
                                        ;     Parent Loop BB670_7 Depth=2
                                        ; =>    This Inner Loop Header: Depth=3
	s_delay_alu instid0(VALU_DEP_1) | instskip(SKIP_2) | instid1(SALU_CYCLE_1)
	v_lshlrev_b64 v[13:14], 1, v[0:1]
	v_add_nc_u32_e32 v0, s6, v0
	s_add_i32 s2, s2, -1
	s_cmp_lg_u32 s2, 0
	s_delay_alu instid0(VALU_DEP_2) | instskip(NEXT) | instid1(VALU_DEP_3)
	v_add_co_u32 v15, vcc_lo, s10, v13
	v_add_co_ci_u32_e32 v16, vcc_lo, s11, v14, vcc_lo
	v_add_co_u32 v17, vcc_lo, s16, v13
	v_add_co_ci_u32_e32 v18, vcc_lo, s17, v14, vcc_lo
	v_add_co_u32 v13, vcc_lo, s8, v13
	global_load_u16 v15, v[15:16], off
	global_load_u16 v16, v[17:18], off
	v_add_co_ci_u32_e32 v14, vcc_lo, s9, v14, vcc_lo
	s_waitcnt vmcnt(1)
	v_lshlrev_b32_e32 v15, 16, v15
	s_waitcnt vmcnt(0)
	v_lshlrev_b32_e32 v16, 16, v16
	s_delay_alu instid0(VALU_DEP_1) | instskip(NEXT) | instid1(VALU_DEP_1)
	v_fma_f32 v15, -v12, v15, v16
	v_bfe_u32 v16, v15, 16, 1
	v_cmp_o_f32_e32 vcc_lo, v15, v15
	s_delay_alu instid0(VALU_DEP_2) | instskip(NEXT) | instid1(VALU_DEP_1)
	v_add3_u32 v16, v15, v16, 0x7fff
	v_lshrrev_b32_e32 v16, 16, v16
	s_delay_alu instid0(VALU_DEP_1)
	v_cndmask_b32_e32 v15, 0x7fc0, v16, vcc_lo
	global_store_b16 v[13:14], v15, off
	s_cbranch_scc1 .LBB670_12
.LBB670_13:                             ;   in Loop: Header=BB670_7 Depth=2
	s_mov_b32 s2, 0
.LBB670_14:                             ;   in Loop: Header=BB670_7 Depth=2
	s_delay_alu instid0(SALU_CYCLE_1)
	s_and_b32 vcc_lo, exec_lo, s2
	s_cbranch_vccz .LBB670_6
; %bb.15:                               ;   in Loop: Header=BB670_7 Depth=2
	v_mov_b32_e32 v12, 0
	s_and_saveexec_b32 s2, s0
	s_cbranch_execz .LBB670_19
; %bb.16:                               ;   in Loop: Header=BB670_7 Depth=2
	v_dual_mov_b32 v12, 0 :: v_dual_mov_b32 v13, v2
	v_mov_b32_e32 v0, v7
	s_mov_b32 s24, 0
.LBB670_17:                             ;   Parent Loop BB670_3 Depth=1
                                        ;     Parent Loop BB670_7 Depth=2
                                        ; =>    This Inner Loop Header: Depth=3
	s_delay_alu instid0(VALU_DEP_1) | instskip(SKIP_1) | instid1(VALU_DEP_2)
	v_lshlrev_b64 v[14:15], 1, v[0:1]
	v_add_nc_u32_e32 v0, s22, v0
	v_add_co_u32 v14, vcc_lo, s16, v14
	s_delay_alu instid0(VALU_DEP_3) | instskip(SKIP_3) | instid1(VALU_DEP_1)
	v_add_co_ci_u32_e32 v15, vcc_lo, s17, v15, vcc_lo
	global_load_u16 v14, v[14:15], off
	s_waitcnt vmcnt(0)
	v_lshlrev_b32_e32 v14, 16, v14
	v_dual_add_f32 v12, v12, v14 :: v_dual_add_nc_u32 v13, s20, v13
	s_delay_alu instid0(VALU_DEP_1) | instskip(SKIP_1) | instid1(SALU_CYCLE_1)
	v_cmp_le_u32_e32 vcc_lo, s5, v13
	s_or_b32 s24, vcc_lo, s24
	s_and_not1_b32 exec_lo, exec_lo, s24
	s_cbranch_execnz .LBB670_17
; %bb.18:                               ;   in Loop: Header=BB670_7 Depth=2
	s_or_b32 exec_lo, exec_lo, s24
.LBB670_19:                             ;   in Loop: Header=BB670_7 Depth=2
	s_delay_alu instid0(SALU_CYCLE_1)
	s_or_b32 exec_lo, exec_lo, s2
	s_mov_b32 s2, s20
	s_waitcnt_vscnt null, 0x0
	s_barrier
	buffer_gl0_inv
	ds_store_b32 v10, v12
	s_branch .LBB670_21
	.p2align	6
.LBB670_20:                             ;   in Loop: Header=BB670_21 Depth=3
	s_or_b32 exec_lo, exec_lo, s25
	s_cmp_gt_u32 s2, 3
	s_mov_b32 s2, s24
	s_cbranch_scc0 .LBB670_23
.LBB670_21:                             ;   Parent Loop BB670_3 Depth=1
                                        ;     Parent Loop BB670_7 Depth=2
                                        ; =>    This Inner Loop Header: Depth=3
	s_lshr_b32 s24, s2, 1
	s_mov_b32 s25, exec_lo
	s_waitcnt lgkmcnt(0)
	s_barrier
	buffer_gl0_inv
	v_cmpx_gt_u32_e64 s24, v2
	s_cbranch_execz .LBB670_20
; %bb.22:                               ;   in Loop: Header=BB670_21 Depth=3
	v_lshl_add_u32 v0, s24, 2, v10
	ds_load_b32 v12, v10
	ds_load_b32 v0, v0
	s_waitcnt lgkmcnt(0)
	v_add_f32_e32 v0, v12, v0
	ds_store_b32 v10, v0
	s_branch .LBB670_20
.LBB670_23:                             ;   in Loop: Header=BB670_7 Depth=2
	s_waitcnt lgkmcnt(0)
	s_barrier
	buffer_gl0_inv
	s_and_saveexec_b32 s24, s0
	s_cbranch_execz .LBB670_5
; %bb.24:                               ;   in Loop: Header=BB670_7 Depth=2
	ds_load_b32 v12, v8
	v_dual_mov_b32 v0, v7 :: v_dual_mov_b32 v13, v2
	s_mov_b32 s25, 0
	s_set_inst_prefetch_distance 0x1
	.p2align	6
.LBB670_25:                             ;   Parent Loop BB670_3 Depth=1
                                        ;     Parent Loop BB670_7 Depth=2
                                        ; =>    This Inner Loop Header: Depth=3
	s_delay_alu instid0(VALU_DEP_1) | instskip(NEXT) | instid1(VALU_DEP_2)
	v_lshlrev_b64 v[14:15], 1, v[0:1]
	v_add_nc_u32_e32 v13, s20, v13
	v_add_nc_u32_e32 v0, s22, v0
	s_delay_alu instid0(VALU_DEP_3) | instskip(NEXT) | instid1(VALU_DEP_4)
	v_add_co_u32 v16, vcc_lo, s10, v14
	v_add_co_ci_u32_e32 v17, vcc_lo, s11, v15, vcc_lo
	v_add_co_u32 v18, vcc_lo, s16, v14
	v_add_co_ci_u32_e32 v19, vcc_lo, s17, v15, vcc_lo
	v_add_co_u32 v14, s2, s8, v14
	global_load_u16 v16, v[16:17], off
	global_load_u16 v17, v[18:19], off
	v_add_co_ci_u32_e64 v15, s2, s9, v15, s2
	v_cmp_le_u32_e32 vcc_lo, s5, v13
	s_or_b32 s25, vcc_lo, s25
	s_waitcnt vmcnt(1)
	v_lshlrev_b32_e32 v16, 16, v16
	s_waitcnt vmcnt(0)
	v_lshlrev_b32_e32 v17, 16, v17
	s_waitcnt lgkmcnt(0)
	s_delay_alu instid0(VALU_DEP_1) | instskip(NEXT) | instid1(VALU_DEP_1)
	v_fma_f32 v16, -v12, v16, v17
	v_bfe_u32 v17, v16, 16, 1
	v_cmp_o_f32_e64 s2, v16, v16
	s_delay_alu instid0(VALU_DEP_2) | instskip(NEXT) | instid1(VALU_DEP_1)
	v_add3_u32 v17, v16, v17, 0x7fff
	v_lshrrev_b32_e32 v17, 16, v17
	s_delay_alu instid0(VALU_DEP_1)
	v_cndmask_b32_e64 v16, 0x7fc0, v17, s2
	global_store_b16 v[14:15], v16, off
	s_and_not1_b32 exec_lo, exec_lo, s25
	s_cbranch_execnz .LBB670_25
	s_branch .LBB670_5
.LBB670_26:
	s_nop 0
	s_sendmsg sendmsg(MSG_DEALLOC_VGPRS)
	s_endpgm
	.section	.rodata,"a",@progbits
	.p2align	6, 0x0
	.amdhsa_kernel _ZN2at6native12_GLOBAL__N_127cunn_SpatialSoftMaxBackwardIN3c108BFloat16EfS4_NS1_23SoftMaxBackwardEpilogueEEEvPT_PKT1_SA_jjj
		.amdhsa_group_segment_fixed_size 0
		.amdhsa_private_segment_fixed_size 0
		.amdhsa_kernarg_size 296
		.amdhsa_user_sgpr_count 14
		.amdhsa_user_sgpr_dispatch_ptr 0
		.amdhsa_user_sgpr_queue_ptr 0
		.amdhsa_user_sgpr_kernarg_segment_ptr 1
		.amdhsa_user_sgpr_dispatch_id 0
		.amdhsa_user_sgpr_private_segment_size 0
		.amdhsa_wavefront_size32 1
		.amdhsa_uses_dynamic_stack 0
		.amdhsa_enable_private_segment 0
		.amdhsa_system_sgpr_workgroup_id_x 1
		.amdhsa_system_sgpr_workgroup_id_y 1
		.amdhsa_system_sgpr_workgroup_id_z 0
		.amdhsa_system_sgpr_workgroup_info 0
		.amdhsa_system_vgpr_workitem_id 1
		.amdhsa_next_free_vgpr 20
		.amdhsa_next_free_sgpr 26
		.amdhsa_reserve_vcc 1
		.amdhsa_float_round_mode_32 0
		.amdhsa_float_round_mode_16_64 0
		.amdhsa_float_denorm_mode_32 3
		.amdhsa_float_denorm_mode_16_64 3
		.amdhsa_dx10_clamp 1
		.amdhsa_ieee_mode 1
		.amdhsa_fp16_overflow 0
		.amdhsa_workgroup_processor_mode 1
		.amdhsa_memory_ordered 1
		.amdhsa_forward_progress 0
		.amdhsa_shared_vgpr_count 0
		.amdhsa_exception_fp_ieee_invalid_op 0
		.amdhsa_exception_fp_denorm_src 0
		.amdhsa_exception_fp_ieee_div_zero 0
		.amdhsa_exception_fp_ieee_overflow 0
		.amdhsa_exception_fp_ieee_underflow 0
		.amdhsa_exception_fp_ieee_inexact 0
		.amdhsa_exception_int_div_zero 0
	.end_amdhsa_kernel
	.section	.text._ZN2at6native12_GLOBAL__N_127cunn_SpatialSoftMaxBackwardIN3c108BFloat16EfS4_NS1_23SoftMaxBackwardEpilogueEEEvPT_PKT1_SA_jjj,"axG",@progbits,_ZN2at6native12_GLOBAL__N_127cunn_SpatialSoftMaxBackwardIN3c108BFloat16EfS4_NS1_23SoftMaxBackwardEpilogueEEEvPT_PKT1_SA_jjj,comdat
.Lfunc_end670:
	.size	_ZN2at6native12_GLOBAL__N_127cunn_SpatialSoftMaxBackwardIN3c108BFloat16EfS4_NS1_23SoftMaxBackwardEpilogueEEEvPT_PKT1_SA_jjj, .Lfunc_end670-_ZN2at6native12_GLOBAL__N_127cunn_SpatialSoftMaxBackwardIN3c108BFloat16EfS4_NS1_23SoftMaxBackwardEpilogueEEEvPT_PKT1_SA_jjj
                                        ; -- End function
	.section	.AMDGPU.csdata,"",@progbits
; Kernel info:
; codeLenInByte = 1136
; NumSgprs: 28
; NumVgprs: 20
; ScratchSize: 0
; MemoryBound: 0
; FloatMode: 240
; IeeeMode: 1
; LDSByteSize: 0 bytes/workgroup (compile time only)
; SGPRBlocks: 3
; VGPRBlocks: 2
; NumSGPRsForWavesPerEU: 28
; NumVGPRsForWavesPerEU: 20
; Occupancy: 16
; WaveLimiterHint : 0
; COMPUTE_PGM_RSRC2:SCRATCH_EN: 0
; COMPUTE_PGM_RSRC2:USER_SGPR: 14
; COMPUTE_PGM_RSRC2:TRAP_HANDLER: 0
; COMPUTE_PGM_RSRC2:TGID_X_EN: 1
; COMPUTE_PGM_RSRC2:TGID_Y_EN: 1
; COMPUTE_PGM_RSRC2:TGID_Z_EN: 0
; COMPUTE_PGM_RSRC2:TIDIG_COMP_CNT: 1
	.section	.text._ZN2at6native12_GLOBAL__N_127cunn_SpatialSoftMaxBackwardIN3c108BFloat16EffNS1_23SoftMaxBackwardEpilogueEEEvPT_PKT1_SA_jjj,"axG",@progbits,_ZN2at6native12_GLOBAL__N_127cunn_SpatialSoftMaxBackwardIN3c108BFloat16EffNS1_23SoftMaxBackwardEpilogueEEEvPT_PKT1_SA_jjj,comdat
	.globl	_ZN2at6native12_GLOBAL__N_127cunn_SpatialSoftMaxBackwardIN3c108BFloat16EffNS1_23SoftMaxBackwardEpilogueEEEvPT_PKT1_SA_jjj ; -- Begin function _ZN2at6native12_GLOBAL__N_127cunn_SpatialSoftMaxBackwardIN3c108BFloat16EffNS1_23SoftMaxBackwardEpilogueEEEvPT_PKT1_SA_jjj
	.p2align	8
	.type	_ZN2at6native12_GLOBAL__N_127cunn_SpatialSoftMaxBackwardIN3c108BFloat16EffNS1_23SoftMaxBackwardEpilogueEEEvPT_PKT1_SA_jjj,@function
_ZN2at6native12_GLOBAL__N_127cunn_SpatialSoftMaxBackwardIN3c108BFloat16EffNS1_23SoftMaxBackwardEpilogueEEEvPT_PKT1_SA_jjj: ; @_ZN2at6native12_GLOBAL__N_127cunn_SpatialSoftMaxBackwardIN3c108BFloat16EffNS1_23SoftMaxBackwardEpilogueEEEvPT_PKT1_SA_jjj
; %bb.0:
	s_load_b128 s[4:7], s[0:1], 0x18
	s_waitcnt lgkmcnt(0)
	s_cmp_ge_u32 s14, s4
	s_cbranch_scc1 .LBB671_26
; %bb.1:
	s_clause 0x1
	s_load_b32 s2, s[0:1], 0x34
	s_load_b64 s[12:13], s[0:1], 0x28
	v_and_b32_e32 v2, 0x3ff, v0
	s_mul_i32 s3, s14, s5
	s_clause 0x1
	s_load_b128 s[8:11], s[0:1], 0x0
	s_load_b64 s[16:17], s[0:1], 0x10
	s_add_u32 s18, s0, 40
	v_bfe_u32 v3, v0, 10, 10
	v_add_nc_u32_e32 v1, s3, v2
	s_addc_u32 s19, s1, 0
	s_mul_i32 s1, s3, s6
	s_delay_alu instid0(VALU_DEP_1)
	v_mul_lo_u32 v0, s6, v1
	v_mov_b32_e32 v1, 0
	v_cmp_gt_u32_e64 s0, s5, v2
	s_waitcnt lgkmcnt(0)
	s_lshr_b32 s2, s2, 16
	s_cmp_lg_u32 s5, 0
	s_mul_i32 s15, s15, s2
	s_cselect_b32 s3, -1, 0
	v_add_nc_u32_e32 v4, s15, v3
	v_add3_u32 v5, s15, s1, v3
	v_add3_u32 v6, v3, v0, s15
	s_mul_i32 s15, s12, s6
	s_mul_i32 s7, s13, s2
	v_cmp_gt_u32_e64 s1, s6, v4
	s_mul_i32 s13, s15, s5
	s_branch .LBB671_3
.LBB671_2:                              ;   in Loop: Header=BB671_3 Depth=1
	s_or_b32 exec_lo, exec_lo, s15
	v_add_nc_u32_e32 v5, s13, v5
	v_add_nc_u32_e32 v6, s13, v6
	s_add_i32 s14, s12, s14
	s_delay_alu instid0(SALU_CYCLE_1)
	s_cmp_ge_u32 s14, s4
	s_cbranch_scc1 .LBB671_26
.LBB671_3:                              ; =>This Loop Header: Depth=1
                                        ;     Child Loop BB671_7 Depth 2
                                        ;       Child Loop BB671_10 Depth 3
                                        ;       Child Loop BB671_12 Depth 3
	;; [unrolled: 1-line block ×5, first 2 shown]
	s_delay_alu instid0(VALU_DEP_1)
	s_and_saveexec_b32 s15, s1
	s_cbranch_execz .LBB671_2
; %bb.4:                                ;   in Loop: Header=BB671_3 Depth=1
	s_load_b32 s2, s[18:19], 0xc
	v_mov_b32_e32 v7, v6
	v_mov_b32_e32 v9, v5
	;; [unrolled: 1-line block ×3, first 2 shown]
	s_mov_b32 s23, 0
	s_waitcnt lgkmcnt(0)
	s_and_b32 s20, s2, 0xffff
	s_delay_alu instid0(SALU_CYCLE_1) | instskip(SKIP_3) | instid1(VALU_DEP_1)
	v_mul_u32_u24_e32 v0, s20, v3
	s_cmp_lt_u32 s20, 2
	s_mul_i32 s22, s6, s20
	s_cselect_b32 s21, -1, 0
	v_lshl_add_u32 v8, v0, 2, 0
	s_delay_alu instid0(VALU_DEP_1)
	v_lshl_add_u32 v10, v2, 2, v8
	s_branch .LBB671_7
.LBB671_5:                              ;   in Loop: Header=BB671_7 Depth=2
	s_set_inst_prefetch_distance 0x2
	s_or_b32 exec_lo, exec_lo, s24
.LBB671_6:                              ;   in Loop: Header=BB671_7 Depth=2
	v_add_nc_u32_e32 v11, s7, v11
	v_add_nc_u32_e32 v9, s7, v9
	;; [unrolled: 1-line block ×3, first 2 shown]
	s_delay_alu instid0(VALU_DEP_3) | instskip(SKIP_1) | instid1(SALU_CYCLE_1)
	v_cmp_le_u32_e32 vcc_lo, s6, v11
	s_or_b32 s23, vcc_lo, s23
	s_and_not1_b32 exec_lo, exec_lo, s23
	s_cbranch_execz .LBB671_2
.LBB671_7:                              ;   Parent Loop BB671_3 Depth=1
                                        ; =>  This Loop Header: Depth=2
                                        ;       Child Loop BB671_10 Depth 3
                                        ;       Child Loop BB671_12 Depth 3
	;; [unrolled: 1-line block ×5, first 2 shown]
	s_and_not1_b32 vcc_lo, exec_lo, s21
	s_mov_b32 s2, -1
	s_cbranch_vccnz .LBB671_14
; %bb.8:                                ;   in Loop: Header=BB671_7 Depth=2
	v_mov_b32_e32 v12, 0
	s_and_not1_b32 vcc_lo, exec_lo, s3
	s_cbranch_vccnz .LBB671_11
; %bb.9:                                ;   in Loop: Header=BB671_7 Depth=2
	v_mov_b32_e32 v0, v9
	s_mov_b32 s2, s5
.LBB671_10:                             ;   Parent Loop BB671_3 Depth=1
                                        ;     Parent Loop BB671_7 Depth=2
                                        ; =>    This Inner Loop Header: Depth=3
	s_delay_alu instid0(VALU_DEP_1) | instskip(SKIP_2) | instid1(SALU_CYCLE_1)
	v_lshlrev_b64 v[13:14], 2, v[0:1]
	v_add_nc_u32_e32 v0, s6, v0
	s_add_i32 s2, s2, -1
	s_cmp_eq_u32 s2, 0
	s_delay_alu instid0(VALU_DEP_2) | instskip(NEXT) | instid1(VALU_DEP_3)
	v_add_co_u32 v13, vcc_lo, s16, v13
	v_add_co_ci_u32_e32 v14, vcc_lo, s17, v14, vcc_lo
	global_load_b32 v13, v[13:14], off
	s_waitcnt vmcnt(0)
	v_add_f32_e32 v12, v12, v13
	s_cbranch_scc0 .LBB671_10
.LBB671_11:                             ;   in Loop: Header=BB671_7 Depth=2
	v_mov_b32_e32 v0, v9
	s_and_not1_b32 vcc_lo, exec_lo, s3
	s_mov_b32 s2, s5
	s_cbranch_vccnz .LBB671_13
	.p2align	6
.LBB671_12:                             ;   Parent Loop BB671_3 Depth=1
                                        ;     Parent Loop BB671_7 Depth=2
                                        ; =>    This Inner Loop Header: Depth=3
	s_delay_alu instid0(VALU_DEP_1) | instskip(SKIP_1) | instid1(SALU_CYCLE_1)
	v_lshlrev_b64 v[13:14], 2, v[0:1]
	s_add_i32 s2, s2, -1
	s_cmp_lg_u32 s2, 0
	s_delay_alu instid0(VALU_DEP_1) | instskip(NEXT) | instid1(VALU_DEP_2)
	v_add_co_u32 v15, vcc_lo, s16, v13
	v_add_co_ci_u32_e32 v16, vcc_lo, s17, v14, vcc_lo
	v_add_co_u32 v13, vcc_lo, s10, v13
	v_add_co_ci_u32_e32 v14, vcc_lo, s11, v14, vcc_lo
	global_load_b32 v15, v[15:16], off
	global_load_b32 v13, v[13:14], off
	s_waitcnt vmcnt(0)
	v_fma_f32 v15, -v12, v13, v15
	s_delay_alu instid0(VALU_DEP_1) | instskip(NEXT) | instid1(VALU_DEP_1)
	v_bfe_u32 v13, v15, 16, 1
	v_add3_u32 v16, v15, v13, 0x7fff
	v_lshlrev_b64 v[13:14], 1, v[0:1]
	v_add_nc_u32_e32 v0, s6, v0
	s_delay_alu instid0(VALU_DEP_3) | instskip(NEXT) | instid1(VALU_DEP_3)
	v_lshrrev_b32_e32 v16, 16, v16
	v_add_co_u32 v13, vcc_lo, s8, v13
	s_delay_alu instid0(VALU_DEP_4) | instskip(SKIP_1) | instid1(VALU_DEP_4)
	v_add_co_ci_u32_e32 v14, vcc_lo, s9, v14, vcc_lo
	v_cmp_o_f32_e32 vcc_lo, v15, v15
	v_cndmask_b32_e32 v15, 0x7fc0, v16, vcc_lo
	global_store_b16 v[13:14], v15, off
	s_cbranch_scc1 .LBB671_12
.LBB671_13:                             ;   in Loop: Header=BB671_7 Depth=2
	s_mov_b32 s2, 0
.LBB671_14:                             ;   in Loop: Header=BB671_7 Depth=2
	s_delay_alu instid0(SALU_CYCLE_1)
	s_and_b32 vcc_lo, exec_lo, s2
	s_cbranch_vccz .LBB671_6
; %bb.15:                               ;   in Loop: Header=BB671_7 Depth=2
	v_mov_b32_e32 v12, 0
	s_and_saveexec_b32 s2, s0
	s_cbranch_execz .LBB671_19
; %bb.16:                               ;   in Loop: Header=BB671_7 Depth=2
	v_dual_mov_b32 v12, 0 :: v_dual_mov_b32 v13, v2
	v_mov_b32_e32 v0, v7
	s_mov_b32 s24, 0
.LBB671_17:                             ;   Parent Loop BB671_3 Depth=1
                                        ;     Parent Loop BB671_7 Depth=2
                                        ; =>    This Inner Loop Header: Depth=3
	s_delay_alu instid0(VALU_DEP_1) | instskip(SKIP_1) | instid1(VALU_DEP_2)
	v_lshlrev_b64 v[14:15], 2, v[0:1]
	v_add_nc_u32_e32 v0, s22, v0
	v_add_co_u32 v14, vcc_lo, s16, v14
	s_delay_alu instid0(VALU_DEP_3) | instskip(SKIP_3) | instid1(VALU_DEP_1)
	v_add_co_ci_u32_e32 v15, vcc_lo, s17, v15, vcc_lo
	global_load_b32 v14, v[14:15], off
	s_waitcnt vmcnt(0)
	v_dual_add_f32 v12, v12, v14 :: v_dual_add_nc_u32 v13, s20, v13
	v_cmp_le_u32_e32 vcc_lo, s5, v13
	s_or_b32 s24, vcc_lo, s24
	s_delay_alu instid0(SALU_CYCLE_1)
	s_and_not1_b32 exec_lo, exec_lo, s24
	s_cbranch_execnz .LBB671_17
; %bb.18:                               ;   in Loop: Header=BB671_7 Depth=2
	s_or_b32 exec_lo, exec_lo, s24
.LBB671_19:                             ;   in Loop: Header=BB671_7 Depth=2
	s_delay_alu instid0(SALU_CYCLE_1)
	s_or_b32 exec_lo, exec_lo, s2
	s_mov_b32 s2, s20
	s_waitcnt_vscnt null, 0x0
	s_barrier
	buffer_gl0_inv
	ds_store_b32 v10, v12
	s_branch .LBB671_21
	.p2align	6
.LBB671_20:                             ;   in Loop: Header=BB671_21 Depth=3
	s_or_b32 exec_lo, exec_lo, s25
	s_cmp_gt_u32 s2, 3
	s_mov_b32 s2, s24
	s_cbranch_scc0 .LBB671_23
.LBB671_21:                             ;   Parent Loop BB671_3 Depth=1
                                        ;     Parent Loop BB671_7 Depth=2
                                        ; =>    This Inner Loop Header: Depth=3
	s_lshr_b32 s24, s2, 1
	s_mov_b32 s25, exec_lo
	s_waitcnt lgkmcnt(0)
	s_barrier
	buffer_gl0_inv
	v_cmpx_gt_u32_e64 s24, v2
	s_cbranch_execz .LBB671_20
; %bb.22:                               ;   in Loop: Header=BB671_21 Depth=3
	v_lshl_add_u32 v0, s24, 2, v10
	ds_load_b32 v12, v10
	ds_load_b32 v0, v0
	s_waitcnt lgkmcnt(0)
	v_add_f32_e32 v0, v12, v0
	ds_store_b32 v10, v0
	s_branch .LBB671_20
.LBB671_23:                             ;   in Loop: Header=BB671_7 Depth=2
	s_waitcnt lgkmcnt(0)
	s_barrier
	buffer_gl0_inv
	s_and_saveexec_b32 s24, s0
	s_cbranch_execz .LBB671_5
; %bb.24:                               ;   in Loop: Header=BB671_7 Depth=2
	ds_load_b32 v12, v8
	v_dual_mov_b32 v0, v7 :: v_dual_mov_b32 v13, v2
	s_mov_b32 s25, 0
	s_set_inst_prefetch_distance 0x1
	.p2align	6
.LBB671_25:                             ;   Parent Loop BB671_3 Depth=1
                                        ;     Parent Loop BB671_7 Depth=2
                                        ; =>    This Inner Loop Header: Depth=3
	s_delay_alu instid0(VALU_DEP_1) | instskip(NEXT) | instid1(VALU_DEP_2)
	v_lshlrev_b64 v[14:15], 2, v[0:1]
	v_add_nc_u32_e32 v13, s20, v13
	s_delay_alu instid0(VALU_DEP_2) | instskip(NEXT) | instid1(VALU_DEP_3)
	v_add_co_u32 v16, vcc_lo, s16, v14
	v_add_co_ci_u32_e32 v17, vcc_lo, s17, v15, vcc_lo
	v_add_co_u32 v14, vcc_lo, s10, v14
	v_add_co_ci_u32_e32 v15, vcc_lo, s11, v15, vcc_lo
	v_cmp_le_u32_e32 vcc_lo, s5, v13
	global_load_b32 v16, v[16:17], off
	global_load_b32 v14, v[14:15], off
	s_or_b32 s25, vcc_lo, s25
	s_waitcnt vmcnt(0) lgkmcnt(0)
	v_fma_f32 v16, -v12, v14, v16
	s_delay_alu instid0(VALU_DEP_1) | instskip(NEXT) | instid1(VALU_DEP_1)
	v_bfe_u32 v14, v16, 16, 1
	v_add3_u32 v17, v16, v14, 0x7fff
	v_lshlrev_b64 v[14:15], 1, v[0:1]
	v_add_nc_u32_e32 v0, s22, v0
	s_delay_alu instid0(VALU_DEP_3) | instskip(NEXT) | instid1(VALU_DEP_3)
	v_lshrrev_b32_e32 v17, 16, v17
	v_add_co_u32 v14, s2, s8, v14
	s_delay_alu instid0(VALU_DEP_1) | instskip(SKIP_1) | instid1(VALU_DEP_1)
	v_add_co_ci_u32_e64 v15, s2, s9, v15, s2
	v_cmp_o_f32_e64 s2, v16, v16
	v_cndmask_b32_e64 v16, 0x7fc0, v17, s2
	global_store_b16 v[14:15], v16, off
	s_and_not1_b32 exec_lo, exec_lo, s25
	s_cbranch_execnz .LBB671_25
	s_branch .LBB671_5
.LBB671_26:
	s_nop 0
	s_sendmsg sendmsg(MSG_DEALLOC_VGPRS)
	s_endpgm
	.section	.rodata,"a",@progbits
	.p2align	6, 0x0
	.amdhsa_kernel _ZN2at6native12_GLOBAL__N_127cunn_SpatialSoftMaxBackwardIN3c108BFloat16EffNS1_23SoftMaxBackwardEpilogueEEEvPT_PKT1_SA_jjj
		.amdhsa_group_segment_fixed_size 0
		.amdhsa_private_segment_fixed_size 0
		.amdhsa_kernarg_size 296
		.amdhsa_user_sgpr_count 14
		.amdhsa_user_sgpr_dispatch_ptr 0
		.amdhsa_user_sgpr_queue_ptr 0
		.amdhsa_user_sgpr_kernarg_segment_ptr 1
		.amdhsa_user_sgpr_dispatch_id 0
		.amdhsa_user_sgpr_private_segment_size 0
		.amdhsa_wavefront_size32 1
		.amdhsa_uses_dynamic_stack 0
		.amdhsa_enable_private_segment 0
		.amdhsa_system_sgpr_workgroup_id_x 1
		.amdhsa_system_sgpr_workgroup_id_y 1
		.amdhsa_system_sgpr_workgroup_id_z 0
		.amdhsa_system_sgpr_workgroup_info 0
		.amdhsa_system_vgpr_workitem_id 1
		.amdhsa_next_free_vgpr 18
		.amdhsa_next_free_sgpr 26
		.amdhsa_reserve_vcc 1
		.amdhsa_float_round_mode_32 0
		.amdhsa_float_round_mode_16_64 0
		.amdhsa_float_denorm_mode_32 3
		.amdhsa_float_denorm_mode_16_64 3
		.amdhsa_dx10_clamp 1
		.amdhsa_ieee_mode 1
		.amdhsa_fp16_overflow 0
		.amdhsa_workgroup_processor_mode 1
		.amdhsa_memory_ordered 1
		.amdhsa_forward_progress 0
		.amdhsa_shared_vgpr_count 0
		.amdhsa_exception_fp_ieee_invalid_op 0
		.amdhsa_exception_fp_denorm_src 0
		.amdhsa_exception_fp_ieee_div_zero 0
		.amdhsa_exception_fp_ieee_overflow 0
		.amdhsa_exception_fp_ieee_underflow 0
		.amdhsa_exception_fp_ieee_inexact 0
		.amdhsa_exception_int_div_zero 0
	.end_amdhsa_kernel
	.section	.text._ZN2at6native12_GLOBAL__N_127cunn_SpatialSoftMaxBackwardIN3c108BFloat16EffNS1_23SoftMaxBackwardEpilogueEEEvPT_PKT1_SA_jjj,"axG",@progbits,_ZN2at6native12_GLOBAL__N_127cunn_SpatialSoftMaxBackwardIN3c108BFloat16EffNS1_23SoftMaxBackwardEpilogueEEEvPT_PKT1_SA_jjj,comdat
.Lfunc_end671:
	.size	_ZN2at6native12_GLOBAL__N_127cunn_SpatialSoftMaxBackwardIN3c108BFloat16EffNS1_23SoftMaxBackwardEpilogueEEEvPT_PKT1_SA_jjj, .Lfunc_end671-_ZN2at6native12_GLOBAL__N_127cunn_SpatialSoftMaxBackwardIN3c108BFloat16EffNS1_23SoftMaxBackwardEpilogueEEEvPT_PKT1_SA_jjj
                                        ; -- End function
	.section	.AMDGPU.csdata,"",@progbits
; Kernel info:
; codeLenInByte = 1112
; NumSgprs: 28
; NumVgprs: 18
; ScratchSize: 0
; MemoryBound: 0
; FloatMode: 240
; IeeeMode: 1
; LDSByteSize: 0 bytes/workgroup (compile time only)
; SGPRBlocks: 3
; VGPRBlocks: 2
; NumSGPRsForWavesPerEU: 28
; NumVGPRsForWavesPerEU: 18
; Occupancy: 16
; WaveLimiterHint : 0
; COMPUTE_PGM_RSRC2:SCRATCH_EN: 0
; COMPUTE_PGM_RSRC2:USER_SGPR: 14
; COMPUTE_PGM_RSRC2:TRAP_HANDLER: 0
; COMPUTE_PGM_RSRC2:TGID_X_EN: 1
; COMPUTE_PGM_RSRC2:TGID_Y_EN: 1
; COMPUTE_PGM_RSRC2:TGID_Z_EN: 0
; COMPUTE_PGM_RSRC2:TIDIG_COMP_CNT: 1
	.section	.text._ZN12_GLOBAL__N_120softmax_warp_forwardIdddLi0ELb0ELb1ELi64EEEvPT0_PKT_iiiPKbib,"axG",@progbits,_ZN12_GLOBAL__N_120softmax_warp_forwardIdddLi0ELb0ELb1ELi64EEEvPT0_PKT_iiiPKbib,comdat
	.globl	_ZN12_GLOBAL__N_120softmax_warp_forwardIdddLi0ELb0ELb1ELi64EEEvPT0_PKT_iiiPKbib ; -- Begin function _ZN12_GLOBAL__N_120softmax_warp_forwardIdddLi0ELb0ELb1ELi64EEEvPT0_PKT_iiiPKbib
	.p2align	8
	.type	_ZN12_GLOBAL__N_120softmax_warp_forwardIdddLi0ELb0ELb1ELi64EEEvPT0_PKT_iiiPKbib,@function
_ZN12_GLOBAL__N_120softmax_warp_forwardIdddLi0ELb0ELb1ELi64EEEvPT0_PKT_iiiPKbib: ; @_ZN12_GLOBAL__N_120softmax_warp_forwardIdddLi0ELb0ELb1ELi64EEEvPT0_PKT_iiiPKbib
; %bb.0:
	s_clause 0x2
	s_load_b64 s[2:3], s[0:1], 0x28
	s_load_b32 s8, s[0:1], 0x3c
	s_load_b128 s[4:7], s[0:1], 0x10
	v_bfe_u32 v1, v0, 10, 10
	v_and_b32_e32 v2, 0x3ff, v0
	s_waitcnt lgkmcnt(0)
	s_bitcmp1_b32 s3, 0
	s_cselect_b32 s16, -1, 0
	s_lshr_b32 s7, s8, 16
	s_bitcmp0_b32 s3, 0
	s_mul_i32 s15, s15, s7
	s_delay_alu instid0(SALU_CYCLE_1) | instskip(NEXT) | instid1(VALU_DEP_1)
	v_add_lshl_u32 v5, s15, v1, 1
	v_mul_lo_u32 v6, v5, s5
	s_delay_alu instid0(VALU_DEP_1) | instskip(NEXT) | instid1(VALU_DEP_1)
	v_add_nc_u32_e32 v3, v6, v2
	v_ashrrev_i32_e32 v4, 31, v3
	s_delay_alu instid0(VALU_DEP_1)
	v_dual_mov_b32 v0, v3 :: v_dual_mov_b32 v1, v4
	s_cbranch_scc1 .LBB672_2
; %bb.1:
	s_abs_i32 s3, s2
	v_sub_nc_u32_e32 v7, 0, v6
	v_cvt_f32_u32_e32 v0, s3
	s_sub_i32 s7, 0, s3
	s_delay_alu instid0(VALU_DEP_2) | instskip(NEXT) | instid1(VALU_DEP_2)
	v_max_i32_e32 v7, v6, v7
	v_rcp_iflag_f32_e32 v0, v0
	v_xor_b32_e32 v6, s2, v6
	s_delay_alu instid0(VALU_DEP_1) | instskip(SKIP_2) | instid1(VALU_DEP_1)
	v_ashrrev_i32_e32 v6, 31, v6
	s_waitcnt_depctr 0xfff
	v_mul_f32_e32 v0, 0x4f7ffffe, v0
	v_cvt_u32_f32_e32 v0, v0
	s_delay_alu instid0(VALU_DEP_1) | instskip(NEXT) | instid1(VALU_DEP_1)
	v_mul_lo_u32 v1, s7, v0
	v_mul_hi_u32 v1, v0, v1
	s_delay_alu instid0(VALU_DEP_1) | instskip(NEXT) | instid1(VALU_DEP_1)
	v_add_nc_u32_e32 v0, v0, v1
	v_mul_hi_u32 v0, v7, v0
	s_delay_alu instid0(VALU_DEP_1) | instskip(NEXT) | instid1(VALU_DEP_1)
	v_mul_lo_u32 v1, v0, s3
	v_sub_nc_u32_e32 v1, v7, v1
	v_add_nc_u32_e32 v7, 1, v0
	s_delay_alu instid0(VALU_DEP_2) | instskip(SKIP_1) | instid1(VALU_DEP_2)
	v_subrev_nc_u32_e32 v8, s3, v1
	v_cmp_le_u32_e32 vcc_lo, s3, v1
	v_dual_cndmask_b32 v1, v1, v8 :: v_dual_cndmask_b32 v0, v0, v7
	s_delay_alu instid0(VALU_DEP_1) | instskip(NEXT) | instid1(VALU_DEP_2)
	v_cmp_le_u32_e32 vcc_lo, s3, v1
	v_add_nc_u32_e32 v7, 1, v0
	s_delay_alu instid0(VALU_DEP_1) | instskip(NEXT) | instid1(VALU_DEP_1)
	v_cndmask_b32_e32 v0, v0, v7, vcc_lo
	v_xor_b32_e32 v0, v0, v6
	s_delay_alu instid0(VALU_DEP_1) | instskip(NEXT) | instid1(VALU_DEP_1)
	v_sub_nc_u32_e32 v6, v0, v6
	v_mad_u64_u32 v[0:1], null, v6, s5, v[2:3]
	s_delay_alu instid0(VALU_DEP_1)
	v_ashrrev_i32_e32 v1, 31, v0
.LBB672_2:
	s_load_b128 s[8:11], s[0:1], 0x0
	v_sub_nc_u32_e32 v20, s4, v5
	v_lshlrev_b64 v[4:5], 3, v[3:4]
	v_mov_b32_e32 v6, 0
	v_mov_b32_e32 v7, 0xfff00000
	v_cmp_gt_i32_e64 s2, s6, v2
	v_cmp_lt_i32_e32 vcc_lo, 0, v20
	s_delay_alu instid0(VALU_DEP_3) | instskip(NEXT) | instid1(VALU_DEP_3)
	v_dual_mov_b32 v17, v7 :: v_dual_mov_b32 v16, v6
	s_and_b32 s5, s2, vcc_lo
	s_waitcnt lgkmcnt(0)
	v_add_co_u32 v2, s3, s10, v4
	s_delay_alu instid0(VALU_DEP_1)
	v_add_co_ci_u32_e64 v3, s3, s11, v5, s3
	s_and_saveexec_b32 s3, s5
	s_cbranch_execz .LBB672_4
; %bb.3:
	global_load_b64 v[16:17], v[2:3], off
.LBB672_4:
	s_or_b32 exec_lo, exec_lo, s3
	v_cmp_lt_i32_e64 s3, 1, v20
	s_delay_alu instid0(VALU_DEP_1) | instskip(NEXT) | instid1(SALU_CYCLE_1)
	s_and_b32 s4, s2, s3
	s_and_saveexec_b32 s10, s4
	s_cbranch_execz .LBB672_6
; %bb.5:
	s_mov_b32 s7, 0
	s_delay_alu instid0(SALU_CYCLE_1) | instskip(NEXT) | instid1(SALU_CYCLE_1)
	s_lshl_b64 s[12:13], s[6:7], 3
	v_add_co_u32 v2, s3, v2, s12
	s_delay_alu instid0(VALU_DEP_1)
	v_add_co_ci_u32_e64 v3, s3, s13, v3, s3
	global_load_b64 v[6:7], v[2:3], off
.LBB672_6:
	s_or_b32 exec_lo, exec_lo, s10
	s_load_b64 s[0:1], s[0:1], 0x20
	v_mov_b32_e32 v18, 0
	v_mov_b32_e32 v19, 0xfff00000
	s_waitcnt lgkmcnt(0)
	v_add_co_u32 v10, s0, s0, v0
	s_delay_alu instid0(VALU_DEP_1)
	v_add_co_ci_u32_e64 v11, s0, s1, v1, s0
	s_and_saveexec_b32 s1, s5
	s_cbranch_execz .LBB672_8
; %bb.7:
	global_load_u8 v0, v[10:11], off
	s_waitcnt vmcnt(0)
	v_and_b32_e32 v0, 1, v0
	s_delay_alu instid0(VALU_DEP_1) | instskip(NEXT) | instid1(VALU_DEP_1)
	v_cmp_eq_u32_e64 s0, 1, v0
	v_cndmask_b32_e64 v19, v17, 0xfff00000, s0
	v_cndmask_b32_e64 v18, v16, 0, s0
.LBB672_8:
	s_or_b32 exec_lo, exec_lo, s1
	s_mov_b32 s12, 0
	s_mov_b32 s0, 0
	s_and_saveexec_b32 s1, s4
	s_cbranch_execz .LBB672_10
; %bb.9:
	s_and_b32 s0, s16, exec_lo
	s_cselect_b32 s0, 0, s6
	s_cselect_b32 s3, 0, 0
	v_add_co_u32 v0, s0, v10, s0
	s_delay_alu instid0(VALU_DEP_1) | instskip(SKIP_3) | instid1(VALU_DEP_1)
	v_add_co_ci_u32_e64 v1, s0, s3, v11, s0
	global_load_u8 v0, v[0:1], off
	s_waitcnt vmcnt(0)
	v_and_b32_e32 v0, 1, v0
	v_cmp_eq_u32_e64 s0, 1, v0
	s_delay_alu instid0(VALU_DEP_1) | instskip(NEXT) | instid1(SALU_CYCLE_1)
	s_xor_b32 s0, s0, -1
	s_and_b32 s0, s0, exec_lo
.LBB672_10:
	s_or_b32 exec_lo, exec_lo, s1
	s_mov_b32 s13, s12
	s_mov_b32 s14, s12
	;; [unrolled: 1-line block ×3, first 2 shown]
	v_mov_b32_e32 v8, 0
	v_dual_mov_b32 v9, 0 :: v_dual_mov_b32 v0, s12
	s_waitcnt vmcnt(0)
	v_cndmask_b32_e64 v15, 0xfff00000, v7, s0
	v_cndmask_b32_e64 v14, 0, v6, s0
	v_dual_mov_b32 v1, s13 :: v_dual_mov_b32 v2, s14
	v_mov_b32_e32 v3, s15
	v_dual_mov_b32 v13, v9 :: v_dual_mov_b32 v12, v8
	s_and_saveexec_b32 s3, s5
	s_cbranch_execnz .LBB672_14
; %bb.11:
	s_or_b32 exec_lo, exec_lo, s3
	s_and_saveexec_b32 s3, s4
	s_cbranch_execnz .LBB672_17
.LBB672_12:
	s_or_b32 exec_lo, exec_lo, s3
	s_and_saveexec_b32 s0, vcc_lo
	s_cbranch_execnz .LBB672_20
.LBB672_13:
	s_nop 0
	s_sendmsg sendmsg(MSG_DEALLOC_VGPRS)
	s_endpgm
.LBB672_14:
	global_load_u8 v0, v[10:11], off
	s_mov_b32 s13, s12
	s_mov_b32 s14, s12
	;; [unrolled: 1-line block ×3, first 2 shown]
	v_mov_b32_e32 v12, 0
	s_waitcnt vmcnt(0)
	v_dual_mov_b32 v13, 0 :: v_dual_and_b32 v0, 1, v0
	s_delay_alu instid0(VALU_DEP_1) | instskip(SKIP_2) | instid1(VALU_DEP_3)
	v_cmp_eq_u32_e64 s0, 1, v0
	v_dual_mov_b32 v0, s12 :: v_dual_mov_b32 v3, s15
	v_dual_mov_b32 v1, s13 :: v_dual_mov_b32 v2, s14
	s_xor_b32 s0, s0, -1
	s_delay_alu instid0(SALU_CYCLE_1)
	s_and_saveexec_b32 s5, s0
	s_cbranch_execz .LBB672_16
; %bb.15:
	v_add_f64 v[0:1], v[16:17], -v[18:19]
	s_mov_b32 s0, 0x652b82fe
	s_mov_b32 s1, 0x3ff71547
	;; [unrolled: 1-line block ×4, first 2 shown]
	s_delay_alu instid0(VALU_DEP_1) | instskip(SKIP_2) | instid1(VALU_DEP_1)
	v_mul_f64 v[2:3], v[0:1], s[0:1]
	s_mov_b32 s0, 0xfefa39ef
	s_mov_b32 s1, 0xbfe62e42
	v_rndne_f64_e32 v[2:3], v[2:3]
	s_delay_alu instid0(VALU_DEP_1) | instskip(SKIP_3) | instid1(VALU_DEP_2)
	v_fma_f64 v[12:13], v[2:3], s[0:1], v[0:1]
	s_mov_b32 s0, 0x3b39803f
	s_mov_b32 s1, 0xbc7abc9e
	v_cvt_i32_f64_e32 v18, v[2:3]
	v_fma_f64 v[12:13], v[2:3], s[0:1], v[12:13]
	s_mov_b32 s0, 0xfca7ab0c
	s_mov_b32 s1, 0x3e928af3
	s_delay_alu instid0(VALU_DEP_1) | instid1(SALU_CYCLE_1)
	v_fma_f64 v[16:17], v[12:13], s[10:11], s[0:1]
	s_mov_b32 s0, 0x623fde64
	s_mov_b32 s1, 0x3ec71dee
	s_delay_alu instid0(VALU_DEP_1) | instid1(SALU_CYCLE_1)
	;; [unrolled: 4-line block ×9, first 2 shown]
	v_fma_f64 v[16:17], v[12:13], v[16:17], s[0:1]
	v_cmp_nlt_f64_e64 s0, 0x40900000, v[0:1]
	v_cmp_ngt_f64_e64 s1, 0xc090cc00, v[0:1]
	s_delay_alu instid0(VALU_DEP_3) | instskip(NEXT) | instid1(VALU_DEP_1)
	v_fma_f64 v[16:17], v[12:13], v[16:17], 1.0
	v_fma_f64 v[2:3], v[12:13], v[16:17], 1.0
	s_delay_alu instid0(VALU_DEP_1) | instskip(NEXT) | instid1(VALU_DEP_1)
	v_ldexp_f64 v[2:3], v[2:3], v18
	v_cndmask_b32_e64 v3, 0x7ff00000, v3, s0
	s_and_b32 s0, s1, s0
	s_delay_alu instid0(VALU_DEP_2) | instid1(SALU_CYCLE_1)
	v_cndmask_b32_e64 v12, 0, v2, s0
	v_mov_b32_e32 v2, 0
	s_delay_alu instid0(VALU_DEP_3) | instskip(NEXT) | instid1(VALU_DEP_2)
	v_cndmask_b32_e64 v13, 0, v3, s1
	v_mov_b32_e32 v3, v2
	s_delay_alu instid0(VALU_DEP_2)
	v_add_f64 v[0:1], v[12:13], 0
.LBB672_16:
	s_or_b32 exec_lo, exec_lo, s5
	s_delay_alu instid0(SALU_CYCLE_1)
	s_or_b32 exec_lo, exec_lo, s3
	s_and_saveexec_b32 s3, s4
	s_cbranch_execz .LBB672_12
.LBB672_17:
	s_and_b32 s0, s16, exec_lo
	s_cselect_b32 s0, 0, s6
	s_cselect_b32 s1, 0, 0
	v_add_co_u32 v8, s0, v10, s0
	s_delay_alu instid0(VALU_DEP_1) | instskip(SKIP_3) | instid1(VALU_DEP_1)
	v_add_co_ci_u32_e64 v9, s0, s1, v11, s0
	global_load_u8 v8, v[8:9], off
	s_waitcnt vmcnt(0)
	v_and_b32_e32 v8, 1, v8
	v_cmp_eq_u32_e64 s0, 1, v8
	v_mov_b32_e32 v8, 0
	v_mov_b32_e32 v9, 0
	s_delay_alu instid0(VALU_DEP_3) | instskip(NEXT) | instid1(SALU_CYCLE_1)
	s_xor_b32 s0, s0, -1
	s_and_saveexec_b32 s4, s0
	s_cbranch_execz .LBB672_19
; %bb.18:
	v_add_f64 v[6:7], v[6:7], -v[14:15]
	s_mov_b32 s0, 0x652b82fe
	s_mov_b32 s1, 0x3ff71547
	;; [unrolled: 1-line block ×4, first 2 shown]
	s_delay_alu instid0(VALU_DEP_1) | instskip(SKIP_2) | instid1(VALU_DEP_1)
	v_mul_f64 v[8:9], v[6:7], s[0:1]
	s_mov_b32 s0, 0xfefa39ef
	s_mov_b32 s1, 0xbfe62e42
	v_rndne_f64_e32 v[8:9], v[8:9]
	s_delay_alu instid0(VALU_DEP_1) | instskip(SKIP_3) | instid1(VALU_DEP_2)
	v_fma_f64 v[10:11], v[8:9], s[0:1], v[6:7]
	s_mov_b32 s0, 0x3b39803f
	s_mov_b32 s1, 0xbc7abc9e
	v_cvt_i32_f64_e32 v16, v[8:9]
	v_fma_f64 v[10:11], v[8:9], s[0:1], v[10:11]
	s_mov_b32 s0, 0xfca7ab0c
	s_mov_b32 s1, 0x3e928af3
	s_delay_alu instid0(VALU_DEP_1) | instid1(SALU_CYCLE_1)
	v_fma_f64 v[14:15], v[10:11], s[10:11], s[0:1]
	s_mov_b32 s0, 0x623fde64
	s_mov_b32 s1, 0x3ec71dee
	s_delay_alu instid0(VALU_DEP_1) | instid1(SALU_CYCLE_1)
	;; [unrolled: 4-line block ×9, first 2 shown]
	v_fma_f64 v[14:15], v[10:11], v[14:15], s[0:1]
	v_cmp_nlt_f64_e64 s0, 0x40900000, v[6:7]
	v_cmp_ngt_f64_e64 s1, 0xc090cc00, v[6:7]
	s_delay_alu instid0(VALU_DEP_3) | instskip(NEXT) | instid1(VALU_DEP_1)
	v_fma_f64 v[14:15], v[10:11], v[14:15], 1.0
	v_fma_f64 v[8:9], v[10:11], v[14:15], 1.0
	s_delay_alu instid0(VALU_DEP_1) | instskip(NEXT) | instid1(VALU_DEP_1)
	v_ldexp_f64 v[8:9], v[8:9], v16
	v_cndmask_b32_e64 v9, 0x7ff00000, v9, s0
	s_and_b32 s0, s1, s0
	s_delay_alu instid0(VALU_DEP_2) | instid1(SALU_CYCLE_1)
	v_cndmask_b32_e64 v8, 0, v8, s0
	s_delay_alu instid0(VALU_DEP_2) | instskip(NEXT) | instid1(VALU_DEP_1)
	v_cndmask_b32_e64 v9, 0, v9, s1
	v_add_f64 v[2:3], v[2:3], v[8:9]
.LBB672_19:
	s_or_b32 exec_lo, exec_lo, s4
	s_delay_alu instid0(SALU_CYCLE_1)
	s_or_b32 exec_lo, exec_lo, s3
	s_and_saveexec_b32 s0, vcc_lo
	s_cbranch_execz .LBB672_13
.LBB672_20:
	v_add_co_u32 v4, vcc_lo, s8, v4
	v_add_co_ci_u32_e32 v5, vcc_lo, s9, v5, vcc_lo
	s_and_saveexec_b32 s0, s2
	s_cbranch_execz .LBB672_22
; %bb.21:
	s_delay_alu instid0(VALU_DEP_3) | instskip(SKIP_1) | instid1(VALU_DEP_2)
	v_div_scale_f64 v[6:7], null, v[0:1], v[0:1], v[12:13]
	v_div_scale_f64 v[16:17], vcc_lo, v[12:13], v[0:1], v[12:13]
	v_rcp_f64_e32 v[10:11], v[6:7]
	s_waitcnt_depctr 0xfff
	v_fma_f64 v[14:15], -v[6:7], v[10:11], 1.0
	s_delay_alu instid0(VALU_DEP_1) | instskip(NEXT) | instid1(VALU_DEP_1)
	v_fma_f64 v[10:11], v[10:11], v[14:15], v[10:11]
	v_fma_f64 v[14:15], -v[6:7], v[10:11], 1.0
	s_delay_alu instid0(VALU_DEP_1) | instskip(NEXT) | instid1(VALU_DEP_1)
	v_fma_f64 v[10:11], v[10:11], v[14:15], v[10:11]
	v_mul_f64 v[14:15], v[16:17], v[10:11]
	s_delay_alu instid0(VALU_DEP_1) | instskip(NEXT) | instid1(VALU_DEP_1)
	v_fma_f64 v[6:7], -v[6:7], v[14:15], v[16:17]
	v_div_fmas_f64 v[6:7], v[6:7], v[10:11], v[14:15]
	v_cmp_neq_f64_e32 vcc_lo, 0, v[0:1]
	s_delay_alu instid0(VALU_DEP_2) | instskip(NEXT) | instid1(VALU_DEP_1)
	v_div_fixup_f64 v[6:7], v[6:7], v[0:1], v[12:13]
	v_cndmask_b32_e32 v1, 0x7ff80000, v7, vcc_lo
	s_delay_alu instid0(VALU_DEP_2)
	v_cndmask_b32_e32 v0, 0, v6, vcc_lo
	global_store_b64 v[4:5], v[0:1], off
.LBB672_22:
	s_or_b32 exec_lo, exec_lo, s0
	v_cmp_ne_u32_e32 vcc_lo, 1, v20
	s_and_b32 exec_lo, exec_lo, vcc_lo
	s_cbranch_execz .LBB672_13
; %bb.23:
	s_and_b32 exec_lo, exec_lo, s2
	s_cbranch_execz .LBB672_13
; %bb.24:
	s_delay_alu instid0(VALU_DEP_4) | instskip(SKIP_2) | instid1(SALU_CYCLE_1)
	v_div_scale_f64 v[0:1], null, v[2:3], v[2:3], v[8:9]
	v_div_scale_f64 v[12:13], vcc_lo, v[8:9], v[2:3], v[8:9]
	s_mov_b32 s7, 0
	s_lshl_b64 s[0:1], s[6:7], 3
	s_delay_alu instid0(VALU_DEP_2) | instskip(SKIP_2) | instid1(VALU_DEP_1)
	v_rcp_f64_e32 v[6:7], v[0:1]
	s_waitcnt_depctr 0xfff
	v_fma_f64 v[10:11], -v[0:1], v[6:7], 1.0
	v_fma_f64 v[6:7], v[6:7], v[10:11], v[6:7]
	s_delay_alu instid0(VALU_DEP_1) | instskip(NEXT) | instid1(VALU_DEP_1)
	v_fma_f64 v[10:11], -v[0:1], v[6:7], 1.0
	v_fma_f64 v[6:7], v[6:7], v[10:11], v[6:7]
	s_delay_alu instid0(VALU_DEP_1) | instskip(NEXT) | instid1(VALU_DEP_1)
	v_mul_f64 v[10:11], v[12:13], v[6:7]
	v_fma_f64 v[0:1], -v[0:1], v[10:11], v[12:13]
	s_delay_alu instid0(VALU_DEP_1) | instskip(SKIP_1) | instid1(VALU_DEP_2)
	v_div_fmas_f64 v[0:1], v[0:1], v[6:7], v[10:11]
	v_cmp_neq_f64_e32 vcc_lo, 0, v[2:3]
	v_div_fixup_f64 v[0:1], v[0:1], v[2:3], v[8:9]
	v_add_co_u32 v2, s0, v4, s0
	s_delay_alu instid0(VALU_DEP_1) | instskip(NEXT) | instid1(VALU_DEP_3)
	v_add_co_ci_u32_e64 v3, s0, s1, v5, s0
	v_cndmask_b32_e32 v1, 0x7ff80000, v1, vcc_lo
	s_delay_alu instid0(VALU_DEP_4)
	v_cndmask_b32_e32 v0, 0, v0, vcc_lo
	global_store_b64 v[2:3], v[0:1], off
	s_nop 0
	s_sendmsg sendmsg(MSG_DEALLOC_VGPRS)
	s_endpgm
	.section	.rodata,"a",@progbits
	.p2align	6, 0x0
	.amdhsa_kernel _ZN12_GLOBAL__N_120softmax_warp_forwardIdddLi0ELb0ELb1ELi64EEEvPT0_PKT_iiiPKbib
		.amdhsa_group_segment_fixed_size 0
		.amdhsa_private_segment_fixed_size 0
		.amdhsa_kernarg_size 304
		.amdhsa_user_sgpr_count 15
		.amdhsa_user_sgpr_dispatch_ptr 0
		.amdhsa_user_sgpr_queue_ptr 0
		.amdhsa_user_sgpr_kernarg_segment_ptr 1
		.amdhsa_user_sgpr_dispatch_id 0
		.amdhsa_user_sgpr_private_segment_size 0
		.amdhsa_wavefront_size32 1
		.amdhsa_uses_dynamic_stack 0
		.amdhsa_enable_private_segment 0
		.amdhsa_system_sgpr_workgroup_id_x 1
		.amdhsa_system_sgpr_workgroup_id_y 0
		.amdhsa_system_sgpr_workgroup_id_z 0
		.amdhsa_system_sgpr_workgroup_info 0
		.amdhsa_system_vgpr_workitem_id 1
		.amdhsa_next_free_vgpr 21
		.amdhsa_next_free_sgpr 17
		.amdhsa_reserve_vcc 1
		.amdhsa_float_round_mode_32 0
		.amdhsa_float_round_mode_16_64 0
		.amdhsa_float_denorm_mode_32 3
		.amdhsa_float_denorm_mode_16_64 3
		.amdhsa_dx10_clamp 1
		.amdhsa_ieee_mode 1
		.amdhsa_fp16_overflow 0
		.amdhsa_workgroup_processor_mode 1
		.amdhsa_memory_ordered 1
		.amdhsa_forward_progress 0
		.amdhsa_shared_vgpr_count 0
		.amdhsa_exception_fp_ieee_invalid_op 0
		.amdhsa_exception_fp_denorm_src 0
		.amdhsa_exception_fp_ieee_div_zero 0
		.amdhsa_exception_fp_ieee_overflow 0
		.amdhsa_exception_fp_ieee_underflow 0
		.amdhsa_exception_fp_ieee_inexact 0
		.amdhsa_exception_int_div_zero 0
	.end_amdhsa_kernel
	.section	.text._ZN12_GLOBAL__N_120softmax_warp_forwardIdddLi0ELb0ELb1ELi64EEEvPT0_PKT_iiiPKbib,"axG",@progbits,_ZN12_GLOBAL__N_120softmax_warp_forwardIdddLi0ELb0ELb1ELi64EEEvPT0_PKT_iiiPKbib,comdat
.Lfunc_end672:
	.size	_ZN12_GLOBAL__N_120softmax_warp_forwardIdddLi0ELb0ELb1ELi64EEEvPT0_PKT_iiiPKbib, .Lfunc_end672-_ZN12_GLOBAL__N_120softmax_warp_forwardIdddLi0ELb0ELb1ELi64EEEvPT0_PKT_iiiPKbib
                                        ; -- End function
	.section	.AMDGPU.csdata,"",@progbits
; Kernel info:
; codeLenInByte = 2268
; NumSgprs: 19
; NumVgprs: 21
; ScratchSize: 0
; MemoryBound: 0
; FloatMode: 240
; IeeeMode: 1
; LDSByteSize: 0 bytes/workgroup (compile time only)
; SGPRBlocks: 2
; VGPRBlocks: 2
; NumSGPRsForWavesPerEU: 19
; NumVGPRsForWavesPerEU: 21
; Occupancy: 16
; WaveLimiterHint : 0
; COMPUTE_PGM_RSRC2:SCRATCH_EN: 0
; COMPUTE_PGM_RSRC2:USER_SGPR: 15
; COMPUTE_PGM_RSRC2:TRAP_HANDLER: 0
; COMPUTE_PGM_RSRC2:TGID_X_EN: 1
; COMPUTE_PGM_RSRC2:TGID_Y_EN: 0
; COMPUTE_PGM_RSRC2:TGID_Z_EN: 0
; COMPUTE_PGM_RSRC2:TIDIG_COMP_CNT: 1
	.section	.text._ZN12_GLOBAL__N_120softmax_warp_forwardIdddLi0ELb0ELb1ELi32EEEvPT0_PKT_iiiPKbib,"axG",@progbits,_ZN12_GLOBAL__N_120softmax_warp_forwardIdddLi0ELb0ELb1ELi32EEEvPT0_PKT_iiiPKbib,comdat
	.globl	_ZN12_GLOBAL__N_120softmax_warp_forwardIdddLi0ELb0ELb1ELi32EEEvPT0_PKT_iiiPKbib ; -- Begin function _ZN12_GLOBAL__N_120softmax_warp_forwardIdddLi0ELb0ELb1ELi32EEEvPT0_PKT_iiiPKbib
	.p2align	8
	.type	_ZN12_GLOBAL__N_120softmax_warp_forwardIdddLi0ELb0ELb1ELi32EEEvPT0_PKT_iiiPKbib,@function
_ZN12_GLOBAL__N_120softmax_warp_forwardIdddLi0ELb0ELb1ELi32EEEvPT0_PKT_iiiPKbib: ; @_ZN12_GLOBAL__N_120softmax_warp_forwardIdddLi0ELb0ELb1ELi32EEEvPT0_PKT_iiiPKbib
; %bb.0:
	s_clause 0x2
	s_load_b64 s[2:3], s[0:1], 0x28
	s_load_b32 s8, s[0:1], 0x3c
	s_load_b128 s[4:7], s[0:1], 0x10
	v_bfe_u32 v1, v0, 10, 10
	v_and_b32_e32 v2, 0x3ff, v0
	s_waitcnt lgkmcnt(0)
	s_bitcmp1_b32 s3, 0
	s_cselect_b32 s16, -1, 0
	s_lshr_b32 s7, s8, 16
	s_bitcmp0_b32 s3, 0
	s_mul_i32 s15, s15, s7
	s_delay_alu instid0(SALU_CYCLE_1) | instskip(NEXT) | instid1(VALU_DEP_1)
	v_add_lshl_u32 v5, s15, v1, 1
	v_mul_lo_u32 v6, v5, s5
	s_delay_alu instid0(VALU_DEP_1) | instskip(NEXT) | instid1(VALU_DEP_1)
	v_add_nc_u32_e32 v3, v6, v2
	v_ashrrev_i32_e32 v4, 31, v3
	s_delay_alu instid0(VALU_DEP_1)
	v_dual_mov_b32 v0, v3 :: v_dual_mov_b32 v1, v4
	s_cbranch_scc1 .LBB673_2
; %bb.1:
	s_abs_i32 s3, s2
	v_sub_nc_u32_e32 v7, 0, v6
	v_cvt_f32_u32_e32 v0, s3
	s_sub_i32 s7, 0, s3
	s_delay_alu instid0(VALU_DEP_2) | instskip(NEXT) | instid1(VALU_DEP_2)
	v_max_i32_e32 v7, v6, v7
	v_rcp_iflag_f32_e32 v0, v0
	v_xor_b32_e32 v6, s2, v6
	s_delay_alu instid0(VALU_DEP_1) | instskip(SKIP_2) | instid1(VALU_DEP_1)
	v_ashrrev_i32_e32 v6, 31, v6
	s_waitcnt_depctr 0xfff
	v_mul_f32_e32 v0, 0x4f7ffffe, v0
	v_cvt_u32_f32_e32 v0, v0
	s_delay_alu instid0(VALU_DEP_1) | instskip(NEXT) | instid1(VALU_DEP_1)
	v_mul_lo_u32 v1, s7, v0
	v_mul_hi_u32 v1, v0, v1
	s_delay_alu instid0(VALU_DEP_1) | instskip(NEXT) | instid1(VALU_DEP_1)
	v_add_nc_u32_e32 v0, v0, v1
	v_mul_hi_u32 v0, v7, v0
	s_delay_alu instid0(VALU_DEP_1) | instskip(NEXT) | instid1(VALU_DEP_1)
	v_mul_lo_u32 v1, v0, s3
	v_sub_nc_u32_e32 v1, v7, v1
	v_add_nc_u32_e32 v7, 1, v0
	s_delay_alu instid0(VALU_DEP_2) | instskip(SKIP_1) | instid1(VALU_DEP_2)
	v_subrev_nc_u32_e32 v8, s3, v1
	v_cmp_le_u32_e32 vcc_lo, s3, v1
	v_dual_cndmask_b32 v1, v1, v8 :: v_dual_cndmask_b32 v0, v0, v7
	s_delay_alu instid0(VALU_DEP_1) | instskip(NEXT) | instid1(VALU_DEP_2)
	v_cmp_le_u32_e32 vcc_lo, s3, v1
	v_add_nc_u32_e32 v7, 1, v0
	s_delay_alu instid0(VALU_DEP_1) | instskip(NEXT) | instid1(VALU_DEP_1)
	v_cndmask_b32_e32 v0, v0, v7, vcc_lo
	v_xor_b32_e32 v0, v0, v6
	s_delay_alu instid0(VALU_DEP_1) | instskip(NEXT) | instid1(VALU_DEP_1)
	v_sub_nc_u32_e32 v6, v0, v6
	v_mad_u64_u32 v[0:1], null, v6, s5, v[2:3]
	s_delay_alu instid0(VALU_DEP_1)
	v_ashrrev_i32_e32 v1, 31, v0
.LBB673_2:
	s_load_b128 s[8:11], s[0:1], 0x0
	v_sub_nc_u32_e32 v20, s4, v5
	v_lshlrev_b64 v[4:5], 3, v[3:4]
	v_mov_b32_e32 v6, 0
	v_mov_b32_e32 v7, 0xfff00000
	v_cmp_gt_i32_e64 s2, s6, v2
	v_cmp_lt_i32_e32 vcc_lo, 0, v20
	s_delay_alu instid0(VALU_DEP_3) | instskip(NEXT) | instid1(VALU_DEP_3)
	v_dual_mov_b32 v17, v7 :: v_dual_mov_b32 v16, v6
	s_and_b32 s5, s2, vcc_lo
	s_waitcnt lgkmcnt(0)
	v_add_co_u32 v2, s3, s10, v4
	s_delay_alu instid0(VALU_DEP_1)
	v_add_co_ci_u32_e64 v3, s3, s11, v5, s3
	s_and_saveexec_b32 s3, s5
	s_cbranch_execz .LBB673_4
; %bb.3:
	global_load_b64 v[16:17], v[2:3], off
.LBB673_4:
	s_or_b32 exec_lo, exec_lo, s3
	v_cmp_lt_i32_e64 s3, 1, v20
	s_delay_alu instid0(VALU_DEP_1) | instskip(NEXT) | instid1(SALU_CYCLE_1)
	s_and_b32 s4, s2, s3
	s_and_saveexec_b32 s10, s4
	s_cbranch_execz .LBB673_6
; %bb.5:
	s_mov_b32 s7, 0
	s_delay_alu instid0(SALU_CYCLE_1) | instskip(NEXT) | instid1(SALU_CYCLE_1)
	s_lshl_b64 s[12:13], s[6:7], 3
	v_add_co_u32 v2, s3, v2, s12
	s_delay_alu instid0(VALU_DEP_1)
	v_add_co_ci_u32_e64 v3, s3, s13, v3, s3
	global_load_b64 v[6:7], v[2:3], off
.LBB673_6:
	s_or_b32 exec_lo, exec_lo, s10
	s_load_b64 s[0:1], s[0:1], 0x20
	v_mov_b32_e32 v18, 0
	v_mov_b32_e32 v19, 0xfff00000
	s_waitcnt lgkmcnt(0)
	v_add_co_u32 v10, s0, s0, v0
	s_delay_alu instid0(VALU_DEP_1)
	v_add_co_ci_u32_e64 v11, s0, s1, v1, s0
	s_and_saveexec_b32 s1, s5
	s_cbranch_execz .LBB673_8
; %bb.7:
	global_load_u8 v0, v[10:11], off
	s_waitcnt vmcnt(0)
	v_and_b32_e32 v0, 1, v0
	s_delay_alu instid0(VALU_DEP_1) | instskip(NEXT) | instid1(VALU_DEP_1)
	v_cmp_eq_u32_e64 s0, 1, v0
	v_cndmask_b32_e64 v19, v17, 0xfff00000, s0
	v_cndmask_b32_e64 v18, v16, 0, s0
.LBB673_8:
	s_or_b32 exec_lo, exec_lo, s1
	s_mov_b32 s12, 0
	s_mov_b32 s0, 0
	s_and_saveexec_b32 s1, s4
	s_cbranch_execz .LBB673_10
; %bb.9:
	s_and_b32 s0, s16, exec_lo
	s_cselect_b32 s0, 0, s6
	s_cselect_b32 s3, 0, 0
	v_add_co_u32 v0, s0, v10, s0
	s_delay_alu instid0(VALU_DEP_1) | instskip(SKIP_3) | instid1(VALU_DEP_1)
	v_add_co_ci_u32_e64 v1, s0, s3, v11, s0
	global_load_u8 v0, v[0:1], off
	s_waitcnt vmcnt(0)
	v_and_b32_e32 v0, 1, v0
	v_cmp_eq_u32_e64 s0, 1, v0
	s_delay_alu instid0(VALU_DEP_1) | instskip(NEXT) | instid1(SALU_CYCLE_1)
	s_xor_b32 s0, s0, -1
	s_and_b32 s0, s0, exec_lo
.LBB673_10:
	s_or_b32 exec_lo, exec_lo, s1
	s_mov_b32 s13, s12
	s_mov_b32 s14, s12
	;; [unrolled: 1-line block ×3, first 2 shown]
	v_mov_b32_e32 v8, 0
	v_dual_mov_b32 v9, 0 :: v_dual_mov_b32 v0, s12
	s_waitcnt vmcnt(0)
	v_cndmask_b32_e64 v15, 0xfff00000, v7, s0
	v_cndmask_b32_e64 v14, 0, v6, s0
	v_dual_mov_b32 v1, s13 :: v_dual_mov_b32 v2, s14
	v_mov_b32_e32 v3, s15
	v_dual_mov_b32 v13, v9 :: v_dual_mov_b32 v12, v8
	s_and_saveexec_b32 s3, s5
	s_cbranch_execnz .LBB673_14
; %bb.11:
	s_or_b32 exec_lo, exec_lo, s3
	s_and_saveexec_b32 s3, s4
	s_cbranch_execnz .LBB673_17
.LBB673_12:
	s_or_b32 exec_lo, exec_lo, s3
	s_and_saveexec_b32 s0, vcc_lo
	s_cbranch_execnz .LBB673_20
.LBB673_13:
	s_nop 0
	s_sendmsg sendmsg(MSG_DEALLOC_VGPRS)
	s_endpgm
.LBB673_14:
	global_load_u8 v0, v[10:11], off
	s_mov_b32 s13, s12
	s_mov_b32 s14, s12
	s_mov_b32 s15, s12
	v_mov_b32_e32 v12, 0
	s_waitcnt vmcnt(0)
	v_dual_mov_b32 v13, 0 :: v_dual_and_b32 v0, 1, v0
	s_delay_alu instid0(VALU_DEP_1) | instskip(SKIP_2) | instid1(VALU_DEP_3)
	v_cmp_eq_u32_e64 s0, 1, v0
	v_dual_mov_b32 v0, s12 :: v_dual_mov_b32 v3, s15
	v_dual_mov_b32 v1, s13 :: v_dual_mov_b32 v2, s14
	s_xor_b32 s0, s0, -1
	s_delay_alu instid0(SALU_CYCLE_1)
	s_and_saveexec_b32 s5, s0
	s_cbranch_execz .LBB673_16
; %bb.15:
	v_add_f64 v[0:1], v[16:17], -v[18:19]
	s_mov_b32 s0, 0x652b82fe
	s_mov_b32 s1, 0x3ff71547
	s_mov_b32 s10, 0x6a5dcb37
	s_mov_b32 s11, 0x3e5ade15
	s_delay_alu instid0(VALU_DEP_1) | instskip(SKIP_2) | instid1(VALU_DEP_1)
	v_mul_f64 v[2:3], v[0:1], s[0:1]
	s_mov_b32 s0, 0xfefa39ef
	s_mov_b32 s1, 0xbfe62e42
	v_rndne_f64_e32 v[2:3], v[2:3]
	s_delay_alu instid0(VALU_DEP_1) | instskip(SKIP_3) | instid1(VALU_DEP_2)
	v_fma_f64 v[12:13], v[2:3], s[0:1], v[0:1]
	s_mov_b32 s0, 0x3b39803f
	s_mov_b32 s1, 0xbc7abc9e
	v_cvt_i32_f64_e32 v18, v[2:3]
	v_fma_f64 v[12:13], v[2:3], s[0:1], v[12:13]
	s_mov_b32 s0, 0xfca7ab0c
	s_mov_b32 s1, 0x3e928af3
	s_delay_alu instid0(VALU_DEP_1) | instid1(SALU_CYCLE_1)
	v_fma_f64 v[16:17], v[12:13], s[10:11], s[0:1]
	s_mov_b32 s0, 0x623fde64
	s_mov_b32 s1, 0x3ec71dee
	s_delay_alu instid0(VALU_DEP_1) | instid1(SALU_CYCLE_1)
	;; [unrolled: 4-line block ×9, first 2 shown]
	v_fma_f64 v[16:17], v[12:13], v[16:17], s[0:1]
	v_cmp_nlt_f64_e64 s0, 0x40900000, v[0:1]
	v_cmp_ngt_f64_e64 s1, 0xc090cc00, v[0:1]
	s_delay_alu instid0(VALU_DEP_3) | instskip(NEXT) | instid1(VALU_DEP_1)
	v_fma_f64 v[16:17], v[12:13], v[16:17], 1.0
	v_fma_f64 v[2:3], v[12:13], v[16:17], 1.0
	s_delay_alu instid0(VALU_DEP_1) | instskip(NEXT) | instid1(VALU_DEP_1)
	v_ldexp_f64 v[2:3], v[2:3], v18
	v_cndmask_b32_e64 v3, 0x7ff00000, v3, s0
	s_and_b32 s0, s1, s0
	s_delay_alu instid0(VALU_DEP_2) | instid1(SALU_CYCLE_1)
	v_cndmask_b32_e64 v12, 0, v2, s0
	v_mov_b32_e32 v2, 0
	s_delay_alu instid0(VALU_DEP_3) | instskip(NEXT) | instid1(VALU_DEP_2)
	v_cndmask_b32_e64 v13, 0, v3, s1
	v_mov_b32_e32 v3, v2
	s_delay_alu instid0(VALU_DEP_2)
	v_add_f64 v[0:1], v[12:13], 0
.LBB673_16:
	s_or_b32 exec_lo, exec_lo, s5
	s_delay_alu instid0(SALU_CYCLE_1)
	s_or_b32 exec_lo, exec_lo, s3
	s_and_saveexec_b32 s3, s4
	s_cbranch_execz .LBB673_12
.LBB673_17:
	s_and_b32 s0, s16, exec_lo
	s_cselect_b32 s0, 0, s6
	s_cselect_b32 s1, 0, 0
	v_add_co_u32 v8, s0, v10, s0
	s_delay_alu instid0(VALU_DEP_1) | instskip(SKIP_3) | instid1(VALU_DEP_1)
	v_add_co_ci_u32_e64 v9, s0, s1, v11, s0
	global_load_u8 v8, v[8:9], off
	s_waitcnt vmcnt(0)
	v_and_b32_e32 v8, 1, v8
	v_cmp_eq_u32_e64 s0, 1, v8
	v_mov_b32_e32 v8, 0
	v_mov_b32_e32 v9, 0
	s_delay_alu instid0(VALU_DEP_3) | instskip(NEXT) | instid1(SALU_CYCLE_1)
	s_xor_b32 s0, s0, -1
	s_and_saveexec_b32 s4, s0
	s_cbranch_execz .LBB673_19
; %bb.18:
	v_add_f64 v[6:7], v[6:7], -v[14:15]
	s_mov_b32 s0, 0x652b82fe
	s_mov_b32 s1, 0x3ff71547
	;; [unrolled: 1-line block ×4, first 2 shown]
	s_delay_alu instid0(VALU_DEP_1) | instskip(SKIP_2) | instid1(VALU_DEP_1)
	v_mul_f64 v[8:9], v[6:7], s[0:1]
	s_mov_b32 s0, 0xfefa39ef
	s_mov_b32 s1, 0xbfe62e42
	v_rndne_f64_e32 v[8:9], v[8:9]
	s_delay_alu instid0(VALU_DEP_1) | instskip(SKIP_3) | instid1(VALU_DEP_2)
	v_fma_f64 v[10:11], v[8:9], s[0:1], v[6:7]
	s_mov_b32 s0, 0x3b39803f
	s_mov_b32 s1, 0xbc7abc9e
	v_cvt_i32_f64_e32 v16, v[8:9]
	v_fma_f64 v[10:11], v[8:9], s[0:1], v[10:11]
	s_mov_b32 s0, 0xfca7ab0c
	s_mov_b32 s1, 0x3e928af3
	s_delay_alu instid0(VALU_DEP_1) | instid1(SALU_CYCLE_1)
	v_fma_f64 v[14:15], v[10:11], s[10:11], s[0:1]
	s_mov_b32 s0, 0x623fde64
	s_mov_b32 s1, 0x3ec71dee
	s_delay_alu instid0(VALU_DEP_1) | instid1(SALU_CYCLE_1)
	;; [unrolled: 4-line block ×9, first 2 shown]
	v_fma_f64 v[14:15], v[10:11], v[14:15], s[0:1]
	v_cmp_nlt_f64_e64 s0, 0x40900000, v[6:7]
	v_cmp_ngt_f64_e64 s1, 0xc090cc00, v[6:7]
	s_delay_alu instid0(VALU_DEP_3) | instskip(NEXT) | instid1(VALU_DEP_1)
	v_fma_f64 v[14:15], v[10:11], v[14:15], 1.0
	v_fma_f64 v[8:9], v[10:11], v[14:15], 1.0
	s_delay_alu instid0(VALU_DEP_1) | instskip(NEXT) | instid1(VALU_DEP_1)
	v_ldexp_f64 v[8:9], v[8:9], v16
	v_cndmask_b32_e64 v9, 0x7ff00000, v9, s0
	s_and_b32 s0, s1, s0
	s_delay_alu instid0(VALU_DEP_2) | instid1(SALU_CYCLE_1)
	v_cndmask_b32_e64 v8, 0, v8, s0
	s_delay_alu instid0(VALU_DEP_2) | instskip(NEXT) | instid1(VALU_DEP_1)
	v_cndmask_b32_e64 v9, 0, v9, s1
	v_add_f64 v[2:3], v[2:3], v[8:9]
.LBB673_19:
	s_or_b32 exec_lo, exec_lo, s4
	s_delay_alu instid0(SALU_CYCLE_1)
	s_or_b32 exec_lo, exec_lo, s3
	s_and_saveexec_b32 s0, vcc_lo
	s_cbranch_execz .LBB673_13
.LBB673_20:
	v_add_co_u32 v4, vcc_lo, s8, v4
	v_add_co_ci_u32_e32 v5, vcc_lo, s9, v5, vcc_lo
	s_and_saveexec_b32 s0, s2
	s_cbranch_execz .LBB673_22
; %bb.21:
	s_delay_alu instid0(VALU_DEP_3) | instskip(SKIP_1) | instid1(VALU_DEP_2)
	v_div_scale_f64 v[6:7], null, v[0:1], v[0:1], v[12:13]
	v_div_scale_f64 v[16:17], vcc_lo, v[12:13], v[0:1], v[12:13]
	v_rcp_f64_e32 v[10:11], v[6:7]
	s_waitcnt_depctr 0xfff
	v_fma_f64 v[14:15], -v[6:7], v[10:11], 1.0
	s_delay_alu instid0(VALU_DEP_1) | instskip(NEXT) | instid1(VALU_DEP_1)
	v_fma_f64 v[10:11], v[10:11], v[14:15], v[10:11]
	v_fma_f64 v[14:15], -v[6:7], v[10:11], 1.0
	s_delay_alu instid0(VALU_DEP_1) | instskip(NEXT) | instid1(VALU_DEP_1)
	v_fma_f64 v[10:11], v[10:11], v[14:15], v[10:11]
	v_mul_f64 v[14:15], v[16:17], v[10:11]
	s_delay_alu instid0(VALU_DEP_1) | instskip(NEXT) | instid1(VALU_DEP_1)
	v_fma_f64 v[6:7], -v[6:7], v[14:15], v[16:17]
	v_div_fmas_f64 v[6:7], v[6:7], v[10:11], v[14:15]
	v_cmp_neq_f64_e32 vcc_lo, 0, v[0:1]
	s_delay_alu instid0(VALU_DEP_2) | instskip(NEXT) | instid1(VALU_DEP_1)
	v_div_fixup_f64 v[6:7], v[6:7], v[0:1], v[12:13]
	v_cndmask_b32_e32 v1, 0x7ff80000, v7, vcc_lo
	s_delay_alu instid0(VALU_DEP_2)
	v_cndmask_b32_e32 v0, 0, v6, vcc_lo
	global_store_b64 v[4:5], v[0:1], off
.LBB673_22:
	s_or_b32 exec_lo, exec_lo, s0
	v_cmp_ne_u32_e32 vcc_lo, 1, v20
	s_and_b32 exec_lo, exec_lo, vcc_lo
	s_cbranch_execz .LBB673_13
; %bb.23:
	s_and_b32 exec_lo, exec_lo, s2
	s_cbranch_execz .LBB673_13
; %bb.24:
	s_delay_alu instid0(VALU_DEP_4) | instskip(SKIP_2) | instid1(SALU_CYCLE_1)
	v_div_scale_f64 v[0:1], null, v[2:3], v[2:3], v[8:9]
	v_div_scale_f64 v[12:13], vcc_lo, v[8:9], v[2:3], v[8:9]
	s_mov_b32 s7, 0
	s_lshl_b64 s[0:1], s[6:7], 3
	s_delay_alu instid0(VALU_DEP_2) | instskip(SKIP_2) | instid1(VALU_DEP_1)
	v_rcp_f64_e32 v[6:7], v[0:1]
	s_waitcnt_depctr 0xfff
	v_fma_f64 v[10:11], -v[0:1], v[6:7], 1.0
	v_fma_f64 v[6:7], v[6:7], v[10:11], v[6:7]
	s_delay_alu instid0(VALU_DEP_1) | instskip(NEXT) | instid1(VALU_DEP_1)
	v_fma_f64 v[10:11], -v[0:1], v[6:7], 1.0
	v_fma_f64 v[6:7], v[6:7], v[10:11], v[6:7]
	s_delay_alu instid0(VALU_DEP_1) | instskip(NEXT) | instid1(VALU_DEP_1)
	v_mul_f64 v[10:11], v[12:13], v[6:7]
	v_fma_f64 v[0:1], -v[0:1], v[10:11], v[12:13]
	s_delay_alu instid0(VALU_DEP_1) | instskip(SKIP_1) | instid1(VALU_DEP_2)
	v_div_fmas_f64 v[0:1], v[0:1], v[6:7], v[10:11]
	v_cmp_neq_f64_e32 vcc_lo, 0, v[2:3]
	v_div_fixup_f64 v[0:1], v[0:1], v[2:3], v[8:9]
	v_add_co_u32 v2, s0, v4, s0
	s_delay_alu instid0(VALU_DEP_1) | instskip(NEXT) | instid1(VALU_DEP_3)
	v_add_co_ci_u32_e64 v3, s0, s1, v5, s0
	v_cndmask_b32_e32 v1, 0x7ff80000, v1, vcc_lo
	s_delay_alu instid0(VALU_DEP_4)
	v_cndmask_b32_e32 v0, 0, v0, vcc_lo
	global_store_b64 v[2:3], v[0:1], off
	s_nop 0
	s_sendmsg sendmsg(MSG_DEALLOC_VGPRS)
	s_endpgm
	.section	.rodata,"a",@progbits
	.p2align	6, 0x0
	.amdhsa_kernel _ZN12_GLOBAL__N_120softmax_warp_forwardIdddLi0ELb0ELb1ELi32EEEvPT0_PKT_iiiPKbib
		.amdhsa_group_segment_fixed_size 0
		.amdhsa_private_segment_fixed_size 0
		.amdhsa_kernarg_size 304
		.amdhsa_user_sgpr_count 15
		.amdhsa_user_sgpr_dispatch_ptr 0
		.amdhsa_user_sgpr_queue_ptr 0
		.amdhsa_user_sgpr_kernarg_segment_ptr 1
		.amdhsa_user_sgpr_dispatch_id 0
		.amdhsa_user_sgpr_private_segment_size 0
		.amdhsa_wavefront_size32 1
		.amdhsa_uses_dynamic_stack 0
		.amdhsa_enable_private_segment 0
		.amdhsa_system_sgpr_workgroup_id_x 1
		.amdhsa_system_sgpr_workgroup_id_y 0
		.amdhsa_system_sgpr_workgroup_id_z 0
		.amdhsa_system_sgpr_workgroup_info 0
		.amdhsa_system_vgpr_workitem_id 1
		.amdhsa_next_free_vgpr 21
		.amdhsa_next_free_sgpr 17
		.amdhsa_reserve_vcc 1
		.amdhsa_float_round_mode_32 0
		.amdhsa_float_round_mode_16_64 0
		.amdhsa_float_denorm_mode_32 3
		.amdhsa_float_denorm_mode_16_64 3
		.amdhsa_dx10_clamp 1
		.amdhsa_ieee_mode 1
		.amdhsa_fp16_overflow 0
		.amdhsa_workgroup_processor_mode 1
		.amdhsa_memory_ordered 1
		.amdhsa_forward_progress 0
		.amdhsa_shared_vgpr_count 0
		.amdhsa_exception_fp_ieee_invalid_op 0
		.amdhsa_exception_fp_denorm_src 0
		.amdhsa_exception_fp_ieee_div_zero 0
		.amdhsa_exception_fp_ieee_overflow 0
		.amdhsa_exception_fp_ieee_underflow 0
		.amdhsa_exception_fp_ieee_inexact 0
		.amdhsa_exception_int_div_zero 0
	.end_amdhsa_kernel
	.section	.text._ZN12_GLOBAL__N_120softmax_warp_forwardIdddLi0ELb0ELb1ELi32EEEvPT0_PKT_iiiPKbib,"axG",@progbits,_ZN12_GLOBAL__N_120softmax_warp_forwardIdddLi0ELb0ELb1ELi32EEEvPT0_PKT_iiiPKbib,comdat
.Lfunc_end673:
	.size	_ZN12_GLOBAL__N_120softmax_warp_forwardIdddLi0ELb0ELb1ELi32EEEvPT0_PKT_iiiPKbib, .Lfunc_end673-_ZN12_GLOBAL__N_120softmax_warp_forwardIdddLi0ELb0ELb1ELi32EEEvPT0_PKT_iiiPKbib
                                        ; -- End function
	.section	.AMDGPU.csdata,"",@progbits
; Kernel info:
; codeLenInByte = 2268
; NumSgprs: 19
; NumVgprs: 21
; ScratchSize: 0
; MemoryBound: 0
; FloatMode: 240
; IeeeMode: 1
; LDSByteSize: 0 bytes/workgroup (compile time only)
; SGPRBlocks: 2
; VGPRBlocks: 2
; NumSGPRsForWavesPerEU: 19
; NumVGPRsForWavesPerEU: 21
; Occupancy: 16
; WaveLimiterHint : 0
; COMPUTE_PGM_RSRC2:SCRATCH_EN: 0
; COMPUTE_PGM_RSRC2:USER_SGPR: 15
; COMPUTE_PGM_RSRC2:TRAP_HANDLER: 0
; COMPUTE_PGM_RSRC2:TGID_X_EN: 1
; COMPUTE_PGM_RSRC2:TGID_Y_EN: 0
; COMPUTE_PGM_RSRC2:TGID_Z_EN: 0
; COMPUTE_PGM_RSRC2:TIDIG_COMP_CNT: 1
	.section	.text._ZN12_GLOBAL__N_120softmax_warp_forwardIdddLi1ELb0ELb1ELi64EEEvPT0_PKT_iiiPKbib,"axG",@progbits,_ZN12_GLOBAL__N_120softmax_warp_forwardIdddLi1ELb0ELb1ELi64EEEvPT0_PKT_iiiPKbib,comdat
	.globl	_ZN12_GLOBAL__N_120softmax_warp_forwardIdddLi1ELb0ELb1ELi64EEEvPT0_PKT_iiiPKbib ; -- Begin function _ZN12_GLOBAL__N_120softmax_warp_forwardIdddLi1ELb0ELb1ELi64EEEvPT0_PKT_iiiPKbib
	.p2align	8
	.type	_ZN12_GLOBAL__N_120softmax_warp_forwardIdddLi1ELb0ELb1ELi64EEEvPT0_PKT_iiiPKbib,@function
_ZN12_GLOBAL__N_120softmax_warp_forwardIdddLi1ELb0ELb1ELi64EEEvPT0_PKT_iiiPKbib: ; @_ZN12_GLOBAL__N_120softmax_warp_forwardIdddLi1ELb0ELb1ELi64EEEvPT0_PKT_iiiPKbib
; %bb.0:
	s_clause 0x2
	s_load_b64 s[2:3], s[0:1], 0x28
	s_load_b32 s8, s[0:1], 0x3c
	s_load_b128 s[4:7], s[0:1], 0x10
	v_bfe_u32 v1, v0, 10, 10
	v_and_b32_e32 v2, 0x3ff, v0
	s_waitcnt lgkmcnt(0)
	s_bitcmp1_b32 s3, 0
	s_cselect_b32 s16, -1, 0
	s_lshr_b32 s7, s8, 16
	s_bitcmp0_b32 s3, 0
	s_mul_i32 s15, s15, s7
	s_delay_alu instid0(SALU_CYCLE_1) | instskip(NEXT) | instid1(VALU_DEP_1)
	v_add_lshl_u32 v5, s15, v1, 1
	v_mul_lo_u32 v6, v5, s5
	s_delay_alu instid0(VALU_DEP_1) | instskip(NEXT) | instid1(VALU_DEP_1)
	v_add_nc_u32_e32 v3, v6, v2
	v_ashrrev_i32_e32 v4, 31, v3
	s_delay_alu instid0(VALU_DEP_1)
	v_dual_mov_b32 v0, v3 :: v_dual_mov_b32 v1, v4
	s_cbranch_scc1 .LBB674_2
; %bb.1:
	s_abs_i32 s3, s2
	v_sub_nc_u32_e32 v7, 0, v6
	v_cvt_f32_u32_e32 v0, s3
	s_sub_i32 s7, 0, s3
	s_delay_alu instid0(VALU_DEP_2) | instskip(NEXT) | instid1(VALU_DEP_2)
	v_max_i32_e32 v7, v6, v7
	v_rcp_iflag_f32_e32 v0, v0
	v_xor_b32_e32 v6, s2, v6
	s_delay_alu instid0(VALU_DEP_1) | instskip(SKIP_2) | instid1(VALU_DEP_1)
	v_ashrrev_i32_e32 v6, 31, v6
	s_waitcnt_depctr 0xfff
	v_mul_f32_e32 v0, 0x4f7ffffe, v0
	v_cvt_u32_f32_e32 v0, v0
	s_delay_alu instid0(VALU_DEP_1) | instskip(NEXT) | instid1(VALU_DEP_1)
	v_mul_lo_u32 v1, s7, v0
	v_mul_hi_u32 v1, v0, v1
	s_delay_alu instid0(VALU_DEP_1) | instskip(NEXT) | instid1(VALU_DEP_1)
	v_add_nc_u32_e32 v0, v0, v1
	v_mul_hi_u32 v0, v7, v0
	s_delay_alu instid0(VALU_DEP_1) | instskip(NEXT) | instid1(VALU_DEP_1)
	v_mul_lo_u32 v1, v0, s3
	v_sub_nc_u32_e32 v1, v7, v1
	v_add_nc_u32_e32 v7, 1, v0
	s_delay_alu instid0(VALU_DEP_2) | instskip(SKIP_1) | instid1(VALU_DEP_2)
	v_subrev_nc_u32_e32 v8, s3, v1
	v_cmp_le_u32_e32 vcc_lo, s3, v1
	v_dual_cndmask_b32 v1, v1, v8 :: v_dual_cndmask_b32 v0, v0, v7
	s_delay_alu instid0(VALU_DEP_1) | instskip(NEXT) | instid1(VALU_DEP_2)
	v_cmp_le_u32_e32 vcc_lo, s3, v1
	v_add_nc_u32_e32 v7, 1, v0
	s_delay_alu instid0(VALU_DEP_1) | instskip(NEXT) | instid1(VALU_DEP_1)
	v_cndmask_b32_e32 v0, v0, v7, vcc_lo
	v_xor_b32_e32 v0, v0, v6
	s_delay_alu instid0(VALU_DEP_1) | instskip(NEXT) | instid1(VALU_DEP_1)
	v_sub_nc_u32_e32 v6, v0, v6
	v_mad_u64_u32 v[0:1], null, v6, s5, v[2:3]
	s_delay_alu instid0(VALU_DEP_1)
	v_ashrrev_i32_e32 v1, 31, v0
.LBB674_2:
	s_load_b128 s[8:11], s[0:1], 0x0
	v_sub_nc_u32_e32 v24, s4, v5
	v_lshlrev_b64 v[4:5], 3, v[3:4]
	v_mov_b32_e32 v6, 0
	v_mov_b32_e32 v7, 0xfff00000
	v_cmp_gt_i32_e64 s2, s6, v2
	v_cmp_lt_i32_e32 vcc_lo, 0, v24
	s_delay_alu instid0(VALU_DEP_3) | instskip(NEXT) | instid1(VALU_DEP_3)
	v_dual_mov_b32 v19, v7 :: v_dual_mov_b32 v18, v6
	s_and_b32 s5, s2, vcc_lo
	s_waitcnt lgkmcnt(0)
	v_add_co_u32 v2, s3, s10, v4
	s_delay_alu instid0(VALU_DEP_1)
	v_add_co_ci_u32_e64 v3, s3, s11, v5, s3
	s_and_saveexec_b32 s3, s5
	s_cbranch_execz .LBB674_4
; %bb.3:
	global_load_b64 v[18:19], v[2:3], off
.LBB674_4:
	s_or_b32 exec_lo, exec_lo, s3
	v_cmp_lt_i32_e64 s3, 1, v24
	s_delay_alu instid0(VALU_DEP_1) | instskip(NEXT) | instid1(SALU_CYCLE_1)
	s_and_b32 s4, s2, s3
	s_and_saveexec_b32 s10, s4
	s_cbranch_execz .LBB674_6
; %bb.5:
	s_mov_b32 s7, 0
	s_delay_alu instid0(SALU_CYCLE_1) | instskip(NEXT) | instid1(SALU_CYCLE_1)
	s_lshl_b64 s[12:13], s[6:7], 3
	v_add_co_u32 v2, s3, v2, s12
	s_delay_alu instid0(VALU_DEP_1)
	v_add_co_ci_u32_e64 v3, s3, s13, v3, s3
	global_load_b64 v[6:7], v[2:3], off
.LBB674_6:
	s_or_b32 exec_lo, exec_lo, s10
	s_load_b64 s[0:1], s[0:1], 0x20
	v_mov_b32_e32 v20, 0
	v_mov_b32_e32 v21, 0xfff00000
	s_waitcnt lgkmcnt(0)
	v_add_co_u32 v10, s0, s0, v0
	s_delay_alu instid0(VALU_DEP_1)
	v_add_co_ci_u32_e64 v11, s0, s1, v1, s0
	s_and_saveexec_b32 s1, s5
	s_cbranch_execz .LBB674_8
; %bb.7:
	global_load_u8 v0, v[10:11], off
	s_waitcnt vmcnt(0)
	v_and_b32_e32 v0, 1, v0
	s_delay_alu instid0(VALU_DEP_1) | instskip(NEXT) | instid1(VALU_DEP_1)
	v_cmp_eq_u32_e64 s0, 1, v0
	v_cndmask_b32_e64 v21, v19, 0xfff00000, s0
	v_cndmask_b32_e64 v20, v18, 0, s0
.LBB674_8:
	s_or_b32 exec_lo, exec_lo, s1
	s_mov_b32 s12, 0
	s_mov_b32 s1, 0
	s_and_saveexec_b32 s3, s4
	s_cbranch_execz .LBB674_10
; %bb.9:
	s_and_b32 s0, s16, exec_lo
	s_cselect_b32 s0, 0, s6
	s_cselect_b32 s1, 0, 0
	v_add_co_u32 v0, s0, v10, s0
	s_delay_alu instid0(VALU_DEP_1) | instskip(SKIP_3) | instid1(VALU_DEP_1)
	v_add_co_ci_u32_e64 v1, s0, s1, v11, s0
	global_load_u8 v0, v[0:1], off
	s_waitcnt vmcnt(0)
	v_and_b32_e32 v0, 1, v0
	v_cmp_eq_u32_e64 s0, 1, v0
	s_delay_alu instid0(VALU_DEP_1) | instskip(NEXT) | instid1(SALU_CYCLE_1)
	s_xor_b32 s0, s0, -1
	s_and_b32 s1, s0, exec_lo
.LBB674_10:
	s_or_b32 exec_lo, exec_lo, s3
	v_mbcnt_lo_u32_b32 v0, -1, 0
	s_mov_b32 s13, s12
	s_mov_b32 s14, s12
	s_mov_b32 s15, s12
	s_waitcnt vmcnt(0)
	v_cndmask_b32_e64 v14, 0, v6, s1
	v_dual_mov_b32 v8, 0 :: v_dual_and_b32 v1, 30, v0
	v_xor_b32_e32 v2, 1, v0
	v_cndmask_b32_e64 v15, 0xfff00000, v7, s1
	v_mov_b32_e32 v9, 0
	s_delay_alu instid0(VALU_DEP_4) | instskip(NEXT) | instid1(VALU_DEP_2)
	v_add_nc_u32_e32 v1, 2, v1
	v_mov_b32_e32 v13, v9
	s_delay_alu instid0(VALU_DEP_2) | instskip(SKIP_1) | instid1(VALU_DEP_2)
	v_cmp_lt_i32_e64 s0, v2, v1
	v_mov_b32_e32 v12, v8
	v_cndmask_b32_e64 v0, v0, v2, s0
	s_delay_alu instid0(VALU_DEP_1)
	v_dual_mov_b32 v0, s12 :: v_dual_lshlrev_b32 v25, 2, v0
	v_dual_mov_b32 v1, s13 :: v_dual_mov_b32 v2, s14
	v_mov_b32_e32 v3, s15
	ds_bpermute_b32 v22, v25, v20
	ds_bpermute_b32 v23, v25, v21
	;; [unrolled: 1-line block ×4, first 2 shown]
	s_and_saveexec_b32 s3, s5
	s_cbranch_execz .LBB674_14
; %bb.11:
	global_load_u8 v0, v[10:11], off
	s_mov_b32 s13, s12
	s_mov_b32 s14, s12
	;; [unrolled: 1-line block ×3, first 2 shown]
	v_mov_b32_e32 v12, 0
	s_waitcnt vmcnt(0)
	v_dual_mov_b32 v13, 0 :: v_dual_and_b32 v0, 1, v0
	s_delay_alu instid0(VALU_DEP_1) | instskip(SKIP_2) | instid1(VALU_DEP_3)
	v_cmp_eq_u32_e64 s0, 1, v0
	v_dual_mov_b32 v0, s12 :: v_dual_mov_b32 v3, s15
	v_dual_mov_b32 v1, s13 :: v_dual_mov_b32 v2, s14
	s_xor_b32 s0, s0, -1
	s_delay_alu instid0(SALU_CYCLE_1)
	s_and_saveexec_b32 s5, s0
	s_cbranch_execz .LBB674_13
; %bb.12:
	s_waitcnt lgkmcnt(2)
	v_cmp_lt_f64_e64 s0, v[20:21], v[22:23]
	s_mov_b32 s10, 0x6a5dcb37
	s_mov_b32 s11, 0x3e5ade15
	s_delay_alu instid0(VALU_DEP_1) | instskip(SKIP_3) | instid1(VALU_DEP_1)
	v_cndmask_b32_e64 v1, v21, v23, s0
	v_cndmask_b32_e64 v0, v20, v22, s0
	s_mov_b32 s0, 0x652b82fe
	s_mov_b32 s1, 0x3ff71547
	v_add_f64 v[0:1], v[18:19], -v[0:1]
	s_delay_alu instid0(VALU_DEP_1) | instskip(SKIP_2) | instid1(VALU_DEP_1)
	v_mul_f64 v[2:3], v[0:1], s[0:1]
	s_mov_b32 s0, 0xfefa39ef
	s_mov_b32 s1, 0xbfe62e42
	v_rndne_f64_e32 v[2:3], v[2:3]
	s_delay_alu instid0(VALU_DEP_1) | instskip(SKIP_3) | instid1(VALU_DEP_2)
	v_fma_f64 v[12:13], v[2:3], s[0:1], v[0:1]
	s_mov_b32 s0, 0x3b39803f
	s_mov_b32 s1, 0xbc7abc9e
	v_cvt_i32_f64_e32 v20, v[2:3]
	v_fma_f64 v[12:13], v[2:3], s[0:1], v[12:13]
	s_mov_b32 s0, 0xfca7ab0c
	s_mov_b32 s1, 0x3e928af3
	s_delay_alu instid0(VALU_DEP_1) | instid1(SALU_CYCLE_1)
	v_fma_f64 v[18:19], v[12:13], s[10:11], s[0:1]
	s_mov_b32 s0, 0x623fde64
	s_mov_b32 s1, 0x3ec71dee
	s_delay_alu instid0(VALU_DEP_1) | instid1(SALU_CYCLE_1)
	;; [unrolled: 4-line block ×9, first 2 shown]
	v_fma_f64 v[18:19], v[12:13], v[18:19], s[0:1]
	v_cmp_nlt_f64_e64 s0, 0x40900000, v[0:1]
	v_cmp_ngt_f64_e64 s1, 0xc090cc00, v[0:1]
	s_delay_alu instid0(VALU_DEP_3) | instskip(NEXT) | instid1(VALU_DEP_1)
	v_fma_f64 v[18:19], v[12:13], v[18:19], 1.0
	v_fma_f64 v[2:3], v[12:13], v[18:19], 1.0
	s_delay_alu instid0(VALU_DEP_1) | instskip(NEXT) | instid1(VALU_DEP_1)
	v_ldexp_f64 v[2:3], v[2:3], v20
	v_cndmask_b32_e64 v3, 0x7ff00000, v3, s0
	s_and_b32 s0, s1, s0
	s_delay_alu instid0(VALU_DEP_2) | instid1(SALU_CYCLE_1)
	v_cndmask_b32_e64 v12, 0, v2, s0
	v_mov_b32_e32 v2, 0
	s_delay_alu instid0(VALU_DEP_3) | instskip(NEXT) | instid1(VALU_DEP_2)
	v_cndmask_b32_e64 v13, 0, v3, s1
	v_mov_b32_e32 v3, v2
	s_delay_alu instid0(VALU_DEP_2)
	v_add_f64 v[0:1], v[12:13], 0
.LBB674_13:
	s_or_b32 exec_lo, exec_lo, s5
.LBB674_14:
	s_delay_alu instid0(SALU_CYCLE_1)
	s_or_b32 exec_lo, exec_lo, s3
	s_and_saveexec_b32 s3, s4
	s_cbranch_execz .LBB674_18
; %bb.15:
	s_and_b32 s0, s16, exec_lo
	s_cselect_b32 s0, 0, s6
	s_cselect_b32 s1, 0, 0
	v_add_co_u32 v8, s0, v10, s0
	s_delay_alu instid0(VALU_DEP_1) | instskip(SKIP_3) | instid1(VALU_DEP_1)
	v_add_co_ci_u32_e64 v9, s0, s1, v11, s0
	global_load_u8 v8, v[8:9], off
	s_waitcnt vmcnt(0)
	v_and_b32_e32 v8, 1, v8
	v_cmp_eq_u32_e64 s0, 1, v8
	v_mov_b32_e32 v8, 0
	v_mov_b32_e32 v9, 0
	s_delay_alu instid0(VALU_DEP_3) | instskip(NEXT) | instid1(SALU_CYCLE_1)
	s_xor_b32 s0, s0, -1
	s_and_saveexec_b32 s4, s0
	s_cbranch_execz .LBB674_17
; %bb.16:
	s_waitcnt lgkmcnt(0)
	v_cmp_lt_f64_e64 s0, v[14:15], v[16:17]
	s_mov_b32 s10, 0x6a5dcb37
	s_mov_b32 s11, 0x3e5ade15
	s_delay_alu instid0(VALU_DEP_1) | instskip(SKIP_3) | instid1(VALU_DEP_1)
	v_cndmask_b32_e64 v9, v15, v17, s0
	v_cndmask_b32_e64 v8, v14, v16, s0
	s_mov_b32 s0, 0x652b82fe
	s_mov_b32 s1, 0x3ff71547
	v_add_f64 v[6:7], v[6:7], -v[8:9]
	s_delay_alu instid0(VALU_DEP_1) | instskip(SKIP_2) | instid1(VALU_DEP_1)
	v_mul_f64 v[8:9], v[6:7], s[0:1]
	s_mov_b32 s0, 0xfefa39ef
	s_mov_b32 s1, 0xbfe62e42
	v_rndne_f64_e32 v[8:9], v[8:9]
	s_delay_alu instid0(VALU_DEP_1) | instskip(SKIP_3) | instid1(VALU_DEP_2)
	v_fma_f64 v[10:11], v[8:9], s[0:1], v[6:7]
	s_mov_b32 s0, 0x3b39803f
	s_mov_b32 s1, 0xbc7abc9e
	v_cvt_i32_f64_e32 v16, v[8:9]
	v_fma_f64 v[10:11], v[8:9], s[0:1], v[10:11]
	s_mov_b32 s0, 0xfca7ab0c
	s_mov_b32 s1, 0x3e928af3
	s_delay_alu instid0(VALU_DEP_1) | instid1(SALU_CYCLE_1)
	v_fma_f64 v[14:15], v[10:11], s[10:11], s[0:1]
	s_mov_b32 s0, 0x623fde64
	s_mov_b32 s1, 0x3ec71dee
	s_delay_alu instid0(VALU_DEP_1) | instid1(SALU_CYCLE_1)
	;; [unrolled: 4-line block ×9, first 2 shown]
	v_fma_f64 v[14:15], v[10:11], v[14:15], s[0:1]
	v_cmp_nlt_f64_e64 s0, 0x40900000, v[6:7]
	v_cmp_ngt_f64_e64 s1, 0xc090cc00, v[6:7]
	s_delay_alu instid0(VALU_DEP_3) | instskip(NEXT) | instid1(VALU_DEP_1)
	v_fma_f64 v[14:15], v[10:11], v[14:15], 1.0
	v_fma_f64 v[8:9], v[10:11], v[14:15], 1.0
	s_delay_alu instid0(VALU_DEP_1) | instskip(NEXT) | instid1(VALU_DEP_1)
	v_ldexp_f64 v[8:9], v[8:9], v16
	v_cndmask_b32_e64 v9, 0x7ff00000, v9, s0
	s_and_b32 s0, s1, s0
	s_delay_alu instid0(VALU_DEP_2) | instid1(SALU_CYCLE_1)
	v_cndmask_b32_e64 v8, 0, v8, s0
	s_delay_alu instid0(VALU_DEP_2) | instskip(NEXT) | instid1(VALU_DEP_1)
	v_cndmask_b32_e64 v9, 0, v9, s1
	v_add_f64 v[2:3], v[2:3], v[8:9]
.LBB674_17:
	s_or_b32 exec_lo, exec_lo, s4
.LBB674_18:
	s_delay_alu instid0(SALU_CYCLE_1)
	s_or_b32 exec_lo, exec_lo, s3
	ds_bpermute_b32 v10, v25, v0
	ds_bpermute_b32 v11, v25, v1
	;; [unrolled: 1-line block ×4, first 2 shown]
	s_and_saveexec_b32 s0, vcc_lo
	s_cbranch_execz .LBB674_24
; %bb.19:
	v_add_co_u32 v4, vcc_lo, s8, v4
	v_add_co_ci_u32_e32 v5, vcc_lo, s9, v5, vcc_lo
	s_and_saveexec_b32 s0, s2
	s_cbranch_execz .LBB674_21
; %bb.20:
	s_waitcnt lgkmcnt(2)
	v_add_f64 v[0:1], v[0:1], v[10:11]
	s_delay_alu instid0(VALU_DEP_1) | instskip(SKIP_1) | instid1(VALU_DEP_2)
	v_div_scale_f64 v[10:11], null, v[0:1], v[0:1], v[12:13]
	v_div_scale_f64 v[18:19], vcc_lo, v[12:13], v[0:1], v[12:13]
	v_rcp_f64_e32 v[14:15], v[10:11]
	s_waitcnt_depctr 0xfff
	v_fma_f64 v[16:17], -v[10:11], v[14:15], 1.0
	s_delay_alu instid0(VALU_DEP_1) | instskip(NEXT) | instid1(VALU_DEP_1)
	v_fma_f64 v[14:15], v[14:15], v[16:17], v[14:15]
	v_fma_f64 v[16:17], -v[10:11], v[14:15], 1.0
	s_delay_alu instid0(VALU_DEP_1) | instskip(NEXT) | instid1(VALU_DEP_1)
	v_fma_f64 v[14:15], v[14:15], v[16:17], v[14:15]
	v_mul_f64 v[16:17], v[18:19], v[14:15]
	s_delay_alu instid0(VALU_DEP_1) | instskip(NEXT) | instid1(VALU_DEP_1)
	v_fma_f64 v[10:11], -v[10:11], v[16:17], v[18:19]
	v_div_fmas_f64 v[10:11], v[10:11], v[14:15], v[16:17]
	v_cmp_neq_f64_e32 vcc_lo, 0, v[0:1]
	s_delay_alu instid0(VALU_DEP_2) | instskip(NEXT) | instid1(VALU_DEP_1)
	v_div_fixup_f64 v[10:11], v[10:11], v[0:1], v[12:13]
	v_cndmask_b32_e32 v1, 0x7ff80000, v11, vcc_lo
	s_delay_alu instid0(VALU_DEP_2)
	v_cndmask_b32_e32 v0, 0, v10, vcc_lo
	global_store_b64 v[4:5], v[0:1], off
.LBB674_21:
	s_or_b32 exec_lo, exec_lo, s0
	v_cmp_ne_u32_e32 vcc_lo, 1, v24
	s_and_b32 exec_lo, exec_lo, vcc_lo
	s_cbranch_execz .LBB674_24
; %bb.22:
	s_and_b32 exec_lo, exec_lo, s2
	s_cbranch_execz .LBB674_24
; %bb.23:
	s_waitcnt lgkmcnt(0)
	v_add_f64 v[0:1], v[2:3], v[6:7]
	s_mov_b32 s7, 0
	s_delay_alu instid0(SALU_CYCLE_1) | instskip(NEXT) | instid1(VALU_DEP_1)
	s_lshl_b64 s[0:1], s[6:7], 3
	v_div_scale_f64 v[2:3], null, v[0:1], v[0:1], v[8:9]
	v_div_scale_f64 v[12:13], vcc_lo, v[8:9], v[0:1], v[8:9]
	s_delay_alu instid0(VALU_DEP_2) | instskip(SKIP_2) | instid1(VALU_DEP_1)
	v_rcp_f64_e32 v[6:7], v[2:3]
	s_waitcnt_depctr 0xfff
	v_fma_f64 v[10:11], -v[2:3], v[6:7], 1.0
	v_fma_f64 v[6:7], v[6:7], v[10:11], v[6:7]
	s_delay_alu instid0(VALU_DEP_1) | instskip(NEXT) | instid1(VALU_DEP_1)
	v_fma_f64 v[10:11], -v[2:3], v[6:7], 1.0
	v_fma_f64 v[6:7], v[6:7], v[10:11], v[6:7]
	s_delay_alu instid0(VALU_DEP_1) | instskip(NEXT) | instid1(VALU_DEP_1)
	v_mul_f64 v[10:11], v[12:13], v[6:7]
	v_fma_f64 v[2:3], -v[2:3], v[10:11], v[12:13]
	s_delay_alu instid0(VALU_DEP_1) | instskip(SKIP_1) | instid1(VALU_DEP_2)
	v_div_fmas_f64 v[2:3], v[2:3], v[6:7], v[10:11]
	v_cmp_neq_f64_e32 vcc_lo, 0, v[0:1]
	v_div_fixup_f64 v[2:3], v[2:3], v[0:1], v[8:9]
	v_add_co_u32 v0, s0, v4, s0
	s_delay_alu instid0(VALU_DEP_1) | instskip(NEXT) | instid1(VALU_DEP_3)
	v_add_co_ci_u32_e64 v1, s0, s1, v5, s0
	v_cndmask_b32_e32 v3, 0x7ff80000, v3, vcc_lo
	s_delay_alu instid0(VALU_DEP_4)
	v_cndmask_b32_e32 v2, 0, v2, vcc_lo
	global_store_b64 v[0:1], v[2:3], off
.LBB674_24:
	s_nop 0
	s_sendmsg sendmsg(MSG_DEALLOC_VGPRS)
	s_endpgm
	.section	.rodata,"a",@progbits
	.p2align	6, 0x0
	.amdhsa_kernel _ZN12_GLOBAL__N_120softmax_warp_forwardIdddLi1ELb0ELb1ELi64EEEvPT0_PKT_iiiPKbib
		.amdhsa_group_segment_fixed_size 0
		.amdhsa_private_segment_fixed_size 0
		.amdhsa_kernarg_size 304
		.amdhsa_user_sgpr_count 15
		.amdhsa_user_sgpr_dispatch_ptr 0
		.amdhsa_user_sgpr_queue_ptr 0
		.amdhsa_user_sgpr_kernarg_segment_ptr 1
		.amdhsa_user_sgpr_dispatch_id 0
		.amdhsa_user_sgpr_private_segment_size 0
		.amdhsa_wavefront_size32 1
		.amdhsa_uses_dynamic_stack 0
		.amdhsa_enable_private_segment 0
		.amdhsa_system_sgpr_workgroup_id_x 1
		.amdhsa_system_sgpr_workgroup_id_y 0
		.amdhsa_system_sgpr_workgroup_id_z 0
		.amdhsa_system_sgpr_workgroup_info 0
		.amdhsa_system_vgpr_workitem_id 1
		.amdhsa_next_free_vgpr 26
		.amdhsa_next_free_sgpr 17
		.amdhsa_reserve_vcc 1
		.amdhsa_float_round_mode_32 0
		.amdhsa_float_round_mode_16_64 0
		.amdhsa_float_denorm_mode_32 3
		.amdhsa_float_denorm_mode_16_64 3
		.amdhsa_dx10_clamp 1
		.amdhsa_ieee_mode 1
		.amdhsa_fp16_overflow 0
		.amdhsa_workgroup_processor_mode 1
		.amdhsa_memory_ordered 1
		.amdhsa_forward_progress 0
		.amdhsa_shared_vgpr_count 0
		.amdhsa_exception_fp_ieee_invalid_op 0
		.amdhsa_exception_fp_denorm_src 0
		.amdhsa_exception_fp_ieee_div_zero 0
		.amdhsa_exception_fp_ieee_overflow 0
		.amdhsa_exception_fp_ieee_underflow 0
		.amdhsa_exception_fp_ieee_inexact 0
		.amdhsa_exception_int_div_zero 0
	.end_amdhsa_kernel
	.section	.text._ZN12_GLOBAL__N_120softmax_warp_forwardIdddLi1ELb0ELb1ELi64EEEvPT0_PKT_iiiPKbib,"axG",@progbits,_ZN12_GLOBAL__N_120softmax_warp_forwardIdddLi1ELb0ELb1ELi64EEEvPT0_PKT_iiiPKbib,comdat
.Lfunc_end674:
	.size	_ZN12_GLOBAL__N_120softmax_warp_forwardIdddLi1ELb0ELb1ELi64EEEvPT0_PKT_iiiPKbib, .Lfunc_end674-_ZN12_GLOBAL__N_120softmax_warp_forwardIdddLi1ELb0ELb1ELi64EEEvPT0_PKT_iiiPKbib
                                        ; -- End function
	.section	.AMDGPU.csdata,"",@progbits
; Kernel info:
; codeLenInByte = 2436
; NumSgprs: 19
; NumVgprs: 26
; ScratchSize: 0
; MemoryBound: 0
; FloatMode: 240
; IeeeMode: 1
; LDSByteSize: 0 bytes/workgroup (compile time only)
; SGPRBlocks: 2
; VGPRBlocks: 3
; NumSGPRsForWavesPerEU: 19
; NumVGPRsForWavesPerEU: 26
; Occupancy: 16
; WaveLimiterHint : 0
; COMPUTE_PGM_RSRC2:SCRATCH_EN: 0
; COMPUTE_PGM_RSRC2:USER_SGPR: 15
; COMPUTE_PGM_RSRC2:TRAP_HANDLER: 0
; COMPUTE_PGM_RSRC2:TGID_X_EN: 1
; COMPUTE_PGM_RSRC2:TGID_Y_EN: 0
; COMPUTE_PGM_RSRC2:TGID_Z_EN: 0
; COMPUTE_PGM_RSRC2:TIDIG_COMP_CNT: 1
	.section	.text._ZN12_GLOBAL__N_120softmax_warp_forwardIdddLi1ELb0ELb1ELi32EEEvPT0_PKT_iiiPKbib,"axG",@progbits,_ZN12_GLOBAL__N_120softmax_warp_forwardIdddLi1ELb0ELb1ELi32EEEvPT0_PKT_iiiPKbib,comdat
	.globl	_ZN12_GLOBAL__N_120softmax_warp_forwardIdddLi1ELb0ELb1ELi32EEEvPT0_PKT_iiiPKbib ; -- Begin function _ZN12_GLOBAL__N_120softmax_warp_forwardIdddLi1ELb0ELb1ELi32EEEvPT0_PKT_iiiPKbib
	.p2align	8
	.type	_ZN12_GLOBAL__N_120softmax_warp_forwardIdddLi1ELb0ELb1ELi32EEEvPT0_PKT_iiiPKbib,@function
_ZN12_GLOBAL__N_120softmax_warp_forwardIdddLi1ELb0ELb1ELi32EEEvPT0_PKT_iiiPKbib: ; @_ZN12_GLOBAL__N_120softmax_warp_forwardIdddLi1ELb0ELb1ELi32EEEvPT0_PKT_iiiPKbib
; %bb.0:
	s_clause 0x2
	s_load_b64 s[2:3], s[0:1], 0x28
	s_load_b32 s8, s[0:1], 0x3c
	s_load_b128 s[4:7], s[0:1], 0x10
	v_bfe_u32 v1, v0, 10, 10
	v_and_b32_e32 v2, 0x3ff, v0
	s_waitcnt lgkmcnt(0)
	s_bitcmp1_b32 s3, 0
	s_cselect_b32 s16, -1, 0
	s_lshr_b32 s7, s8, 16
	s_bitcmp0_b32 s3, 0
	s_mul_i32 s15, s15, s7
	s_delay_alu instid0(SALU_CYCLE_1) | instskip(NEXT) | instid1(VALU_DEP_1)
	v_add_lshl_u32 v5, s15, v1, 1
	v_mul_lo_u32 v6, v5, s5
	s_delay_alu instid0(VALU_DEP_1) | instskip(NEXT) | instid1(VALU_DEP_1)
	v_add_nc_u32_e32 v3, v6, v2
	v_ashrrev_i32_e32 v4, 31, v3
	s_delay_alu instid0(VALU_DEP_1)
	v_dual_mov_b32 v0, v3 :: v_dual_mov_b32 v1, v4
	s_cbranch_scc1 .LBB675_2
; %bb.1:
	s_abs_i32 s3, s2
	v_sub_nc_u32_e32 v7, 0, v6
	v_cvt_f32_u32_e32 v0, s3
	s_sub_i32 s7, 0, s3
	s_delay_alu instid0(VALU_DEP_2) | instskip(NEXT) | instid1(VALU_DEP_2)
	v_max_i32_e32 v7, v6, v7
	v_rcp_iflag_f32_e32 v0, v0
	v_xor_b32_e32 v6, s2, v6
	s_delay_alu instid0(VALU_DEP_1) | instskip(SKIP_2) | instid1(VALU_DEP_1)
	v_ashrrev_i32_e32 v6, 31, v6
	s_waitcnt_depctr 0xfff
	v_mul_f32_e32 v0, 0x4f7ffffe, v0
	v_cvt_u32_f32_e32 v0, v0
	s_delay_alu instid0(VALU_DEP_1) | instskip(NEXT) | instid1(VALU_DEP_1)
	v_mul_lo_u32 v1, s7, v0
	v_mul_hi_u32 v1, v0, v1
	s_delay_alu instid0(VALU_DEP_1) | instskip(NEXT) | instid1(VALU_DEP_1)
	v_add_nc_u32_e32 v0, v0, v1
	v_mul_hi_u32 v0, v7, v0
	s_delay_alu instid0(VALU_DEP_1) | instskip(NEXT) | instid1(VALU_DEP_1)
	v_mul_lo_u32 v1, v0, s3
	v_sub_nc_u32_e32 v1, v7, v1
	v_add_nc_u32_e32 v7, 1, v0
	s_delay_alu instid0(VALU_DEP_2) | instskip(SKIP_1) | instid1(VALU_DEP_2)
	v_subrev_nc_u32_e32 v8, s3, v1
	v_cmp_le_u32_e32 vcc_lo, s3, v1
	v_dual_cndmask_b32 v1, v1, v8 :: v_dual_cndmask_b32 v0, v0, v7
	s_delay_alu instid0(VALU_DEP_1) | instskip(NEXT) | instid1(VALU_DEP_2)
	v_cmp_le_u32_e32 vcc_lo, s3, v1
	v_add_nc_u32_e32 v7, 1, v0
	s_delay_alu instid0(VALU_DEP_1) | instskip(NEXT) | instid1(VALU_DEP_1)
	v_cndmask_b32_e32 v0, v0, v7, vcc_lo
	v_xor_b32_e32 v0, v0, v6
	s_delay_alu instid0(VALU_DEP_1) | instskip(NEXT) | instid1(VALU_DEP_1)
	v_sub_nc_u32_e32 v6, v0, v6
	v_mad_u64_u32 v[0:1], null, v6, s5, v[2:3]
	s_delay_alu instid0(VALU_DEP_1)
	v_ashrrev_i32_e32 v1, 31, v0
.LBB675_2:
	s_load_b128 s[8:11], s[0:1], 0x0
	v_sub_nc_u32_e32 v24, s4, v5
	v_lshlrev_b64 v[4:5], 3, v[3:4]
	v_mov_b32_e32 v6, 0
	v_mov_b32_e32 v7, 0xfff00000
	v_cmp_gt_i32_e64 s2, s6, v2
	v_cmp_lt_i32_e32 vcc_lo, 0, v24
	s_delay_alu instid0(VALU_DEP_3) | instskip(NEXT) | instid1(VALU_DEP_3)
	v_dual_mov_b32 v19, v7 :: v_dual_mov_b32 v18, v6
	s_and_b32 s5, s2, vcc_lo
	s_waitcnt lgkmcnt(0)
	v_add_co_u32 v2, s3, s10, v4
	s_delay_alu instid0(VALU_DEP_1)
	v_add_co_ci_u32_e64 v3, s3, s11, v5, s3
	s_and_saveexec_b32 s3, s5
	s_cbranch_execz .LBB675_4
; %bb.3:
	global_load_b64 v[18:19], v[2:3], off
.LBB675_4:
	s_or_b32 exec_lo, exec_lo, s3
	v_cmp_lt_i32_e64 s3, 1, v24
	s_delay_alu instid0(VALU_DEP_1) | instskip(NEXT) | instid1(SALU_CYCLE_1)
	s_and_b32 s4, s2, s3
	s_and_saveexec_b32 s10, s4
	s_cbranch_execz .LBB675_6
; %bb.5:
	s_mov_b32 s7, 0
	s_delay_alu instid0(SALU_CYCLE_1) | instskip(NEXT) | instid1(SALU_CYCLE_1)
	s_lshl_b64 s[12:13], s[6:7], 3
	v_add_co_u32 v2, s3, v2, s12
	s_delay_alu instid0(VALU_DEP_1)
	v_add_co_ci_u32_e64 v3, s3, s13, v3, s3
	global_load_b64 v[6:7], v[2:3], off
.LBB675_6:
	s_or_b32 exec_lo, exec_lo, s10
	s_load_b64 s[0:1], s[0:1], 0x20
	v_mov_b32_e32 v20, 0
	v_mov_b32_e32 v21, 0xfff00000
	s_waitcnt lgkmcnt(0)
	v_add_co_u32 v10, s0, s0, v0
	s_delay_alu instid0(VALU_DEP_1)
	v_add_co_ci_u32_e64 v11, s0, s1, v1, s0
	s_and_saveexec_b32 s1, s5
	s_cbranch_execz .LBB675_8
; %bb.7:
	global_load_u8 v0, v[10:11], off
	s_waitcnt vmcnt(0)
	v_and_b32_e32 v0, 1, v0
	s_delay_alu instid0(VALU_DEP_1) | instskip(NEXT) | instid1(VALU_DEP_1)
	v_cmp_eq_u32_e64 s0, 1, v0
	v_cndmask_b32_e64 v21, v19, 0xfff00000, s0
	v_cndmask_b32_e64 v20, v18, 0, s0
.LBB675_8:
	s_or_b32 exec_lo, exec_lo, s1
	s_mov_b32 s12, 0
	s_mov_b32 s1, 0
	s_and_saveexec_b32 s3, s4
	s_cbranch_execz .LBB675_10
; %bb.9:
	s_and_b32 s0, s16, exec_lo
	s_cselect_b32 s0, 0, s6
	s_cselect_b32 s1, 0, 0
	v_add_co_u32 v0, s0, v10, s0
	s_delay_alu instid0(VALU_DEP_1) | instskip(SKIP_3) | instid1(VALU_DEP_1)
	v_add_co_ci_u32_e64 v1, s0, s1, v11, s0
	global_load_u8 v0, v[0:1], off
	s_waitcnt vmcnt(0)
	v_and_b32_e32 v0, 1, v0
	v_cmp_eq_u32_e64 s0, 1, v0
	s_delay_alu instid0(VALU_DEP_1) | instskip(NEXT) | instid1(SALU_CYCLE_1)
	s_xor_b32 s0, s0, -1
	s_and_b32 s1, s0, exec_lo
.LBB675_10:
	s_or_b32 exec_lo, exec_lo, s3
	v_mbcnt_lo_u32_b32 v0, -1, 0
	s_mov_b32 s13, s12
	s_mov_b32 s14, s12
	;; [unrolled: 1-line block ×3, first 2 shown]
	s_waitcnt vmcnt(0)
	v_cndmask_b32_e64 v14, 0, v6, s1
	v_dual_mov_b32 v8, 0 :: v_dual_and_b32 v1, 30, v0
	v_xor_b32_e32 v2, 1, v0
	v_cndmask_b32_e64 v15, 0xfff00000, v7, s1
	v_mov_b32_e32 v9, 0
	s_delay_alu instid0(VALU_DEP_4) | instskip(NEXT) | instid1(VALU_DEP_2)
	v_add_nc_u32_e32 v1, 2, v1
	v_mov_b32_e32 v13, v9
	s_delay_alu instid0(VALU_DEP_2) | instskip(SKIP_1) | instid1(VALU_DEP_2)
	v_cmp_lt_i32_e64 s0, v2, v1
	v_mov_b32_e32 v12, v8
	v_cndmask_b32_e64 v0, v0, v2, s0
	s_delay_alu instid0(VALU_DEP_1)
	v_dual_mov_b32 v0, s12 :: v_dual_lshlrev_b32 v25, 2, v0
	v_dual_mov_b32 v1, s13 :: v_dual_mov_b32 v2, s14
	v_mov_b32_e32 v3, s15
	ds_bpermute_b32 v22, v25, v20
	ds_bpermute_b32 v23, v25, v21
	;; [unrolled: 1-line block ×4, first 2 shown]
	s_and_saveexec_b32 s3, s5
	s_cbranch_execz .LBB675_14
; %bb.11:
	global_load_u8 v0, v[10:11], off
	s_mov_b32 s13, s12
	s_mov_b32 s14, s12
	;; [unrolled: 1-line block ×3, first 2 shown]
	v_mov_b32_e32 v12, 0
	s_waitcnt vmcnt(0)
	v_dual_mov_b32 v13, 0 :: v_dual_and_b32 v0, 1, v0
	s_delay_alu instid0(VALU_DEP_1) | instskip(SKIP_2) | instid1(VALU_DEP_3)
	v_cmp_eq_u32_e64 s0, 1, v0
	v_dual_mov_b32 v0, s12 :: v_dual_mov_b32 v3, s15
	v_dual_mov_b32 v1, s13 :: v_dual_mov_b32 v2, s14
	s_xor_b32 s0, s0, -1
	s_delay_alu instid0(SALU_CYCLE_1)
	s_and_saveexec_b32 s5, s0
	s_cbranch_execz .LBB675_13
; %bb.12:
	s_waitcnt lgkmcnt(2)
	v_cmp_lt_f64_e64 s0, v[20:21], v[22:23]
	s_mov_b32 s10, 0x6a5dcb37
	s_mov_b32 s11, 0x3e5ade15
	s_delay_alu instid0(VALU_DEP_1) | instskip(SKIP_3) | instid1(VALU_DEP_1)
	v_cndmask_b32_e64 v1, v21, v23, s0
	v_cndmask_b32_e64 v0, v20, v22, s0
	s_mov_b32 s0, 0x652b82fe
	s_mov_b32 s1, 0x3ff71547
	v_add_f64 v[0:1], v[18:19], -v[0:1]
	s_delay_alu instid0(VALU_DEP_1) | instskip(SKIP_2) | instid1(VALU_DEP_1)
	v_mul_f64 v[2:3], v[0:1], s[0:1]
	s_mov_b32 s0, 0xfefa39ef
	s_mov_b32 s1, 0xbfe62e42
	v_rndne_f64_e32 v[2:3], v[2:3]
	s_delay_alu instid0(VALU_DEP_1) | instskip(SKIP_3) | instid1(VALU_DEP_2)
	v_fma_f64 v[12:13], v[2:3], s[0:1], v[0:1]
	s_mov_b32 s0, 0x3b39803f
	s_mov_b32 s1, 0xbc7abc9e
	v_cvt_i32_f64_e32 v20, v[2:3]
	v_fma_f64 v[12:13], v[2:3], s[0:1], v[12:13]
	s_mov_b32 s0, 0xfca7ab0c
	s_mov_b32 s1, 0x3e928af3
	s_delay_alu instid0(VALU_DEP_1) | instid1(SALU_CYCLE_1)
	v_fma_f64 v[18:19], v[12:13], s[10:11], s[0:1]
	s_mov_b32 s0, 0x623fde64
	s_mov_b32 s1, 0x3ec71dee
	s_delay_alu instid0(VALU_DEP_1) | instid1(SALU_CYCLE_1)
	;; [unrolled: 4-line block ×9, first 2 shown]
	v_fma_f64 v[18:19], v[12:13], v[18:19], s[0:1]
	v_cmp_nlt_f64_e64 s0, 0x40900000, v[0:1]
	v_cmp_ngt_f64_e64 s1, 0xc090cc00, v[0:1]
	s_delay_alu instid0(VALU_DEP_3) | instskip(NEXT) | instid1(VALU_DEP_1)
	v_fma_f64 v[18:19], v[12:13], v[18:19], 1.0
	v_fma_f64 v[2:3], v[12:13], v[18:19], 1.0
	s_delay_alu instid0(VALU_DEP_1) | instskip(NEXT) | instid1(VALU_DEP_1)
	v_ldexp_f64 v[2:3], v[2:3], v20
	v_cndmask_b32_e64 v3, 0x7ff00000, v3, s0
	s_and_b32 s0, s1, s0
	s_delay_alu instid0(VALU_DEP_2) | instid1(SALU_CYCLE_1)
	v_cndmask_b32_e64 v12, 0, v2, s0
	v_mov_b32_e32 v2, 0
	s_delay_alu instid0(VALU_DEP_3) | instskip(NEXT) | instid1(VALU_DEP_2)
	v_cndmask_b32_e64 v13, 0, v3, s1
	v_mov_b32_e32 v3, v2
	s_delay_alu instid0(VALU_DEP_2)
	v_add_f64 v[0:1], v[12:13], 0
.LBB675_13:
	s_or_b32 exec_lo, exec_lo, s5
.LBB675_14:
	s_delay_alu instid0(SALU_CYCLE_1)
	s_or_b32 exec_lo, exec_lo, s3
	s_and_saveexec_b32 s3, s4
	s_cbranch_execz .LBB675_18
; %bb.15:
	s_and_b32 s0, s16, exec_lo
	s_cselect_b32 s0, 0, s6
	s_cselect_b32 s1, 0, 0
	v_add_co_u32 v8, s0, v10, s0
	s_delay_alu instid0(VALU_DEP_1) | instskip(SKIP_3) | instid1(VALU_DEP_1)
	v_add_co_ci_u32_e64 v9, s0, s1, v11, s0
	global_load_u8 v8, v[8:9], off
	s_waitcnt vmcnt(0)
	v_and_b32_e32 v8, 1, v8
	v_cmp_eq_u32_e64 s0, 1, v8
	v_mov_b32_e32 v8, 0
	v_mov_b32_e32 v9, 0
	s_delay_alu instid0(VALU_DEP_3) | instskip(NEXT) | instid1(SALU_CYCLE_1)
	s_xor_b32 s0, s0, -1
	s_and_saveexec_b32 s4, s0
	s_cbranch_execz .LBB675_17
; %bb.16:
	s_waitcnt lgkmcnt(0)
	v_cmp_lt_f64_e64 s0, v[14:15], v[16:17]
	s_mov_b32 s10, 0x6a5dcb37
	s_mov_b32 s11, 0x3e5ade15
	s_delay_alu instid0(VALU_DEP_1) | instskip(SKIP_3) | instid1(VALU_DEP_1)
	v_cndmask_b32_e64 v9, v15, v17, s0
	v_cndmask_b32_e64 v8, v14, v16, s0
	s_mov_b32 s0, 0x652b82fe
	s_mov_b32 s1, 0x3ff71547
	v_add_f64 v[6:7], v[6:7], -v[8:9]
	s_delay_alu instid0(VALU_DEP_1) | instskip(SKIP_2) | instid1(VALU_DEP_1)
	v_mul_f64 v[8:9], v[6:7], s[0:1]
	s_mov_b32 s0, 0xfefa39ef
	s_mov_b32 s1, 0xbfe62e42
	v_rndne_f64_e32 v[8:9], v[8:9]
	s_delay_alu instid0(VALU_DEP_1) | instskip(SKIP_3) | instid1(VALU_DEP_2)
	v_fma_f64 v[10:11], v[8:9], s[0:1], v[6:7]
	s_mov_b32 s0, 0x3b39803f
	s_mov_b32 s1, 0xbc7abc9e
	v_cvt_i32_f64_e32 v16, v[8:9]
	v_fma_f64 v[10:11], v[8:9], s[0:1], v[10:11]
	s_mov_b32 s0, 0xfca7ab0c
	s_mov_b32 s1, 0x3e928af3
	s_delay_alu instid0(VALU_DEP_1) | instid1(SALU_CYCLE_1)
	v_fma_f64 v[14:15], v[10:11], s[10:11], s[0:1]
	s_mov_b32 s0, 0x623fde64
	s_mov_b32 s1, 0x3ec71dee
	s_delay_alu instid0(VALU_DEP_1) | instid1(SALU_CYCLE_1)
	;; [unrolled: 4-line block ×9, first 2 shown]
	v_fma_f64 v[14:15], v[10:11], v[14:15], s[0:1]
	v_cmp_nlt_f64_e64 s0, 0x40900000, v[6:7]
	v_cmp_ngt_f64_e64 s1, 0xc090cc00, v[6:7]
	s_delay_alu instid0(VALU_DEP_3) | instskip(NEXT) | instid1(VALU_DEP_1)
	v_fma_f64 v[14:15], v[10:11], v[14:15], 1.0
	v_fma_f64 v[8:9], v[10:11], v[14:15], 1.0
	s_delay_alu instid0(VALU_DEP_1) | instskip(NEXT) | instid1(VALU_DEP_1)
	v_ldexp_f64 v[8:9], v[8:9], v16
	v_cndmask_b32_e64 v9, 0x7ff00000, v9, s0
	s_and_b32 s0, s1, s0
	s_delay_alu instid0(VALU_DEP_2) | instid1(SALU_CYCLE_1)
	v_cndmask_b32_e64 v8, 0, v8, s0
	s_delay_alu instid0(VALU_DEP_2) | instskip(NEXT) | instid1(VALU_DEP_1)
	v_cndmask_b32_e64 v9, 0, v9, s1
	v_add_f64 v[2:3], v[2:3], v[8:9]
.LBB675_17:
	s_or_b32 exec_lo, exec_lo, s4
.LBB675_18:
	s_delay_alu instid0(SALU_CYCLE_1)
	s_or_b32 exec_lo, exec_lo, s3
	ds_bpermute_b32 v10, v25, v0
	ds_bpermute_b32 v11, v25, v1
	;; [unrolled: 1-line block ×4, first 2 shown]
	s_and_saveexec_b32 s0, vcc_lo
	s_cbranch_execz .LBB675_24
; %bb.19:
	v_add_co_u32 v4, vcc_lo, s8, v4
	v_add_co_ci_u32_e32 v5, vcc_lo, s9, v5, vcc_lo
	s_and_saveexec_b32 s0, s2
	s_cbranch_execz .LBB675_21
; %bb.20:
	s_waitcnt lgkmcnt(2)
	v_add_f64 v[0:1], v[0:1], v[10:11]
	s_delay_alu instid0(VALU_DEP_1) | instskip(SKIP_1) | instid1(VALU_DEP_2)
	v_div_scale_f64 v[10:11], null, v[0:1], v[0:1], v[12:13]
	v_div_scale_f64 v[18:19], vcc_lo, v[12:13], v[0:1], v[12:13]
	v_rcp_f64_e32 v[14:15], v[10:11]
	s_waitcnt_depctr 0xfff
	v_fma_f64 v[16:17], -v[10:11], v[14:15], 1.0
	s_delay_alu instid0(VALU_DEP_1) | instskip(NEXT) | instid1(VALU_DEP_1)
	v_fma_f64 v[14:15], v[14:15], v[16:17], v[14:15]
	v_fma_f64 v[16:17], -v[10:11], v[14:15], 1.0
	s_delay_alu instid0(VALU_DEP_1) | instskip(NEXT) | instid1(VALU_DEP_1)
	v_fma_f64 v[14:15], v[14:15], v[16:17], v[14:15]
	v_mul_f64 v[16:17], v[18:19], v[14:15]
	s_delay_alu instid0(VALU_DEP_1) | instskip(NEXT) | instid1(VALU_DEP_1)
	v_fma_f64 v[10:11], -v[10:11], v[16:17], v[18:19]
	v_div_fmas_f64 v[10:11], v[10:11], v[14:15], v[16:17]
	v_cmp_neq_f64_e32 vcc_lo, 0, v[0:1]
	s_delay_alu instid0(VALU_DEP_2) | instskip(NEXT) | instid1(VALU_DEP_1)
	v_div_fixup_f64 v[10:11], v[10:11], v[0:1], v[12:13]
	v_cndmask_b32_e32 v1, 0x7ff80000, v11, vcc_lo
	s_delay_alu instid0(VALU_DEP_2)
	v_cndmask_b32_e32 v0, 0, v10, vcc_lo
	global_store_b64 v[4:5], v[0:1], off
.LBB675_21:
	s_or_b32 exec_lo, exec_lo, s0
	v_cmp_ne_u32_e32 vcc_lo, 1, v24
	s_and_b32 exec_lo, exec_lo, vcc_lo
	s_cbranch_execz .LBB675_24
; %bb.22:
	s_and_b32 exec_lo, exec_lo, s2
	s_cbranch_execz .LBB675_24
; %bb.23:
	s_waitcnt lgkmcnt(0)
	v_add_f64 v[0:1], v[2:3], v[6:7]
	s_mov_b32 s7, 0
	s_delay_alu instid0(SALU_CYCLE_1) | instskip(NEXT) | instid1(VALU_DEP_1)
	s_lshl_b64 s[0:1], s[6:7], 3
	v_div_scale_f64 v[2:3], null, v[0:1], v[0:1], v[8:9]
	v_div_scale_f64 v[12:13], vcc_lo, v[8:9], v[0:1], v[8:9]
	s_delay_alu instid0(VALU_DEP_2) | instskip(SKIP_2) | instid1(VALU_DEP_1)
	v_rcp_f64_e32 v[6:7], v[2:3]
	s_waitcnt_depctr 0xfff
	v_fma_f64 v[10:11], -v[2:3], v[6:7], 1.0
	v_fma_f64 v[6:7], v[6:7], v[10:11], v[6:7]
	s_delay_alu instid0(VALU_DEP_1) | instskip(NEXT) | instid1(VALU_DEP_1)
	v_fma_f64 v[10:11], -v[2:3], v[6:7], 1.0
	v_fma_f64 v[6:7], v[6:7], v[10:11], v[6:7]
	s_delay_alu instid0(VALU_DEP_1) | instskip(NEXT) | instid1(VALU_DEP_1)
	v_mul_f64 v[10:11], v[12:13], v[6:7]
	v_fma_f64 v[2:3], -v[2:3], v[10:11], v[12:13]
	s_delay_alu instid0(VALU_DEP_1) | instskip(SKIP_1) | instid1(VALU_DEP_2)
	v_div_fmas_f64 v[2:3], v[2:3], v[6:7], v[10:11]
	v_cmp_neq_f64_e32 vcc_lo, 0, v[0:1]
	v_div_fixup_f64 v[2:3], v[2:3], v[0:1], v[8:9]
	v_add_co_u32 v0, s0, v4, s0
	s_delay_alu instid0(VALU_DEP_1) | instskip(NEXT) | instid1(VALU_DEP_3)
	v_add_co_ci_u32_e64 v1, s0, s1, v5, s0
	v_cndmask_b32_e32 v3, 0x7ff80000, v3, vcc_lo
	s_delay_alu instid0(VALU_DEP_4)
	v_cndmask_b32_e32 v2, 0, v2, vcc_lo
	global_store_b64 v[0:1], v[2:3], off
.LBB675_24:
	s_nop 0
	s_sendmsg sendmsg(MSG_DEALLOC_VGPRS)
	s_endpgm
	.section	.rodata,"a",@progbits
	.p2align	6, 0x0
	.amdhsa_kernel _ZN12_GLOBAL__N_120softmax_warp_forwardIdddLi1ELb0ELb1ELi32EEEvPT0_PKT_iiiPKbib
		.amdhsa_group_segment_fixed_size 0
		.amdhsa_private_segment_fixed_size 0
		.amdhsa_kernarg_size 304
		.amdhsa_user_sgpr_count 15
		.amdhsa_user_sgpr_dispatch_ptr 0
		.amdhsa_user_sgpr_queue_ptr 0
		.amdhsa_user_sgpr_kernarg_segment_ptr 1
		.amdhsa_user_sgpr_dispatch_id 0
		.amdhsa_user_sgpr_private_segment_size 0
		.amdhsa_wavefront_size32 1
		.amdhsa_uses_dynamic_stack 0
		.amdhsa_enable_private_segment 0
		.amdhsa_system_sgpr_workgroup_id_x 1
		.amdhsa_system_sgpr_workgroup_id_y 0
		.amdhsa_system_sgpr_workgroup_id_z 0
		.amdhsa_system_sgpr_workgroup_info 0
		.amdhsa_system_vgpr_workitem_id 1
		.amdhsa_next_free_vgpr 26
		.amdhsa_next_free_sgpr 17
		.amdhsa_reserve_vcc 1
		.amdhsa_float_round_mode_32 0
		.amdhsa_float_round_mode_16_64 0
		.amdhsa_float_denorm_mode_32 3
		.amdhsa_float_denorm_mode_16_64 3
		.amdhsa_dx10_clamp 1
		.amdhsa_ieee_mode 1
		.amdhsa_fp16_overflow 0
		.amdhsa_workgroup_processor_mode 1
		.amdhsa_memory_ordered 1
		.amdhsa_forward_progress 0
		.amdhsa_shared_vgpr_count 0
		.amdhsa_exception_fp_ieee_invalid_op 0
		.amdhsa_exception_fp_denorm_src 0
		.amdhsa_exception_fp_ieee_div_zero 0
		.amdhsa_exception_fp_ieee_overflow 0
		.amdhsa_exception_fp_ieee_underflow 0
		.amdhsa_exception_fp_ieee_inexact 0
		.amdhsa_exception_int_div_zero 0
	.end_amdhsa_kernel
	.section	.text._ZN12_GLOBAL__N_120softmax_warp_forwardIdddLi1ELb0ELb1ELi32EEEvPT0_PKT_iiiPKbib,"axG",@progbits,_ZN12_GLOBAL__N_120softmax_warp_forwardIdddLi1ELb0ELb1ELi32EEEvPT0_PKT_iiiPKbib,comdat
.Lfunc_end675:
	.size	_ZN12_GLOBAL__N_120softmax_warp_forwardIdddLi1ELb0ELb1ELi32EEEvPT0_PKT_iiiPKbib, .Lfunc_end675-_ZN12_GLOBAL__N_120softmax_warp_forwardIdddLi1ELb0ELb1ELi32EEEvPT0_PKT_iiiPKbib
                                        ; -- End function
	.section	.AMDGPU.csdata,"",@progbits
; Kernel info:
; codeLenInByte = 2436
; NumSgprs: 19
; NumVgprs: 26
; ScratchSize: 0
; MemoryBound: 0
; FloatMode: 240
; IeeeMode: 1
; LDSByteSize: 0 bytes/workgroup (compile time only)
; SGPRBlocks: 2
; VGPRBlocks: 3
; NumSGPRsForWavesPerEU: 19
; NumVGPRsForWavesPerEU: 26
; Occupancy: 16
; WaveLimiterHint : 0
; COMPUTE_PGM_RSRC2:SCRATCH_EN: 0
; COMPUTE_PGM_RSRC2:USER_SGPR: 15
; COMPUTE_PGM_RSRC2:TRAP_HANDLER: 0
; COMPUTE_PGM_RSRC2:TGID_X_EN: 1
; COMPUTE_PGM_RSRC2:TGID_Y_EN: 0
; COMPUTE_PGM_RSRC2:TGID_Z_EN: 0
; COMPUTE_PGM_RSRC2:TIDIG_COMP_CNT: 1
	.section	.text._ZN12_GLOBAL__N_120softmax_warp_forwardIdddLi2ELb0ELb1ELi64EEEvPT0_PKT_iiiPKbib,"axG",@progbits,_ZN12_GLOBAL__N_120softmax_warp_forwardIdddLi2ELb0ELb1ELi64EEEvPT0_PKT_iiiPKbib,comdat
	.globl	_ZN12_GLOBAL__N_120softmax_warp_forwardIdddLi2ELb0ELb1ELi64EEEvPT0_PKT_iiiPKbib ; -- Begin function _ZN12_GLOBAL__N_120softmax_warp_forwardIdddLi2ELb0ELb1ELi64EEEvPT0_PKT_iiiPKbib
	.p2align	8
	.type	_ZN12_GLOBAL__N_120softmax_warp_forwardIdddLi2ELb0ELb1ELi64EEEvPT0_PKT_iiiPKbib,@function
_ZN12_GLOBAL__N_120softmax_warp_forwardIdddLi2ELb0ELb1ELi64EEEvPT0_PKT_iiiPKbib: ; @_ZN12_GLOBAL__N_120softmax_warp_forwardIdddLi2ELb0ELb1ELi64EEEvPT0_PKT_iiiPKbib
; %bb.0:
	s_clause 0x2
	s_load_b64 s[2:3], s[0:1], 0x28
	s_load_b32 s8, s[0:1], 0x3c
	s_load_b128 s[4:7], s[0:1], 0x10
	v_bfe_u32 v1, v0, 10, 10
	v_and_b32_e32 v0, 0x3ff, v0
	s_waitcnt lgkmcnt(0)
	s_bitcmp1_b32 s3, 0
	s_cselect_b32 s16, -1, 0
	s_lshr_b32 s7, s8, 16
	s_bitcmp0_b32 s3, 0
	s_mul_i32 s15, s15, s7
	s_delay_alu instid0(SALU_CYCLE_1) | instskip(NEXT) | instid1(VALU_DEP_1)
	v_add_lshl_u32 v1, s15, v1, 1
	v_mul_lo_u32 v6, v1, s5
	s_delay_alu instid0(VALU_DEP_1) | instskip(NEXT) | instid1(VALU_DEP_1)
	v_add_nc_u32_e32 v4, v6, v0
	v_ashrrev_i32_e32 v5, 31, v4
	s_delay_alu instid0(VALU_DEP_1)
	v_dual_mov_b32 v2, v4 :: v_dual_mov_b32 v3, v5
	s_cbranch_scc1 .LBB676_2
; %bb.1:
	s_abs_i32 s3, s2
	v_sub_nc_u32_e32 v7, 0, v6
	v_cvt_f32_u32_e32 v2, s3
	s_sub_i32 s7, 0, s3
	s_delay_alu instid0(VALU_DEP_2) | instskip(NEXT) | instid1(VALU_DEP_2)
	v_max_i32_e32 v7, v6, v7
	v_rcp_iflag_f32_e32 v2, v2
	v_xor_b32_e32 v6, s2, v6
	s_delay_alu instid0(VALU_DEP_1) | instskip(SKIP_2) | instid1(VALU_DEP_1)
	v_ashrrev_i32_e32 v6, 31, v6
	s_waitcnt_depctr 0xfff
	v_mul_f32_e32 v2, 0x4f7ffffe, v2
	v_cvt_u32_f32_e32 v2, v2
	s_delay_alu instid0(VALU_DEP_1) | instskip(NEXT) | instid1(VALU_DEP_1)
	v_mul_lo_u32 v3, s7, v2
	v_mul_hi_u32 v3, v2, v3
	s_delay_alu instid0(VALU_DEP_1) | instskip(NEXT) | instid1(VALU_DEP_1)
	v_add_nc_u32_e32 v2, v2, v3
	v_mul_hi_u32 v2, v7, v2
	s_delay_alu instid0(VALU_DEP_1) | instskip(NEXT) | instid1(VALU_DEP_1)
	v_mul_lo_u32 v3, v2, s3
	v_sub_nc_u32_e32 v3, v7, v3
	v_add_nc_u32_e32 v7, 1, v2
	s_delay_alu instid0(VALU_DEP_2) | instskip(SKIP_1) | instid1(VALU_DEP_2)
	v_subrev_nc_u32_e32 v8, s3, v3
	v_cmp_le_u32_e32 vcc_lo, s3, v3
	v_dual_cndmask_b32 v3, v3, v8 :: v_dual_cndmask_b32 v2, v2, v7
	s_delay_alu instid0(VALU_DEP_1) | instskip(NEXT) | instid1(VALU_DEP_2)
	v_cmp_le_u32_e32 vcc_lo, s3, v3
	v_add_nc_u32_e32 v7, 1, v2
	s_delay_alu instid0(VALU_DEP_1) | instskip(NEXT) | instid1(VALU_DEP_1)
	v_cndmask_b32_e32 v2, v2, v7, vcc_lo
	v_xor_b32_e32 v2, v2, v6
	s_delay_alu instid0(VALU_DEP_1) | instskip(NEXT) | instid1(VALU_DEP_1)
	v_sub_nc_u32_e32 v6, v2, v6
	v_mad_u64_u32 v[2:3], null, v6, s5, v[0:1]
	s_delay_alu instid0(VALU_DEP_1)
	v_ashrrev_i32_e32 v3, 31, v2
.LBB676_2:
	s_load_b128 s[8:11], s[0:1], 0x0
	v_lshlrev_b64 v[4:5], 3, v[4:5]
	v_sub_nc_u32_e32 v24, s4, v1
	v_mov_b32_e32 v6, 0
	v_mov_b32_e32 v7, 0xfff00000
	v_cmp_gt_i32_e64 s2, s6, v0
	s_delay_alu instid0(VALU_DEP_4) | instskip(NEXT) | instid1(VALU_DEP_3)
	v_cmp_lt_i32_e32 vcc_lo, 0, v24
	v_dual_mov_b32 v19, v7 :: v_dual_mov_b32 v18, v6
	s_delay_alu instid0(VALU_DEP_3) | instskip(SKIP_2) | instid1(VALU_DEP_1)
	s_and_b32 s5, s2, vcc_lo
	s_waitcnt lgkmcnt(0)
	v_add_co_u32 v0, s3, s10, v4
	v_add_co_ci_u32_e64 v1, s3, s11, v5, s3
	s_and_saveexec_b32 s3, s5
	s_cbranch_execz .LBB676_4
; %bb.3:
	global_load_b64 v[18:19], v[0:1], off
.LBB676_4:
	s_or_b32 exec_lo, exec_lo, s3
	v_cmp_lt_i32_e64 s3, 1, v24
	s_delay_alu instid0(VALU_DEP_1) | instskip(NEXT) | instid1(SALU_CYCLE_1)
	s_and_b32 s4, s2, s3
	s_and_saveexec_b32 s10, s4
	s_cbranch_execz .LBB676_6
; %bb.5:
	s_mov_b32 s7, 0
	s_delay_alu instid0(SALU_CYCLE_1) | instskip(NEXT) | instid1(SALU_CYCLE_1)
	s_lshl_b64 s[12:13], s[6:7], 3
	v_add_co_u32 v0, s3, v0, s12
	s_delay_alu instid0(VALU_DEP_1)
	v_add_co_ci_u32_e64 v1, s3, s13, v1, s3
	global_load_b64 v[6:7], v[0:1], off
.LBB676_6:
	s_or_b32 exec_lo, exec_lo, s10
	s_load_b64 s[0:1], s[0:1], 0x20
	v_mov_b32_e32 v0, 0
	v_mov_b32_e32 v1, 0xfff00000
	s_waitcnt lgkmcnt(0)
	v_add_co_u32 v10, s0, s0, v2
	s_delay_alu instid0(VALU_DEP_1)
	v_add_co_ci_u32_e64 v11, s0, s1, v3, s0
	s_and_saveexec_b32 s1, s5
	s_cbranch_execz .LBB676_8
; %bb.7:
	global_load_u8 v0, v[10:11], off
	s_waitcnt vmcnt(0)
	v_and_b32_e32 v0, 1, v0
	s_delay_alu instid0(VALU_DEP_1) | instskip(NEXT) | instid1(VALU_DEP_1)
	v_cmp_eq_u32_e64 s0, 1, v0
	v_cndmask_b32_e64 v1, v19, 0xfff00000, s0
	v_cndmask_b32_e64 v0, v18, 0, s0
.LBB676_8:
	s_or_b32 exec_lo, exec_lo, s1
	s_mov_b32 s12, 0
	s_mov_b32 s1, 0
	s_and_saveexec_b32 s3, s4
	s_cbranch_execz .LBB676_10
; %bb.9:
	s_and_b32 s0, s16, exec_lo
	s_cselect_b32 s0, 0, s6
	s_cselect_b32 s1, 0, 0
	v_add_co_u32 v2, s0, v10, s0
	s_delay_alu instid0(VALU_DEP_1) | instskip(SKIP_3) | instid1(VALU_DEP_1)
	v_add_co_ci_u32_e64 v3, s0, s1, v11, s0
	global_load_u8 v2, v[2:3], off
	s_waitcnt vmcnt(0)
	v_and_b32_e32 v2, 1, v2
	v_cmp_eq_u32_e64 s0, 1, v2
	s_delay_alu instid0(VALU_DEP_1) | instskip(NEXT) | instid1(SALU_CYCLE_1)
	s_xor_b32 s0, s0, -1
	s_and_b32 s1, s0, exec_lo
.LBB676_10:
	s_or_b32 exec_lo, exec_lo, s3
	v_mbcnt_lo_u32_b32 v14, -1, 0
	s_mov_b32 s13, s12
	s_mov_b32 s14, s12
	;; [unrolled: 1-line block ×3, first 2 shown]
	s_delay_alu instid0(VALU_DEP_1) | instskip(SKIP_2) | instid1(VALU_DEP_3)
	v_and_b32_e32 v2, 28, v14
	v_xor_b32_e32 v3, 2, v14
	v_xor_b32_e32 v16, 1, v14
	v_add_nc_u32_e32 v15, 4, v2
	s_delay_alu instid0(VALU_DEP_1) | instskip(NEXT) | instid1(VALU_DEP_1)
	v_cmp_lt_i32_e64 s0, v3, v15
	v_cndmask_b32_e64 v2, v14, v3, s0
	s_waitcnt vmcnt(0)
	v_cndmask_b32_e64 v3, 0xfff00000, v7, s1
	s_delay_alu instid0(VALU_DEP_2)
	v_lshlrev_b32_e32 v25, 2, v2
	v_cndmask_b32_e64 v2, 0, v6, s1
	ds_bpermute_b32 v8, v25, v0
	ds_bpermute_b32 v9, v25, v1
	;; [unrolled: 1-line block ×4, first 2 shown]
	s_waitcnt lgkmcnt(2)
	v_cmp_lt_f64_e64 s0, v[0:1], v[8:9]
	s_waitcnt lgkmcnt(0)
	v_cmp_lt_f64_e64 s1, v[2:3], v[12:13]
	s_delay_alu instid0(VALU_DEP_2)
	v_cndmask_b32_e64 v21, v1, v9, s0
	v_cndmask_b32_e64 v20, v0, v8, s0
	v_mov_b32_e32 v8, 0
	v_cmp_lt_i32_e64 s3, v16, v15
	v_cndmask_b32_e64 v15, v3, v13, s1
	v_mov_b32_e32 v9, 0
	s_delay_alu instid0(VALU_DEP_3) | instskip(NEXT) | instid1(VALU_DEP_1)
	v_cndmask_b32_e64 v14, v14, v16, s3
	v_lshlrev_b32_e32 v26, 2, v14
	v_cndmask_b32_e64 v14, v2, v12, s1
	v_dual_mov_b32 v0, s12 :: v_dual_mov_b32 v1, s13
	v_dual_mov_b32 v2, s14 :: v_dual_mov_b32 v3, s15
	ds_bpermute_b32 v23, v26, v21
	ds_bpermute_b32 v22, v26, v20
	;; [unrolled: 1-line block ×4, first 2 shown]
	v_dual_mov_b32 v13, v9 :: v_dual_mov_b32 v12, v8
	s_and_saveexec_b32 s3, s5
	s_cbranch_execz .LBB676_14
; %bb.11:
	global_load_u8 v0, v[10:11], off
	s_mov_b32 s13, s12
	s_mov_b32 s14, s12
	s_mov_b32 s15, s12
	v_mov_b32_e32 v12, 0
	s_waitcnt vmcnt(0)
	v_dual_mov_b32 v13, 0 :: v_dual_and_b32 v0, 1, v0
	s_delay_alu instid0(VALU_DEP_1) | instskip(SKIP_2) | instid1(VALU_DEP_3)
	v_cmp_eq_u32_e64 s0, 1, v0
	v_dual_mov_b32 v0, s12 :: v_dual_mov_b32 v3, s15
	v_dual_mov_b32 v1, s13 :: v_dual_mov_b32 v2, s14
	s_xor_b32 s0, s0, -1
	s_delay_alu instid0(SALU_CYCLE_1)
	s_and_saveexec_b32 s5, s0
	s_cbranch_execz .LBB676_13
; %bb.12:
	s_waitcnt lgkmcnt(2)
	v_cmp_lt_f64_e64 s0, v[20:21], v[22:23]
	s_mov_b32 s10, 0x6a5dcb37
	s_mov_b32 s11, 0x3e5ade15
	s_delay_alu instid0(VALU_DEP_1) | instskip(SKIP_3) | instid1(VALU_DEP_1)
	v_cndmask_b32_e64 v1, v21, v23, s0
	v_cndmask_b32_e64 v0, v20, v22, s0
	s_mov_b32 s0, 0x652b82fe
	s_mov_b32 s1, 0x3ff71547
	v_add_f64 v[0:1], v[18:19], -v[0:1]
	s_delay_alu instid0(VALU_DEP_1) | instskip(SKIP_2) | instid1(VALU_DEP_1)
	v_mul_f64 v[2:3], v[0:1], s[0:1]
	s_mov_b32 s0, 0xfefa39ef
	s_mov_b32 s1, 0xbfe62e42
	v_rndne_f64_e32 v[2:3], v[2:3]
	s_delay_alu instid0(VALU_DEP_1) | instskip(SKIP_3) | instid1(VALU_DEP_2)
	v_fma_f64 v[12:13], v[2:3], s[0:1], v[0:1]
	s_mov_b32 s0, 0x3b39803f
	s_mov_b32 s1, 0xbc7abc9e
	v_cvt_i32_f64_e32 v20, v[2:3]
	v_fma_f64 v[12:13], v[2:3], s[0:1], v[12:13]
	s_mov_b32 s0, 0xfca7ab0c
	s_mov_b32 s1, 0x3e928af3
	s_delay_alu instid0(VALU_DEP_1) | instid1(SALU_CYCLE_1)
	v_fma_f64 v[18:19], v[12:13], s[10:11], s[0:1]
	s_mov_b32 s0, 0x623fde64
	s_mov_b32 s1, 0x3ec71dee
	s_delay_alu instid0(VALU_DEP_1) | instid1(SALU_CYCLE_1)
	;; [unrolled: 4-line block ×9, first 2 shown]
	v_fma_f64 v[18:19], v[12:13], v[18:19], s[0:1]
	v_cmp_nlt_f64_e64 s0, 0x40900000, v[0:1]
	v_cmp_ngt_f64_e64 s1, 0xc090cc00, v[0:1]
	s_delay_alu instid0(VALU_DEP_3) | instskip(NEXT) | instid1(VALU_DEP_1)
	v_fma_f64 v[18:19], v[12:13], v[18:19], 1.0
	v_fma_f64 v[2:3], v[12:13], v[18:19], 1.0
	s_delay_alu instid0(VALU_DEP_1) | instskip(NEXT) | instid1(VALU_DEP_1)
	v_ldexp_f64 v[2:3], v[2:3], v20
	v_cndmask_b32_e64 v3, 0x7ff00000, v3, s0
	s_and_b32 s0, s1, s0
	s_delay_alu instid0(VALU_DEP_2) | instid1(SALU_CYCLE_1)
	v_cndmask_b32_e64 v12, 0, v2, s0
	v_mov_b32_e32 v2, 0
	s_delay_alu instid0(VALU_DEP_3) | instskip(NEXT) | instid1(VALU_DEP_2)
	v_cndmask_b32_e64 v13, 0, v3, s1
	v_mov_b32_e32 v3, v2
	s_delay_alu instid0(VALU_DEP_2)
	v_add_f64 v[0:1], v[12:13], 0
.LBB676_13:
	s_or_b32 exec_lo, exec_lo, s5
.LBB676_14:
	s_delay_alu instid0(SALU_CYCLE_1)
	s_or_b32 exec_lo, exec_lo, s3
	s_and_saveexec_b32 s3, s4
	s_cbranch_execz .LBB676_18
; %bb.15:
	s_and_b32 s0, s16, exec_lo
	s_cselect_b32 s0, 0, s6
	s_cselect_b32 s1, 0, 0
	v_add_co_u32 v8, s0, v10, s0
	s_delay_alu instid0(VALU_DEP_1) | instskip(SKIP_3) | instid1(VALU_DEP_1)
	v_add_co_ci_u32_e64 v9, s0, s1, v11, s0
	global_load_u8 v8, v[8:9], off
	s_waitcnt vmcnt(0)
	v_and_b32_e32 v8, 1, v8
	v_cmp_eq_u32_e64 s0, 1, v8
	v_mov_b32_e32 v8, 0
	v_mov_b32_e32 v9, 0
	s_delay_alu instid0(VALU_DEP_3) | instskip(NEXT) | instid1(SALU_CYCLE_1)
	s_xor_b32 s0, s0, -1
	s_and_saveexec_b32 s4, s0
	s_cbranch_execz .LBB676_17
; %bb.16:
	s_waitcnt lgkmcnt(0)
	v_cmp_lt_f64_e64 s0, v[14:15], v[16:17]
	s_mov_b32 s10, 0x6a5dcb37
	s_mov_b32 s11, 0x3e5ade15
	s_delay_alu instid0(VALU_DEP_1) | instskip(SKIP_3) | instid1(VALU_DEP_1)
	v_cndmask_b32_e64 v9, v15, v17, s0
	v_cndmask_b32_e64 v8, v14, v16, s0
	s_mov_b32 s0, 0x652b82fe
	s_mov_b32 s1, 0x3ff71547
	v_add_f64 v[6:7], v[6:7], -v[8:9]
	s_delay_alu instid0(VALU_DEP_1) | instskip(SKIP_2) | instid1(VALU_DEP_1)
	v_mul_f64 v[8:9], v[6:7], s[0:1]
	s_mov_b32 s0, 0xfefa39ef
	s_mov_b32 s1, 0xbfe62e42
	v_rndne_f64_e32 v[8:9], v[8:9]
	s_delay_alu instid0(VALU_DEP_1) | instskip(SKIP_3) | instid1(VALU_DEP_2)
	v_fma_f64 v[10:11], v[8:9], s[0:1], v[6:7]
	s_mov_b32 s0, 0x3b39803f
	s_mov_b32 s1, 0xbc7abc9e
	v_cvt_i32_f64_e32 v16, v[8:9]
	v_fma_f64 v[10:11], v[8:9], s[0:1], v[10:11]
	s_mov_b32 s0, 0xfca7ab0c
	s_mov_b32 s1, 0x3e928af3
	s_delay_alu instid0(VALU_DEP_1) | instid1(SALU_CYCLE_1)
	v_fma_f64 v[14:15], v[10:11], s[10:11], s[0:1]
	s_mov_b32 s0, 0x623fde64
	s_mov_b32 s1, 0x3ec71dee
	s_delay_alu instid0(VALU_DEP_1) | instid1(SALU_CYCLE_1)
	v_fma_f64 v[14:15], v[10:11], v[14:15], s[0:1]
	s_mov_b32 s0, 0x7c89e6b0
	s_mov_b32 s1, 0x3efa0199
	s_delay_alu instid0(VALU_DEP_1) | instid1(SALU_CYCLE_1)
	v_fma_f64 v[14:15], v[10:11], v[14:15], s[0:1]
	s_mov_b32 s0, 0x14761f6e
	s_mov_b32 s1, 0x3f2a01a0
	s_delay_alu instid0(VALU_DEP_1) | instid1(SALU_CYCLE_1)
	v_fma_f64 v[14:15], v[10:11], v[14:15], s[0:1]
	s_mov_b32 s0, 0x1852b7b0
	s_mov_b32 s1, 0x3f56c16c
	s_delay_alu instid0(VALU_DEP_1) | instid1(SALU_CYCLE_1)
	v_fma_f64 v[14:15], v[10:11], v[14:15], s[0:1]
	s_mov_b32 s0, 0x11122322
	s_mov_b32 s1, 0x3f811111
	s_delay_alu instid0(VALU_DEP_1) | instid1(SALU_CYCLE_1)
	v_fma_f64 v[14:15], v[10:11], v[14:15], s[0:1]
	s_mov_b32 s0, 0x555502a1
	s_mov_b32 s1, 0x3fa55555
	s_delay_alu instid0(VALU_DEP_1) | instid1(SALU_CYCLE_1)
	v_fma_f64 v[14:15], v[10:11], v[14:15], s[0:1]
	s_mov_b32 s0, 0x55555511
	s_mov_b32 s1, 0x3fc55555
	s_delay_alu instid0(VALU_DEP_1) | instid1(SALU_CYCLE_1)
	v_fma_f64 v[14:15], v[10:11], v[14:15], s[0:1]
	s_mov_b32 s0, 11
	s_mov_b32 s1, 0x3fe00000
	s_delay_alu instid0(VALU_DEP_1) | instid1(SALU_CYCLE_1)
	v_fma_f64 v[14:15], v[10:11], v[14:15], s[0:1]
	v_cmp_nlt_f64_e64 s0, 0x40900000, v[6:7]
	v_cmp_ngt_f64_e64 s1, 0xc090cc00, v[6:7]
	s_delay_alu instid0(VALU_DEP_3) | instskip(NEXT) | instid1(VALU_DEP_1)
	v_fma_f64 v[14:15], v[10:11], v[14:15], 1.0
	v_fma_f64 v[8:9], v[10:11], v[14:15], 1.0
	s_delay_alu instid0(VALU_DEP_1) | instskip(NEXT) | instid1(VALU_DEP_1)
	v_ldexp_f64 v[8:9], v[8:9], v16
	v_cndmask_b32_e64 v9, 0x7ff00000, v9, s0
	s_and_b32 s0, s1, s0
	s_delay_alu instid0(VALU_DEP_2) | instid1(SALU_CYCLE_1)
	v_cndmask_b32_e64 v8, 0, v8, s0
	s_delay_alu instid0(VALU_DEP_2) | instskip(NEXT) | instid1(VALU_DEP_1)
	v_cndmask_b32_e64 v9, 0, v9, s1
	v_add_f64 v[2:3], v[2:3], v[8:9]
.LBB676_17:
	s_or_b32 exec_lo, exec_lo, s4
.LBB676_18:
	s_delay_alu instid0(SALU_CYCLE_1)
	s_or_b32 exec_lo, exec_lo, s3
	ds_bpermute_b32 v6, v25, v0
	ds_bpermute_b32 v7, v25, v1
	;; [unrolled: 1-line block ×4, first 2 shown]
	s_waitcnt lgkmcnt(2)
	v_add_f64 v[10:11], v[0:1], v[6:7]
	s_waitcnt lgkmcnt(0)
	v_add_f64 v[2:3], v[2:3], v[14:15]
	ds_bpermute_b32 v14, v26, v10
	ds_bpermute_b32 v15, v26, v11
	;; [unrolled: 1-line block ×4, first 2 shown]
	s_and_saveexec_b32 s0, vcc_lo
	s_cbranch_execz .LBB676_24
; %bb.19:
	v_add_co_u32 v0, vcc_lo, s8, v4
	v_add_co_ci_u32_e32 v1, vcc_lo, s9, v5, vcc_lo
	s_and_saveexec_b32 s0, s2
	s_cbranch_execz .LBB676_21
; %bb.20:
	s_waitcnt lgkmcnt(2)
	v_add_f64 v[4:5], v[10:11], v[14:15]
	s_delay_alu instid0(VALU_DEP_1) | instskip(SKIP_1) | instid1(VALU_DEP_2)
	v_div_scale_f64 v[10:11], null, v[4:5], v[4:5], v[12:13]
	v_div_scale_f64 v[18:19], vcc_lo, v[12:13], v[4:5], v[12:13]
	v_rcp_f64_e32 v[14:15], v[10:11]
	s_waitcnt_depctr 0xfff
	v_fma_f64 v[16:17], -v[10:11], v[14:15], 1.0
	s_delay_alu instid0(VALU_DEP_1) | instskip(NEXT) | instid1(VALU_DEP_1)
	v_fma_f64 v[14:15], v[14:15], v[16:17], v[14:15]
	v_fma_f64 v[16:17], -v[10:11], v[14:15], 1.0
	s_delay_alu instid0(VALU_DEP_1) | instskip(NEXT) | instid1(VALU_DEP_1)
	v_fma_f64 v[14:15], v[14:15], v[16:17], v[14:15]
	v_mul_f64 v[16:17], v[18:19], v[14:15]
	s_delay_alu instid0(VALU_DEP_1) | instskip(NEXT) | instid1(VALU_DEP_1)
	v_fma_f64 v[10:11], -v[10:11], v[16:17], v[18:19]
	v_div_fmas_f64 v[10:11], v[10:11], v[14:15], v[16:17]
	v_cmp_neq_f64_e32 vcc_lo, 0, v[4:5]
	s_delay_alu instid0(VALU_DEP_2) | instskip(NEXT) | instid1(VALU_DEP_1)
	v_div_fixup_f64 v[10:11], v[10:11], v[4:5], v[12:13]
	v_cndmask_b32_e32 v5, 0x7ff80000, v11, vcc_lo
	s_delay_alu instid0(VALU_DEP_2)
	v_cndmask_b32_e32 v4, 0, v10, vcc_lo
	global_store_b64 v[0:1], v[4:5], off
.LBB676_21:
	s_or_b32 exec_lo, exec_lo, s0
	v_cmp_ne_u32_e32 vcc_lo, 1, v24
	s_and_b32 exec_lo, exec_lo, vcc_lo
	s_cbranch_execz .LBB676_24
; %bb.22:
	s_and_b32 exec_lo, exec_lo, s2
	s_cbranch_execz .LBB676_24
; %bb.23:
	s_waitcnt lgkmcnt(0)
	v_add_f64 v[2:3], v[2:3], v[6:7]
	s_mov_b32 s7, 0
	s_delay_alu instid0(SALU_CYCLE_1) | instskip(NEXT) | instid1(SALU_CYCLE_1)
	s_lshl_b64 s[0:1], s[6:7], 3
	v_add_co_u32 v0, s0, v0, s0
	s_delay_alu instid0(VALU_DEP_1) | instskip(NEXT) | instid1(VALU_DEP_3)
	v_add_co_ci_u32_e64 v1, s0, s1, v1, s0
	v_div_scale_f64 v[4:5], null, v[2:3], v[2:3], v[8:9]
	v_div_scale_f64 v[12:13], vcc_lo, v[8:9], v[2:3], v[8:9]
	s_delay_alu instid0(VALU_DEP_2) | instskip(SKIP_2) | instid1(VALU_DEP_1)
	v_rcp_f64_e32 v[6:7], v[4:5]
	s_waitcnt_depctr 0xfff
	v_fma_f64 v[10:11], -v[4:5], v[6:7], 1.0
	v_fma_f64 v[6:7], v[6:7], v[10:11], v[6:7]
	s_delay_alu instid0(VALU_DEP_1) | instskip(NEXT) | instid1(VALU_DEP_1)
	v_fma_f64 v[10:11], -v[4:5], v[6:7], 1.0
	v_fma_f64 v[6:7], v[6:7], v[10:11], v[6:7]
	s_delay_alu instid0(VALU_DEP_1) | instskip(NEXT) | instid1(VALU_DEP_1)
	v_mul_f64 v[10:11], v[12:13], v[6:7]
	v_fma_f64 v[4:5], -v[4:5], v[10:11], v[12:13]
	s_delay_alu instid0(VALU_DEP_1) | instskip(SKIP_1) | instid1(VALU_DEP_2)
	v_div_fmas_f64 v[4:5], v[4:5], v[6:7], v[10:11]
	v_cmp_neq_f64_e32 vcc_lo, 0, v[2:3]
	v_div_fixup_f64 v[4:5], v[4:5], v[2:3], v[8:9]
	s_delay_alu instid0(VALU_DEP_1) | instskip(NEXT) | instid1(VALU_DEP_2)
	v_cndmask_b32_e32 v3, 0x7ff80000, v5, vcc_lo
	v_cndmask_b32_e32 v2, 0, v4, vcc_lo
	global_store_b64 v[0:1], v[2:3], off
.LBB676_24:
	s_nop 0
	s_sendmsg sendmsg(MSG_DEALLOC_VGPRS)
	s_endpgm
	.section	.rodata,"a",@progbits
	.p2align	6, 0x0
	.amdhsa_kernel _ZN12_GLOBAL__N_120softmax_warp_forwardIdddLi2ELb0ELb1ELi64EEEvPT0_PKT_iiiPKbib
		.amdhsa_group_segment_fixed_size 0
		.amdhsa_private_segment_fixed_size 0
		.amdhsa_kernarg_size 304
		.amdhsa_user_sgpr_count 15
		.amdhsa_user_sgpr_dispatch_ptr 0
		.amdhsa_user_sgpr_queue_ptr 0
		.amdhsa_user_sgpr_kernarg_segment_ptr 1
		.amdhsa_user_sgpr_dispatch_id 0
		.amdhsa_user_sgpr_private_segment_size 0
		.amdhsa_wavefront_size32 1
		.amdhsa_uses_dynamic_stack 0
		.amdhsa_enable_private_segment 0
		.amdhsa_system_sgpr_workgroup_id_x 1
		.amdhsa_system_sgpr_workgroup_id_y 0
		.amdhsa_system_sgpr_workgroup_id_z 0
		.amdhsa_system_sgpr_workgroup_info 0
		.amdhsa_system_vgpr_workitem_id 1
		.amdhsa_next_free_vgpr 27
		.amdhsa_next_free_sgpr 17
		.amdhsa_reserve_vcc 1
		.amdhsa_float_round_mode_32 0
		.amdhsa_float_round_mode_16_64 0
		.amdhsa_float_denorm_mode_32 3
		.amdhsa_float_denorm_mode_16_64 3
		.amdhsa_dx10_clamp 1
		.amdhsa_ieee_mode 1
		.amdhsa_fp16_overflow 0
		.amdhsa_workgroup_processor_mode 1
		.amdhsa_memory_ordered 1
		.amdhsa_forward_progress 0
		.amdhsa_shared_vgpr_count 0
		.amdhsa_exception_fp_ieee_invalid_op 0
		.amdhsa_exception_fp_denorm_src 0
		.amdhsa_exception_fp_ieee_div_zero 0
		.amdhsa_exception_fp_ieee_overflow 0
		.amdhsa_exception_fp_ieee_underflow 0
		.amdhsa_exception_fp_ieee_inexact 0
		.amdhsa_exception_int_div_zero 0
	.end_amdhsa_kernel
	.section	.text._ZN12_GLOBAL__N_120softmax_warp_forwardIdddLi2ELb0ELb1ELi64EEEvPT0_PKT_iiiPKbib,"axG",@progbits,_ZN12_GLOBAL__N_120softmax_warp_forwardIdddLi2ELb0ELb1ELi64EEEvPT0_PKT_iiiPKbib,comdat
.Lfunc_end676:
	.size	_ZN12_GLOBAL__N_120softmax_warp_forwardIdddLi2ELb0ELb1ELi64EEEvPT0_PKT_iiiPKbib, .Lfunc_end676-_ZN12_GLOBAL__N_120softmax_warp_forwardIdddLi2ELb0ELb1ELi64EEEvPT0_PKT_iiiPKbib
                                        ; -- End function
	.section	.AMDGPU.csdata,"",@progbits
; Kernel info:
; codeLenInByte = 2612
; NumSgprs: 19
; NumVgprs: 27
; ScratchSize: 0
; MemoryBound: 0
; FloatMode: 240
; IeeeMode: 1
; LDSByteSize: 0 bytes/workgroup (compile time only)
; SGPRBlocks: 2
; VGPRBlocks: 3
; NumSGPRsForWavesPerEU: 19
; NumVGPRsForWavesPerEU: 27
; Occupancy: 16
; WaveLimiterHint : 0
; COMPUTE_PGM_RSRC2:SCRATCH_EN: 0
; COMPUTE_PGM_RSRC2:USER_SGPR: 15
; COMPUTE_PGM_RSRC2:TRAP_HANDLER: 0
; COMPUTE_PGM_RSRC2:TGID_X_EN: 1
; COMPUTE_PGM_RSRC2:TGID_Y_EN: 0
; COMPUTE_PGM_RSRC2:TGID_Z_EN: 0
; COMPUTE_PGM_RSRC2:TIDIG_COMP_CNT: 1
	.section	.text._ZN12_GLOBAL__N_120softmax_warp_forwardIdddLi2ELb0ELb1ELi32EEEvPT0_PKT_iiiPKbib,"axG",@progbits,_ZN12_GLOBAL__N_120softmax_warp_forwardIdddLi2ELb0ELb1ELi32EEEvPT0_PKT_iiiPKbib,comdat
	.globl	_ZN12_GLOBAL__N_120softmax_warp_forwardIdddLi2ELb0ELb1ELi32EEEvPT0_PKT_iiiPKbib ; -- Begin function _ZN12_GLOBAL__N_120softmax_warp_forwardIdddLi2ELb0ELb1ELi32EEEvPT0_PKT_iiiPKbib
	.p2align	8
	.type	_ZN12_GLOBAL__N_120softmax_warp_forwardIdddLi2ELb0ELb1ELi32EEEvPT0_PKT_iiiPKbib,@function
_ZN12_GLOBAL__N_120softmax_warp_forwardIdddLi2ELb0ELb1ELi32EEEvPT0_PKT_iiiPKbib: ; @_ZN12_GLOBAL__N_120softmax_warp_forwardIdddLi2ELb0ELb1ELi32EEEvPT0_PKT_iiiPKbib
; %bb.0:
	s_clause 0x2
	s_load_b64 s[2:3], s[0:1], 0x28
	s_load_b32 s8, s[0:1], 0x3c
	s_load_b128 s[4:7], s[0:1], 0x10
	v_bfe_u32 v1, v0, 10, 10
	v_and_b32_e32 v0, 0x3ff, v0
	s_waitcnt lgkmcnt(0)
	s_bitcmp1_b32 s3, 0
	s_cselect_b32 s16, -1, 0
	s_lshr_b32 s7, s8, 16
	s_bitcmp0_b32 s3, 0
	s_mul_i32 s15, s15, s7
	s_delay_alu instid0(SALU_CYCLE_1) | instskip(NEXT) | instid1(VALU_DEP_1)
	v_add_lshl_u32 v1, s15, v1, 1
	v_mul_lo_u32 v6, v1, s5
	s_delay_alu instid0(VALU_DEP_1) | instskip(NEXT) | instid1(VALU_DEP_1)
	v_add_nc_u32_e32 v4, v6, v0
	v_ashrrev_i32_e32 v5, 31, v4
	s_delay_alu instid0(VALU_DEP_1)
	v_dual_mov_b32 v2, v4 :: v_dual_mov_b32 v3, v5
	s_cbranch_scc1 .LBB677_2
; %bb.1:
	s_abs_i32 s3, s2
	v_sub_nc_u32_e32 v7, 0, v6
	v_cvt_f32_u32_e32 v2, s3
	s_sub_i32 s7, 0, s3
	s_delay_alu instid0(VALU_DEP_2) | instskip(NEXT) | instid1(VALU_DEP_2)
	v_max_i32_e32 v7, v6, v7
	v_rcp_iflag_f32_e32 v2, v2
	v_xor_b32_e32 v6, s2, v6
	s_delay_alu instid0(VALU_DEP_1) | instskip(SKIP_2) | instid1(VALU_DEP_1)
	v_ashrrev_i32_e32 v6, 31, v6
	s_waitcnt_depctr 0xfff
	v_mul_f32_e32 v2, 0x4f7ffffe, v2
	v_cvt_u32_f32_e32 v2, v2
	s_delay_alu instid0(VALU_DEP_1) | instskip(NEXT) | instid1(VALU_DEP_1)
	v_mul_lo_u32 v3, s7, v2
	v_mul_hi_u32 v3, v2, v3
	s_delay_alu instid0(VALU_DEP_1) | instskip(NEXT) | instid1(VALU_DEP_1)
	v_add_nc_u32_e32 v2, v2, v3
	v_mul_hi_u32 v2, v7, v2
	s_delay_alu instid0(VALU_DEP_1) | instskip(NEXT) | instid1(VALU_DEP_1)
	v_mul_lo_u32 v3, v2, s3
	v_sub_nc_u32_e32 v3, v7, v3
	v_add_nc_u32_e32 v7, 1, v2
	s_delay_alu instid0(VALU_DEP_2) | instskip(SKIP_1) | instid1(VALU_DEP_2)
	v_subrev_nc_u32_e32 v8, s3, v3
	v_cmp_le_u32_e32 vcc_lo, s3, v3
	v_dual_cndmask_b32 v3, v3, v8 :: v_dual_cndmask_b32 v2, v2, v7
	s_delay_alu instid0(VALU_DEP_1) | instskip(NEXT) | instid1(VALU_DEP_2)
	v_cmp_le_u32_e32 vcc_lo, s3, v3
	v_add_nc_u32_e32 v7, 1, v2
	s_delay_alu instid0(VALU_DEP_1) | instskip(NEXT) | instid1(VALU_DEP_1)
	v_cndmask_b32_e32 v2, v2, v7, vcc_lo
	v_xor_b32_e32 v2, v2, v6
	s_delay_alu instid0(VALU_DEP_1) | instskip(NEXT) | instid1(VALU_DEP_1)
	v_sub_nc_u32_e32 v6, v2, v6
	v_mad_u64_u32 v[2:3], null, v6, s5, v[0:1]
	s_delay_alu instid0(VALU_DEP_1)
	v_ashrrev_i32_e32 v3, 31, v2
.LBB677_2:
	s_load_b128 s[8:11], s[0:1], 0x0
	v_lshlrev_b64 v[4:5], 3, v[4:5]
	v_sub_nc_u32_e32 v24, s4, v1
	v_mov_b32_e32 v6, 0
	v_mov_b32_e32 v7, 0xfff00000
	v_cmp_gt_i32_e64 s2, s6, v0
	s_delay_alu instid0(VALU_DEP_4) | instskip(NEXT) | instid1(VALU_DEP_3)
	v_cmp_lt_i32_e32 vcc_lo, 0, v24
	v_dual_mov_b32 v19, v7 :: v_dual_mov_b32 v18, v6
	s_delay_alu instid0(VALU_DEP_3) | instskip(SKIP_2) | instid1(VALU_DEP_1)
	s_and_b32 s5, s2, vcc_lo
	s_waitcnt lgkmcnt(0)
	v_add_co_u32 v0, s3, s10, v4
	v_add_co_ci_u32_e64 v1, s3, s11, v5, s3
	s_and_saveexec_b32 s3, s5
	s_cbranch_execz .LBB677_4
; %bb.3:
	global_load_b64 v[18:19], v[0:1], off
.LBB677_4:
	s_or_b32 exec_lo, exec_lo, s3
	v_cmp_lt_i32_e64 s3, 1, v24
	s_delay_alu instid0(VALU_DEP_1) | instskip(NEXT) | instid1(SALU_CYCLE_1)
	s_and_b32 s4, s2, s3
	s_and_saveexec_b32 s10, s4
	s_cbranch_execz .LBB677_6
; %bb.5:
	s_mov_b32 s7, 0
	s_delay_alu instid0(SALU_CYCLE_1) | instskip(NEXT) | instid1(SALU_CYCLE_1)
	s_lshl_b64 s[12:13], s[6:7], 3
	v_add_co_u32 v0, s3, v0, s12
	s_delay_alu instid0(VALU_DEP_1)
	v_add_co_ci_u32_e64 v1, s3, s13, v1, s3
	global_load_b64 v[6:7], v[0:1], off
.LBB677_6:
	s_or_b32 exec_lo, exec_lo, s10
	s_load_b64 s[0:1], s[0:1], 0x20
	v_mov_b32_e32 v0, 0
	v_mov_b32_e32 v1, 0xfff00000
	s_waitcnt lgkmcnt(0)
	v_add_co_u32 v10, s0, s0, v2
	s_delay_alu instid0(VALU_DEP_1)
	v_add_co_ci_u32_e64 v11, s0, s1, v3, s0
	s_and_saveexec_b32 s1, s5
	s_cbranch_execz .LBB677_8
; %bb.7:
	global_load_u8 v0, v[10:11], off
	s_waitcnt vmcnt(0)
	v_and_b32_e32 v0, 1, v0
	s_delay_alu instid0(VALU_DEP_1) | instskip(NEXT) | instid1(VALU_DEP_1)
	v_cmp_eq_u32_e64 s0, 1, v0
	v_cndmask_b32_e64 v1, v19, 0xfff00000, s0
	v_cndmask_b32_e64 v0, v18, 0, s0
.LBB677_8:
	s_or_b32 exec_lo, exec_lo, s1
	s_mov_b32 s12, 0
	s_mov_b32 s1, 0
	s_and_saveexec_b32 s3, s4
	s_cbranch_execz .LBB677_10
; %bb.9:
	s_and_b32 s0, s16, exec_lo
	s_cselect_b32 s0, 0, s6
	s_cselect_b32 s1, 0, 0
	v_add_co_u32 v2, s0, v10, s0
	s_delay_alu instid0(VALU_DEP_1) | instskip(SKIP_3) | instid1(VALU_DEP_1)
	v_add_co_ci_u32_e64 v3, s0, s1, v11, s0
	global_load_u8 v2, v[2:3], off
	s_waitcnt vmcnt(0)
	v_and_b32_e32 v2, 1, v2
	v_cmp_eq_u32_e64 s0, 1, v2
	s_delay_alu instid0(VALU_DEP_1) | instskip(NEXT) | instid1(SALU_CYCLE_1)
	s_xor_b32 s0, s0, -1
	s_and_b32 s1, s0, exec_lo
.LBB677_10:
	s_or_b32 exec_lo, exec_lo, s3
	v_mbcnt_lo_u32_b32 v14, -1, 0
	s_mov_b32 s13, s12
	s_mov_b32 s14, s12
	;; [unrolled: 1-line block ×3, first 2 shown]
	s_delay_alu instid0(VALU_DEP_1) | instskip(SKIP_2) | instid1(VALU_DEP_3)
	v_and_b32_e32 v2, 28, v14
	v_xor_b32_e32 v3, 2, v14
	v_xor_b32_e32 v16, 1, v14
	v_add_nc_u32_e32 v15, 4, v2
	s_delay_alu instid0(VALU_DEP_1) | instskip(NEXT) | instid1(VALU_DEP_1)
	v_cmp_lt_i32_e64 s0, v3, v15
	v_cndmask_b32_e64 v2, v14, v3, s0
	s_waitcnt vmcnt(0)
	v_cndmask_b32_e64 v3, 0xfff00000, v7, s1
	s_delay_alu instid0(VALU_DEP_2)
	v_lshlrev_b32_e32 v25, 2, v2
	v_cndmask_b32_e64 v2, 0, v6, s1
	ds_bpermute_b32 v8, v25, v0
	ds_bpermute_b32 v9, v25, v1
	;; [unrolled: 1-line block ×4, first 2 shown]
	s_waitcnt lgkmcnt(2)
	v_cmp_lt_f64_e64 s0, v[0:1], v[8:9]
	s_waitcnt lgkmcnt(0)
	v_cmp_lt_f64_e64 s1, v[2:3], v[12:13]
	s_delay_alu instid0(VALU_DEP_2)
	v_cndmask_b32_e64 v21, v1, v9, s0
	v_cndmask_b32_e64 v20, v0, v8, s0
	v_mov_b32_e32 v8, 0
	v_cmp_lt_i32_e64 s3, v16, v15
	v_cndmask_b32_e64 v15, v3, v13, s1
	v_mov_b32_e32 v9, 0
	s_delay_alu instid0(VALU_DEP_3) | instskip(NEXT) | instid1(VALU_DEP_1)
	v_cndmask_b32_e64 v14, v14, v16, s3
	v_lshlrev_b32_e32 v26, 2, v14
	v_cndmask_b32_e64 v14, v2, v12, s1
	v_dual_mov_b32 v0, s12 :: v_dual_mov_b32 v1, s13
	v_dual_mov_b32 v2, s14 :: v_dual_mov_b32 v3, s15
	ds_bpermute_b32 v23, v26, v21
	ds_bpermute_b32 v22, v26, v20
	;; [unrolled: 1-line block ×4, first 2 shown]
	v_dual_mov_b32 v13, v9 :: v_dual_mov_b32 v12, v8
	s_and_saveexec_b32 s3, s5
	s_cbranch_execz .LBB677_14
; %bb.11:
	global_load_u8 v0, v[10:11], off
	s_mov_b32 s13, s12
	s_mov_b32 s14, s12
	;; [unrolled: 1-line block ×3, first 2 shown]
	v_mov_b32_e32 v12, 0
	s_waitcnt vmcnt(0)
	v_dual_mov_b32 v13, 0 :: v_dual_and_b32 v0, 1, v0
	s_delay_alu instid0(VALU_DEP_1) | instskip(SKIP_2) | instid1(VALU_DEP_3)
	v_cmp_eq_u32_e64 s0, 1, v0
	v_dual_mov_b32 v0, s12 :: v_dual_mov_b32 v3, s15
	v_dual_mov_b32 v1, s13 :: v_dual_mov_b32 v2, s14
	s_xor_b32 s0, s0, -1
	s_delay_alu instid0(SALU_CYCLE_1)
	s_and_saveexec_b32 s5, s0
	s_cbranch_execz .LBB677_13
; %bb.12:
	s_waitcnt lgkmcnt(2)
	v_cmp_lt_f64_e64 s0, v[20:21], v[22:23]
	s_mov_b32 s10, 0x6a5dcb37
	s_mov_b32 s11, 0x3e5ade15
	s_delay_alu instid0(VALU_DEP_1) | instskip(SKIP_3) | instid1(VALU_DEP_1)
	v_cndmask_b32_e64 v1, v21, v23, s0
	v_cndmask_b32_e64 v0, v20, v22, s0
	s_mov_b32 s0, 0x652b82fe
	s_mov_b32 s1, 0x3ff71547
	v_add_f64 v[0:1], v[18:19], -v[0:1]
	s_delay_alu instid0(VALU_DEP_1) | instskip(SKIP_2) | instid1(VALU_DEP_1)
	v_mul_f64 v[2:3], v[0:1], s[0:1]
	s_mov_b32 s0, 0xfefa39ef
	s_mov_b32 s1, 0xbfe62e42
	v_rndne_f64_e32 v[2:3], v[2:3]
	s_delay_alu instid0(VALU_DEP_1) | instskip(SKIP_3) | instid1(VALU_DEP_2)
	v_fma_f64 v[12:13], v[2:3], s[0:1], v[0:1]
	s_mov_b32 s0, 0x3b39803f
	s_mov_b32 s1, 0xbc7abc9e
	v_cvt_i32_f64_e32 v20, v[2:3]
	v_fma_f64 v[12:13], v[2:3], s[0:1], v[12:13]
	s_mov_b32 s0, 0xfca7ab0c
	s_mov_b32 s1, 0x3e928af3
	s_delay_alu instid0(VALU_DEP_1) | instid1(SALU_CYCLE_1)
	v_fma_f64 v[18:19], v[12:13], s[10:11], s[0:1]
	s_mov_b32 s0, 0x623fde64
	s_mov_b32 s1, 0x3ec71dee
	s_delay_alu instid0(VALU_DEP_1) | instid1(SALU_CYCLE_1)
	;; [unrolled: 4-line block ×9, first 2 shown]
	v_fma_f64 v[18:19], v[12:13], v[18:19], s[0:1]
	v_cmp_nlt_f64_e64 s0, 0x40900000, v[0:1]
	v_cmp_ngt_f64_e64 s1, 0xc090cc00, v[0:1]
	s_delay_alu instid0(VALU_DEP_3) | instskip(NEXT) | instid1(VALU_DEP_1)
	v_fma_f64 v[18:19], v[12:13], v[18:19], 1.0
	v_fma_f64 v[2:3], v[12:13], v[18:19], 1.0
	s_delay_alu instid0(VALU_DEP_1) | instskip(NEXT) | instid1(VALU_DEP_1)
	v_ldexp_f64 v[2:3], v[2:3], v20
	v_cndmask_b32_e64 v3, 0x7ff00000, v3, s0
	s_and_b32 s0, s1, s0
	s_delay_alu instid0(VALU_DEP_2) | instid1(SALU_CYCLE_1)
	v_cndmask_b32_e64 v12, 0, v2, s0
	v_mov_b32_e32 v2, 0
	s_delay_alu instid0(VALU_DEP_3) | instskip(NEXT) | instid1(VALU_DEP_2)
	v_cndmask_b32_e64 v13, 0, v3, s1
	v_mov_b32_e32 v3, v2
	s_delay_alu instid0(VALU_DEP_2)
	v_add_f64 v[0:1], v[12:13], 0
.LBB677_13:
	s_or_b32 exec_lo, exec_lo, s5
.LBB677_14:
	s_delay_alu instid0(SALU_CYCLE_1)
	s_or_b32 exec_lo, exec_lo, s3
	s_and_saveexec_b32 s3, s4
	s_cbranch_execz .LBB677_18
; %bb.15:
	s_and_b32 s0, s16, exec_lo
	s_cselect_b32 s0, 0, s6
	s_cselect_b32 s1, 0, 0
	v_add_co_u32 v8, s0, v10, s0
	s_delay_alu instid0(VALU_DEP_1) | instskip(SKIP_3) | instid1(VALU_DEP_1)
	v_add_co_ci_u32_e64 v9, s0, s1, v11, s0
	global_load_u8 v8, v[8:9], off
	s_waitcnt vmcnt(0)
	v_and_b32_e32 v8, 1, v8
	v_cmp_eq_u32_e64 s0, 1, v8
	v_mov_b32_e32 v8, 0
	v_mov_b32_e32 v9, 0
	s_delay_alu instid0(VALU_DEP_3) | instskip(NEXT) | instid1(SALU_CYCLE_1)
	s_xor_b32 s0, s0, -1
	s_and_saveexec_b32 s4, s0
	s_cbranch_execz .LBB677_17
; %bb.16:
	s_waitcnt lgkmcnt(0)
	v_cmp_lt_f64_e64 s0, v[14:15], v[16:17]
	s_mov_b32 s10, 0x6a5dcb37
	s_mov_b32 s11, 0x3e5ade15
	s_delay_alu instid0(VALU_DEP_1) | instskip(SKIP_3) | instid1(VALU_DEP_1)
	v_cndmask_b32_e64 v9, v15, v17, s0
	v_cndmask_b32_e64 v8, v14, v16, s0
	s_mov_b32 s0, 0x652b82fe
	s_mov_b32 s1, 0x3ff71547
	v_add_f64 v[6:7], v[6:7], -v[8:9]
	s_delay_alu instid0(VALU_DEP_1) | instskip(SKIP_2) | instid1(VALU_DEP_1)
	v_mul_f64 v[8:9], v[6:7], s[0:1]
	s_mov_b32 s0, 0xfefa39ef
	s_mov_b32 s1, 0xbfe62e42
	v_rndne_f64_e32 v[8:9], v[8:9]
	s_delay_alu instid0(VALU_DEP_1) | instskip(SKIP_3) | instid1(VALU_DEP_2)
	v_fma_f64 v[10:11], v[8:9], s[0:1], v[6:7]
	s_mov_b32 s0, 0x3b39803f
	s_mov_b32 s1, 0xbc7abc9e
	v_cvt_i32_f64_e32 v16, v[8:9]
	v_fma_f64 v[10:11], v[8:9], s[0:1], v[10:11]
	s_mov_b32 s0, 0xfca7ab0c
	s_mov_b32 s1, 0x3e928af3
	s_delay_alu instid0(VALU_DEP_1) | instid1(SALU_CYCLE_1)
	v_fma_f64 v[14:15], v[10:11], s[10:11], s[0:1]
	s_mov_b32 s0, 0x623fde64
	s_mov_b32 s1, 0x3ec71dee
	s_delay_alu instid0(VALU_DEP_1) | instid1(SALU_CYCLE_1)
	;; [unrolled: 4-line block ×9, first 2 shown]
	v_fma_f64 v[14:15], v[10:11], v[14:15], s[0:1]
	v_cmp_nlt_f64_e64 s0, 0x40900000, v[6:7]
	v_cmp_ngt_f64_e64 s1, 0xc090cc00, v[6:7]
	s_delay_alu instid0(VALU_DEP_3) | instskip(NEXT) | instid1(VALU_DEP_1)
	v_fma_f64 v[14:15], v[10:11], v[14:15], 1.0
	v_fma_f64 v[8:9], v[10:11], v[14:15], 1.0
	s_delay_alu instid0(VALU_DEP_1) | instskip(NEXT) | instid1(VALU_DEP_1)
	v_ldexp_f64 v[8:9], v[8:9], v16
	v_cndmask_b32_e64 v9, 0x7ff00000, v9, s0
	s_and_b32 s0, s1, s0
	s_delay_alu instid0(VALU_DEP_2) | instid1(SALU_CYCLE_1)
	v_cndmask_b32_e64 v8, 0, v8, s0
	s_delay_alu instid0(VALU_DEP_2) | instskip(NEXT) | instid1(VALU_DEP_1)
	v_cndmask_b32_e64 v9, 0, v9, s1
	v_add_f64 v[2:3], v[2:3], v[8:9]
.LBB677_17:
	s_or_b32 exec_lo, exec_lo, s4
.LBB677_18:
	s_delay_alu instid0(SALU_CYCLE_1)
	s_or_b32 exec_lo, exec_lo, s3
	ds_bpermute_b32 v6, v25, v0
	ds_bpermute_b32 v7, v25, v1
	;; [unrolled: 1-line block ×4, first 2 shown]
	s_waitcnt lgkmcnt(2)
	v_add_f64 v[10:11], v[0:1], v[6:7]
	s_waitcnt lgkmcnt(0)
	v_add_f64 v[2:3], v[2:3], v[14:15]
	ds_bpermute_b32 v14, v26, v10
	ds_bpermute_b32 v15, v26, v11
	;; [unrolled: 1-line block ×4, first 2 shown]
	s_and_saveexec_b32 s0, vcc_lo
	s_cbranch_execz .LBB677_24
; %bb.19:
	v_add_co_u32 v0, vcc_lo, s8, v4
	v_add_co_ci_u32_e32 v1, vcc_lo, s9, v5, vcc_lo
	s_and_saveexec_b32 s0, s2
	s_cbranch_execz .LBB677_21
; %bb.20:
	s_waitcnt lgkmcnt(2)
	v_add_f64 v[4:5], v[10:11], v[14:15]
	s_delay_alu instid0(VALU_DEP_1) | instskip(SKIP_1) | instid1(VALU_DEP_2)
	v_div_scale_f64 v[10:11], null, v[4:5], v[4:5], v[12:13]
	v_div_scale_f64 v[18:19], vcc_lo, v[12:13], v[4:5], v[12:13]
	v_rcp_f64_e32 v[14:15], v[10:11]
	s_waitcnt_depctr 0xfff
	v_fma_f64 v[16:17], -v[10:11], v[14:15], 1.0
	s_delay_alu instid0(VALU_DEP_1) | instskip(NEXT) | instid1(VALU_DEP_1)
	v_fma_f64 v[14:15], v[14:15], v[16:17], v[14:15]
	v_fma_f64 v[16:17], -v[10:11], v[14:15], 1.0
	s_delay_alu instid0(VALU_DEP_1) | instskip(NEXT) | instid1(VALU_DEP_1)
	v_fma_f64 v[14:15], v[14:15], v[16:17], v[14:15]
	v_mul_f64 v[16:17], v[18:19], v[14:15]
	s_delay_alu instid0(VALU_DEP_1) | instskip(NEXT) | instid1(VALU_DEP_1)
	v_fma_f64 v[10:11], -v[10:11], v[16:17], v[18:19]
	v_div_fmas_f64 v[10:11], v[10:11], v[14:15], v[16:17]
	v_cmp_neq_f64_e32 vcc_lo, 0, v[4:5]
	s_delay_alu instid0(VALU_DEP_2) | instskip(NEXT) | instid1(VALU_DEP_1)
	v_div_fixup_f64 v[10:11], v[10:11], v[4:5], v[12:13]
	v_cndmask_b32_e32 v5, 0x7ff80000, v11, vcc_lo
	s_delay_alu instid0(VALU_DEP_2)
	v_cndmask_b32_e32 v4, 0, v10, vcc_lo
	global_store_b64 v[0:1], v[4:5], off
.LBB677_21:
	s_or_b32 exec_lo, exec_lo, s0
	v_cmp_ne_u32_e32 vcc_lo, 1, v24
	s_and_b32 exec_lo, exec_lo, vcc_lo
	s_cbranch_execz .LBB677_24
; %bb.22:
	s_and_b32 exec_lo, exec_lo, s2
	s_cbranch_execz .LBB677_24
; %bb.23:
	s_waitcnt lgkmcnt(0)
	v_add_f64 v[2:3], v[2:3], v[6:7]
	s_mov_b32 s7, 0
	s_delay_alu instid0(SALU_CYCLE_1) | instskip(NEXT) | instid1(SALU_CYCLE_1)
	s_lshl_b64 s[0:1], s[6:7], 3
	v_add_co_u32 v0, s0, v0, s0
	s_delay_alu instid0(VALU_DEP_1) | instskip(NEXT) | instid1(VALU_DEP_3)
	v_add_co_ci_u32_e64 v1, s0, s1, v1, s0
	v_div_scale_f64 v[4:5], null, v[2:3], v[2:3], v[8:9]
	v_div_scale_f64 v[12:13], vcc_lo, v[8:9], v[2:3], v[8:9]
	s_delay_alu instid0(VALU_DEP_2) | instskip(SKIP_2) | instid1(VALU_DEP_1)
	v_rcp_f64_e32 v[6:7], v[4:5]
	s_waitcnt_depctr 0xfff
	v_fma_f64 v[10:11], -v[4:5], v[6:7], 1.0
	v_fma_f64 v[6:7], v[6:7], v[10:11], v[6:7]
	s_delay_alu instid0(VALU_DEP_1) | instskip(NEXT) | instid1(VALU_DEP_1)
	v_fma_f64 v[10:11], -v[4:5], v[6:7], 1.0
	v_fma_f64 v[6:7], v[6:7], v[10:11], v[6:7]
	s_delay_alu instid0(VALU_DEP_1) | instskip(NEXT) | instid1(VALU_DEP_1)
	v_mul_f64 v[10:11], v[12:13], v[6:7]
	v_fma_f64 v[4:5], -v[4:5], v[10:11], v[12:13]
	s_delay_alu instid0(VALU_DEP_1) | instskip(SKIP_1) | instid1(VALU_DEP_2)
	v_div_fmas_f64 v[4:5], v[4:5], v[6:7], v[10:11]
	v_cmp_neq_f64_e32 vcc_lo, 0, v[2:3]
	v_div_fixup_f64 v[4:5], v[4:5], v[2:3], v[8:9]
	s_delay_alu instid0(VALU_DEP_1) | instskip(NEXT) | instid1(VALU_DEP_2)
	v_cndmask_b32_e32 v3, 0x7ff80000, v5, vcc_lo
	v_cndmask_b32_e32 v2, 0, v4, vcc_lo
	global_store_b64 v[0:1], v[2:3], off
.LBB677_24:
	s_nop 0
	s_sendmsg sendmsg(MSG_DEALLOC_VGPRS)
	s_endpgm
	.section	.rodata,"a",@progbits
	.p2align	6, 0x0
	.amdhsa_kernel _ZN12_GLOBAL__N_120softmax_warp_forwardIdddLi2ELb0ELb1ELi32EEEvPT0_PKT_iiiPKbib
		.amdhsa_group_segment_fixed_size 0
		.amdhsa_private_segment_fixed_size 0
		.amdhsa_kernarg_size 304
		.amdhsa_user_sgpr_count 15
		.amdhsa_user_sgpr_dispatch_ptr 0
		.amdhsa_user_sgpr_queue_ptr 0
		.amdhsa_user_sgpr_kernarg_segment_ptr 1
		.amdhsa_user_sgpr_dispatch_id 0
		.amdhsa_user_sgpr_private_segment_size 0
		.amdhsa_wavefront_size32 1
		.amdhsa_uses_dynamic_stack 0
		.amdhsa_enable_private_segment 0
		.amdhsa_system_sgpr_workgroup_id_x 1
		.amdhsa_system_sgpr_workgroup_id_y 0
		.amdhsa_system_sgpr_workgroup_id_z 0
		.amdhsa_system_sgpr_workgroup_info 0
		.amdhsa_system_vgpr_workitem_id 1
		.amdhsa_next_free_vgpr 27
		.amdhsa_next_free_sgpr 17
		.amdhsa_reserve_vcc 1
		.amdhsa_float_round_mode_32 0
		.amdhsa_float_round_mode_16_64 0
		.amdhsa_float_denorm_mode_32 3
		.amdhsa_float_denorm_mode_16_64 3
		.amdhsa_dx10_clamp 1
		.amdhsa_ieee_mode 1
		.amdhsa_fp16_overflow 0
		.amdhsa_workgroup_processor_mode 1
		.amdhsa_memory_ordered 1
		.amdhsa_forward_progress 0
		.amdhsa_shared_vgpr_count 0
		.amdhsa_exception_fp_ieee_invalid_op 0
		.amdhsa_exception_fp_denorm_src 0
		.amdhsa_exception_fp_ieee_div_zero 0
		.amdhsa_exception_fp_ieee_overflow 0
		.amdhsa_exception_fp_ieee_underflow 0
		.amdhsa_exception_fp_ieee_inexact 0
		.amdhsa_exception_int_div_zero 0
	.end_amdhsa_kernel
	.section	.text._ZN12_GLOBAL__N_120softmax_warp_forwardIdddLi2ELb0ELb1ELi32EEEvPT0_PKT_iiiPKbib,"axG",@progbits,_ZN12_GLOBAL__N_120softmax_warp_forwardIdddLi2ELb0ELb1ELi32EEEvPT0_PKT_iiiPKbib,comdat
.Lfunc_end677:
	.size	_ZN12_GLOBAL__N_120softmax_warp_forwardIdddLi2ELb0ELb1ELi32EEEvPT0_PKT_iiiPKbib, .Lfunc_end677-_ZN12_GLOBAL__N_120softmax_warp_forwardIdddLi2ELb0ELb1ELi32EEEvPT0_PKT_iiiPKbib
                                        ; -- End function
	.section	.AMDGPU.csdata,"",@progbits
; Kernel info:
; codeLenInByte = 2612
; NumSgprs: 19
; NumVgprs: 27
; ScratchSize: 0
; MemoryBound: 0
; FloatMode: 240
; IeeeMode: 1
; LDSByteSize: 0 bytes/workgroup (compile time only)
; SGPRBlocks: 2
; VGPRBlocks: 3
; NumSGPRsForWavesPerEU: 19
; NumVGPRsForWavesPerEU: 27
; Occupancy: 16
; WaveLimiterHint : 0
; COMPUTE_PGM_RSRC2:SCRATCH_EN: 0
; COMPUTE_PGM_RSRC2:USER_SGPR: 15
; COMPUTE_PGM_RSRC2:TRAP_HANDLER: 0
; COMPUTE_PGM_RSRC2:TGID_X_EN: 1
; COMPUTE_PGM_RSRC2:TGID_Y_EN: 0
; COMPUTE_PGM_RSRC2:TGID_Z_EN: 0
; COMPUTE_PGM_RSRC2:TIDIG_COMP_CNT: 1
	.section	.text._ZN12_GLOBAL__N_120softmax_warp_forwardIdddLi3ELb0ELb1ELi64EEEvPT0_PKT_iiiPKbib,"axG",@progbits,_ZN12_GLOBAL__N_120softmax_warp_forwardIdddLi3ELb0ELb1ELi64EEEvPT0_PKT_iiiPKbib,comdat
	.globl	_ZN12_GLOBAL__N_120softmax_warp_forwardIdddLi3ELb0ELb1ELi64EEEvPT0_PKT_iiiPKbib ; -- Begin function _ZN12_GLOBAL__N_120softmax_warp_forwardIdddLi3ELb0ELb1ELi64EEEvPT0_PKT_iiiPKbib
	.p2align	8
	.type	_ZN12_GLOBAL__N_120softmax_warp_forwardIdddLi3ELb0ELb1ELi64EEEvPT0_PKT_iiiPKbib,@function
_ZN12_GLOBAL__N_120softmax_warp_forwardIdddLi3ELb0ELb1ELi64EEEvPT0_PKT_iiiPKbib: ; @_ZN12_GLOBAL__N_120softmax_warp_forwardIdddLi3ELb0ELb1ELi64EEEvPT0_PKT_iiiPKbib
; %bb.0:
	s_clause 0x2
	s_load_b64 s[2:3], s[0:1], 0x28
	s_load_b32 s8, s[0:1], 0x3c
	s_load_b128 s[4:7], s[0:1], 0x10
	v_bfe_u32 v1, v0, 10, 10
	v_and_b32_e32 v0, 0x3ff, v0
	s_waitcnt lgkmcnt(0)
	s_bitcmp1_b32 s3, 0
	s_cselect_b32 s16, -1, 0
	s_lshr_b32 s7, s8, 16
	s_bitcmp0_b32 s3, 0
	s_mul_i32 s15, s15, s7
	s_delay_alu instid0(SALU_CYCLE_1) | instskip(NEXT) | instid1(VALU_DEP_1)
	v_add_lshl_u32 v1, s15, v1, 1
	v_mul_lo_u32 v6, v1, s5
	s_delay_alu instid0(VALU_DEP_1) | instskip(NEXT) | instid1(VALU_DEP_1)
	v_add_nc_u32_e32 v4, v6, v0
	v_ashrrev_i32_e32 v5, 31, v4
	s_delay_alu instid0(VALU_DEP_1)
	v_dual_mov_b32 v2, v4 :: v_dual_mov_b32 v3, v5
	s_cbranch_scc1 .LBB678_2
; %bb.1:
	s_abs_i32 s3, s2
	v_sub_nc_u32_e32 v7, 0, v6
	v_cvt_f32_u32_e32 v2, s3
	s_sub_i32 s7, 0, s3
	s_delay_alu instid0(VALU_DEP_2) | instskip(NEXT) | instid1(VALU_DEP_2)
	v_max_i32_e32 v7, v6, v7
	v_rcp_iflag_f32_e32 v2, v2
	v_xor_b32_e32 v6, s2, v6
	s_delay_alu instid0(VALU_DEP_1) | instskip(SKIP_2) | instid1(VALU_DEP_1)
	v_ashrrev_i32_e32 v6, 31, v6
	s_waitcnt_depctr 0xfff
	v_mul_f32_e32 v2, 0x4f7ffffe, v2
	v_cvt_u32_f32_e32 v2, v2
	s_delay_alu instid0(VALU_DEP_1) | instskip(NEXT) | instid1(VALU_DEP_1)
	v_mul_lo_u32 v3, s7, v2
	v_mul_hi_u32 v3, v2, v3
	s_delay_alu instid0(VALU_DEP_1) | instskip(NEXT) | instid1(VALU_DEP_1)
	v_add_nc_u32_e32 v2, v2, v3
	v_mul_hi_u32 v2, v7, v2
	s_delay_alu instid0(VALU_DEP_1) | instskip(NEXT) | instid1(VALU_DEP_1)
	v_mul_lo_u32 v3, v2, s3
	v_sub_nc_u32_e32 v3, v7, v3
	v_add_nc_u32_e32 v7, 1, v2
	s_delay_alu instid0(VALU_DEP_2) | instskip(SKIP_1) | instid1(VALU_DEP_2)
	v_subrev_nc_u32_e32 v8, s3, v3
	v_cmp_le_u32_e32 vcc_lo, s3, v3
	v_dual_cndmask_b32 v3, v3, v8 :: v_dual_cndmask_b32 v2, v2, v7
	s_delay_alu instid0(VALU_DEP_1) | instskip(NEXT) | instid1(VALU_DEP_2)
	v_cmp_le_u32_e32 vcc_lo, s3, v3
	v_add_nc_u32_e32 v7, 1, v2
	s_delay_alu instid0(VALU_DEP_1) | instskip(NEXT) | instid1(VALU_DEP_1)
	v_cndmask_b32_e32 v2, v2, v7, vcc_lo
	v_xor_b32_e32 v2, v2, v6
	s_delay_alu instid0(VALU_DEP_1) | instskip(NEXT) | instid1(VALU_DEP_1)
	v_sub_nc_u32_e32 v6, v2, v6
	v_mad_u64_u32 v[2:3], null, v6, s5, v[0:1]
	s_delay_alu instid0(VALU_DEP_1)
	v_ashrrev_i32_e32 v3, 31, v2
.LBB678_2:
	s_load_b128 s[8:11], s[0:1], 0x0
	v_lshlrev_b64 v[4:5], 3, v[4:5]
	v_sub_nc_u32_e32 v24, s4, v1
	v_mov_b32_e32 v6, 0
	v_mov_b32_e32 v7, 0xfff00000
	v_cmp_gt_i32_e64 s2, s6, v0
	s_delay_alu instid0(VALU_DEP_4) | instskip(NEXT) | instid1(VALU_DEP_3)
	v_cmp_lt_i32_e32 vcc_lo, 0, v24
	v_dual_mov_b32 v15, v7 :: v_dual_mov_b32 v14, v6
	s_delay_alu instid0(VALU_DEP_3) | instskip(SKIP_2) | instid1(VALU_DEP_1)
	s_and_b32 s5, s2, vcc_lo
	s_waitcnt lgkmcnt(0)
	v_add_co_u32 v0, s3, s10, v4
	v_add_co_ci_u32_e64 v1, s3, s11, v5, s3
	s_and_saveexec_b32 s3, s5
	s_cbranch_execz .LBB678_4
; %bb.3:
	global_load_b64 v[14:15], v[0:1], off
.LBB678_4:
	s_or_b32 exec_lo, exec_lo, s3
	v_cmp_lt_i32_e64 s3, 1, v24
	s_delay_alu instid0(VALU_DEP_1) | instskip(NEXT) | instid1(SALU_CYCLE_1)
	s_and_b32 s4, s2, s3
	s_and_saveexec_b32 s10, s4
	s_cbranch_execz .LBB678_6
; %bb.5:
	s_mov_b32 s7, 0
	s_delay_alu instid0(SALU_CYCLE_1) | instskip(NEXT) | instid1(SALU_CYCLE_1)
	s_lshl_b64 s[12:13], s[6:7], 3
	v_add_co_u32 v0, s3, v0, s12
	s_delay_alu instid0(VALU_DEP_1)
	v_add_co_ci_u32_e64 v1, s3, s13, v1, s3
	global_load_b64 v[6:7], v[0:1], off
.LBB678_6:
	s_or_b32 exec_lo, exec_lo, s10
	s_load_b64 s[0:1], s[0:1], 0x20
	v_mov_b32_e32 v0, 0
	v_mov_b32_e32 v1, 0xfff00000
	s_waitcnt lgkmcnt(0)
	v_add_co_u32 v8, s0, s0, v2
	s_delay_alu instid0(VALU_DEP_1)
	v_add_co_ci_u32_e64 v9, s0, s1, v3, s0
	s_and_saveexec_b32 s1, s5
	s_cbranch_execz .LBB678_8
; %bb.7:
	global_load_u8 v0, v[8:9], off
	s_waitcnt vmcnt(0)
	v_and_b32_e32 v0, 1, v0
	s_delay_alu instid0(VALU_DEP_1) | instskip(NEXT) | instid1(VALU_DEP_1)
	v_cmp_eq_u32_e64 s0, 1, v0
	v_cndmask_b32_e64 v1, v15, 0xfff00000, s0
	v_cndmask_b32_e64 v0, v14, 0, s0
.LBB678_8:
	s_or_b32 exec_lo, exec_lo, s1
	s_mov_b32 s12, 0
	s_mov_b32 s1, 0
	s_and_saveexec_b32 s3, s4
	s_cbranch_execz .LBB678_10
; %bb.9:
	s_and_b32 s0, s16, exec_lo
	s_cselect_b32 s0, 0, s6
	s_cselect_b32 s1, 0, 0
	v_add_co_u32 v2, s0, v8, s0
	s_delay_alu instid0(VALU_DEP_1) | instskip(SKIP_3) | instid1(VALU_DEP_1)
	v_add_co_ci_u32_e64 v3, s0, s1, v9, s0
	global_load_u8 v2, v[2:3], off
	s_waitcnt vmcnt(0)
	v_and_b32_e32 v2, 1, v2
	v_cmp_eq_u32_e64 s0, 1, v2
	s_delay_alu instid0(VALU_DEP_1) | instskip(NEXT) | instid1(SALU_CYCLE_1)
	s_xor_b32 s0, s0, -1
	s_and_b32 s1, s0, exec_lo
.LBB678_10:
	s_or_b32 exec_lo, exec_lo, s3
	v_mbcnt_lo_u32_b32 v16, -1, 0
	s_mov_b32 s13, s12
	s_mov_b32 s14, s12
	;; [unrolled: 1-line block ×3, first 2 shown]
	s_delay_alu instid0(VALU_DEP_1) | instskip(SKIP_2) | instid1(VALU_DEP_3)
	v_and_b32_e32 v2, 24, v16
	v_xor_b32_e32 v3, 4, v16
	v_xor_b32_e32 v18, 2, v16
	v_add_nc_u32_e32 v17, 8, v2
	s_delay_alu instid0(VALU_DEP_1) | instskip(NEXT) | instid1(VALU_DEP_3)
	v_cmp_lt_i32_e64 s0, v3, v17
	v_cmp_lt_i32_e64 s3, v18, v17
	s_delay_alu instid0(VALU_DEP_2) | instskip(SKIP_2) | instid1(VALU_DEP_3)
	v_cndmask_b32_e64 v2, v16, v3, s0
	s_waitcnt vmcnt(0)
	v_cndmask_b32_e64 v3, 0xfff00000, v7, s1
	v_cndmask_b32_e64 v18, v16, v18, s3
	s_delay_alu instid0(VALU_DEP_3) | instskip(SKIP_1) | instid1(VALU_DEP_3)
	v_lshlrev_b32_e32 v25, 2, v2
	v_cndmask_b32_e64 v2, 0, v6, s1
	v_lshlrev_b32_e32 v26, 2, v18
	v_xor_b32_e32 v18, 1, v16
	ds_bpermute_b32 v10, v25, v0
	ds_bpermute_b32 v11, v25, v1
	;; [unrolled: 1-line block ×4, first 2 shown]
	s_waitcnt lgkmcnt(2)
	v_cmp_lt_f64_e64 s0, v[0:1], v[10:11]
	s_waitcnt lgkmcnt(0)
	v_cmp_lt_f64_e64 s1, v[2:3], v[12:13]
	s_delay_alu instid0(VALU_DEP_2) | instskip(SKIP_1) | instid1(VALU_DEP_3)
	v_cndmask_b32_e64 v1, v1, v11, s0
	v_cndmask_b32_e64 v0, v0, v10, s0
	;; [unrolled: 1-line block ×4, first 2 shown]
	ds_bpermute_b32 v11, v26, v1
	ds_bpermute_b32 v10, v26, v0
	;; [unrolled: 1-line block ×4, first 2 shown]
	s_waitcnt lgkmcnt(2)
	v_cmp_lt_f64_e64 s0, v[0:1], v[10:11]
	s_waitcnt lgkmcnt(0)
	v_cmp_lt_f64_e64 s1, v[2:3], v[12:13]
	s_delay_alu instid0(VALU_DEP_2)
	v_cndmask_b32_e64 v21, v1, v11, s0
	v_cndmask_b32_e64 v20, v0, v10, s0
	v_mov_b32_e32 v10, 0
	v_cmp_lt_i32_e64 s3, v18, v17
	v_cndmask_b32_e64 v17, v3, v13, s1
	v_mov_b32_e32 v11, 0
	s_delay_alu instid0(VALU_DEP_3) | instskip(NEXT) | instid1(VALU_DEP_1)
	v_cndmask_b32_e64 v16, v16, v18, s3
	v_lshlrev_b32_e32 v27, 2, v16
	v_cndmask_b32_e64 v16, v2, v12, s1
	v_mov_b32_e32 v0, s12
	v_dual_mov_b32 v2, s14 :: v_dual_mov_b32 v13, v11
	ds_bpermute_b32 v23, v27, v21
	ds_bpermute_b32 v22, v27, v20
	;; [unrolled: 1-line block ×4, first 2 shown]
	v_mov_b32_e32 v1, s13
	v_dual_mov_b32 v3, s15 :: v_dual_mov_b32 v12, v10
	s_and_saveexec_b32 s3, s5
	s_cbranch_execz .LBB678_14
; %bb.11:
	global_load_u8 v0, v[8:9], off
	s_mov_b32 s13, s12
	s_mov_b32 s14, s12
	;; [unrolled: 1-line block ×3, first 2 shown]
	v_mov_b32_e32 v12, 0
	s_waitcnt vmcnt(0)
	v_dual_mov_b32 v13, 0 :: v_dual_and_b32 v0, 1, v0
	s_delay_alu instid0(VALU_DEP_1) | instskip(SKIP_2) | instid1(VALU_DEP_3)
	v_cmp_eq_u32_e64 s0, 1, v0
	v_dual_mov_b32 v0, s12 :: v_dual_mov_b32 v3, s15
	v_dual_mov_b32 v1, s13 :: v_dual_mov_b32 v2, s14
	s_xor_b32 s0, s0, -1
	s_delay_alu instid0(SALU_CYCLE_1)
	s_and_saveexec_b32 s5, s0
	s_cbranch_execz .LBB678_13
; %bb.12:
	s_waitcnt lgkmcnt(2)
	v_cmp_lt_f64_e64 s0, v[20:21], v[22:23]
	s_mov_b32 s10, 0x6a5dcb37
	s_mov_b32 s11, 0x3e5ade15
	s_delay_alu instid0(VALU_DEP_1) | instskip(SKIP_3) | instid1(VALU_DEP_1)
	v_cndmask_b32_e64 v1, v21, v23, s0
	v_cndmask_b32_e64 v0, v20, v22, s0
	s_mov_b32 s0, 0x652b82fe
	s_mov_b32 s1, 0x3ff71547
	v_add_f64 v[0:1], v[14:15], -v[0:1]
	s_delay_alu instid0(VALU_DEP_1) | instskip(SKIP_2) | instid1(VALU_DEP_1)
	v_mul_f64 v[2:3], v[0:1], s[0:1]
	s_mov_b32 s0, 0xfefa39ef
	s_mov_b32 s1, 0xbfe62e42
	v_rndne_f64_e32 v[2:3], v[2:3]
	s_delay_alu instid0(VALU_DEP_1) | instskip(SKIP_3) | instid1(VALU_DEP_2)
	v_fma_f64 v[12:13], v[2:3], s[0:1], v[0:1]
	s_mov_b32 s0, 0x3b39803f
	s_mov_b32 s1, 0xbc7abc9e
	v_cvt_i32_f64_e32 v20, v[2:3]
	v_fma_f64 v[12:13], v[2:3], s[0:1], v[12:13]
	s_mov_b32 s0, 0xfca7ab0c
	s_mov_b32 s1, 0x3e928af3
	s_delay_alu instid0(VALU_DEP_1) | instid1(SALU_CYCLE_1)
	v_fma_f64 v[14:15], v[12:13], s[10:11], s[0:1]
	s_mov_b32 s0, 0x623fde64
	s_mov_b32 s1, 0x3ec71dee
	s_delay_alu instid0(VALU_DEP_1) | instid1(SALU_CYCLE_1)
	;; [unrolled: 4-line block ×9, first 2 shown]
	v_fma_f64 v[14:15], v[12:13], v[14:15], s[0:1]
	v_cmp_nlt_f64_e64 s0, 0x40900000, v[0:1]
	v_cmp_ngt_f64_e64 s1, 0xc090cc00, v[0:1]
	s_delay_alu instid0(VALU_DEP_3) | instskip(NEXT) | instid1(VALU_DEP_1)
	v_fma_f64 v[14:15], v[12:13], v[14:15], 1.0
	v_fma_f64 v[2:3], v[12:13], v[14:15], 1.0
	s_delay_alu instid0(VALU_DEP_1) | instskip(NEXT) | instid1(VALU_DEP_1)
	v_ldexp_f64 v[2:3], v[2:3], v20
	v_cndmask_b32_e64 v3, 0x7ff00000, v3, s0
	s_and_b32 s0, s1, s0
	s_delay_alu instid0(VALU_DEP_2) | instid1(SALU_CYCLE_1)
	v_cndmask_b32_e64 v12, 0, v2, s0
	v_mov_b32_e32 v2, 0
	s_delay_alu instid0(VALU_DEP_3) | instskip(NEXT) | instid1(VALU_DEP_2)
	v_cndmask_b32_e64 v13, 0, v3, s1
	v_mov_b32_e32 v3, v2
	s_delay_alu instid0(VALU_DEP_2)
	v_add_f64 v[0:1], v[12:13], 0
.LBB678_13:
	s_or_b32 exec_lo, exec_lo, s5
.LBB678_14:
	s_delay_alu instid0(SALU_CYCLE_1)
	s_or_b32 exec_lo, exec_lo, s3
	s_and_saveexec_b32 s3, s4
	s_cbranch_execz .LBB678_18
; %bb.15:
	s_and_b32 s0, s16, exec_lo
	s_cselect_b32 s0, 0, s6
	s_cselect_b32 s1, 0, 0
	v_add_co_u32 v8, s0, v8, s0
	s_delay_alu instid0(VALU_DEP_1)
	v_add_co_ci_u32_e64 v9, s0, s1, v9, s0
	v_mov_b32_e32 v10, 0
	v_mov_b32_e32 v11, 0
	global_load_u8 v8, v[8:9], off
	s_waitcnt vmcnt(0)
	v_and_b32_e32 v8, 1, v8
	s_delay_alu instid0(VALU_DEP_1) | instskip(NEXT) | instid1(VALU_DEP_1)
	v_cmp_eq_u32_e64 s0, 1, v8
	s_xor_b32 s0, s0, -1
	s_delay_alu instid0(SALU_CYCLE_1)
	s_and_saveexec_b32 s4, s0
	s_cbranch_execz .LBB678_17
; %bb.16:
	s_waitcnt lgkmcnt(0)
	v_cmp_lt_f64_e64 s0, v[16:17], v[18:19]
	s_mov_b32 s10, 0x6a5dcb37
	s_mov_b32 s11, 0x3e5ade15
	s_delay_alu instid0(VALU_DEP_1) | instskip(SKIP_3) | instid1(VALU_DEP_1)
	v_cndmask_b32_e64 v9, v17, v19, s0
	v_cndmask_b32_e64 v8, v16, v18, s0
	s_mov_b32 s0, 0x652b82fe
	s_mov_b32 s1, 0x3ff71547
	v_add_f64 v[6:7], v[6:7], -v[8:9]
	s_delay_alu instid0(VALU_DEP_1) | instskip(SKIP_2) | instid1(VALU_DEP_1)
	v_mul_f64 v[8:9], v[6:7], s[0:1]
	s_mov_b32 s0, 0xfefa39ef
	s_mov_b32 s1, 0xbfe62e42
	v_rndne_f64_e32 v[8:9], v[8:9]
	s_delay_alu instid0(VALU_DEP_1) | instskip(SKIP_3) | instid1(VALU_DEP_2)
	v_fma_f64 v[10:11], v[8:9], s[0:1], v[6:7]
	s_mov_b32 s0, 0x3b39803f
	s_mov_b32 s1, 0xbc7abc9e
	v_cvt_i32_f64_e32 v16, v[8:9]
	v_fma_f64 v[10:11], v[8:9], s[0:1], v[10:11]
	s_mov_b32 s0, 0xfca7ab0c
	s_mov_b32 s1, 0x3e928af3
	s_delay_alu instid0(VALU_DEP_1) | instid1(SALU_CYCLE_1)
	v_fma_f64 v[14:15], v[10:11], s[10:11], s[0:1]
	s_mov_b32 s0, 0x623fde64
	s_mov_b32 s1, 0x3ec71dee
	s_delay_alu instid0(VALU_DEP_1) | instid1(SALU_CYCLE_1)
	;; [unrolled: 4-line block ×9, first 2 shown]
	v_fma_f64 v[14:15], v[10:11], v[14:15], s[0:1]
	v_cmp_nlt_f64_e64 s0, 0x40900000, v[6:7]
	v_cmp_ngt_f64_e64 s1, 0xc090cc00, v[6:7]
	s_delay_alu instid0(VALU_DEP_3) | instskip(NEXT) | instid1(VALU_DEP_1)
	v_fma_f64 v[14:15], v[10:11], v[14:15], 1.0
	v_fma_f64 v[8:9], v[10:11], v[14:15], 1.0
	s_delay_alu instid0(VALU_DEP_1) | instskip(NEXT) | instid1(VALU_DEP_1)
	v_ldexp_f64 v[8:9], v[8:9], v16
	v_cndmask_b32_e64 v9, 0x7ff00000, v9, s0
	s_and_b32 s0, s1, s0
	s_delay_alu instid0(VALU_DEP_2) | instid1(SALU_CYCLE_1)
	v_cndmask_b32_e64 v10, 0, v8, s0
	s_delay_alu instid0(VALU_DEP_2) | instskip(NEXT) | instid1(VALU_DEP_1)
	v_cndmask_b32_e64 v11, 0, v9, s1
	v_add_f64 v[2:3], v[2:3], v[10:11]
.LBB678_17:
	s_or_b32 exec_lo, exec_lo, s4
.LBB678_18:
	s_delay_alu instid0(SALU_CYCLE_1)
	s_or_b32 exec_lo, exec_lo, s3
	ds_bpermute_b32 v6, v25, v0
	ds_bpermute_b32 v7, v25, v1
	;; [unrolled: 1-line block ×4, first 2 shown]
	s_waitcnt lgkmcnt(2)
	v_add_f64 v[0:1], v[0:1], v[6:7]
	s_waitcnt lgkmcnt(0)
	v_add_f64 v[2:3], v[2:3], v[8:9]
	ds_bpermute_b32 v6, v26, v0
	ds_bpermute_b32 v7, v26, v1
	;; [unrolled: 1-line block ×4, first 2 shown]
	s_waitcnt lgkmcnt(2)
	v_add_f64 v[8:9], v[0:1], v[6:7]
	s_waitcnt lgkmcnt(0)
	v_add_f64 v[2:3], v[2:3], v[14:15]
	ds_bpermute_b32 v14, v27, v8
	ds_bpermute_b32 v15, v27, v9
	ds_bpermute_b32 v6, v27, v2
	ds_bpermute_b32 v7, v27, v3
	s_and_saveexec_b32 s0, vcc_lo
	s_cbranch_execz .LBB678_24
; %bb.19:
	v_add_co_u32 v0, vcc_lo, s8, v4
	v_add_co_ci_u32_e32 v1, vcc_lo, s9, v5, vcc_lo
	s_and_saveexec_b32 s0, s2
	s_cbranch_execz .LBB678_21
; %bb.20:
	s_waitcnt lgkmcnt(2)
	v_add_f64 v[4:5], v[8:9], v[14:15]
	s_delay_alu instid0(VALU_DEP_1) | instskip(SKIP_1) | instid1(VALU_DEP_2)
	v_div_scale_f64 v[8:9], null, v[4:5], v[4:5], v[12:13]
	v_div_scale_f64 v[18:19], vcc_lo, v[12:13], v[4:5], v[12:13]
	v_rcp_f64_e32 v[14:15], v[8:9]
	s_waitcnt_depctr 0xfff
	v_fma_f64 v[16:17], -v[8:9], v[14:15], 1.0
	s_delay_alu instid0(VALU_DEP_1) | instskip(NEXT) | instid1(VALU_DEP_1)
	v_fma_f64 v[14:15], v[14:15], v[16:17], v[14:15]
	v_fma_f64 v[16:17], -v[8:9], v[14:15], 1.0
	s_delay_alu instid0(VALU_DEP_1) | instskip(NEXT) | instid1(VALU_DEP_1)
	v_fma_f64 v[14:15], v[14:15], v[16:17], v[14:15]
	v_mul_f64 v[16:17], v[18:19], v[14:15]
	s_delay_alu instid0(VALU_DEP_1) | instskip(NEXT) | instid1(VALU_DEP_1)
	v_fma_f64 v[8:9], -v[8:9], v[16:17], v[18:19]
	v_div_fmas_f64 v[8:9], v[8:9], v[14:15], v[16:17]
	v_cmp_neq_f64_e32 vcc_lo, 0, v[4:5]
	s_delay_alu instid0(VALU_DEP_2) | instskip(NEXT) | instid1(VALU_DEP_1)
	v_div_fixup_f64 v[8:9], v[8:9], v[4:5], v[12:13]
	v_cndmask_b32_e32 v5, 0x7ff80000, v9, vcc_lo
	s_delay_alu instid0(VALU_DEP_2)
	v_cndmask_b32_e32 v4, 0, v8, vcc_lo
	global_store_b64 v[0:1], v[4:5], off
.LBB678_21:
	s_or_b32 exec_lo, exec_lo, s0
	v_cmp_ne_u32_e32 vcc_lo, 1, v24
	s_and_b32 exec_lo, exec_lo, vcc_lo
	s_cbranch_execz .LBB678_24
; %bb.22:
	s_and_b32 exec_lo, exec_lo, s2
	s_cbranch_execz .LBB678_24
; %bb.23:
	s_waitcnt lgkmcnt(0)
	v_add_f64 v[2:3], v[2:3], v[6:7]
	s_mov_b32 s7, 0
	s_delay_alu instid0(SALU_CYCLE_1) | instskip(NEXT) | instid1(SALU_CYCLE_1)
	s_lshl_b64 s[0:1], s[6:7], 3
	v_add_co_u32 v0, s0, v0, s0
	s_delay_alu instid0(VALU_DEP_1) | instskip(NEXT) | instid1(VALU_DEP_3)
	v_add_co_ci_u32_e64 v1, s0, s1, v1, s0
	v_div_scale_f64 v[4:5], null, v[2:3], v[2:3], v[10:11]
	v_div_scale_f64 v[12:13], vcc_lo, v[10:11], v[2:3], v[10:11]
	s_delay_alu instid0(VALU_DEP_2) | instskip(SKIP_2) | instid1(VALU_DEP_1)
	v_rcp_f64_e32 v[6:7], v[4:5]
	s_waitcnt_depctr 0xfff
	v_fma_f64 v[8:9], -v[4:5], v[6:7], 1.0
	v_fma_f64 v[6:7], v[6:7], v[8:9], v[6:7]
	s_delay_alu instid0(VALU_DEP_1) | instskip(NEXT) | instid1(VALU_DEP_1)
	v_fma_f64 v[8:9], -v[4:5], v[6:7], 1.0
	v_fma_f64 v[6:7], v[6:7], v[8:9], v[6:7]
	s_delay_alu instid0(VALU_DEP_1) | instskip(NEXT) | instid1(VALU_DEP_1)
	v_mul_f64 v[8:9], v[12:13], v[6:7]
	v_fma_f64 v[4:5], -v[4:5], v[8:9], v[12:13]
	s_delay_alu instid0(VALU_DEP_1) | instskip(SKIP_1) | instid1(VALU_DEP_2)
	v_div_fmas_f64 v[4:5], v[4:5], v[6:7], v[8:9]
	v_cmp_neq_f64_e32 vcc_lo, 0, v[2:3]
	v_div_fixup_f64 v[4:5], v[4:5], v[2:3], v[10:11]
	s_delay_alu instid0(VALU_DEP_1) | instskip(NEXT) | instid1(VALU_DEP_2)
	v_cndmask_b32_e32 v3, 0x7ff80000, v5, vcc_lo
	v_cndmask_b32_e32 v2, 0, v4, vcc_lo
	global_store_b64 v[0:1], v[2:3], off
.LBB678_24:
	s_nop 0
	s_sendmsg sendmsg(MSG_DEALLOC_VGPRS)
	s_endpgm
	.section	.rodata,"a",@progbits
	.p2align	6, 0x0
	.amdhsa_kernel _ZN12_GLOBAL__N_120softmax_warp_forwardIdddLi3ELb0ELb1ELi64EEEvPT0_PKT_iiiPKbib
		.amdhsa_group_segment_fixed_size 0
		.amdhsa_private_segment_fixed_size 0
		.amdhsa_kernarg_size 304
		.amdhsa_user_sgpr_count 15
		.amdhsa_user_sgpr_dispatch_ptr 0
		.amdhsa_user_sgpr_queue_ptr 0
		.amdhsa_user_sgpr_kernarg_segment_ptr 1
		.amdhsa_user_sgpr_dispatch_id 0
		.amdhsa_user_sgpr_private_segment_size 0
		.amdhsa_wavefront_size32 1
		.amdhsa_uses_dynamic_stack 0
		.amdhsa_enable_private_segment 0
		.amdhsa_system_sgpr_workgroup_id_x 1
		.amdhsa_system_sgpr_workgroup_id_y 0
		.amdhsa_system_sgpr_workgroup_id_z 0
		.amdhsa_system_sgpr_workgroup_info 0
		.amdhsa_system_vgpr_workitem_id 1
		.amdhsa_next_free_vgpr 28
		.amdhsa_next_free_sgpr 17
		.amdhsa_reserve_vcc 1
		.amdhsa_float_round_mode_32 0
		.amdhsa_float_round_mode_16_64 0
		.amdhsa_float_denorm_mode_32 3
		.amdhsa_float_denorm_mode_16_64 3
		.amdhsa_dx10_clamp 1
		.amdhsa_ieee_mode 1
		.amdhsa_fp16_overflow 0
		.amdhsa_workgroup_processor_mode 1
		.amdhsa_memory_ordered 1
		.amdhsa_forward_progress 0
		.amdhsa_shared_vgpr_count 0
		.amdhsa_exception_fp_ieee_invalid_op 0
		.amdhsa_exception_fp_denorm_src 0
		.amdhsa_exception_fp_ieee_div_zero 0
		.amdhsa_exception_fp_ieee_overflow 0
		.amdhsa_exception_fp_ieee_underflow 0
		.amdhsa_exception_fp_ieee_inexact 0
		.amdhsa_exception_int_div_zero 0
	.end_amdhsa_kernel
	.section	.text._ZN12_GLOBAL__N_120softmax_warp_forwardIdddLi3ELb0ELb1ELi64EEEvPT0_PKT_iiiPKbib,"axG",@progbits,_ZN12_GLOBAL__N_120softmax_warp_forwardIdddLi3ELb0ELb1ELi64EEEvPT0_PKT_iiiPKbib,comdat
.Lfunc_end678:
	.size	_ZN12_GLOBAL__N_120softmax_warp_forwardIdddLi3ELb0ELb1ELi64EEEvPT0_PKT_iiiPKbib, .Lfunc_end678-_ZN12_GLOBAL__N_120softmax_warp_forwardIdddLi3ELb0ELb1ELi64EEEvPT0_PKT_iiiPKbib
                                        ; -- End function
	.section	.AMDGPU.csdata,"",@progbits
; Kernel info:
; codeLenInByte = 2792
; NumSgprs: 19
; NumVgprs: 28
; ScratchSize: 0
; MemoryBound: 0
; FloatMode: 240
; IeeeMode: 1
; LDSByteSize: 0 bytes/workgroup (compile time only)
; SGPRBlocks: 2
; VGPRBlocks: 3
; NumSGPRsForWavesPerEU: 19
; NumVGPRsForWavesPerEU: 28
; Occupancy: 16
; WaveLimiterHint : 0
; COMPUTE_PGM_RSRC2:SCRATCH_EN: 0
; COMPUTE_PGM_RSRC2:USER_SGPR: 15
; COMPUTE_PGM_RSRC2:TRAP_HANDLER: 0
; COMPUTE_PGM_RSRC2:TGID_X_EN: 1
; COMPUTE_PGM_RSRC2:TGID_Y_EN: 0
; COMPUTE_PGM_RSRC2:TGID_Z_EN: 0
; COMPUTE_PGM_RSRC2:TIDIG_COMP_CNT: 1
	.section	.text._ZN12_GLOBAL__N_120softmax_warp_forwardIdddLi3ELb0ELb1ELi32EEEvPT0_PKT_iiiPKbib,"axG",@progbits,_ZN12_GLOBAL__N_120softmax_warp_forwardIdddLi3ELb0ELb1ELi32EEEvPT0_PKT_iiiPKbib,comdat
	.globl	_ZN12_GLOBAL__N_120softmax_warp_forwardIdddLi3ELb0ELb1ELi32EEEvPT0_PKT_iiiPKbib ; -- Begin function _ZN12_GLOBAL__N_120softmax_warp_forwardIdddLi3ELb0ELb1ELi32EEEvPT0_PKT_iiiPKbib
	.p2align	8
	.type	_ZN12_GLOBAL__N_120softmax_warp_forwardIdddLi3ELb0ELb1ELi32EEEvPT0_PKT_iiiPKbib,@function
_ZN12_GLOBAL__N_120softmax_warp_forwardIdddLi3ELb0ELb1ELi32EEEvPT0_PKT_iiiPKbib: ; @_ZN12_GLOBAL__N_120softmax_warp_forwardIdddLi3ELb0ELb1ELi32EEEvPT0_PKT_iiiPKbib
; %bb.0:
	s_clause 0x2
	s_load_b64 s[2:3], s[0:1], 0x28
	s_load_b32 s8, s[0:1], 0x3c
	s_load_b128 s[4:7], s[0:1], 0x10
	v_bfe_u32 v1, v0, 10, 10
	v_and_b32_e32 v0, 0x3ff, v0
	s_waitcnt lgkmcnt(0)
	s_bitcmp1_b32 s3, 0
	s_cselect_b32 s16, -1, 0
	s_lshr_b32 s7, s8, 16
	s_bitcmp0_b32 s3, 0
	s_mul_i32 s15, s15, s7
	s_delay_alu instid0(SALU_CYCLE_1) | instskip(NEXT) | instid1(VALU_DEP_1)
	v_add_lshl_u32 v1, s15, v1, 1
	v_mul_lo_u32 v6, v1, s5
	s_delay_alu instid0(VALU_DEP_1) | instskip(NEXT) | instid1(VALU_DEP_1)
	v_add_nc_u32_e32 v4, v6, v0
	v_ashrrev_i32_e32 v5, 31, v4
	s_delay_alu instid0(VALU_DEP_1)
	v_dual_mov_b32 v2, v4 :: v_dual_mov_b32 v3, v5
	s_cbranch_scc1 .LBB679_2
; %bb.1:
	s_abs_i32 s3, s2
	v_sub_nc_u32_e32 v7, 0, v6
	v_cvt_f32_u32_e32 v2, s3
	s_sub_i32 s7, 0, s3
	s_delay_alu instid0(VALU_DEP_2) | instskip(NEXT) | instid1(VALU_DEP_2)
	v_max_i32_e32 v7, v6, v7
	v_rcp_iflag_f32_e32 v2, v2
	v_xor_b32_e32 v6, s2, v6
	s_delay_alu instid0(VALU_DEP_1) | instskip(SKIP_2) | instid1(VALU_DEP_1)
	v_ashrrev_i32_e32 v6, 31, v6
	s_waitcnt_depctr 0xfff
	v_mul_f32_e32 v2, 0x4f7ffffe, v2
	v_cvt_u32_f32_e32 v2, v2
	s_delay_alu instid0(VALU_DEP_1) | instskip(NEXT) | instid1(VALU_DEP_1)
	v_mul_lo_u32 v3, s7, v2
	v_mul_hi_u32 v3, v2, v3
	s_delay_alu instid0(VALU_DEP_1) | instskip(NEXT) | instid1(VALU_DEP_1)
	v_add_nc_u32_e32 v2, v2, v3
	v_mul_hi_u32 v2, v7, v2
	s_delay_alu instid0(VALU_DEP_1) | instskip(NEXT) | instid1(VALU_DEP_1)
	v_mul_lo_u32 v3, v2, s3
	v_sub_nc_u32_e32 v3, v7, v3
	v_add_nc_u32_e32 v7, 1, v2
	s_delay_alu instid0(VALU_DEP_2) | instskip(SKIP_1) | instid1(VALU_DEP_2)
	v_subrev_nc_u32_e32 v8, s3, v3
	v_cmp_le_u32_e32 vcc_lo, s3, v3
	v_dual_cndmask_b32 v3, v3, v8 :: v_dual_cndmask_b32 v2, v2, v7
	s_delay_alu instid0(VALU_DEP_1) | instskip(NEXT) | instid1(VALU_DEP_2)
	v_cmp_le_u32_e32 vcc_lo, s3, v3
	v_add_nc_u32_e32 v7, 1, v2
	s_delay_alu instid0(VALU_DEP_1) | instskip(NEXT) | instid1(VALU_DEP_1)
	v_cndmask_b32_e32 v2, v2, v7, vcc_lo
	v_xor_b32_e32 v2, v2, v6
	s_delay_alu instid0(VALU_DEP_1) | instskip(NEXT) | instid1(VALU_DEP_1)
	v_sub_nc_u32_e32 v6, v2, v6
	v_mad_u64_u32 v[2:3], null, v6, s5, v[0:1]
	s_delay_alu instid0(VALU_DEP_1)
	v_ashrrev_i32_e32 v3, 31, v2
.LBB679_2:
	s_load_b128 s[8:11], s[0:1], 0x0
	v_lshlrev_b64 v[4:5], 3, v[4:5]
	v_sub_nc_u32_e32 v24, s4, v1
	v_mov_b32_e32 v6, 0
	v_mov_b32_e32 v7, 0xfff00000
	v_cmp_gt_i32_e64 s2, s6, v0
	s_delay_alu instid0(VALU_DEP_4) | instskip(NEXT) | instid1(VALU_DEP_3)
	v_cmp_lt_i32_e32 vcc_lo, 0, v24
	v_dual_mov_b32 v15, v7 :: v_dual_mov_b32 v14, v6
	s_delay_alu instid0(VALU_DEP_3) | instskip(SKIP_2) | instid1(VALU_DEP_1)
	s_and_b32 s5, s2, vcc_lo
	s_waitcnt lgkmcnt(0)
	v_add_co_u32 v0, s3, s10, v4
	v_add_co_ci_u32_e64 v1, s3, s11, v5, s3
	s_and_saveexec_b32 s3, s5
	s_cbranch_execz .LBB679_4
; %bb.3:
	global_load_b64 v[14:15], v[0:1], off
.LBB679_4:
	s_or_b32 exec_lo, exec_lo, s3
	v_cmp_lt_i32_e64 s3, 1, v24
	s_delay_alu instid0(VALU_DEP_1) | instskip(NEXT) | instid1(SALU_CYCLE_1)
	s_and_b32 s4, s2, s3
	s_and_saveexec_b32 s10, s4
	s_cbranch_execz .LBB679_6
; %bb.5:
	s_mov_b32 s7, 0
	s_delay_alu instid0(SALU_CYCLE_1) | instskip(NEXT) | instid1(SALU_CYCLE_1)
	s_lshl_b64 s[12:13], s[6:7], 3
	v_add_co_u32 v0, s3, v0, s12
	s_delay_alu instid0(VALU_DEP_1)
	v_add_co_ci_u32_e64 v1, s3, s13, v1, s3
	global_load_b64 v[6:7], v[0:1], off
.LBB679_6:
	s_or_b32 exec_lo, exec_lo, s10
	s_load_b64 s[0:1], s[0:1], 0x20
	v_mov_b32_e32 v0, 0
	v_mov_b32_e32 v1, 0xfff00000
	s_waitcnt lgkmcnt(0)
	v_add_co_u32 v8, s0, s0, v2
	s_delay_alu instid0(VALU_DEP_1)
	v_add_co_ci_u32_e64 v9, s0, s1, v3, s0
	s_and_saveexec_b32 s1, s5
	s_cbranch_execz .LBB679_8
; %bb.7:
	global_load_u8 v0, v[8:9], off
	s_waitcnt vmcnt(0)
	v_and_b32_e32 v0, 1, v0
	s_delay_alu instid0(VALU_DEP_1) | instskip(NEXT) | instid1(VALU_DEP_1)
	v_cmp_eq_u32_e64 s0, 1, v0
	v_cndmask_b32_e64 v1, v15, 0xfff00000, s0
	v_cndmask_b32_e64 v0, v14, 0, s0
.LBB679_8:
	s_or_b32 exec_lo, exec_lo, s1
	s_mov_b32 s12, 0
	s_mov_b32 s1, 0
	s_and_saveexec_b32 s3, s4
	s_cbranch_execz .LBB679_10
; %bb.9:
	s_and_b32 s0, s16, exec_lo
	s_cselect_b32 s0, 0, s6
	s_cselect_b32 s1, 0, 0
	v_add_co_u32 v2, s0, v8, s0
	s_delay_alu instid0(VALU_DEP_1) | instskip(SKIP_3) | instid1(VALU_DEP_1)
	v_add_co_ci_u32_e64 v3, s0, s1, v9, s0
	global_load_u8 v2, v[2:3], off
	s_waitcnt vmcnt(0)
	v_and_b32_e32 v2, 1, v2
	v_cmp_eq_u32_e64 s0, 1, v2
	s_delay_alu instid0(VALU_DEP_1) | instskip(NEXT) | instid1(SALU_CYCLE_1)
	s_xor_b32 s0, s0, -1
	s_and_b32 s1, s0, exec_lo
.LBB679_10:
	s_or_b32 exec_lo, exec_lo, s3
	v_mbcnt_lo_u32_b32 v16, -1, 0
	s_mov_b32 s13, s12
	s_mov_b32 s14, s12
	;; [unrolled: 1-line block ×3, first 2 shown]
	s_delay_alu instid0(VALU_DEP_1) | instskip(SKIP_2) | instid1(VALU_DEP_3)
	v_and_b32_e32 v2, 24, v16
	v_xor_b32_e32 v3, 4, v16
	v_xor_b32_e32 v18, 2, v16
	v_add_nc_u32_e32 v17, 8, v2
	s_delay_alu instid0(VALU_DEP_1) | instskip(NEXT) | instid1(VALU_DEP_3)
	v_cmp_lt_i32_e64 s0, v3, v17
	v_cmp_lt_i32_e64 s3, v18, v17
	s_delay_alu instid0(VALU_DEP_2) | instskip(SKIP_2) | instid1(VALU_DEP_3)
	v_cndmask_b32_e64 v2, v16, v3, s0
	s_waitcnt vmcnt(0)
	v_cndmask_b32_e64 v3, 0xfff00000, v7, s1
	v_cndmask_b32_e64 v18, v16, v18, s3
	s_delay_alu instid0(VALU_DEP_3) | instskip(SKIP_1) | instid1(VALU_DEP_3)
	v_lshlrev_b32_e32 v25, 2, v2
	v_cndmask_b32_e64 v2, 0, v6, s1
	v_lshlrev_b32_e32 v26, 2, v18
	v_xor_b32_e32 v18, 1, v16
	ds_bpermute_b32 v10, v25, v0
	ds_bpermute_b32 v11, v25, v1
	;; [unrolled: 1-line block ×4, first 2 shown]
	s_waitcnt lgkmcnt(2)
	v_cmp_lt_f64_e64 s0, v[0:1], v[10:11]
	s_waitcnt lgkmcnt(0)
	v_cmp_lt_f64_e64 s1, v[2:3], v[12:13]
	s_delay_alu instid0(VALU_DEP_2) | instskip(SKIP_1) | instid1(VALU_DEP_3)
	v_cndmask_b32_e64 v1, v1, v11, s0
	v_cndmask_b32_e64 v0, v0, v10, s0
	;; [unrolled: 1-line block ×4, first 2 shown]
	ds_bpermute_b32 v11, v26, v1
	ds_bpermute_b32 v10, v26, v0
	;; [unrolled: 1-line block ×4, first 2 shown]
	s_waitcnt lgkmcnt(2)
	v_cmp_lt_f64_e64 s0, v[0:1], v[10:11]
	s_waitcnt lgkmcnt(0)
	v_cmp_lt_f64_e64 s1, v[2:3], v[12:13]
	s_delay_alu instid0(VALU_DEP_2)
	v_cndmask_b32_e64 v21, v1, v11, s0
	v_cndmask_b32_e64 v20, v0, v10, s0
	v_mov_b32_e32 v10, 0
	v_cmp_lt_i32_e64 s3, v18, v17
	v_cndmask_b32_e64 v17, v3, v13, s1
	v_mov_b32_e32 v11, 0
	s_delay_alu instid0(VALU_DEP_3) | instskip(NEXT) | instid1(VALU_DEP_1)
	v_cndmask_b32_e64 v16, v16, v18, s3
	v_lshlrev_b32_e32 v27, 2, v16
	v_cndmask_b32_e64 v16, v2, v12, s1
	v_mov_b32_e32 v0, s12
	v_dual_mov_b32 v2, s14 :: v_dual_mov_b32 v13, v11
	ds_bpermute_b32 v23, v27, v21
	ds_bpermute_b32 v22, v27, v20
	;; [unrolled: 1-line block ×4, first 2 shown]
	v_mov_b32_e32 v1, s13
	v_dual_mov_b32 v3, s15 :: v_dual_mov_b32 v12, v10
	s_and_saveexec_b32 s3, s5
	s_cbranch_execz .LBB679_14
; %bb.11:
	global_load_u8 v0, v[8:9], off
	s_mov_b32 s13, s12
	s_mov_b32 s14, s12
	;; [unrolled: 1-line block ×3, first 2 shown]
	v_mov_b32_e32 v12, 0
	s_waitcnt vmcnt(0)
	v_dual_mov_b32 v13, 0 :: v_dual_and_b32 v0, 1, v0
	s_delay_alu instid0(VALU_DEP_1) | instskip(SKIP_2) | instid1(VALU_DEP_3)
	v_cmp_eq_u32_e64 s0, 1, v0
	v_dual_mov_b32 v0, s12 :: v_dual_mov_b32 v3, s15
	v_dual_mov_b32 v1, s13 :: v_dual_mov_b32 v2, s14
	s_xor_b32 s0, s0, -1
	s_delay_alu instid0(SALU_CYCLE_1)
	s_and_saveexec_b32 s5, s0
	s_cbranch_execz .LBB679_13
; %bb.12:
	s_waitcnt lgkmcnt(2)
	v_cmp_lt_f64_e64 s0, v[20:21], v[22:23]
	s_mov_b32 s10, 0x6a5dcb37
	s_mov_b32 s11, 0x3e5ade15
	s_delay_alu instid0(VALU_DEP_1) | instskip(SKIP_3) | instid1(VALU_DEP_1)
	v_cndmask_b32_e64 v1, v21, v23, s0
	v_cndmask_b32_e64 v0, v20, v22, s0
	s_mov_b32 s0, 0x652b82fe
	s_mov_b32 s1, 0x3ff71547
	v_add_f64 v[0:1], v[14:15], -v[0:1]
	s_delay_alu instid0(VALU_DEP_1) | instskip(SKIP_2) | instid1(VALU_DEP_1)
	v_mul_f64 v[2:3], v[0:1], s[0:1]
	s_mov_b32 s0, 0xfefa39ef
	s_mov_b32 s1, 0xbfe62e42
	v_rndne_f64_e32 v[2:3], v[2:3]
	s_delay_alu instid0(VALU_DEP_1) | instskip(SKIP_3) | instid1(VALU_DEP_2)
	v_fma_f64 v[12:13], v[2:3], s[0:1], v[0:1]
	s_mov_b32 s0, 0x3b39803f
	s_mov_b32 s1, 0xbc7abc9e
	v_cvt_i32_f64_e32 v20, v[2:3]
	v_fma_f64 v[12:13], v[2:3], s[0:1], v[12:13]
	s_mov_b32 s0, 0xfca7ab0c
	s_mov_b32 s1, 0x3e928af3
	s_delay_alu instid0(VALU_DEP_1) | instid1(SALU_CYCLE_1)
	v_fma_f64 v[14:15], v[12:13], s[10:11], s[0:1]
	s_mov_b32 s0, 0x623fde64
	s_mov_b32 s1, 0x3ec71dee
	s_delay_alu instid0(VALU_DEP_1) | instid1(SALU_CYCLE_1)
	;; [unrolled: 4-line block ×9, first 2 shown]
	v_fma_f64 v[14:15], v[12:13], v[14:15], s[0:1]
	v_cmp_nlt_f64_e64 s0, 0x40900000, v[0:1]
	v_cmp_ngt_f64_e64 s1, 0xc090cc00, v[0:1]
	s_delay_alu instid0(VALU_DEP_3) | instskip(NEXT) | instid1(VALU_DEP_1)
	v_fma_f64 v[14:15], v[12:13], v[14:15], 1.0
	v_fma_f64 v[2:3], v[12:13], v[14:15], 1.0
	s_delay_alu instid0(VALU_DEP_1) | instskip(NEXT) | instid1(VALU_DEP_1)
	v_ldexp_f64 v[2:3], v[2:3], v20
	v_cndmask_b32_e64 v3, 0x7ff00000, v3, s0
	s_and_b32 s0, s1, s0
	s_delay_alu instid0(VALU_DEP_2) | instid1(SALU_CYCLE_1)
	v_cndmask_b32_e64 v12, 0, v2, s0
	v_mov_b32_e32 v2, 0
	s_delay_alu instid0(VALU_DEP_3) | instskip(NEXT) | instid1(VALU_DEP_2)
	v_cndmask_b32_e64 v13, 0, v3, s1
	v_mov_b32_e32 v3, v2
	s_delay_alu instid0(VALU_DEP_2)
	v_add_f64 v[0:1], v[12:13], 0
.LBB679_13:
	s_or_b32 exec_lo, exec_lo, s5
.LBB679_14:
	s_delay_alu instid0(SALU_CYCLE_1)
	s_or_b32 exec_lo, exec_lo, s3
	s_and_saveexec_b32 s3, s4
	s_cbranch_execz .LBB679_18
; %bb.15:
	s_and_b32 s0, s16, exec_lo
	s_cselect_b32 s0, 0, s6
	s_cselect_b32 s1, 0, 0
	v_add_co_u32 v8, s0, v8, s0
	s_delay_alu instid0(VALU_DEP_1)
	v_add_co_ci_u32_e64 v9, s0, s1, v9, s0
	v_mov_b32_e32 v10, 0
	v_mov_b32_e32 v11, 0
	global_load_u8 v8, v[8:9], off
	s_waitcnt vmcnt(0)
	v_and_b32_e32 v8, 1, v8
	s_delay_alu instid0(VALU_DEP_1) | instskip(NEXT) | instid1(VALU_DEP_1)
	v_cmp_eq_u32_e64 s0, 1, v8
	s_xor_b32 s0, s0, -1
	s_delay_alu instid0(SALU_CYCLE_1)
	s_and_saveexec_b32 s4, s0
	s_cbranch_execz .LBB679_17
; %bb.16:
	s_waitcnt lgkmcnt(0)
	v_cmp_lt_f64_e64 s0, v[16:17], v[18:19]
	s_mov_b32 s10, 0x6a5dcb37
	s_mov_b32 s11, 0x3e5ade15
	s_delay_alu instid0(VALU_DEP_1) | instskip(SKIP_3) | instid1(VALU_DEP_1)
	v_cndmask_b32_e64 v9, v17, v19, s0
	v_cndmask_b32_e64 v8, v16, v18, s0
	s_mov_b32 s0, 0x652b82fe
	s_mov_b32 s1, 0x3ff71547
	v_add_f64 v[6:7], v[6:7], -v[8:9]
	s_delay_alu instid0(VALU_DEP_1) | instskip(SKIP_2) | instid1(VALU_DEP_1)
	v_mul_f64 v[8:9], v[6:7], s[0:1]
	s_mov_b32 s0, 0xfefa39ef
	s_mov_b32 s1, 0xbfe62e42
	v_rndne_f64_e32 v[8:9], v[8:9]
	s_delay_alu instid0(VALU_DEP_1) | instskip(SKIP_3) | instid1(VALU_DEP_2)
	v_fma_f64 v[10:11], v[8:9], s[0:1], v[6:7]
	s_mov_b32 s0, 0x3b39803f
	s_mov_b32 s1, 0xbc7abc9e
	v_cvt_i32_f64_e32 v16, v[8:9]
	v_fma_f64 v[10:11], v[8:9], s[0:1], v[10:11]
	s_mov_b32 s0, 0xfca7ab0c
	s_mov_b32 s1, 0x3e928af3
	s_delay_alu instid0(VALU_DEP_1) | instid1(SALU_CYCLE_1)
	v_fma_f64 v[14:15], v[10:11], s[10:11], s[0:1]
	s_mov_b32 s0, 0x623fde64
	s_mov_b32 s1, 0x3ec71dee
	s_delay_alu instid0(VALU_DEP_1) | instid1(SALU_CYCLE_1)
	;; [unrolled: 4-line block ×9, first 2 shown]
	v_fma_f64 v[14:15], v[10:11], v[14:15], s[0:1]
	v_cmp_nlt_f64_e64 s0, 0x40900000, v[6:7]
	v_cmp_ngt_f64_e64 s1, 0xc090cc00, v[6:7]
	s_delay_alu instid0(VALU_DEP_3) | instskip(NEXT) | instid1(VALU_DEP_1)
	v_fma_f64 v[14:15], v[10:11], v[14:15], 1.0
	v_fma_f64 v[8:9], v[10:11], v[14:15], 1.0
	s_delay_alu instid0(VALU_DEP_1) | instskip(NEXT) | instid1(VALU_DEP_1)
	v_ldexp_f64 v[8:9], v[8:9], v16
	v_cndmask_b32_e64 v9, 0x7ff00000, v9, s0
	s_and_b32 s0, s1, s0
	s_delay_alu instid0(VALU_DEP_2) | instid1(SALU_CYCLE_1)
	v_cndmask_b32_e64 v10, 0, v8, s0
	s_delay_alu instid0(VALU_DEP_2) | instskip(NEXT) | instid1(VALU_DEP_1)
	v_cndmask_b32_e64 v11, 0, v9, s1
	v_add_f64 v[2:3], v[2:3], v[10:11]
.LBB679_17:
	s_or_b32 exec_lo, exec_lo, s4
.LBB679_18:
	s_delay_alu instid0(SALU_CYCLE_1)
	s_or_b32 exec_lo, exec_lo, s3
	ds_bpermute_b32 v6, v25, v0
	ds_bpermute_b32 v7, v25, v1
	;; [unrolled: 1-line block ×4, first 2 shown]
	s_waitcnt lgkmcnt(2)
	v_add_f64 v[0:1], v[0:1], v[6:7]
	s_waitcnt lgkmcnt(0)
	v_add_f64 v[2:3], v[2:3], v[8:9]
	ds_bpermute_b32 v6, v26, v0
	ds_bpermute_b32 v7, v26, v1
	;; [unrolled: 1-line block ×4, first 2 shown]
	s_waitcnt lgkmcnt(2)
	v_add_f64 v[8:9], v[0:1], v[6:7]
	s_waitcnt lgkmcnt(0)
	v_add_f64 v[2:3], v[2:3], v[14:15]
	ds_bpermute_b32 v14, v27, v8
	ds_bpermute_b32 v15, v27, v9
	;; [unrolled: 1-line block ×4, first 2 shown]
	s_and_saveexec_b32 s0, vcc_lo
	s_cbranch_execz .LBB679_24
; %bb.19:
	v_add_co_u32 v0, vcc_lo, s8, v4
	v_add_co_ci_u32_e32 v1, vcc_lo, s9, v5, vcc_lo
	s_and_saveexec_b32 s0, s2
	s_cbranch_execz .LBB679_21
; %bb.20:
	s_waitcnt lgkmcnt(2)
	v_add_f64 v[4:5], v[8:9], v[14:15]
	s_delay_alu instid0(VALU_DEP_1) | instskip(SKIP_1) | instid1(VALU_DEP_2)
	v_div_scale_f64 v[8:9], null, v[4:5], v[4:5], v[12:13]
	v_div_scale_f64 v[18:19], vcc_lo, v[12:13], v[4:5], v[12:13]
	v_rcp_f64_e32 v[14:15], v[8:9]
	s_waitcnt_depctr 0xfff
	v_fma_f64 v[16:17], -v[8:9], v[14:15], 1.0
	s_delay_alu instid0(VALU_DEP_1) | instskip(NEXT) | instid1(VALU_DEP_1)
	v_fma_f64 v[14:15], v[14:15], v[16:17], v[14:15]
	v_fma_f64 v[16:17], -v[8:9], v[14:15], 1.0
	s_delay_alu instid0(VALU_DEP_1) | instskip(NEXT) | instid1(VALU_DEP_1)
	v_fma_f64 v[14:15], v[14:15], v[16:17], v[14:15]
	v_mul_f64 v[16:17], v[18:19], v[14:15]
	s_delay_alu instid0(VALU_DEP_1) | instskip(NEXT) | instid1(VALU_DEP_1)
	v_fma_f64 v[8:9], -v[8:9], v[16:17], v[18:19]
	v_div_fmas_f64 v[8:9], v[8:9], v[14:15], v[16:17]
	v_cmp_neq_f64_e32 vcc_lo, 0, v[4:5]
	s_delay_alu instid0(VALU_DEP_2) | instskip(NEXT) | instid1(VALU_DEP_1)
	v_div_fixup_f64 v[8:9], v[8:9], v[4:5], v[12:13]
	v_cndmask_b32_e32 v5, 0x7ff80000, v9, vcc_lo
	s_delay_alu instid0(VALU_DEP_2)
	v_cndmask_b32_e32 v4, 0, v8, vcc_lo
	global_store_b64 v[0:1], v[4:5], off
.LBB679_21:
	s_or_b32 exec_lo, exec_lo, s0
	v_cmp_ne_u32_e32 vcc_lo, 1, v24
	s_and_b32 exec_lo, exec_lo, vcc_lo
	s_cbranch_execz .LBB679_24
; %bb.22:
	s_and_b32 exec_lo, exec_lo, s2
	s_cbranch_execz .LBB679_24
; %bb.23:
	s_waitcnt lgkmcnt(0)
	v_add_f64 v[2:3], v[2:3], v[6:7]
	s_mov_b32 s7, 0
	s_delay_alu instid0(SALU_CYCLE_1) | instskip(NEXT) | instid1(SALU_CYCLE_1)
	s_lshl_b64 s[0:1], s[6:7], 3
	v_add_co_u32 v0, s0, v0, s0
	s_delay_alu instid0(VALU_DEP_1) | instskip(NEXT) | instid1(VALU_DEP_3)
	v_add_co_ci_u32_e64 v1, s0, s1, v1, s0
	v_div_scale_f64 v[4:5], null, v[2:3], v[2:3], v[10:11]
	v_div_scale_f64 v[12:13], vcc_lo, v[10:11], v[2:3], v[10:11]
	s_delay_alu instid0(VALU_DEP_2) | instskip(SKIP_2) | instid1(VALU_DEP_1)
	v_rcp_f64_e32 v[6:7], v[4:5]
	s_waitcnt_depctr 0xfff
	v_fma_f64 v[8:9], -v[4:5], v[6:7], 1.0
	v_fma_f64 v[6:7], v[6:7], v[8:9], v[6:7]
	s_delay_alu instid0(VALU_DEP_1) | instskip(NEXT) | instid1(VALU_DEP_1)
	v_fma_f64 v[8:9], -v[4:5], v[6:7], 1.0
	v_fma_f64 v[6:7], v[6:7], v[8:9], v[6:7]
	s_delay_alu instid0(VALU_DEP_1) | instskip(NEXT) | instid1(VALU_DEP_1)
	v_mul_f64 v[8:9], v[12:13], v[6:7]
	v_fma_f64 v[4:5], -v[4:5], v[8:9], v[12:13]
	s_delay_alu instid0(VALU_DEP_1) | instskip(SKIP_1) | instid1(VALU_DEP_2)
	v_div_fmas_f64 v[4:5], v[4:5], v[6:7], v[8:9]
	v_cmp_neq_f64_e32 vcc_lo, 0, v[2:3]
	v_div_fixup_f64 v[4:5], v[4:5], v[2:3], v[10:11]
	s_delay_alu instid0(VALU_DEP_1) | instskip(NEXT) | instid1(VALU_DEP_2)
	v_cndmask_b32_e32 v3, 0x7ff80000, v5, vcc_lo
	v_cndmask_b32_e32 v2, 0, v4, vcc_lo
	global_store_b64 v[0:1], v[2:3], off
.LBB679_24:
	s_nop 0
	s_sendmsg sendmsg(MSG_DEALLOC_VGPRS)
	s_endpgm
	.section	.rodata,"a",@progbits
	.p2align	6, 0x0
	.amdhsa_kernel _ZN12_GLOBAL__N_120softmax_warp_forwardIdddLi3ELb0ELb1ELi32EEEvPT0_PKT_iiiPKbib
		.amdhsa_group_segment_fixed_size 0
		.amdhsa_private_segment_fixed_size 0
		.amdhsa_kernarg_size 304
		.amdhsa_user_sgpr_count 15
		.amdhsa_user_sgpr_dispatch_ptr 0
		.amdhsa_user_sgpr_queue_ptr 0
		.amdhsa_user_sgpr_kernarg_segment_ptr 1
		.amdhsa_user_sgpr_dispatch_id 0
		.amdhsa_user_sgpr_private_segment_size 0
		.amdhsa_wavefront_size32 1
		.amdhsa_uses_dynamic_stack 0
		.amdhsa_enable_private_segment 0
		.amdhsa_system_sgpr_workgroup_id_x 1
		.amdhsa_system_sgpr_workgroup_id_y 0
		.amdhsa_system_sgpr_workgroup_id_z 0
		.amdhsa_system_sgpr_workgroup_info 0
		.amdhsa_system_vgpr_workitem_id 1
		.amdhsa_next_free_vgpr 28
		.amdhsa_next_free_sgpr 17
		.amdhsa_reserve_vcc 1
		.amdhsa_float_round_mode_32 0
		.amdhsa_float_round_mode_16_64 0
		.amdhsa_float_denorm_mode_32 3
		.amdhsa_float_denorm_mode_16_64 3
		.amdhsa_dx10_clamp 1
		.amdhsa_ieee_mode 1
		.amdhsa_fp16_overflow 0
		.amdhsa_workgroup_processor_mode 1
		.amdhsa_memory_ordered 1
		.amdhsa_forward_progress 0
		.amdhsa_shared_vgpr_count 0
		.amdhsa_exception_fp_ieee_invalid_op 0
		.amdhsa_exception_fp_denorm_src 0
		.amdhsa_exception_fp_ieee_div_zero 0
		.amdhsa_exception_fp_ieee_overflow 0
		.amdhsa_exception_fp_ieee_underflow 0
		.amdhsa_exception_fp_ieee_inexact 0
		.amdhsa_exception_int_div_zero 0
	.end_amdhsa_kernel
	.section	.text._ZN12_GLOBAL__N_120softmax_warp_forwardIdddLi3ELb0ELb1ELi32EEEvPT0_PKT_iiiPKbib,"axG",@progbits,_ZN12_GLOBAL__N_120softmax_warp_forwardIdddLi3ELb0ELb1ELi32EEEvPT0_PKT_iiiPKbib,comdat
.Lfunc_end679:
	.size	_ZN12_GLOBAL__N_120softmax_warp_forwardIdddLi3ELb0ELb1ELi32EEEvPT0_PKT_iiiPKbib, .Lfunc_end679-_ZN12_GLOBAL__N_120softmax_warp_forwardIdddLi3ELb0ELb1ELi32EEEvPT0_PKT_iiiPKbib
                                        ; -- End function
	.section	.AMDGPU.csdata,"",@progbits
; Kernel info:
; codeLenInByte = 2792
; NumSgprs: 19
; NumVgprs: 28
; ScratchSize: 0
; MemoryBound: 0
; FloatMode: 240
; IeeeMode: 1
; LDSByteSize: 0 bytes/workgroup (compile time only)
; SGPRBlocks: 2
; VGPRBlocks: 3
; NumSGPRsForWavesPerEU: 19
; NumVGPRsForWavesPerEU: 28
; Occupancy: 16
; WaveLimiterHint : 0
; COMPUTE_PGM_RSRC2:SCRATCH_EN: 0
; COMPUTE_PGM_RSRC2:USER_SGPR: 15
; COMPUTE_PGM_RSRC2:TRAP_HANDLER: 0
; COMPUTE_PGM_RSRC2:TGID_X_EN: 1
; COMPUTE_PGM_RSRC2:TGID_Y_EN: 0
; COMPUTE_PGM_RSRC2:TGID_Z_EN: 0
; COMPUTE_PGM_RSRC2:TIDIG_COMP_CNT: 1
	.section	.text._ZN12_GLOBAL__N_120softmax_warp_forwardIdddLi4ELb0ELb1ELi64EEEvPT0_PKT_iiiPKbib,"axG",@progbits,_ZN12_GLOBAL__N_120softmax_warp_forwardIdddLi4ELb0ELb1ELi64EEEvPT0_PKT_iiiPKbib,comdat
	.globl	_ZN12_GLOBAL__N_120softmax_warp_forwardIdddLi4ELb0ELb1ELi64EEEvPT0_PKT_iiiPKbib ; -- Begin function _ZN12_GLOBAL__N_120softmax_warp_forwardIdddLi4ELb0ELb1ELi64EEEvPT0_PKT_iiiPKbib
	.p2align	8
	.type	_ZN12_GLOBAL__N_120softmax_warp_forwardIdddLi4ELb0ELb1ELi64EEEvPT0_PKT_iiiPKbib,@function
_ZN12_GLOBAL__N_120softmax_warp_forwardIdddLi4ELb0ELb1ELi64EEEvPT0_PKT_iiiPKbib: ; @_ZN12_GLOBAL__N_120softmax_warp_forwardIdddLi4ELb0ELb1ELi64EEEvPT0_PKT_iiiPKbib
; %bb.0:
	s_clause 0x2
	s_load_b64 s[2:3], s[0:1], 0x28
	s_load_b32 s8, s[0:1], 0x3c
	s_load_b128 s[4:7], s[0:1], 0x10
	v_bfe_u32 v1, v0, 10, 10
	v_and_b32_e32 v0, 0x3ff, v0
	s_waitcnt lgkmcnt(0)
	s_bitcmp1_b32 s3, 0
	s_cselect_b32 s16, -1, 0
	s_lshr_b32 s7, s8, 16
	s_bitcmp0_b32 s3, 0
	s_mul_i32 s15, s15, s7
	s_delay_alu instid0(SALU_CYCLE_1) | instskip(NEXT) | instid1(VALU_DEP_1)
	v_add_lshl_u32 v1, s15, v1, 1
	v_mul_lo_u32 v6, v1, s5
	s_delay_alu instid0(VALU_DEP_1) | instskip(NEXT) | instid1(VALU_DEP_1)
	v_add_nc_u32_e32 v4, v6, v0
	v_ashrrev_i32_e32 v5, 31, v4
	s_delay_alu instid0(VALU_DEP_1)
	v_dual_mov_b32 v2, v4 :: v_dual_mov_b32 v3, v5
	s_cbranch_scc1 .LBB680_2
; %bb.1:
	s_abs_i32 s3, s2
	v_sub_nc_u32_e32 v7, 0, v6
	v_cvt_f32_u32_e32 v2, s3
	s_sub_i32 s7, 0, s3
	s_delay_alu instid0(VALU_DEP_2) | instskip(NEXT) | instid1(VALU_DEP_2)
	v_max_i32_e32 v7, v6, v7
	v_rcp_iflag_f32_e32 v2, v2
	v_xor_b32_e32 v6, s2, v6
	s_delay_alu instid0(VALU_DEP_1) | instskip(SKIP_2) | instid1(VALU_DEP_1)
	v_ashrrev_i32_e32 v6, 31, v6
	s_waitcnt_depctr 0xfff
	v_mul_f32_e32 v2, 0x4f7ffffe, v2
	v_cvt_u32_f32_e32 v2, v2
	s_delay_alu instid0(VALU_DEP_1) | instskip(NEXT) | instid1(VALU_DEP_1)
	v_mul_lo_u32 v3, s7, v2
	v_mul_hi_u32 v3, v2, v3
	s_delay_alu instid0(VALU_DEP_1) | instskip(NEXT) | instid1(VALU_DEP_1)
	v_add_nc_u32_e32 v2, v2, v3
	v_mul_hi_u32 v2, v7, v2
	s_delay_alu instid0(VALU_DEP_1) | instskip(NEXT) | instid1(VALU_DEP_1)
	v_mul_lo_u32 v3, v2, s3
	v_sub_nc_u32_e32 v3, v7, v3
	v_add_nc_u32_e32 v7, 1, v2
	s_delay_alu instid0(VALU_DEP_2) | instskip(SKIP_1) | instid1(VALU_DEP_2)
	v_subrev_nc_u32_e32 v8, s3, v3
	v_cmp_le_u32_e32 vcc_lo, s3, v3
	v_dual_cndmask_b32 v3, v3, v8 :: v_dual_cndmask_b32 v2, v2, v7
	s_delay_alu instid0(VALU_DEP_1) | instskip(NEXT) | instid1(VALU_DEP_2)
	v_cmp_le_u32_e32 vcc_lo, s3, v3
	v_add_nc_u32_e32 v7, 1, v2
	s_delay_alu instid0(VALU_DEP_1) | instskip(NEXT) | instid1(VALU_DEP_1)
	v_cndmask_b32_e32 v2, v2, v7, vcc_lo
	v_xor_b32_e32 v2, v2, v6
	s_delay_alu instid0(VALU_DEP_1) | instskip(NEXT) | instid1(VALU_DEP_1)
	v_sub_nc_u32_e32 v6, v2, v6
	v_mad_u64_u32 v[2:3], null, v6, s5, v[0:1]
	s_delay_alu instid0(VALU_DEP_1)
	v_ashrrev_i32_e32 v3, 31, v2
.LBB680_2:
	s_load_b128 s[8:11], s[0:1], 0x0
	v_lshlrev_b64 v[4:5], 3, v[4:5]
	v_sub_nc_u32_e32 v24, s4, v1
	v_mov_b32_e32 v6, 0
	v_mov_b32_e32 v7, 0xfff00000
	v_cmp_gt_i32_e64 s2, s6, v0
	s_delay_alu instid0(VALU_DEP_4) | instskip(NEXT) | instid1(VALU_DEP_3)
	v_cmp_lt_i32_e32 vcc_lo, 0, v24
	v_dual_mov_b32 v15, v7 :: v_dual_mov_b32 v14, v6
	s_delay_alu instid0(VALU_DEP_3) | instskip(SKIP_2) | instid1(VALU_DEP_1)
	s_and_b32 s5, s2, vcc_lo
	s_waitcnt lgkmcnt(0)
	v_add_co_u32 v0, s3, s10, v4
	v_add_co_ci_u32_e64 v1, s3, s11, v5, s3
	s_and_saveexec_b32 s3, s5
	s_cbranch_execz .LBB680_4
; %bb.3:
	global_load_b64 v[14:15], v[0:1], off
.LBB680_4:
	s_or_b32 exec_lo, exec_lo, s3
	v_cmp_lt_i32_e64 s3, 1, v24
	s_delay_alu instid0(VALU_DEP_1) | instskip(NEXT) | instid1(SALU_CYCLE_1)
	s_and_b32 s4, s2, s3
	s_and_saveexec_b32 s10, s4
	s_cbranch_execz .LBB680_6
; %bb.5:
	s_mov_b32 s7, 0
	s_delay_alu instid0(SALU_CYCLE_1) | instskip(NEXT) | instid1(SALU_CYCLE_1)
	s_lshl_b64 s[12:13], s[6:7], 3
	v_add_co_u32 v0, s3, v0, s12
	s_delay_alu instid0(VALU_DEP_1)
	v_add_co_ci_u32_e64 v1, s3, s13, v1, s3
	global_load_b64 v[6:7], v[0:1], off
.LBB680_6:
	s_or_b32 exec_lo, exec_lo, s10
	s_load_b64 s[0:1], s[0:1], 0x20
	v_mov_b32_e32 v0, 0
	v_mov_b32_e32 v1, 0xfff00000
	s_waitcnt lgkmcnt(0)
	v_add_co_u32 v8, s0, s0, v2
	s_delay_alu instid0(VALU_DEP_1)
	v_add_co_ci_u32_e64 v9, s0, s1, v3, s0
	s_and_saveexec_b32 s1, s5
	s_cbranch_execz .LBB680_8
; %bb.7:
	global_load_u8 v0, v[8:9], off
	s_waitcnt vmcnt(0)
	v_and_b32_e32 v0, 1, v0
	s_delay_alu instid0(VALU_DEP_1) | instskip(NEXT) | instid1(VALU_DEP_1)
	v_cmp_eq_u32_e64 s0, 1, v0
	v_cndmask_b32_e64 v1, v15, 0xfff00000, s0
	v_cndmask_b32_e64 v0, v14, 0, s0
.LBB680_8:
	s_or_b32 exec_lo, exec_lo, s1
	s_mov_b32 s12, 0
	s_mov_b32 s1, 0
	s_and_saveexec_b32 s3, s4
	s_cbranch_execz .LBB680_10
; %bb.9:
	s_and_b32 s0, s16, exec_lo
	s_cselect_b32 s0, 0, s6
	s_cselect_b32 s1, 0, 0
	v_add_co_u32 v2, s0, v8, s0
	s_delay_alu instid0(VALU_DEP_1) | instskip(SKIP_3) | instid1(VALU_DEP_1)
	v_add_co_ci_u32_e64 v3, s0, s1, v9, s0
	global_load_u8 v2, v[2:3], off
	s_waitcnt vmcnt(0)
	v_and_b32_e32 v2, 1, v2
	v_cmp_eq_u32_e64 s0, 1, v2
	s_delay_alu instid0(VALU_DEP_1) | instskip(NEXT) | instid1(SALU_CYCLE_1)
	s_xor_b32 s0, s0, -1
	s_and_b32 s1, s0, exec_lo
.LBB680_10:
	s_or_b32 exec_lo, exec_lo, s3
	v_mbcnt_lo_u32_b32 v16, -1, 0
	s_mov_b32 s13, s12
	s_mov_b32 s14, s12
	;; [unrolled: 1-line block ×3, first 2 shown]
	s_delay_alu instid0(VALU_DEP_1) | instskip(SKIP_2) | instid1(VALU_DEP_3)
	v_and_b32_e32 v2, 16, v16
	v_xor_b32_e32 v3, 8, v16
	v_xor_b32_e32 v18, 4, v16
	v_add_nc_u32_e32 v17, 16, v2
	s_delay_alu instid0(VALU_DEP_1) | instskip(NEXT) | instid1(VALU_DEP_3)
	v_cmp_lt_i32_e64 s0, v3, v17
	v_cmp_lt_i32_e64 s3, v18, v17
	s_delay_alu instid0(VALU_DEP_2) | instskip(SKIP_2) | instid1(VALU_DEP_3)
	v_cndmask_b32_e64 v2, v16, v3, s0
	s_waitcnt vmcnt(0)
	v_cndmask_b32_e64 v3, 0xfff00000, v7, s1
	v_cndmask_b32_e64 v18, v16, v18, s3
	s_delay_alu instid0(VALU_DEP_3) | instskip(SKIP_1) | instid1(VALU_DEP_3)
	v_lshlrev_b32_e32 v25, 2, v2
	v_cndmask_b32_e64 v2, 0, v6, s1
	v_lshlrev_b32_e32 v26, 2, v18
	v_xor_b32_e32 v18, 2, v16
	ds_bpermute_b32 v10, v25, v0
	ds_bpermute_b32 v11, v25, v1
	;; [unrolled: 1-line block ×4, first 2 shown]
	v_cmp_lt_i32_e64 s3, v18, v17
	s_delay_alu instid0(VALU_DEP_1) | instskip(NEXT) | instid1(VALU_DEP_1)
	v_cndmask_b32_e64 v18, v16, v18, s3
	v_lshlrev_b32_e32 v27, 2, v18
	v_xor_b32_e32 v18, 1, v16
	s_waitcnt lgkmcnt(2)
	v_cmp_lt_f64_e64 s0, v[0:1], v[10:11]
	s_waitcnt lgkmcnt(0)
	v_cmp_lt_f64_e64 s1, v[2:3], v[12:13]
	s_delay_alu instid0(VALU_DEP_2) | instskip(SKIP_1) | instid1(VALU_DEP_3)
	v_cndmask_b32_e64 v1, v1, v11, s0
	v_cndmask_b32_e64 v0, v0, v10, s0
	;; [unrolled: 1-line block ×4, first 2 shown]
	ds_bpermute_b32 v11, v26, v1
	ds_bpermute_b32 v10, v26, v0
	;; [unrolled: 1-line block ×4, first 2 shown]
	s_waitcnt lgkmcnt(2)
	v_cmp_lt_f64_e64 s0, v[0:1], v[10:11]
	s_waitcnt lgkmcnt(0)
	v_cmp_lt_f64_e64 s1, v[2:3], v[12:13]
	s_delay_alu instid0(VALU_DEP_2) | instskip(SKIP_1) | instid1(VALU_DEP_3)
	v_cndmask_b32_e64 v1, v1, v11, s0
	v_cndmask_b32_e64 v0, v0, v10, s0
	;; [unrolled: 1-line block ×4, first 2 shown]
	ds_bpermute_b32 v11, v27, v1
	ds_bpermute_b32 v10, v27, v0
	ds_bpermute_b32 v13, v27, v3
	ds_bpermute_b32 v12, v27, v2
	s_waitcnt lgkmcnt(2)
	v_cmp_lt_f64_e64 s0, v[0:1], v[10:11]
	s_waitcnt lgkmcnt(0)
	v_cmp_lt_f64_e64 s1, v[2:3], v[12:13]
	s_delay_alu instid0(VALU_DEP_2)
	v_cndmask_b32_e64 v21, v1, v11, s0
	v_cndmask_b32_e64 v20, v0, v10, s0
	v_mov_b32_e32 v10, 0
	v_cmp_lt_i32_e64 s3, v18, v17
	v_cndmask_b32_e64 v17, v3, v13, s1
	v_mov_b32_e32 v11, 0
	s_delay_alu instid0(VALU_DEP_3) | instskip(NEXT) | instid1(VALU_DEP_1)
	v_cndmask_b32_e64 v16, v16, v18, s3
	v_lshlrev_b32_e32 v28, 2, v16
	v_cndmask_b32_e64 v16, v2, v12, s1
	v_dual_mov_b32 v0, s12 :: v_dual_mov_b32 v3, s15
	v_mov_b32_e32 v1, s13
	ds_bpermute_b32 v23, v28, v21
	ds_bpermute_b32 v22, v28, v20
	;; [unrolled: 1-line block ×4, first 2 shown]
	v_dual_mov_b32 v2, s14 :: v_dual_mov_b32 v13, v11
	v_mov_b32_e32 v12, v10
	s_and_saveexec_b32 s3, s5
	s_cbranch_execz .LBB680_14
; %bb.11:
	global_load_u8 v0, v[8:9], off
	s_mov_b32 s13, s12
	s_mov_b32 s14, s12
	;; [unrolled: 1-line block ×3, first 2 shown]
	v_mov_b32_e32 v12, 0
	s_waitcnt vmcnt(0)
	v_dual_mov_b32 v13, 0 :: v_dual_and_b32 v0, 1, v0
	s_delay_alu instid0(VALU_DEP_1) | instskip(SKIP_2) | instid1(VALU_DEP_3)
	v_cmp_eq_u32_e64 s0, 1, v0
	v_dual_mov_b32 v0, s12 :: v_dual_mov_b32 v3, s15
	v_dual_mov_b32 v1, s13 :: v_dual_mov_b32 v2, s14
	s_xor_b32 s0, s0, -1
	s_delay_alu instid0(SALU_CYCLE_1)
	s_and_saveexec_b32 s5, s0
	s_cbranch_execz .LBB680_13
; %bb.12:
	s_waitcnt lgkmcnt(2)
	v_cmp_lt_f64_e64 s0, v[20:21], v[22:23]
	s_mov_b32 s10, 0x6a5dcb37
	s_mov_b32 s11, 0x3e5ade15
	s_delay_alu instid0(VALU_DEP_1) | instskip(SKIP_3) | instid1(VALU_DEP_1)
	v_cndmask_b32_e64 v1, v21, v23, s0
	v_cndmask_b32_e64 v0, v20, v22, s0
	s_mov_b32 s0, 0x652b82fe
	s_mov_b32 s1, 0x3ff71547
	v_add_f64 v[0:1], v[14:15], -v[0:1]
	s_delay_alu instid0(VALU_DEP_1) | instskip(SKIP_2) | instid1(VALU_DEP_1)
	v_mul_f64 v[2:3], v[0:1], s[0:1]
	s_mov_b32 s0, 0xfefa39ef
	s_mov_b32 s1, 0xbfe62e42
	v_rndne_f64_e32 v[2:3], v[2:3]
	s_delay_alu instid0(VALU_DEP_1) | instskip(SKIP_3) | instid1(VALU_DEP_2)
	v_fma_f64 v[12:13], v[2:3], s[0:1], v[0:1]
	s_mov_b32 s0, 0x3b39803f
	s_mov_b32 s1, 0xbc7abc9e
	v_cvt_i32_f64_e32 v20, v[2:3]
	v_fma_f64 v[12:13], v[2:3], s[0:1], v[12:13]
	s_mov_b32 s0, 0xfca7ab0c
	s_mov_b32 s1, 0x3e928af3
	s_delay_alu instid0(VALU_DEP_1) | instid1(SALU_CYCLE_1)
	v_fma_f64 v[14:15], v[12:13], s[10:11], s[0:1]
	s_mov_b32 s0, 0x623fde64
	s_mov_b32 s1, 0x3ec71dee
	s_delay_alu instid0(VALU_DEP_1) | instid1(SALU_CYCLE_1)
	;; [unrolled: 4-line block ×9, first 2 shown]
	v_fma_f64 v[14:15], v[12:13], v[14:15], s[0:1]
	v_cmp_nlt_f64_e64 s0, 0x40900000, v[0:1]
	v_cmp_ngt_f64_e64 s1, 0xc090cc00, v[0:1]
	s_delay_alu instid0(VALU_DEP_3) | instskip(NEXT) | instid1(VALU_DEP_1)
	v_fma_f64 v[14:15], v[12:13], v[14:15], 1.0
	v_fma_f64 v[2:3], v[12:13], v[14:15], 1.0
	s_delay_alu instid0(VALU_DEP_1) | instskip(NEXT) | instid1(VALU_DEP_1)
	v_ldexp_f64 v[2:3], v[2:3], v20
	v_cndmask_b32_e64 v3, 0x7ff00000, v3, s0
	s_and_b32 s0, s1, s0
	s_delay_alu instid0(VALU_DEP_2) | instid1(SALU_CYCLE_1)
	v_cndmask_b32_e64 v12, 0, v2, s0
	v_mov_b32_e32 v2, 0
	s_delay_alu instid0(VALU_DEP_3) | instskip(NEXT) | instid1(VALU_DEP_2)
	v_cndmask_b32_e64 v13, 0, v3, s1
	v_mov_b32_e32 v3, v2
	s_delay_alu instid0(VALU_DEP_2)
	v_add_f64 v[0:1], v[12:13], 0
.LBB680_13:
	s_or_b32 exec_lo, exec_lo, s5
.LBB680_14:
	s_delay_alu instid0(SALU_CYCLE_1)
	s_or_b32 exec_lo, exec_lo, s3
	s_and_saveexec_b32 s3, s4
	s_cbranch_execz .LBB680_18
; %bb.15:
	s_and_b32 s0, s16, exec_lo
	s_cselect_b32 s0, 0, s6
	s_cselect_b32 s1, 0, 0
	v_add_co_u32 v8, s0, v8, s0
	s_delay_alu instid0(VALU_DEP_1)
	v_add_co_ci_u32_e64 v9, s0, s1, v9, s0
	v_mov_b32_e32 v10, 0
	v_mov_b32_e32 v11, 0
	global_load_u8 v8, v[8:9], off
	s_waitcnt vmcnt(0)
	v_and_b32_e32 v8, 1, v8
	s_delay_alu instid0(VALU_DEP_1) | instskip(NEXT) | instid1(VALU_DEP_1)
	v_cmp_eq_u32_e64 s0, 1, v8
	s_xor_b32 s0, s0, -1
	s_delay_alu instid0(SALU_CYCLE_1)
	s_and_saveexec_b32 s4, s0
	s_cbranch_execz .LBB680_17
; %bb.16:
	s_waitcnt lgkmcnt(0)
	v_cmp_lt_f64_e64 s0, v[16:17], v[18:19]
	s_mov_b32 s10, 0x6a5dcb37
	s_mov_b32 s11, 0x3e5ade15
	s_delay_alu instid0(VALU_DEP_1) | instskip(SKIP_3) | instid1(VALU_DEP_1)
	v_cndmask_b32_e64 v9, v17, v19, s0
	v_cndmask_b32_e64 v8, v16, v18, s0
	s_mov_b32 s0, 0x652b82fe
	s_mov_b32 s1, 0x3ff71547
	v_add_f64 v[6:7], v[6:7], -v[8:9]
	s_delay_alu instid0(VALU_DEP_1) | instskip(SKIP_2) | instid1(VALU_DEP_1)
	v_mul_f64 v[8:9], v[6:7], s[0:1]
	s_mov_b32 s0, 0xfefa39ef
	s_mov_b32 s1, 0xbfe62e42
	v_rndne_f64_e32 v[8:9], v[8:9]
	s_delay_alu instid0(VALU_DEP_1) | instskip(SKIP_3) | instid1(VALU_DEP_2)
	v_fma_f64 v[10:11], v[8:9], s[0:1], v[6:7]
	s_mov_b32 s0, 0x3b39803f
	s_mov_b32 s1, 0xbc7abc9e
	v_cvt_i32_f64_e32 v16, v[8:9]
	v_fma_f64 v[10:11], v[8:9], s[0:1], v[10:11]
	s_mov_b32 s0, 0xfca7ab0c
	s_mov_b32 s1, 0x3e928af3
	s_delay_alu instid0(VALU_DEP_1) | instid1(SALU_CYCLE_1)
	v_fma_f64 v[14:15], v[10:11], s[10:11], s[0:1]
	s_mov_b32 s0, 0x623fde64
	s_mov_b32 s1, 0x3ec71dee
	s_delay_alu instid0(VALU_DEP_1) | instid1(SALU_CYCLE_1)
	v_fma_f64 v[14:15], v[10:11], v[14:15], s[0:1]
	s_mov_b32 s0, 0x7c89e6b0
	s_mov_b32 s1, 0x3efa0199
	s_delay_alu instid0(VALU_DEP_1) | instid1(SALU_CYCLE_1)
	v_fma_f64 v[14:15], v[10:11], v[14:15], s[0:1]
	s_mov_b32 s0, 0x14761f6e
	s_mov_b32 s1, 0x3f2a01a0
	s_delay_alu instid0(VALU_DEP_1) | instid1(SALU_CYCLE_1)
	v_fma_f64 v[14:15], v[10:11], v[14:15], s[0:1]
	s_mov_b32 s0, 0x1852b7b0
	s_mov_b32 s1, 0x3f56c16c
	s_delay_alu instid0(VALU_DEP_1) | instid1(SALU_CYCLE_1)
	v_fma_f64 v[14:15], v[10:11], v[14:15], s[0:1]
	s_mov_b32 s0, 0x11122322
	s_mov_b32 s1, 0x3f811111
	s_delay_alu instid0(VALU_DEP_1) | instid1(SALU_CYCLE_1)
	v_fma_f64 v[14:15], v[10:11], v[14:15], s[0:1]
	s_mov_b32 s0, 0x555502a1
	s_mov_b32 s1, 0x3fa55555
	s_delay_alu instid0(VALU_DEP_1) | instid1(SALU_CYCLE_1)
	v_fma_f64 v[14:15], v[10:11], v[14:15], s[0:1]
	s_mov_b32 s0, 0x55555511
	s_mov_b32 s1, 0x3fc55555
	s_delay_alu instid0(VALU_DEP_1) | instid1(SALU_CYCLE_1)
	v_fma_f64 v[14:15], v[10:11], v[14:15], s[0:1]
	s_mov_b32 s0, 11
	s_mov_b32 s1, 0x3fe00000
	s_delay_alu instid0(VALU_DEP_1) | instid1(SALU_CYCLE_1)
	v_fma_f64 v[14:15], v[10:11], v[14:15], s[0:1]
	v_cmp_nlt_f64_e64 s0, 0x40900000, v[6:7]
	v_cmp_ngt_f64_e64 s1, 0xc090cc00, v[6:7]
	s_delay_alu instid0(VALU_DEP_3) | instskip(NEXT) | instid1(VALU_DEP_1)
	v_fma_f64 v[14:15], v[10:11], v[14:15], 1.0
	v_fma_f64 v[8:9], v[10:11], v[14:15], 1.0
	s_delay_alu instid0(VALU_DEP_1) | instskip(NEXT) | instid1(VALU_DEP_1)
	v_ldexp_f64 v[8:9], v[8:9], v16
	v_cndmask_b32_e64 v9, 0x7ff00000, v9, s0
	s_and_b32 s0, s1, s0
	s_delay_alu instid0(VALU_DEP_2) | instid1(SALU_CYCLE_1)
	v_cndmask_b32_e64 v10, 0, v8, s0
	s_delay_alu instid0(VALU_DEP_2) | instskip(NEXT) | instid1(VALU_DEP_1)
	v_cndmask_b32_e64 v11, 0, v9, s1
	v_add_f64 v[2:3], v[2:3], v[10:11]
.LBB680_17:
	s_or_b32 exec_lo, exec_lo, s4
.LBB680_18:
	s_delay_alu instid0(SALU_CYCLE_1)
	s_or_b32 exec_lo, exec_lo, s3
	ds_bpermute_b32 v6, v25, v0
	ds_bpermute_b32 v7, v25, v1
	ds_bpermute_b32 v8, v25, v2
	ds_bpermute_b32 v9, v25, v3
	s_waitcnt lgkmcnt(2)
	v_add_f64 v[0:1], v[0:1], v[6:7]
	s_waitcnt lgkmcnt(0)
	v_add_f64 v[2:3], v[2:3], v[8:9]
	ds_bpermute_b32 v6, v26, v0
	ds_bpermute_b32 v7, v26, v1
	ds_bpermute_b32 v8, v26, v2
	ds_bpermute_b32 v9, v26, v3
	s_waitcnt lgkmcnt(2)
	v_add_f64 v[0:1], v[0:1], v[6:7]
	s_waitcnt lgkmcnt(0)
	v_add_f64 v[2:3], v[2:3], v[8:9]
	;; [unrolled: 8-line block ×3, first 2 shown]
	ds_bpermute_b32 v14, v28, v8
	ds_bpermute_b32 v15, v28, v9
	;; [unrolled: 1-line block ×4, first 2 shown]
	s_and_saveexec_b32 s0, vcc_lo
	s_cbranch_execz .LBB680_24
; %bb.19:
	v_add_co_u32 v0, vcc_lo, s8, v4
	v_add_co_ci_u32_e32 v1, vcc_lo, s9, v5, vcc_lo
	s_and_saveexec_b32 s0, s2
	s_cbranch_execz .LBB680_21
; %bb.20:
	s_waitcnt lgkmcnt(2)
	v_add_f64 v[4:5], v[8:9], v[14:15]
	s_delay_alu instid0(VALU_DEP_1) | instskip(SKIP_1) | instid1(VALU_DEP_2)
	v_div_scale_f64 v[8:9], null, v[4:5], v[4:5], v[12:13]
	v_div_scale_f64 v[18:19], vcc_lo, v[12:13], v[4:5], v[12:13]
	v_rcp_f64_e32 v[14:15], v[8:9]
	s_waitcnt_depctr 0xfff
	v_fma_f64 v[16:17], -v[8:9], v[14:15], 1.0
	s_delay_alu instid0(VALU_DEP_1) | instskip(NEXT) | instid1(VALU_DEP_1)
	v_fma_f64 v[14:15], v[14:15], v[16:17], v[14:15]
	v_fma_f64 v[16:17], -v[8:9], v[14:15], 1.0
	s_delay_alu instid0(VALU_DEP_1) | instskip(NEXT) | instid1(VALU_DEP_1)
	v_fma_f64 v[14:15], v[14:15], v[16:17], v[14:15]
	v_mul_f64 v[16:17], v[18:19], v[14:15]
	s_delay_alu instid0(VALU_DEP_1) | instskip(NEXT) | instid1(VALU_DEP_1)
	v_fma_f64 v[8:9], -v[8:9], v[16:17], v[18:19]
	v_div_fmas_f64 v[8:9], v[8:9], v[14:15], v[16:17]
	v_cmp_neq_f64_e32 vcc_lo, 0, v[4:5]
	s_delay_alu instid0(VALU_DEP_2) | instskip(NEXT) | instid1(VALU_DEP_1)
	v_div_fixup_f64 v[8:9], v[8:9], v[4:5], v[12:13]
	v_cndmask_b32_e32 v5, 0x7ff80000, v9, vcc_lo
	s_delay_alu instid0(VALU_DEP_2)
	v_cndmask_b32_e32 v4, 0, v8, vcc_lo
	global_store_b64 v[0:1], v[4:5], off
.LBB680_21:
	s_or_b32 exec_lo, exec_lo, s0
	v_cmp_ne_u32_e32 vcc_lo, 1, v24
	s_and_b32 exec_lo, exec_lo, vcc_lo
	s_cbranch_execz .LBB680_24
; %bb.22:
	s_and_b32 exec_lo, exec_lo, s2
	s_cbranch_execz .LBB680_24
; %bb.23:
	s_waitcnt lgkmcnt(0)
	v_add_f64 v[2:3], v[2:3], v[6:7]
	s_mov_b32 s7, 0
	s_delay_alu instid0(SALU_CYCLE_1) | instskip(NEXT) | instid1(SALU_CYCLE_1)
	s_lshl_b64 s[0:1], s[6:7], 3
	v_add_co_u32 v0, s0, v0, s0
	s_delay_alu instid0(VALU_DEP_1) | instskip(NEXT) | instid1(VALU_DEP_3)
	v_add_co_ci_u32_e64 v1, s0, s1, v1, s0
	v_div_scale_f64 v[4:5], null, v[2:3], v[2:3], v[10:11]
	v_div_scale_f64 v[12:13], vcc_lo, v[10:11], v[2:3], v[10:11]
	s_delay_alu instid0(VALU_DEP_2) | instskip(SKIP_2) | instid1(VALU_DEP_1)
	v_rcp_f64_e32 v[6:7], v[4:5]
	s_waitcnt_depctr 0xfff
	v_fma_f64 v[8:9], -v[4:5], v[6:7], 1.0
	v_fma_f64 v[6:7], v[6:7], v[8:9], v[6:7]
	s_delay_alu instid0(VALU_DEP_1) | instskip(NEXT) | instid1(VALU_DEP_1)
	v_fma_f64 v[8:9], -v[4:5], v[6:7], 1.0
	v_fma_f64 v[6:7], v[6:7], v[8:9], v[6:7]
	s_delay_alu instid0(VALU_DEP_1) | instskip(NEXT) | instid1(VALU_DEP_1)
	v_mul_f64 v[8:9], v[12:13], v[6:7]
	v_fma_f64 v[4:5], -v[4:5], v[8:9], v[12:13]
	s_delay_alu instid0(VALU_DEP_1) | instskip(SKIP_1) | instid1(VALU_DEP_2)
	v_div_fmas_f64 v[4:5], v[4:5], v[6:7], v[8:9]
	v_cmp_neq_f64_e32 vcc_lo, 0, v[2:3]
	v_div_fixup_f64 v[4:5], v[4:5], v[2:3], v[10:11]
	s_delay_alu instid0(VALU_DEP_1) | instskip(NEXT) | instid1(VALU_DEP_2)
	v_cndmask_b32_e32 v3, 0x7ff80000, v5, vcc_lo
	v_cndmask_b32_e32 v2, 0, v4, vcc_lo
	global_store_b64 v[0:1], v[2:3], off
.LBB680_24:
	s_nop 0
	s_sendmsg sendmsg(MSG_DEALLOC_VGPRS)
	s_endpgm
	.section	.rodata,"a",@progbits
	.p2align	6, 0x0
	.amdhsa_kernel _ZN12_GLOBAL__N_120softmax_warp_forwardIdddLi4ELb0ELb1ELi64EEEvPT0_PKT_iiiPKbib
		.amdhsa_group_segment_fixed_size 0
		.amdhsa_private_segment_fixed_size 0
		.amdhsa_kernarg_size 304
		.amdhsa_user_sgpr_count 15
		.amdhsa_user_sgpr_dispatch_ptr 0
		.amdhsa_user_sgpr_queue_ptr 0
		.amdhsa_user_sgpr_kernarg_segment_ptr 1
		.amdhsa_user_sgpr_dispatch_id 0
		.amdhsa_user_sgpr_private_segment_size 0
		.amdhsa_wavefront_size32 1
		.amdhsa_uses_dynamic_stack 0
		.amdhsa_enable_private_segment 0
		.amdhsa_system_sgpr_workgroup_id_x 1
		.amdhsa_system_sgpr_workgroup_id_y 0
		.amdhsa_system_sgpr_workgroup_id_z 0
		.amdhsa_system_sgpr_workgroup_info 0
		.amdhsa_system_vgpr_workitem_id 1
		.amdhsa_next_free_vgpr 29
		.amdhsa_next_free_sgpr 17
		.amdhsa_reserve_vcc 1
		.amdhsa_float_round_mode_32 0
		.amdhsa_float_round_mode_16_64 0
		.amdhsa_float_denorm_mode_32 3
		.amdhsa_float_denorm_mode_16_64 3
		.amdhsa_dx10_clamp 1
		.amdhsa_ieee_mode 1
		.amdhsa_fp16_overflow 0
		.amdhsa_workgroup_processor_mode 1
		.amdhsa_memory_ordered 1
		.amdhsa_forward_progress 0
		.amdhsa_shared_vgpr_count 0
		.amdhsa_exception_fp_ieee_invalid_op 0
		.amdhsa_exception_fp_denorm_src 0
		.amdhsa_exception_fp_ieee_div_zero 0
		.amdhsa_exception_fp_ieee_overflow 0
		.amdhsa_exception_fp_ieee_underflow 0
		.amdhsa_exception_fp_ieee_inexact 0
		.amdhsa_exception_int_div_zero 0
	.end_amdhsa_kernel
	.section	.text._ZN12_GLOBAL__N_120softmax_warp_forwardIdddLi4ELb0ELb1ELi64EEEvPT0_PKT_iiiPKbib,"axG",@progbits,_ZN12_GLOBAL__N_120softmax_warp_forwardIdddLi4ELb0ELb1ELi64EEEvPT0_PKT_iiiPKbib,comdat
.Lfunc_end680:
	.size	_ZN12_GLOBAL__N_120softmax_warp_forwardIdddLi4ELb0ELb1ELi64EEEvPT0_PKT_iiiPKbib, .Lfunc_end680-_ZN12_GLOBAL__N_120softmax_warp_forwardIdddLi4ELb0ELb1ELi64EEEvPT0_PKT_iiiPKbib
                                        ; -- End function
	.section	.AMDGPU.csdata,"",@progbits
; Kernel info:
; codeLenInByte = 2968
; NumSgprs: 19
; NumVgprs: 29
; ScratchSize: 0
; MemoryBound: 0
; FloatMode: 240
; IeeeMode: 1
; LDSByteSize: 0 bytes/workgroup (compile time only)
; SGPRBlocks: 2
; VGPRBlocks: 3
; NumSGPRsForWavesPerEU: 19
; NumVGPRsForWavesPerEU: 29
; Occupancy: 16
; WaveLimiterHint : 0
; COMPUTE_PGM_RSRC2:SCRATCH_EN: 0
; COMPUTE_PGM_RSRC2:USER_SGPR: 15
; COMPUTE_PGM_RSRC2:TRAP_HANDLER: 0
; COMPUTE_PGM_RSRC2:TGID_X_EN: 1
; COMPUTE_PGM_RSRC2:TGID_Y_EN: 0
; COMPUTE_PGM_RSRC2:TGID_Z_EN: 0
; COMPUTE_PGM_RSRC2:TIDIG_COMP_CNT: 1
	.section	.text._ZN12_GLOBAL__N_120softmax_warp_forwardIdddLi4ELb0ELb1ELi32EEEvPT0_PKT_iiiPKbib,"axG",@progbits,_ZN12_GLOBAL__N_120softmax_warp_forwardIdddLi4ELb0ELb1ELi32EEEvPT0_PKT_iiiPKbib,comdat
	.globl	_ZN12_GLOBAL__N_120softmax_warp_forwardIdddLi4ELb0ELb1ELi32EEEvPT0_PKT_iiiPKbib ; -- Begin function _ZN12_GLOBAL__N_120softmax_warp_forwardIdddLi4ELb0ELb1ELi32EEEvPT0_PKT_iiiPKbib
	.p2align	8
	.type	_ZN12_GLOBAL__N_120softmax_warp_forwardIdddLi4ELb0ELb1ELi32EEEvPT0_PKT_iiiPKbib,@function
_ZN12_GLOBAL__N_120softmax_warp_forwardIdddLi4ELb0ELb1ELi32EEEvPT0_PKT_iiiPKbib: ; @_ZN12_GLOBAL__N_120softmax_warp_forwardIdddLi4ELb0ELb1ELi32EEEvPT0_PKT_iiiPKbib
; %bb.0:
	s_clause 0x2
	s_load_b64 s[2:3], s[0:1], 0x28
	s_load_b32 s8, s[0:1], 0x3c
	s_load_b128 s[4:7], s[0:1], 0x10
	v_bfe_u32 v1, v0, 10, 10
	v_and_b32_e32 v0, 0x3ff, v0
	s_waitcnt lgkmcnt(0)
	s_bitcmp1_b32 s3, 0
	s_cselect_b32 s16, -1, 0
	s_lshr_b32 s7, s8, 16
	s_bitcmp0_b32 s3, 0
	s_mul_i32 s15, s15, s7
	s_delay_alu instid0(SALU_CYCLE_1) | instskip(NEXT) | instid1(VALU_DEP_1)
	v_add_lshl_u32 v1, s15, v1, 1
	v_mul_lo_u32 v6, v1, s5
	s_delay_alu instid0(VALU_DEP_1) | instskip(NEXT) | instid1(VALU_DEP_1)
	v_add_nc_u32_e32 v4, v6, v0
	v_ashrrev_i32_e32 v5, 31, v4
	s_delay_alu instid0(VALU_DEP_1)
	v_dual_mov_b32 v2, v4 :: v_dual_mov_b32 v3, v5
	s_cbranch_scc1 .LBB681_2
; %bb.1:
	s_abs_i32 s3, s2
	v_sub_nc_u32_e32 v7, 0, v6
	v_cvt_f32_u32_e32 v2, s3
	s_sub_i32 s7, 0, s3
	s_delay_alu instid0(VALU_DEP_2) | instskip(NEXT) | instid1(VALU_DEP_2)
	v_max_i32_e32 v7, v6, v7
	v_rcp_iflag_f32_e32 v2, v2
	v_xor_b32_e32 v6, s2, v6
	s_delay_alu instid0(VALU_DEP_1) | instskip(SKIP_2) | instid1(VALU_DEP_1)
	v_ashrrev_i32_e32 v6, 31, v6
	s_waitcnt_depctr 0xfff
	v_mul_f32_e32 v2, 0x4f7ffffe, v2
	v_cvt_u32_f32_e32 v2, v2
	s_delay_alu instid0(VALU_DEP_1) | instskip(NEXT) | instid1(VALU_DEP_1)
	v_mul_lo_u32 v3, s7, v2
	v_mul_hi_u32 v3, v2, v3
	s_delay_alu instid0(VALU_DEP_1) | instskip(NEXT) | instid1(VALU_DEP_1)
	v_add_nc_u32_e32 v2, v2, v3
	v_mul_hi_u32 v2, v7, v2
	s_delay_alu instid0(VALU_DEP_1) | instskip(NEXT) | instid1(VALU_DEP_1)
	v_mul_lo_u32 v3, v2, s3
	v_sub_nc_u32_e32 v3, v7, v3
	v_add_nc_u32_e32 v7, 1, v2
	s_delay_alu instid0(VALU_DEP_2) | instskip(SKIP_1) | instid1(VALU_DEP_2)
	v_subrev_nc_u32_e32 v8, s3, v3
	v_cmp_le_u32_e32 vcc_lo, s3, v3
	v_dual_cndmask_b32 v3, v3, v8 :: v_dual_cndmask_b32 v2, v2, v7
	s_delay_alu instid0(VALU_DEP_1) | instskip(NEXT) | instid1(VALU_DEP_2)
	v_cmp_le_u32_e32 vcc_lo, s3, v3
	v_add_nc_u32_e32 v7, 1, v2
	s_delay_alu instid0(VALU_DEP_1) | instskip(NEXT) | instid1(VALU_DEP_1)
	v_cndmask_b32_e32 v2, v2, v7, vcc_lo
	v_xor_b32_e32 v2, v2, v6
	s_delay_alu instid0(VALU_DEP_1) | instskip(NEXT) | instid1(VALU_DEP_1)
	v_sub_nc_u32_e32 v6, v2, v6
	v_mad_u64_u32 v[2:3], null, v6, s5, v[0:1]
	s_delay_alu instid0(VALU_DEP_1)
	v_ashrrev_i32_e32 v3, 31, v2
.LBB681_2:
	s_load_b128 s[8:11], s[0:1], 0x0
	v_lshlrev_b64 v[4:5], 3, v[4:5]
	v_sub_nc_u32_e32 v24, s4, v1
	v_mov_b32_e32 v6, 0
	v_mov_b32_e32 v7, 0xfff00000
	v_cmp_gt_i32_e64 s2, s6, v0
	s_delay_alu instid0(VALU_DEP_4) | instskip(NEXT) | instid1(VALU_DEP_3)
	v_cmp_lt_i32_e32 vcc_lo, 0, v24
	v_dual_mov_b32 v15, v7 :: v_dual_mov_b32 v14, v6
	s_delay_alu instid0(VALU_DEP_3) | instskip(SKIP_2) | instid1(VALU_DEP_1)
	s_and_b32 s5, s2, vcc_lo
	s_waitcnt lgkmcnt(0)
	v_add_co_u32 v0, s3, s10, v4
	v_add_co_ci_u32_e64 v1, s3, s11, v5, s3
	s_and_saveexec_b32 s3, s5
	s_cbranch_execz .LBB681_4
; %bb.3:
	global_load_b64 v[14:15], v[0:1], off
.LBB681_4:
	s_or_b32 exec_lo, exec_lo, s3
	v_cmp_lt_i32_e64 s3, 1, v24
	s_delay_alu instid0(VALU_DEP_1) | instskip(NEXT) | instid1(SALU_CYCLE_1)
	s_and_b32 s4, s2, s3
	s_and_saveexec_b32 s10, s4
	s_cbranch_execz .LBB681_6
; %bb.5:
	s_mov_b32 s7, 0
	s_delay_alu instid0(SALU_CYCLE_1) | instskip(NEXT) | instid1(SALU_CYCLE_1)
	s_lshl_b64 s[12:13], s[6:7], 3
	v_add_co_u32 v0, s3, v0, s12
	s_delay_alu instid0(VALU_DEP_1)
	v_add_co_ci_u32_e64 v1, s3, s13, v1, s3
	global_load_b64 v[6:7], v[0:1], off
.LBB681_6:
	s_or_b32 exec_lo, exec_lo, s10
	s_load_b64 s[0:1], s[0:1], 0x20
	v_mov_b32_e32 v0, 0
	v_mov_b32_e32 v1, 0xfff00000
	s_waitcnt lgkmcnt(0)
	v_add_co_u32 v8, s0, s0, v2
	s_delay_alu instid0(VALU_DEP_1)
	v_add_co_ci_u32_e64 v9, s0, s1, v3, s0
	s_and_saveexec_b32 s1, s5
	s_cbranch_execz .LBB681_8
; %bb.7:
	global_load_u8 v0, v[8:9], off
	s_waitcnt vmcnt(0)
	v_and_b32_e32 v0, 1, v0
	s_delay_alu instid0(VALU_DEP_1) | instskip(NEXT) | instid1(VALU_DEP_1)
	v_cmp_eq_u32_e64 s0, 1, v0
	v_cndmask_b32_e64 v1, v15, 0xfff00000, s0
	v_cndmask_b32_e64 v0, v14, 0, s0
.LBB681_8:
	s_or_b32 exec_lo, exec_lo, s1
	s_mov_b32 s12, 0
	s_mov_b32 s1, 0
	s_and_saveexec_b32 s3, s4
	s_cbranch_execz .LBB681_10
; %bb.9:
	s_and_b32 s0, s16, exec_lo
	s_cselect_b32 s0, 0, s6
	s_cselect_b32 s1, 0, 0
	v_add_co_u32 v2, s0, v8, s0
	s_delay_alu instid0(VALU_DEP_1) | instskip(SKIP_3) | instid1(VALU_DEP_1)
	v_add_co_ci_u32_e64 v3, s0, s1, v9, s0
	global_load_u8 v2, v[2:3], off
	s_waitcnt vmcnt(0)
	v_and_b32_e32 v2, 1, v2
	v_cmp_eq_u32_e64 s0, 1, v2
	s_delay_alu instid0(VALU_DEP_1) | instskip(NEXT) | instid1(SALU_CYCLE_1)
	s_xor_b32 s0, s0, -1
	s_and_b32 s1, s0, exec_lo
.LBB681_10:
	s_or_b32 exec_lo, exec_lo, s3
	v_mbcnt_lo_u32_b32 v16, -1, 0
	s_mov_b32 s13, s12
	s_mov_b32 s14, s12
	;; [unrolled: 1-line block ×3, first 2 shown]
	s_delay_alu instid0(VALU_DEP_1) | instskip(SKIP_2) | instid1(VALU_DEP_3)
	v_and_b32_e32 v2, 16, v16
	v_xor_b32_e32 v3, 8, v16
	v_xor_b32_e32 v18, 4, v16
	v_add_nc_u32_e32 v17, 16, v2
	s_delay_alu instid0(VALU_DEP_1) | instskip(NEXT) | instid1(VALU_DEP_3)
	v_cmp_lt_i32_e64 s0, v3, v17
	v_cmp_lt_i32_e64 s3, v18, v17
	s_delay_alu instid0(VALU_DEP_2) | instskip(SKIP_2) | instid1(VALU_DEP_3)
	v_cndmask_b32_e64 v2, v16, v3, s0
	s_waitcnt vmcnt(0)
	v_cndmask_b32_e64 v3, 0xfff00000, v7, s1
	v_cndmask_b32_e64 v18, v16, v18, s3
	s_delay_alu instid0(VALU_DEP_3) | instskip(SKIP_1) | instid1(VALU_DEP_3)
	v_lshlrev_b32_e32 v25, 2, v2
	v_cndmask_b32_e64 v2, 0, v6, s1
	v_lshlrev_b32_e32 v26, 2, v18
	v_xor_b32_e32 v18, 2, v16
	ds_bpermute_b32 v10, v25, v0
	ds_bpermute_b32 v11, v25, v1
	;; [unrolled: 1-line block ×4, first 2 shown]
	v_cmp_lt_i32_e64 s3, v18, v17
	s_delay_alu instid0(VALU_DEP_1) | instskip(NEXT) | instid1(VALU_DEP_1)
	v_cndmask_b32_e64 v18, v16, v18, s3
	v_lshlrev_b32_e32 v27, 2, v18
	v_xor_b32_e32 v18, 1, v16
	s_waitcnt lgkmcnt(2)
	v_cmp_lt_f64_e64 s0, v[0:1], v[10:11]
	s_waitcnt lgkmcnt(0)
	v_cmp_lt_f64_e64 s1, v[2:3], v[12:13]
	s_delay_alu instid0(VALU_DEP_2) | instskip(SKIP_1) | instid1(VALU_DEP_3)
	v_cndmask_b32_e64 v1, v1, v11, s0
	v_cndmask_b32_e64 v0, v0, v10, s0
	;; [unrolled: 1-line block ×4, first 2 shown]
	ds_bpermute_b32 v11, v26, v1
	ds_bpermute_b32 v10, v26, v0
	;; [unrolled: 1-line block ×4, first 2 shown]
	s_waitcnt lgkmcnt(2)
	v_cmp_lt_f64_e64 s0, v[0:1], v[10:11]
	s_waitcnt lgkmcnt(0)
	v_cmp_lt_f64_e64 s1, v[2:3], v[12:13]
	s_delay_alu instid0(VALU_DEP_2) | instskip(SKIP_1) | instid1(VALU_DEP_3)
	v_cndmask_b32_e64 v1, v1, v11, s0
	v_cndmask_b32_e64 v0, v0, v10, s0
	;; [unrolled: 1-line block ×4, first 2 shown]
	ds_bpermute_b32 v11, v27, v1
	ds_bpermute_b32 v10, v27, v0
	;; [unrolled: 1-line block ×4, first 2 shown]
	s_waitcnt lgkmcnt(2)
	v_cmp_lt_f64_e64 s0, v[0:1], v[10:11]
	s_waitcnt lgkmcnt(0)
	v_cmp_lt_f64_e64 s1, v[2:3], v[12:13]
	s_delay_alu instid0(VALU_DEP_2)
	v_cndmask_b32_e64 v21, v1, v11, s0
	v_cndmask_b32_e64 v20, v0, v10, s0
	v_mov_b32_e32 v10, 0
	v_cmp_lt_i32_e64 s3, v18, v17
	v_cndmask_b32_e64 v17, v3, v13, s1
	v_mov_b32_e32 v11, 0
	s_delay_alu instid0(VALU_DEP_3) | instskip(NEXT) | instid1(VALU_DEP_1)
	v_cndmask_b32_e64 v16, v16, v18, s3
	v_lshlrev_b32_e32 v28, 2, v16
	v_cndmask_b32_e64 v16, v2, v12, s1
	v_dual_mov_b32 v0, s12 :: v_dual_mov_b32 v3, s15
	v_mov_b32_e32 v1, s13
	ds_bpermute_b32 v23, v28, v21
	ds_bpermute_b32 v22, v28, v20
	;; [unrolled: 1-line block ×4, first 2 shown]
	v_dual_mov_b32 v2, s14 :: v_dual_mov_b32 v13, v11
	v_mov_b32_e32 v12, v10
	s_and_saveexec_b32 s3, s5
	s_cbranch_execz .LBB681_14
; %bb.11:
	global_load_u8 v0, v[8:9], off
	s_mov_b32 s13, s12
	s_mov_b32 s14, s12
	;; [unrolled: 1-line block ×3, first 2 shown]
	v_mov_b32_e32 v12, 0
	s_waitcnt vmcnt(0)
	v_dual_mov_b32 v13, 0 :: v_dual_and_b32 v0, 1, v0
	s_delay_alu instid0(VALU_DEP_1) | instskip(SKIP_2) | instid1(VALU_DEP_3)
	v_cmp_eq_u32_e64 s0, 1, v0
	v_dual_mov_b32 v0, s12 :: v_dual_mov_b32 v3, s15
	v_dual_mov_b32 v1, s13 :: v_dual_mov_b32 v2, s14
	s_xor_b32 s0, s0, -1
	s_delay_alu instid0(SALU_CYCLE_1)
	s_and_saveexec_b32 s5, s0
	s_cbranch_execz .LBB681_13
; %bb.12:
	s_waitcnt lgkmcnt(2)
	v_cmp_lt_f64_e64 s0, v[20:21], v[22:23]
	s_mov_b32 s10, 0x6a5dcb37
	s_mov_b32 s11, 0x3e5ade15
	s_delay_alu instid0(VALU_DEP_1) | instskip(SKIP_3) | instid1(VALU_DEP_1)
	v_cndmask_b32_e64 v1, v21, v23, s0
	v_cndmask_b32_e64 v0, v20, v22, s0
	s_mov_b32 s0, 0x652b82fe
	s_mov_b32 s1, 0x3ff71547
	v_add_f64 v[0:1], v[14:15], -v[0:1]
	s_delay_alu instid0(VALU_DEP_1) | instskip(SKIP_2) | instid1(VALU_DEP_1)
	v_mul_f64 v[2:3], v[0:1], s[0:1]
	s_mov_b32 s0, 0xfefa39ef
	s_mov_b32 s1, 0xbfe62e42
	v_rndne_f64_e32 v[2:3], v[2:3]
	s_delay_alu instid0(VALU_DEP_1) | instskip(SKIP_3) | instid1(VALU_DEP_2)
	v_fma_f64 v[12:13], v[2:3], s[0:1], v[0:1]
	s_mov_b32 s0, 0x3b39803f
	s_mov_b32 s1, 0xbc7abc9e
	v_cvt_i32_f64_e32 v20, v[2:3]
	v_fma_f64 v[12:13], v[2:3], s[0:1], v[12:13]
	s_mov_b32 s0, 0xfca7ab0c
	s_mov_b32 s1, 0x3e928af3
	s_delay_alu instid0(VALU_DEP_1) | instid1(SALU_CYCLE_1)
	v_fma_f64 v[14:15], v[12:13], s[10:11], s[0:1]
	s_mov_b32 s0, 0x623fde64
	s_mov_b32 s1, 0x3ec71dee
	s_delay_alu instid0(VALU_DEP_1) | instid1(SALU_CYCLE_1)
	;; [unrolled: 4-line block ×9, first 2 shown]
	v_fma_f64 v[14:15], v[12:13], v[14:15], s[0:1]
	v_cmp_nlt_f64_e64 s0, 0x40900000, v[0:1]
	v_cmp_ngt_f64_e64 s1, 0xc090cc00, v[0:1]
	s_delay_alu instid0(VALU_DEP_3) | instskip(NEXT) | instid1(VALU_DEP_1)
	v_fma_f64 v[14:15], v[12:13], v[14:15], 1.0
	v_fma_f64 v[2:3], v[12:13], v[14:15], 1.0
	s_delay_alu instid0(VALU_DEP_1) | instskip(NEXT) | instid1(VALU_DEP_1)
	v_ldexp_f64 v[2:3], v[2:3], v20
	v_cndmask_b32_e64 v3, 0x7ff00000, v3, s0
	s_and_b32 s0, s1, s0
	s_delay_alu instid0(VALU_DEP_2) | instid1(SALU_CYCLE_1)
	v_cndmask_b32_e64 v12, 0, v2, s0
	v_mov_b32_e32 v2, 0
	s_delay_alu instid0(VALU_DEP_3) | instskip(NEXT) | instid1(VALU_DEP_2)
	v_cndmask_b32_e64 v13, 0, v3, s1
	v_mov_b32_e32 v3, v2
	s_delay_alu instid0(VALU_DEP_2)
	v_add_f64 v[0:1], v[12:13], 0
.LBB681_13:
	s_or_b32 exec_lo, exec_lo, s5
.LBB681_14:
	s_delay_alu instid0(SALU_CYCLE_1)
	s_or_b32 exec_lo, exec_lo, s3
	s_and_saveexec_b32 s3, s4
	s_cbranch_execz .LBB681_18
; %bb.15:
	s_and_b32 s0, s16, exec_lo
	s_cselect_b32 s0, 0, s6
	s_cselect_b32 s1, 0, 0
	v_add_co_u32 v8, s0, v8, s0
	s_delay_alu instid0(VALU_DEP_1)
	v_add_co_ci_u32_e64 v9, s0, s1, v9, s0
	v_mov_b32_e32 v10, 0
	v_mov_b32_e32 v11, 0
	global_load_u8 v8, v[8:9], off
	s_waitcnt vmcnt(0)
	v_and_b32_e32 v8, 1, v8
	s_delay_alu instid0(VALU_DEP_1) | instskip(NEXT) | instid1(VALU_DEP_1)
	v_cmp_eq_u32_e64 s0, 1, v8
	s_xor_b32 s0, s0, -1
	s_delay_alu instid0(SALU_CYCLE_1)
	s_and_saveexec_b32 s4, s0
	s_cbranch_execz .LBB681_17
; %bb.16:
	s_waitcnt lgkmcnt(0)
	v_cmp_lt_f64_e64 s0, v[16:17], v[18:19]
	s_mov_b32 s10, 0x6a5dcb37
	s_mov_b32 s11, 0x3e5ade15
	s_delay_alu instid0(VALU_DEP_1) | instskip(SKIP_3) | instid1(VALU_DEP_1)
	v_cndmask_b32_e64 v9, v17, v19, s0
	v_cndmask_b32_e64 v8, v16, v18, s0
	s_mov_b32 s0, 0x652b82fe
	s_mov_b32 s1, 0x3ff71547
	v_add_f64 v[6:7], v[6:7], -v[8:9]
	s_delay_alu instid0(VALU_DEP_1) | instskip(SKIP_2) | instid1(VALU_DEP_1)
	v_mul_f64 v[8:9], v[6:7], s[0:1]
	s_mov_b32 s0, 0xfefa39ef
	s_mov_b32 s1, 0xbfe62e42
	v_rndne_f64_e32 v[8:9], v[8:9]
	s_delay_alu instid0(VALU_DEP_1) | instskip(SKIP_3) | instid1(VALU_DEP_2)
	v_fma_f64 v[10:11], v[8:9], s[0:1], v[6:7]
	s_mov_b32 s0, 0x3b39803f
	s_mov_b32 s1, 0xbc7abc9e
	v_cvt_i32_f64_e32 v16, v[8:9]
	v_fma_f64 v[10:11], v[8:9], s[0:1], v[10:11]
	s_mov_b32 s0, 0xfca7ab0c
	s_mov_b32 s1, 0x3e928af3
	s_delay_alu instid0(VALU_DEP_1) | instid1(SALU_CYCLE_1)
	v_fma_f64 v[14:15], v[10:11], s[10:11], s[0:1]
	s_mov_b32 s0, 0x623fde64
	s_mov_b32 s1, 0x3ec71dee
	s_delay_alu instid0(VALU_DEP_1) | instid1(SALU_CYCLE_1)
	;; [unrolled: 4-line block ×9, first 2 shown]
	v_fma_f64 v[14:15], v[10:11], v[14:15], s[0:1]
	v_cmp_nlt_f64_e64 s0, 0x40900000, v[6:7]
	v_cmp_ngt_f64_e64 s1, 0xc090cc00, v[6:7]
	s_delay_alu instid0(VALU_DEP_3) | instskip(NEXT) | instid1(VALU_DEP_1)
	v_fma_f64 v[14:15], v[10:11], v[14:15], 1.0
	v_fma_f64 v[8:9], v[10:11], v[14:15], 1.0
	s_delay_alu instid0(VALU_DEP_1) | instskip(NEXT) | instid1(VALU_DEP_1)
	v_ldexp_f64 v[8:9], v[8:9], v16
	v_cndmask_b32_e64 v9, 0x7ff00000, v9, s0
	s_and_b32 s0, s1, s0
	s_delay_alu instid0(VALU_DEP_2) | instid1(SALU_CYCLE_1)
	v_cndmask_b32_e64 v10, 0, v8, s0
	s_delay_alu instid0(VALU_DEP_2) | instskip(NEXT) | instid1(VALU_DEP_1)
	v_cndmask_b32_e64 v11, 0, v9, s1
	v_add_f64 v[2:3], v[2:3], v[10:11]
.LBB681_17:
	s_or_b32 exec_lo, exec_lo, s4
.LBB681_18:
	s_delay_alu instid0(SALU_CYCLE_1)
	s_or_b32 exec_lo, exec_lo, s3
	ds_bpermute_b32 v6, v25, v0
	ds_bpermute_b32 v7, v25, v1
	ds_bpermute_b32 v8, v25, v2
	ds_bpermute_b32 v9, v25, v3
	s_waitcnt lgkmcnt(2)
	v_add_f64 v[0:1], v[0:1], v[6:7]
	s_waitcnt lgkmcnt(0)
	v_add_f64 v[2:3], v[2:3], v[8:9]
	ds_bpermute_b32 v6, v26, v0
	ds_bpermute_b32 v7, v26, v1
	ds_bpermute_b32 v8, v26, v2
	ds_bpermute_b32 v9, v26, v3
	s_waitcnt lgkmcnt(2)
	v_add_f64 v[0:1], v[0:1], v[6:7]
	s_waitcnt lgkmcnt(0)
	v_add_f64 v[2:3], v[2:3], v[8:9]
	;; [unrolled: 8-line block ×3, first 2 shown]
	ds_bpermute_b32 v14, v28, v8
	ds_bpermute_b32 v15, v28, v9
	;; [unrolled: 1-line block ×4, first 2 shown]
	s_and_saveexec_b32 s0, vcc_lo
	s_cbranch_execz .LBB681_24
; %bb.19:
	v_add_co_u32 v0, vcc_lo, s8, v4
	v_add_co_ci_u32_e32 v1, vcc_lo, s9, v5, vcc_lo
	s_and_saveexec_b32 s0, s2
	s_cbranch_execz .LBB681_21
; %bb.20:
	s_waitcnt lgkmcnt(2)
	v_add_f64 v[4:5], v[8:9], v[14:15]
	s_delay_alu instid0(VALU_DEP_1) | instskip(SKIP_1) | instid1(VALU_DEP_2)
	v_div_scale_f64 v[8:9], null, v[4:5], v[4:5], v[12:13]
	v_div_scale_f64 v[18:19], vcc_lo, v[12:13], v[4:5], v[12:13]
	v_rcp_f64_e32 v[14:15], v[8:9]
	s_waitcnt_depctr 0xfff
	v_fma_f64 v[16:17], -v[8:9], v[14:15], 1.0
	s_delay_alu instid0(VALU_DEP_1) | instskip(NEXT) | instid1(VALU_DEP_1)
	v_fma_f64 v[14:15], v[14:15], v[16:17], v[14:15]
	v_fma_f64 v[16:17], -v[8:9], v[14:15], 1.0
	s_delay_alu instid0(VALU_DEP_1) | instskip(NEXT) | instid1(VALU_DEP_1)
	v_fma_f64 v[14:15], v[14:15], v[16:17], v[14:15]
	v_mul_f64 v[16:17], v[18:19], v[14:15]
	s_delay_alu instid0(VALU_DEP_1) | instskip(NEXT) | instid1(VALU_DEP_1)
	v_fma_f64 v[8:9], -v[8:9], v[16:17], v[18:19]
	v_div_fmas_f64 v[8:9], v[8:9], v[14:15], v[16:17]
	v_cmp_neq_f64_e32 vcc_lo, 0, v[4:5]
	s_delay_alu instid0(VALU_DEP_2) | instskip(NEXT) | instid1(VALU_DEP_1)
	v_div_fixup_f64 v[8:9], v[8:9], v[4:5], v[12:13]
	v_cndmask_b32_e32 v5, 0x7ff80000, v9, vcc_lo
	s_delay_alu instid0(VALU_DEP_2)
	v_cndmask_b32_e32 v4, 0, v8, vcc_lo
	global_store_b64 v[0:1], v[4:5], off
.LBB681_21:
	s_or_b32 exec_lo, exec_lo, s0
	v_cmp_ne_u32_e32 vcc_lo, 1, v24
	s_and_b32 exec_lo, exec_lo, vcc_lo
	s_cbranch_execz .LBB681_24
; %bb.22:
	s_and_b32 exec_lo, exec_lo, s2
	s_cbranch_execz .LBB681_24
; %bb.23:
	s_waitcnt lgkmcnt(0)
	v_add_f64 v[2:3], v[2:3], v[6:7]
	s_mov_b32 s7, 0
	s_delay_alu instid0(SALU_CYCLE_1) | instskip(NEXT) | instid1(SALU_CYCLE_1)
	s_lshl_b64 s[0:1], s[6:7], 3
	v_add_co_u32 v0, s0, v0, s0
	s_delay_alu instid0(VALU_DEP_1) | instskip(NEXT) | instid1(VALU_DEP_3)
	v_add_co_ci_u32_e64 v1, s0, s1, v1, s0
	v_div_scale_f64 v[4:5], null, v[2:3], v[2:3], v[10:11]
	v_div_scale_f64 v[12:13], vcc_lo, v[10:11], v[2:3], v[10:11]
	s_delay_alu instid0(VALU_DEP_2) | instskip(SKIP_2) | instid1(VALU_DEP_1)
	v_rcp_f64_e32 v[6:7], v[4:5]
	s_waitcnt_depctr 0xfff
	v_fma_f64 v[8:9], -v[4:5], v[6:7], 1.0
	v_fma_f64 v[6:7], v[6:7], v[8:9], v[6:7]
	s_delay_alu instid0(VALU_DEP_1) | instskip(NEXT) | instid1(VALU_DEP_1)
	v_fma_f64 v[8:9], -v[4:5], v[6:7], 1.0
	v_fma_f64 v[6:7], v[6:7], v[8:9], v[6:7]
	s_delay_alu instid0(VALU_DEP_1) | instskip(NEXT) | instid1(VALU_DEP_1)
	v_mul_f64 v[8:9], v[12:13], v[6:7]
	v_fma_f64 v[4:5], -v[4:5], v[8:9], v[12:13]
	s_delay_alu instid0(VALU_DEP_1) | instskip(SKIP_1) | instid1(VALU_DEP_2)
	v_div_fmas_f64 v[4:5], v[4:5], v[6:7], v[8:9]
	v_cmp_neq_f64_e32 vcc_lo, 0, v[2:3]
	v_div_fixup_f64 v[4:5], v[4:5], v[2:3], v[10:11]
	s_delay_alu instid0(VALU_DEP_1) | instskip(NEXT) | instid1(VALU_DEP_2)
	v_cndmask_b32_e32 v3, 0x7ff80000, v5, vcc_lo
	v_cndmask_b32_e32 v2, 0, v4, vcc_lo
	global_store_b64 v[0:1], v[2:3], off
.LBB681_24:
	s_nop 0
	s_sendmsg sendmsg(MSG_DEALLOC_VGPRS)
	s_endpgm
	.section	.rodata,"a",@progbits
	.p2align	6, 0x0
	.amdhsa_kernel _ZN12_GLOBAL__N_120softmax_warp_forwardIdddLi4ELb0ELb1ELi32EEEvPT0_PKT_iiiPKbib
		.amdhsa_group_segment_fixed_size 0
		.amdhsa_private_segment_fixed_size 0
		.amdhsa_kernarg_size 304
		.amdhsa_user_sgpr_count 15
		.amdhsa_user_sgpr_dispatch_ptr 0
		.amdhsa_user_sgpr_queue_ptr 0
		.amdhsa_user_sgpr_kernarg_segment_ptr 1
		.amdhsa_user_sgpr_dispatch_id 0
		.amdhsa_user_sgpr_private_segment_size 0
		.amdhsa_wavefront_size32 1
		.amdhsa_uses_dynamic_stack 0
		.amdhsa_enable_private_segment 0
		.amdhsa_system_sgpr_workgroup_id_x 1
		.amdhsa_system_sgpr_workgroup_id_y 0
		.amdhsa_system_sgpr_workgroup_id_z 0
		.amdhsa_system_sgpr_workgroup_info 0
		.amdhsa_system_vgpr_workitem_id 1
		.amdhsa_next_free_vgpr 29
		.amdhsa_next_free_sgpr 17
		.amdhsa_reserve_vcc 1
		.amdhsa_float_round_mode_32 0
		.amdhsa_float_round_mode_16_64 0
		.amdhsa_float_denorm_mode_32 3
		.amdhsa_float_denorm_mode_16_64 3
		.amdhsa_dx10_clamp 1
		.amdhsa_ieee_mode 1
		.amdhsa_fp16_overflow 0
		.amdhsa_workgroup_processor_mode 1
		.amdhsa_memory_ordered 1
		.amdhsa_forward_progress 0
		.amdhsa_shared_vgpr_count 0
		.amdhsa_exception_fp_ieee_invalid_op 0
		.amdhsa_exception_fp_denorm_src 0
		.amdhsa_exception_fp_ieee_div_zero 0
		.amdhsa_exception_fp_ieee_overflow 0
		.amdhsa_exception_fp_ieee_underflow 0
		.amdhsa_exception_fp_ieee_inexact 0
		.amdhsa_exception_int_div_zero 0
	.end_amdhsa_kernel
	.section	.text._ZN12_GLOBAL__N_120softmax_warp_forwardIdddLi4ELb0ELb1ELi32EEEvPT0_PKT_iiiPKbib,"axG",@progbits,_ZN12_GLOBAL__N_120softmax_warp_forwardIdddLi4ELb0ELb1ELi32EEEvPT0_PKT_iiiPKbib,comdat
.Lfunc_end681:
	.size	_ZN12_GLOBAL__N_120softmax_warp_forwardIdddLi4ELb0ELb1ELi32EEEvPT0_PKT_iiiPKbib, .Lfunc_end681-_ZN12_GLOBAL__N_120softmax_warp_forwardIdddLi4ELb0ELb1ELi32EEEvPT0_PKT_iiiPKbib
                                        ; -- End function
	.section	.AMDGPU.csdata,"",@progbits
; Kernel info:
; codeLenInByte = 2968
; NumSgprs: 19
; NumVgprs: 29
; ScratchSize: 0
; MemoryBound: 0
; FloatMode: 240
; IeeeMode: 1
; LDSByteSize: 0 bytes/workgroup (compile time only)
; SGPRBlocks: 2
; VGPRBlocks: 3
; NumSGPRsForWavesPerEU: 19
; NumVGPRsForWavesPerEU: 29
; Occupancy: 16
; WaveLimiterHint : 0
; COMPUTE_PGM_RSRC2:SCRATCH_EN: 0
; COMPUTE_PGM_RSRC2:USER_SGPR: 15
; COMPUTE_PGM_RSRC2:TRAP_HANDLER: 0
; COMPUTE_PGM_RSRC2:TGID_X_EN: 1
; COMPUTE_PGM_RSRC2:TGID_Y_EN: 0
; COMPUTE_PGM_RSRC2:TGID_Z_EN: 0
; COMPUTE_PGM_RSRC2:TIDIG_COMP_CNT: 1
	.section	.text._ZN12_GLOBAL__N_120softmax_warp_forwardIdddLi5ELb0ELb1ELi64EEEvPT0_PKT_iiiPKbib,"axG",@progbits,_ZN12_GLOBAL__N_120softmax_warp_forwardIdddLi5ELb0ELb1ELi64EEEvPT0_PKT_iiiPKbib,comdat
	.globl	_ZN12_GLOBAL__N_120softmax_warp_forwardIdddLi5ELb0ELb1ELi64EEEvPT0_PKT_iiiPKbib ; -- Begin function _ZN12_GLOBAL__N_120softmax_warp_forwardIdddLi5ELb0ELb1ELi64EEEvPT0_PKT_iiiPKbib
	.p2align	8
	.type	_ZN12_GLOBAL__N_120softmax_warp_forwardIdddLi5ELb0ELb1ELi64EEEvPT0_PKT_iiiPKbib,@function
_ZN12_GLOBAL__N_120softmax_warp_forwardIdddLi5ELb0ELb1ELi64EEEvPT0_PKT_iiiPKbib: ; @_ZN12_GLOBAL__N_120softmax_warp_forwardIdddLi5ELb0ELb1ELi64EEEvPT0_PKT_iiiPKbib
; %bb.0:
	s_clause 0x2
	s_load_b64 s[2:3], s[0:1], 0x28
	s_load_b32 s8, s[0:1], 0x3c
	s_load_b128 s[4:7], s[0:1], 0x10
	v_bfe_u32 v1, v0, 10, 10
	v_and_b32_e32 v0, 0x3ff, v0
	s_waitcnt lgkmcnt(0)
	s_bitcmp1_b32 s3, 0
	s_cselect_b32 s16, -1, 0
	s_lshr_b32 s7, s8, 16
	s_bitcmp0_b32 s3, 0
	s_mul_i32 s15, s15, s7
	s_delay_alu instid0(SALU_CYCLE_1) | instskip(NEXT) | instid1(VALU_DEP_1)
	v_add_lshl_u32 v1, s15, v1, 1
	v_mul_lo_u32 v6, v1, s5
	s_delay_alu instid0(VALU_DEP_1) | instskip(NEXT) | instid1(VALU_DEP_1)
	v_add_nc_u32_e32 v4, v6, v0
	v_ashrrev_i32_e32 v5, 31, v4
	s_delay_alu instid0(VALU_DEP_1)
	v_dual_mov_b32 v2, v4 :: v_dual_mov_b32 v3, v5
	s_cbranch_scc1 .LBB682_2
; %bb.1:
	s_abs_i32 s3, s2
	v_sub_nc_u32_e32 v7, 0, v6
	v_cvt_f32_u32_e32 v2, s3
	s_sub_i32 s7, 0, s3
	s_delay_alu instid0(VALU_DEP_2) | instskip(NEXT) | instid1(VALU_DEP_2)
	v_max_i32_e32 v7, v6, v7
	v_rcp_iflag_f32_e32 v2, v2
	v_xor_b32_e32 v6, s2, v6
	s_delay_alu instid0(VALU_DEP_1) | instskip(SKIP_2) | instid1(VALU_DEP_1)
	v_ashrrev_i32_e32 v6, 31, v6
	s_waitcnt_depctr 0xfff
	v_mul_f32_e32 v2, 0x4f7ffffe, v2
	v_cvt_u32_f32_e32 v2, v2
	s_delay_alu instid0(VALU_DEP_1) | instskip(NEXT) | instid1(VALU_DEP_1)
	v_mul_lo_u32 v3, s7, v2
	v_mul_hi_u32 v3, v2, v3
	s_delay_alu instid0(VALU_DEP_1) | instskip(NEXT) | instid1(VALU_DEP_1)
	v_add_nc_u32_e32 v2, v2, v3
	v_mul_hi_u32 v2, v7, v2
	s_delay_alu instid0(VALU_DEP_1) | instskip(NEXT) | instid1(VALU_DEP_1)
	v_mul_lo_u32 v3, v2, s3
	v_sub_nc_u32_e32 v3, v7, v3
	v_add_nc_u32_e32 v7, 1, v2
	s_delay_alu instid0(VALU_DEP_2) | instskip(SKIP_1) | instid1(VALU_DEP_2)
	v_subrev_nc_u32_e32 v8, s3, v3
	v_cmp_le_u32_e32 vcc_lo, s3, v3
	v_dual_cndmask_b32 v3, v3, v8 :: v_dual_cndmask_b32 v2, v2, v7
	s_delay_alu instid0(VALU_DEP_1) | instskip(NEXT) | instid1(VALU_DEP_2)
	v_cmp_le_u32_e32 vcc_lo, s3, v3
	v_add_nc_u32_e32 v7, 1, v2
	s_delay_alu instid0(VALU_DEP_1) | instskip(NEXT) | instid1(VALU_DEP_1)
	v_cndmask_b32_e32 v2, v2, v7, vcc_lo
	v_xor_b32_e32 v2, v2, v6
	s_delay_alu instid0(VALU_DEP_1) | instskip(NEXT) | instid1(VALU_DEP_1)
	v_sub_nc_u32_e32 v6, v2, v6
	v_mad_u64_u32 v[2:3], null, v6, s5, v[0:1]
	s_delay_alu instid0(VALU_DEP_1)
	v_ashrrev_i32_e32 v3, 31, v2
.LBB682_2:
	s_load_b128 s[8:11], s[0:1], 0x0
	v_lshlrev_b64 v[4:5], 3, v[4:5]
	v_sub_nc_u32_e32 v24, s4, v1
	v_mov_b32_e32 v6, 0
	v_mov_b32_e32 v7, 0xfff00000
	v_cmp_gt_i32_e64 s2, s6, v0
	s_delay_alu instid0(VALU_DEP_4) | instskip(NEXT) | instid1(VALU_DEP_3)
	v_cmp_lt_i32_e32 vcc_lo, 0, v24
	v_dual_mov_b32 v15, v7 :: v_dual_mov_b32 v14, v6
	s_delay_alu instid0(VALU_DEP_3) | instskip(SKIP_2) | instid1(VALU_DEP_1)
	s_and_b32 s5, s2, vcc_lo
	s_waitcnt lgkmcnt(0)
	v_add_co_u32 v0, s3, s10, v4
	v_add_co_ci_u32_e64 v1, s3, s11, v5, s3
	s_and_saveexec_b32 s3, s5
	s_cbranch_execz .LBB682_4
; %bb.3:
	global_load_b64 v[14:15], v[0:1], off
.LBB682_4:
	s_or_b32 exec_lo, exec_lo, s3
	v_cmp_lt_i32_e64 s3, 1, v24
	s_delay_alu instid0(VALU_DEP_1) | instskip(NEXT) | instid1(SALU_CYCLE_1)
	s_and_b32 s4, s2, s3
	s_and_saveexec_b32 s10, s4
	s_cbranch_execz .LBB682_6
; %bb.5:
	s_mov_b32 s7, 0
	s_delay_alu instid0(SALU_CYCLE_1) | instskip(NEXT) | instid1(SALU_CYCLE_1)
	s_lshl_b64 s[12:13], s[6:7], 3
	v_add_co_u32 v0, s3, v0, s12
	s_delay_alu instid0(VALU_DEP_1)
	v_add_co_ci_u32_e64 v1, s3, s13, v1, s3
	global_load_b64 v[6:7], v[0:1], off
.LBB682_6:
	s_or_b32 exec_lo, exec_lo, s10
	s_load_b64 s[0:1], s[0:1], 0x20
	v_mov_b32_e32 v0, 0
	v_mov_b32_e32 v1, 0xfff00000
	s_waitcnt lgkmcnt(0)
	v_add_co_u32 v8, s0, s0, v2
	s_delay_alu instid0(VALU_DEP_1)
	v_add_co_ci_u32_e64 v9, s0, s1, v3, s0
	s_and_saveexec_b32 s1, s5
	s_cbranch_execz .LBB682_8
; %bb.7:
	global_load_u8 v0, v[8:9], off
	s_waitcnt vmcnt(0)
	v_and_b32_e32 v0, 1, v0
	s_delay_alu instid0(VALU_DEP_1) | instskip(NEXT) | instid1(VALU_DEP_1)
	v_cmp_eq_u32_e64 s0, 1, v0
	v_cndmask_b32_e64 v1, v15, 0xfff00000, s0
	v_cndmask_b32_e64 v0, v14, 0, s0
.LBB682_8:
	s_or_b32 exec_lo, exec_lo, s1
	s_mov_b32 s12, 0
	s_mov_b32 s1, 0
	s_and_saveexec_b32 s3, s4
	s_cbranch_execz .LBB682_10
; %bb.9:
	s_and_b32 s0, s16, exec_lo
	s_cselect_b32 s0, 0, s6
	s_cselect_b32 s1, 0, 0
	v_add_co_u32 v2, s0, v8, s0
	s_delay_alu instid0(VALU_DEP_1) | instskip(SKIP_3) | instid1(VALU_DEP_1)
	v_add_co_ci_u32_e64 v3, s0, s1, v9, s0
	global_load_u8 v2, v[2:3], off
	s_waitcnt vmcnt(0)
	v_and_b32_e32 v2, 1, v2
	v_cmp_eq_u32_e64 s0, 1, v2
	s_delay_alu instid0(VALU_DEP_1) | instskip(NEXT) | instid1(SALU_CYCLE_1)
	s_xor_b32 s0, s0, -1
	s_and_b32 s1, s0, exec_lo
.LBB682_10:
	s_or_b32 exec_lo, exec_lo, s3
	v_mbcnt_lo_u32_b32 v16, -1, 0
	s_mov_b32 s13, s12
	s_mov_b32 s14, s12
	;; [unrolled: 1-line block ×3, first 2 shown]
	s_waitcnt vmcnt(0)
	v_cndmask_b32_e64 v3, 0xfff00000, v7, s1
	v_xor_b32_e32 v2, 16, v16
	v_xor_b32_e32 v17, 8, v16
	s_delay_alu instid0(VALU_DEP_2) | instskip(NEXT) | instid1(VALU_DEP_2)
	v_cmp_gt_i32_e64 s0, 32, v2
	v_cmp_gt_i32_e64 s3, 32, v17
	s_delay_alu instid0(VALU_DEP_2) | instskip(NEXT) | instid1(VALU_DEP_2)
	v_cndmask_b32_e64 v2, v16, v2, s0
	v_cndmask_b32_e64 v17, v16, v17, s3
	s_delay_alu instid0(VALU_DEP_2) | instskip(NEXT) | instid1(VALU_DEP_2)
	v_lshlrev_b32_e32 v25, 2, v2
	v_lshlrev_b32_e32 v26, 2, v17
	v_xor_b32_e32 v17, 4, v16
	v_cndmask_b32_e64 v2, 0, v6, s1
	ds_bpermute_b32 v10, v25, v0
	ds_bpermute_b32 v11, v25, v1
	v_cmp_gt_i32_e64 s3, 32, v17
	s_delay_alu instid0(VALU_DEP_1) | instskip(NEXT) | instid1(VALU_DEP_1)
	v_cndmask_b32_e64 v17, v16, v17, s3
	v_lshlrev_b32_e32 v27, 2, v17
	v_xor_b32_e32 v17, 2, v16
	s_delay_alu instid0(VALU_DEP_1) | instskip(SKIP_2) | instid1(VALU_DEP_2)
	v_cmp_gt_i32_e64 s3, 32, v17
	s_waitcnt lgkmcnt(0)
	v_cmp_lt_f64_e64 s0, v[0:1], v[10:11]
	v_cndmask_b32_e64 v17, v16, v17, s3
	s_delay_alu instid0(VALU_DEP_1) | instskip(SKIP_1) | instid1(VALU_DEP_1)
	v_lshlrev_b32_e32 v28, 2, v17
	v_xor_b32_e32 v17, 1, v16
	v_cmp_gt_i32_e64 s3, 32, v17
	s_delay_alu instid0(VALU_DEP_1) | instskip(NEXT) | instid1(VALU_DEP_1)
	v_cndmask_b32_e64 v16, v16, v17, s3
	v_lshlrev_b32_e32 v29, 2, v16
	v_cndmask_b32_e64 v1, v1, v11, s0
	v_cndmask_b32_e64 v0, v0, v10, s0
	ds_bpermute_b32 v11, v26, v1
	ds_bpermute_b32 v10, v26, v0
	s_waitcnt lgkmcnt(0)
	v_cmp_lt_f64_e64 s0, v[0:1], v[10:11]
	s_delay_alu instid0(VALU_DEP_1)
	v_cndmask_b32_e64 v1, v1, v11, s0
	v_cndmask_b32_e64 v0, v0, v10, s0
	ds_bpermute_b32 v11, v27, v1
	ds_bpermute_b32 v10, v27, v0
	s_waitcnt lgkmcnt(0)
	v_cmp_lt_f64_e64 s0, v[0:1], v[10:11]
	s_delay_alu instid0(VALU_DEP_1)
	;; [unrolled: 7-line block ×3, first 2 shown]
	v_cndmask_b32_e64 v21, v1, v11, s0
	v_cndmask_b32_e64 v20, v0, v10, s0
	v_mov_b32_e32 v10, 0
	ds_bpermute_b32 v12, v25, v2
	ds_bpermute_b32 v13, v25, v3
	v_mov_b32_e32 v11, 0
	s_waitcnt lgkmcnt(0)
	v_cmp_lt_f64_e64 s1, v[2:3], v[12:13]
	s_delay_alu instid0(VALU_DEP_1)
	v_cndmask_b32_e64 v3, v3, v13, s1
	v_cndmask_b32_e64 v2, v2, v12, s1
	ds_bpermute_b32 v13, v26, v3
	ds_bpermute_b32 v12, v26, v2
	s_waitcnt lgkmcnt(0)
	v_cmp_lt_f64_e64 s1, v[2:3], v[12:13]
	s_delay_alu instid0(VALU_DEP_1)
	v_cndmask_b32_e64 v3, v3, v13, s1
	v_cndmask_b32_e64 v2, v2, v12, s1
	ds_bpermute_b32 v13, v27, v3
	ds_bpermute_b32 v12, v27, v2
	;; [unrolled: 7-line block ×3, first 2 shown]
	s_waitcnt lgkmcnt(0)
	v_cmp_lt_f64_e64 s1, v[2:3], v[12:13]
	s_delay_alu instid0(VALU_DEP_1)
	v_cndmask_b32_e64 v17, v3, v13, s1
	v_cndmask_b32_e64 v16, v2, v12, s1
	v_mov_b32_e32 v0, s12
	v_mov_b32_e32 v2, s14
	ds_bpermute_b32 v23, v29, v21
	ds_bpermute_b32 v22, v29, v20
	;; [unrolled: 1-line block ×4, first 2 shown]
	v_mov_b32_e32 v13, v11
	v_mov_b32_e32 v1, s13
	v_dual_mov_b32 v3, s15 :: v_dual_mov_b32 v12, v10
	s_and_saveexec_b32 s3, s5
	s_cbranch_execz .LBB682_14
; %bb.11:
	global_load_u8 v0, v[8:9], off
	s_mov_b32 s13, s12
	s_mov_b32 s14, s12
	;; [unrolled: 1-line block ×3, first 2 shown]
	v_mov_b32_e32 v12, 0
	s_waitcnt vmcnt(0)
	v_dual_mov_b32 v13, 0 :: v_dual_and_b32 v0, 1, v0
	s_delay_alu instid0(VALU_DEP_1) | instskip(SKIP_2) | instid1(VALU_DEP_3)
	v_cmp_eq_u32_e64 s0, 1, v0
	v_dual_mov_b32 v0, s12 :: v_dual_mov_b32 v3, s15
	v_dual_mov_b32 v1, s13 :: v_dual_mov_b32 v2, s14
	s_xor_b32 s0, s0, -1
	s_delay_alu instid0(SALU_CYCLE_1)
	s_and_saveexec_b32 s5, s0
	s_cbranch_execz .LBB682_13
; %bb.12:
	s_waitcnt lgkmcnt(2)
	v_cmp_lt_f64_e64 s0, v[20:21], v[22:23]
	s_mov_b32 s10, 0x6a5dcb37
	s_mov_b32 s11, 0x3e5ade15
	s_delay_alu instid0(VALU_DEP_1) | instskip(SKIP_3) | instid1(VALU_DEP_1)
	v_cndmask_b32_e64 v1, v21, v23, s0
	v_cndmask_b32_e64 v0, v20, v22, s0
	s_mov_b32 s0, 0x652b82fe
	s_mov_b32 s1, 0x3ff71547
	v_add_f64 v[0:1], v[14:15], -v[0:1]
	s_delay_alu instid0(VALU_DEP_1) | instskip(SKIP_2) | instid1(VALU_DEP_1)
	v_mul_f64 v[2:3], v[0:1], s[0:1]
	s_mov_b32 s0, 0xfefa39ef
	s_mov_b32 s1, 0xbfe62e42
	v_rndne_f64_e32 v[2:3], v[2:3]
	s_delay_alu instid0(VALU_DEP_1) | instskip(SKIP_3) | instid1(VALU_DEP_2)
	v_fma_f64 v[12:13], v[2:3], s[0:1], v[0:1]
	s_mov_b32 s0, 0x3b39803f
	s_mov_b32 s1, 0xbc7abc9e
	v_cvt_i32_f64_e32 v20, v[2:3]
	v_fma_f64 v[12:13], v[2:3], s[0:1], v[12:13]
	s_mov_b32 s0, 0xfca7ab0c
	s_mov_b32 s1, 0x3e928af3
	s_delay_alu instid0(VALU_DEP_1) | instid1(SALU_CYCLE_1)
	v_fma_f64 v[14:15], v[12:13], s[10:11], s[0:1]
	s_mov_b32 s0, 0x623fde64
	s_mov_b32 s1, 0x3ec71dee
	s_delay_alu instid0(VALU_DEP_1) | instid1(SALU_CYCLE_1)
	;; [unrolled: 4-line block ×9, first 2 shown]
	v_fma_f64 v[14:15], v[12:13], v[14:15], s[0:1]
	v_cmp_nlt_f64_e64 s0, 0x40900000, v[0:1]
	v_cmp_ngt_f64_e64 s1, 0xc090cc00, v[0:1]
	s_delay_alu instid0(VALU_DEP_3) | instskip(NEXT) | instid1(VALU_DEP_1)
	v_fma_f64 v[14:15], v[12:13], v[14:15], 1.0
	v_fma_f64 v[2:3], v[12:13], v[14:15], 1.0
	s_delay_alu instid0(VALU_DEP_1) | instskip(NEXT) | instid1(VALU_DEP_1)
	v_ldexp_f64 v[2:3], v[2:3], v20
	v_cndmask_b32_e64 v3, 0x7ff00000, v3, s0
	s_and_b32 s0, s1, s0
	s_delay_alu instid0(VALU_DEP_2) | instid1(SALU_CYCLE_1)
	v_cndmask_b32_e64 v12, 0, v2, s0
	v_mov_b32_e32 v2, 0
	s_delay_alu instid0(VALU_DEP_3) | instskip(NEXT) | instid1(VALU_DEP_2)
	v_cndmask_b32_e64 v13, 0, v3, s1
	v_mov_b32_e32 v3, v2
	s_delay_alu instid0(VALU_DEP_2)
	v_add_f64 v[0:1], v[12:13], 0
.LBB682_13:
	s_or_b32 exec_lo, exec_lo, s5
.LBB682_14:
	s_delay_alu instid0(SALU_CYCLE_1)
	s_or_b32 exec_lo, exec_lo, s3
	s_and_saveexec_b32 s3, s4
	s_cbranch_execz .LBB682_18
; %bb.15:
	s_and_b32 s0, s16, exec_lo
	s_cselect_b32 s0, 0, s6
	s_cselect_b32 s1, 0, 0
	v_add_co_u32 v8, s0, v8, s0
	s_delay_alu instid0(VALU_DEP_1)
	v_add_co_ci_u32_e64 v9, s0, s1, v9, s0
	v_mov_b32_e32 v10, 0
	v_mov_b32_e32 v11, 0
	global_load_u8 v8, v[8:9], off
	s_waitcnt vmcnt(0)
	v_and_b32_e32 v8, 1, v8
	s_delay_alu instid0(VALU_DEP_1) | instskip(NEXT) | instid1(VALU_DEP_1)
	v_cmp_eq_u32_e64 s0, 1, v8
	s_xor_b32 s0, s0, -1
	s_delay_alu instid0(SALU_CYCLE_1)
	s_and_saveexec_b32 s4, s0
	s_cbranch_execz .LBB682_17
; %bb.16:
	s_waitcnt lgkmcnt(0)
	v_cmp_lt_f64_e64 s0, v[16:17], v[18:19]
	s_mov_b32 s10, 0x6a5dcb37
	s_mov_b32 s11, 0x3e5ade15
	s_delay_alu instid0(VALU_DEP_1) | instskip(SKIP_3) | instid1(VALU_DEP_1)
	v_cndmask_b32_e64 v9, v17, v19, s0
	v_cndmask_b32_e64 v8, v16, v18, s0
	s_mov_b32 s0, 0x652b82fe
	s_mov_b32 s1, 0x3ff71547
	v_add_f64 v[6:7], v[6:7], -v[8:9]
	s_delay_alu instid0(VALU_DEP_1) | instskip(SKIP_2) | instid1(VALU_DEP_1)
	v_mul_f64 v[8:9], v[6:7], s[0:1]
	s_mov_b32 s0, 0xfefa39ef
	s_mov_b32 s1, 0xbfe62e42
	v_rndne_f64_e32 v[8:9], v[8:9]
	s_delay_alu instid0(VALU_DEP_1) | instskip(SKIP_3) | instid1(VALU_DEP_2)
	v_fma_f64 v[10:11], v[8:9], s[0:1], v[6:7]
	s_mov_b32 s0, 0x3b39803f
	s_mov_b32 s1, 0xbc7abc9e
	v_cvt_i32_f64_e32 v16, v[8:9]
	v_fma_f64 v[10:11], v[8:9], s[0:1], v[10:11]
	s_mov_b32 s0, 0xfca7ab0c
	s_mov_b32 s1, 0x3e928af3
	s_delay_alu instid0(VALU_DEP_1) | instid1(SALU_CYCLE_1)
	v_fma_f64 v[14:15], v[10:11], s[10:11], s[0:1]
	s_mov_b32 s0, 0x623fde64
	s_mov_b32 s1, 0x3ec71dee
	s_delay_alu instid0(VALU_DEP_1) | instid1(SALU_CYCLE_1)
	;; [unrolled: 4-line block ×9, first 2 shown]
	v_fma_f64 v[14:15], v[10:11], v[14:15], s[0:1]
	v_cmp_nlt_f64_e64 s0, 0x40900000, v[6:7]
	v_cmp_ngt_f64_e64 s1, 0xc090cc00, v[6:7]
	s_delay_alu instid0(VALU_DEP_3) | instskip(NEXT) | instid1(VALU_DEP_1)
	v_fma_f64 v[14:15], v[10:11], v[14:15], 1.0
	v_fma_f64 v[8:9], v[10:11], v[14:15], 1.0
	s_delay_alu instid0(VALU_DEP_1) | instskip(NEXT) | instid1(VALU_DEP_1)
	v_ldexp_f64 v[8:9], v[8:9], v16
	v_cndmask_b32_e64 v9, 0x7ff00000, v9, s0
	s_and_b32 s0, s1, s0
	s_delay_alu instid0(VALU_DEP_2) | instid1(SALU_CYCLE_1)
	v_cndmask_b32_e64 v10, 0, v8, s0
	s_delay_alu instid0(VALU_DEP_2) | instskip(NEXT) | instid1(VALU_DEP_1)
	v_cndmask_b32_e64 v11, 0, v9, s1
	v_add_f64 v[2:3], v[2:3], v[10:11]
.LBB682_17:
	s_or_b32 exec_lo, exec_lo, s4
.LBB682_18:
	s_delay_alu instid0(SALU_CYCLE_1)
	s_or_b32 exec_lo, exec_lo, s3
	ds_bpermute_b32 v6, v25, v0
	ds_bpermute_b32 v7, v25, v1
	ds_bpermute_b32 v8, v25, v2
	ds_bpermute_b32 v9, v25, v3
	s_waitcnt lgkmcnt(2)
	v_add_f64 v[0:1], v[0:1], v[6:7]
	s_waitcnt lgkmcnt(0)
	v_add_f64 v[2:3], v[2:3], v[8:9]
	ds_bpermute_b32 v6, v26, v0
	ds_bpermute_b32 v7, v26, v1
	ds_bpermute_b32 v8, v26, v2
	ds_bpermute_b32 v9, v26, v3
	s_waitcnt lgkmcnt(2)
	v_add_f64 v[0:1], v[0:1], v[6:7]
	s_waitcnt lgkmcnt(0)
	v_add_f64 v[2:3], v[2:3], v[8:9]
	;; [unrolled: 8-line block ×4, first 2 shown]
	ds_bpermute_b32 v14, v29, v8
	ds_bpermute_b32 v15, v29, v9
	;; [unrolled: 1-line block ×4, first 2 shown]
	s_and_saveexec_b32 s0, vcc_lo
	s_cbranch_execz .LBB682_24
; %bb.19:
	v_add_co_u32 v0, vcc_lo, s8, v4
	v_add_co_ci_u32_e32 v1, vcc_lo, s9, v5, vcc_lo
	s_and_saveexec_b32 s0, s2
	s_cbranch_execz .LBB682_21
; %bb.20:
	s_waitcnt lgkmcnt(2)
	v_add_f64 v[4:5], v[8:9], v[14:15]
	s_delay_alu instid0(VALU_DEP_1) | instskip(SKIP_1) | instid1(VALU_DEP_2)
	v_div_scale_f64 v[8:9], null, v[4:5], v[4:5], v[12:13]
	v_div_scale_f64 v[18:19], vcc_lo, v[12:13], v[4:5], v[12:13]
	v_rcp_f64_e32 v[14:15], v[8:9]
	s_waitcnt_depctr 0xfff
	v_fma_f64 v[16:17], -v[8:9], v[14:15], 1.0
	s_delay_alu instid0(VALU_DEP_1) | instskip(NEXT) | instid1(VALU_DEP_1)
	v_fma_f64 v[14:15], v[14:15], v[16:17], v[14:15]
	v_fma_f64 v[16:17], -v[8:9], v[14:15], 1.0
	s_delay_alu instid0(VALU_DEP_1) | instskip(NEXT) | instid1(VALU_DEP_1)
	v_fma_f64 v[14:15], v[14:15], v[16:17], v[14:15]
	v_mul_f64 v[16:17], v[18:19], v[14:15]
	s_delay_alu instid0(VALU_DEP_1) | instskip(NEXT) | instid1(VALU_DEP_1)
	v_fma_f64 v[8:9], -v[8:9], v[16:17], v[18:19]
	v_div_fmas_f64 v[8:9], v[8:9], v[14:15], v[16:17]
	v_cmp_neq_f64_e32 vcc_lo, 0, v[4:5]
	s_delay_alu instid0(VALU_DEP_2) | instskip(NEXT) | instid1(VALU_DEP_1)
	v_div_fixup_f64 v[8:9], v[8:9], v[4:5], v[12:13]
	v_cndmask_b32_e32 v5, 0x7ff80000, v9, vcc_lo
	s_delay_alu instid0(VALU_DEP_2)
	v_cndmask_b32_e32 v4, 0, v8, vcc_lo
	global_store_b64 v[0:1], v[4:5], off
.LBB682_21:
	s_or_b32 exec_lo, exec_lo, s0
	v_cmp_ne_u32_e32 vcc_lo, 1, v24
	s_and_b32 exec_lo, exec_lo, vcc_lo
	s_cbranch_execz .LBB682_24
; %bb.22:
	s_and_b32 exec_lo, exec_lo, s2
	s_cbranch_execz .LBB682_24
; %bb.23:
	s_waitcnt lgkmcnt(0)
	v_add_f64 v[2:3], v[2:3], v[6:7]
	s_mov_b32 s7, 0
	s_delay_alu instid0(SALU_CYCLE_1) | instskip(NEXT) | instid1(SALU_CYCLE_1)
	s_lshl_b64 s[0:1], s[6:7], 3
	v_add_co_u32 v0, s0, v0, s0
	s_delay_alu instid0(VALU_DEP_1) | instskip(NEXT) | instid1(VALU_DEP_3)
	v_add_co_ci_u32_e64 v1, s0, s1, v1, s0
	v_div_scale_f64 v[4:5], null, v[2:3], v[2:3], v[10:11]
	v_div_scale_f64 v[12:13], vcc_lo, v[10:11], v[2:3], v[10:11]
	s_delay_alu instid0(VALU_DEP_2) | instskip(SKIP_2) | instid1(VALU_DEP_1)
	v_rcp_f64_e32 v[6:7], v[4:5]
	s_waitcnt_depctr 0xfff
	v_fma_f64 v[8:9], -v[4:5], v[6:7], 1.0
	v_fma_f64 v[6:7], v[6:7], v[8:9], v[6:7]
	s_delay_alu instid0(VALU_DEP_1) | instskip(NEXT) | instid1(VALU_DEP_1)
	v_fma_f64 v[8:9], -v[4:5], v[6:7], 1.0
	v_fma_f64 v[6:7], v[6:7], v[8:9], v[6:7]
	s_delay_alu instid0(VALU_DEP_1) | instskip(NEXT) | instid1(VALU_DEP_1)
	v_mul_f64 v[8:9], v[12:13], v[6:7]
	v_fma_f64 v[4:5], -v[4:5], v[8:9], v[12:13]
	s_delay_alu instid0(VALU_DEP_1) | instskip(SKIP_1) | instid1(VALU_DEP_2)
	v_div_fmas_f64 v[4:5], v[4:5], v[6:7], v[8:9]
	v_cmp_neq_f64_e32 vcc_lo, 0, v[2:3]
	v_div_fixup_f64 v[4:5], v[4:5], v[2:3], v[10:11]
	s_delay_alu instid0(VALU_DEP_1) | instskip(NEXT) | instid1(VALU_DEP_2)
	v_cndmask_b32_e32 v3, 0x7ff80000, v5, vcc_lo
	v_cndmask_b32_e32 v2, 0, v4, vcc_lo
	global_store_b64 v[0:1], v[2:3], off
.LBB682_24:
	s_nop 0
	s_sendmsg sendmsg(MSG_DEALLOC_VGPRS)
	s_endpgm
	.section	.rodata,"a",@progbits
	.p2align	6, 0x0
	.amdhsa_kernel _ZN12_GLOBAL__N_120softmax_warp_forwardIdddLi5ELb0ELb1ELi64EEEvPT0_PKT_iiiPKbib
		.amdhsa_group_segment_fixed_size 0
		.amdhsa_private_segment_fixed_size 0
		.amdhsa_kernarg_size 304
		.amdhsa_user_sgpr_count 15
		.amdhsa_user_sgpr_dispatch_ptr 0
		.amdhsa_user_sgpr_queue_ptr 0
		.amdhsa_user_sgpr_kernarg_segment_ptr 1
		.amdhsa_user_sgpr_dispatch_id 0
		.amdhsa_user_sgpr_private_segment_size 0
		.amdhsa_wavefront_size32 1
		.amdhsa_uses_dynamic_stack 0
		.amdhsa_enable_private_segment 0
		.amdhsa_system_sgpr_workgroup_id_x 1
		.amdhsa_system_sgpr_workgroup_id_y 0
		.amdhsa_system_sgpr_workgroup_id_z 0
		.amdhsa_system_sgpr_workgroup_info 0
		.amdhsa_system_vgpr_workitem_id 1
		.amdhsa_next_free_vgpr 30
		.amdhsa_next_free_sgpr 17
		.amdhsa_reserve_vcc 1
		.amdhsa_float_round_mode_32 0
		.amdhsa_float_round_mode_16_64 0
		.amdhsa_float_denorm_mode_32 3
		.amdhsa_float_denorm_mode_16_64 3
		.amdhsa_dx10_clamp 1
		.amdhsa_ieee_mode 1
		.amdhsa_fp16_overflow 0
		.amdhsa_workgroup_processor_mode 1
		.amdhsa_memory_ordered 1
		.amdhsa_forward_progress 0
		.amdhsa_shared_vgpr_count 0
		.amdhsa_exception_fp_ieee_invalid_op 0
		.amdhsa_exception_fp_denorm_src 0
		.amdhsa_exception_fp_ieee_div_zero 0
		.amdhsa_exception_fp_ieee_overflow 0
		.amdhsa_exception_fp_ieee_underflow 0
		.amdhsa_exception_fp_ieee_inexact 0
		.amdhsa_exception_int_div_zero 0
	.end_amdhsa_kernel
	.section	.text._ZN12_GLOBAL__N_120softmax_warp_forwardIdddLi5ELb0ELb1ELi64EEEvPT0_PKT_iiiPKbib,"axG",@progbits,_ZN12_GLOBAL__N_120softmax_warp_forwardIdddLi5ELb0ELb1ELi64EEEvPT0_PKT_iiiPKbib,comdat
.Lfunc_end682:
	.size	_ZN12_GLOBAL__N_120softmax_warp_forwardIdddLi5ELb0ELb1ELi64EEEvPT0_PKT_iiiPKbib, .Lfunc_end682-_ZN12_GLOBAL__N_120softmax_warp_forwardIdddLi5ELb0ELb1ELi64EEEvPT0_PKT_iiiPKbib
                                        ; -- End function
	.section	.AMDGPU.csdata,"",@progbits
; Kernel info:
; codeLenInByte = 3148
; NumSgprs: 19
; NumVgprs: 30
; ScratchSize: 0
; MemoryBound: 0
; FloatMode: 240
; IeeeMode: 1
; LDSByteSize: 0 bytes/workgroup (compile time only)
; SGPRBlocks: 2
; VGPRBlocks: 3
; NumSGPRsForWavesPerEU: 19
; NumVGPRsForWavesPerEU: 30
; Occupancy: 16
; WaveLimiterHint : 0
; COMPUTE_PGM_RSRC2:SCRATCH_EN: 0
; COMPUTE_PGM_RSRC2:USER_SGPR: 15
; COMPUTE_PGM_RSRC2:TRAP_HANDLER: 0
; COMPUTE_PGM_RSRC2:TGID_X_EN: 1
; COMPUTE_PGM_RSRC2:TGID_Y_EN: 0
; COMPUTE_PGM_RSRC2:TGID_Z_EN: 0
; COMPUTE_PGM_RSRC2:TIDIG_COMP_CNT: 1
	.section	.text._ZN12_GLOBAL__N_120softmax_warp_forwardIdddLi5ELb0ELb1ELi32EEEvPT0_PKT_iiiPKbib,"axG",@progbits,_ZN12_GLOBAL__N_120softmax_warp_forwardIdddLi5ELb0ELb1ELi32EEEvPT0_PKT_iiiPKbib,comdat
	.globl	_ZN12_GLOBAL__N_120softmax_warp_forwardIdddLi5ELb0ELb1ELi32EEEvPT0_PKT_iiiPKbib ; -- Begin function _ZN12_GLOBAL__N_120softmax_warp_forwardIdddLi5ELb0ELb1ELi32EEEvPT0_PKT_iiiPKbib
	.p2align	8
	.type	_ZN12_GLOBAL__N_120softmax_warp_forwardIdddLi5ELb0ELb1ELi32EEEvPT0_PKT_iiiPKbib,@function
_ZN12_GLOBAL__N_120softmax_warp_forwardIdddLi5ELb0ELb1ELi32EEEvPT0_PKT_iiiPKbib: ; @_ZN12_GLOBAL__N_120softmax_warp_forwardIdddLi5ELb0ELb1ELi32EEEvPT0_PKT_iiiPKbib
; %bb.0:
	s_clause 0x2
	s_load_b64 s[2:3], s[0:1], 0x28
	s_load_b32 s8, s[0:1], 0x3c
	s_load_b128 s[4:7], s[0:1], 0x10
	v_bfe_u32 v1, v0, 10, 10
	v_and_b32_e32 v0, 0x3ff, v0
	s_waitcnt lgkmcnt(0)
	s_bitcmp1_b32 s3, 0
	s_cselect_b32 s16, -1, 0
	s_lshr_b32 s7, s8, 16
	s_bitcmp0_b32 s3, 0
	s_mul_i32 s15, s15, s7
	s_delay_alu instid0(SALU_CYCLE_1) | instskip(NEXT) | instid1(VALU_DEP_1)
	v_add_lshl_u32 v1, s15, v1, 1
	v_mul_lo_u32 v6, v1, s5
	s_delay_alu instid0(VALU_DEP_1) | instskip(NEXT) | instid1(VALU_DEP_1)
	v_add_nc_u32_e32 v4, v6, v0
	v_ashrrev_i32_e32 v5, 31, v4
	s_delay_alu instid0(VALU_DEP_1)
	v_dual_mov_b32 v2, v4 :: v_dual_mov_b32 v3, v5
	s_cbranch_scc1 .LBB683_2
; %bb.1:
	s_abs_i32 s3, s2
	v_sub_nc_u32_e32 v7, 0, v6
	v_cvt_f32_u32_e32 v2, s3
	s_sub_i32 s7, 0, s3
	s_delay_alu instid0(VALU_DEP_2) | instskip(NEXT) | instid1(VALU_DEP_2)
	v_max_i32_e32 v7, v6, v7
	v_rcp_iflag_f32_e32 v2, v2
	v_xor_b32_e32 v6, s2, v6
	s_delay_alu instid0(VALU_DEP_1) | instskip(SKIP_2) | instid1(VALU_DEP_1)
	v_ashrrev_i32_e32 v6, 31, v6
	s_waitcnt_depctr 0xfff
	v_mul_f32_e32 v2, 0x4f7ffffe, v2
	v_cvt_u32_f32_e32 v2, v2
	s_delay_alu instid0(VALU_DEP_1) | instskip(NEXT) | instid1(VALU_DEP_1)
	v_mul_lo_u32 v3, s7, v2
	v_mul_hi_u32 v3, v2, v3
	s_delay_alu instid0(VALU_DEP_1) | instskip(NEXT) | instid1(VALU_DEP_1)
	v_add_nc_u32_e32 v2, v2, v3
	v_mul_hi_u32 v2, v7, v2
	s_delay_alu instid0(VALU_DEP_1) | instskip(NEXT) | instid1(VALU_DEP_1)
	v_mul_lo_u32 v3, v2, s3
	v_sub_nc_u32_e32 v3, v7, v3
	v_add_nc_u32_e32 v7, 1, v2
	s_delay_alu instid0(VALU_DEP_2) | instskip(SKIP_1) | instid1(VALU_DEP_2)
	v_subrev_nc_u32_e32 v8, s3, v3
	v_cmp_le_u32_e32 vcc_lo, s3, v3
	v_dual_cndmask_b32 v3, v3, v8 :: v_dual_cndmask_b32 v2, v2, v7
	s_delay_alu instid0(VALU_DEP_1) | instskip(NEXT) | instid1(VALU_DEP_2)
	v_cmp_le_u32_e32 vcc_lo, s3, v3
	v_add_nc_u32_e32 v7, 1, v2
	s_delay_alu instid0(VALU_DEP_1) | instskip(NEXT) | instid1(VALU_DEP_1)
	v_cndmask_b32_e32 v2, v2, v7, vcc_lo
	v_xor_b32_e32 v2, v2, v6
	s_delay_alu instid0(VALU_DEP_1) | instskip(NEXT) | instid1(VALU_DEP_1)
	v_sub_nc_u32_e32 v6, v2, v6
	v_mad_u64_u32 v[2:3], null, v6, s5, v[0:1]
	s_delay_alu instid0(VALU_DEP_1)
	v_ashrrev_i32_e32 v3, 31, v2
.LBB683_2:
	s_load_b128 s[8:11], s[0:1], 0x0
	v_lshlrev_b64 v[4:5], 3, v[4:5]
	v_sub_nc_u32_e32 v24, s4, v1
	v_mov_b32_e32 v6, 0
	v_mov_b32_e32 v7, 0xfff00000
	v_cmp_gt_i32_e64 s2, s6, v0
	s_delay_alu instid0(VALU_DEP_4) | instskip(NEXT) | instid1(VALU_DEP_3)
	v_cmp_lt_i32_e32 vcc_lo, 0, v24
	v_dual_mov_b32 v15, v7 :: v_dual_mov_b32 v14, v6
	s_delay_alu instid0(VALU_DEP_3) | instskip(SKIP_2) | instid1(VALU_DEP_1)
	s_and_b32 s5, s2, vcc_lo
	s_waitcnt lgkmcnt(0)
	v_add_co_u32 v0, s3, s10, v4
	v_add_co_ci_u32_e64 v1, s3, s11, v5, s3
	s_and_saveexec_b32 s3, s5
	s_cbranch_execz .LBB683_4
; %bb.3:
	global_load_b64 v[14:15], v[0:1], off
.LBB683_4:
	s_or_b32 exec_lo, exec_lo, s3
	v_cmp_lt_i32_e64 s3, 1, v24
	s_delay_alu instid0(VALU_DEP_1) | instskip(NEXT) | instid1(SALU_CYCLE_1)
	s_and_b32 s4, s2, s3
	s_and_saveexec_b32 s10, s4
	s_cbranch_execz .LBB683_6
; %bb.5:
	s_mov_b32 s7, 0
	s_delay_alu instid0(SALU_CYCLE_1) | instskip(NEXT) | instid1(SALU_CYCLE_1)
	s_lshl_b64 s[12:13], s[6:7], 3
	v_add_co_u32 v0, s3, v0, s12
	s_delay_alu instid0(VALU_DEP_1)
	v_add_co_ci_u32_e64 v1, s3, s13, v1, s3
	global_load_b64 v[6:7], v[0:1], off
.LBB683_6:
	s_or_b32 exec_lo, exec_lo, s10
	s_load_b64 s[0:1], s[0:1], 0x20
	v_mov_b32_e32 v0, 0
	v_mov_b32_e32 v1, 0xfff00000
	s_waitcnt lgkmcnt(0)
	v_add_co_u32 v8, s0, s0, v2
	s_delay_alu instid0(VALU_DEP_1)
	v_add_co_ci_u32_e64 v9, s0, s1, v3, s0
	s_and_saveexec_b32 s1, s5
	s_cbranch_execz .LBB683_8
; %bb.7:
	global_load_u8 v0, v[8:9], off
	s_waitcnt vmcnt(0)
	v_and_b32_e32 v0, 1, v0
	s_delay_alu instid0(VALU_DEP_1) | instskip(NEXT) | instid1(VALU_DEP_1)
	v_cmp_eq_u32_e64 s0, 1, v0
	v_cndmask_b32_e64 v1, v15, 0xfff00000, s0
	v_cndmask_b32_e64 v0, v14, 0, s0
.LBB683_8:
	s_or_b32 exec_lo, exec_lo, s1
	s_mov_b32 s12, 0
	s_mov_b32 s1, 0
	s_and_saveexec_b32 s3, s4
	s_cbranch_execz .LBB683_10
; %bb.9:
	s_and_b32 s0, s16, exec_lo
	s_cselect_b32 s0, 0, s6
	s_cselect_b32 s1, 0, 0
	v_add_co_u32 v2, s0, v8, s0
	s_delay_alu instid0(VALU_DEP_1) | instskip(SKIP_3) | instid1(VALU_DEP_1)
	v_add_co_ci_u32_e64 v3, s0, s1, v9, s0
	global_load_u8 v2, v[2:3], off
	s_waitcnt vmcnt(0)
	v_and_b32_e32 v2, 1, v2
	v_cmp_eq_u32_e64 s0, 1, v2
	s_delay_alu instid0(VALU_DEP_1) | instskip(NEXT) | instid1(SALU_CYCLE_1)
	s_xor_b32 s0, s0, -1
	s_and_b32 s1, s0, exec_lo
.LBB683_10:
	s_or_b32 exec_lo, exec_lo, s3
	v_mbcnt_lo_u32_b32 v16, -1, 0
	s_mov_b32 s13, s12
	s_mov_b32 s14, s12
	;; [unrolled: 1-line block ×3, first 2 shown]
	s_waitcnt vmcnt(0)
	v_cndmask_b32_e64 v3, 0xfff00000, v7, s1
	v_xor_b32_e32 v2, 16, v16
	v_xor_b32_e32 v17, 8, v16
	s_delay_alu instid0(VALU_DEP_2) | instskip(NEXT) | instid1(VALU_DEP_2)
	v_cmp_gt_i32_e64 s0, 32, v2
	v_cmp_gt_i32_e64 s3, 32, v17
	s_delay_alu instid0(VALU_DEP_2) | instskip(NEXT) | instid1(VALU_DEP_2)
	v_cndmask_b32_e64 v2, v16, v2, s0
	v_cndmask_b32_e64 v17, v16, v17, s3
	s_delay_alu instid0(VALU_DEP_2) | instskip(NEXT) | instid1(VALU_DEP_2)
	v_lshlrev_b32_e32 v25, 2, v2
	v_lshlrev_b32_e32 v26, 2, v17
	v_xor_b32_e32 v17, 4, v16
	v_cndmask_b32_e64 v2, 0, v6, s1
	ds_bpermute_b32 v10, v25, v0
	ds_bpermute_b32 v11, v25, v1
	v_cmp_gt_i32_e64 s3, 32, v17
	s_delay_alu instid0(VALU_DEP_1) | instskip(NEXT) | instid1(VALU_DEP_1)
	v_cndmask_b32_e64 v17, v16, v17, s3
	v_lshlrev_b32_e32 v27, 2, v17
	v_xor_b32_e32 v17, 2, v16
	s_delay_alu instid0(VALU_DEP_1) | instskip(SKIP_2) | instid1(VALU_DEP_2)
	v_cmp_gt_i32_e64 s3, 32, v17
	s_waitcnt lgkmcnt(0)
	v_cmp_lt_f64_e64 s0, v[0:1], v[10:11]
	v_cndmask_b32_e64 v17, v16, v17, s3
	s_delay_alu instid0(VALU_DEP_1) | instskip(SKIP_1) | instid1(VALU_DEP_1)
	v_lshlrev_b32_e32 v28, 2, v17
	v_xor_b32_e32 v17, 1, v16
	v_cmp_gt_i32_e64 s3, 32, v17
	s_delay_alu instid0(VALU_DEP_1) | instskip(NEXT) | instid1(VALU_DEP_1)
	v_cndmask_b32_e64 v16, v16, v17, s3
	v_lshlrev_b32_e32 v29, 2, v16
	v_cndmask_b32_e64 v1, v1, v11, s0
	v_cndmask_b32_e64 v0, v0, v10, s0
	ds_bpermute_b32 v11, v26, v1
	ds_bpermute_b32 v10, v26, v0
	s_waitcnt lgkmcnt(0)
	v_cmp_lt_f64_e64 s0, v[0:1], v[10:11]
	s_delay_alu instid0(VALU_DEP_1)
	v_cndmask_b32_e64 v1, v1, v11, s0
	v_cndmask_b32_e64 v0, v0, v10, s0
	ds_bpermute_b32 v11, v27, v1
	ds_bpermute_b32 v10, v27, v0
	s_waitcnt lgkmcnt(0)
	v_cmp_lt_f64_e64 s0, v[0:1], v[10:11]
	s_delay_alu instid0(VALU_DEP_1)
	;; [unrolled: 7-line block ×3, first 2 shown]
	v_cndmask_b32_e64 v21, v1, v11, s0
	v_cndmask_b32_e64 v20, v0, v10, s0
	v_mov_b32_e32 v10, 0
	ds_bpermute_b32 v12, v25, v2
	ds_bpermute_b32 v13, v25, v3
	v_mov_b32_e32 v11, 0
	s_waitcnt lgkmcnt(0)
	v_cmp_lt_f64_e64 s1, v[2:3], v[12:13]
	s_delay_alu instid0(VALU_DEP_1)
	v_cndmask_b32_e64 v3, v3, v13, s1
	v_cndmask_b32_e64 v2, v2, v12, s1
	ds_bpermute_b32 v13, v26, v3
	ds_bpermute_b32 v12, v26, v2
	s_waitcnt lgkmcnt(0)
	v_cmp_lt_f64_e64 s1, v[2:3], v[12:13]
	s_delay_alu instid0(VALU_DEP_1)
	v_cndmask_b32_e64 v3, v3, v13, s1
	v_cndmask_b32_e64 v2, v2, v12, s1
	ds_bpermute_b32 v13, v27, v3
	ds_bpermute_b32 v12, v27, v2
	;; [unrolled: 7-line block ×3, first 2 shown]
	s_waitcnt lgkmcnt(0)
	v_cmp_lt_f64_e64 s1, v[2:3], v[12:13]
	s_delay_alu instid0(VALU_DEP_1)
	v_cndmask_b32_e64 v17, v3, v13, s1
	v_cndmask_b32_e64 v16, v2, v12, s1
	v_mov_b32_e32 v0, s12
	v_mov_b32_e32 v2, s14
	ds_bpermute_b32 v23, v29, v21
	ds_bpermute_b32 v22, v29, v20
	ds_bpermute_b32 v18, v29, v16
	ds_bpermute_b32 v19, v29, v17
	v_mov_b32_e32 v13, v11
	v_mov_b32_e32 v1, s13
	v_dual_mov_b32 v3, s15 :: v_dual_mov_b32 v12, v10
	s_and_saveexec_b32 s3, s5
	s_cbranch_execz .LBB683_14
; %bb.11:
	global_load_u8 v0, v[8:9], off
	s_mov_b32 s13, s12
	s_mov_b32 s14, s12
	;; [unrolled: 1-line block ×3, first 2 shown]
	v_mov_b32_e32 v12, 0
	s_waitcnt vmcnt(0)
	v_dual_mov_b32 v13, 0 :: v_dual_and_b32 v0, 1, v0
	s_delay_alu instid0(VALU_DEP_1) | instskip(SKIP_2) | instid1(VALU_DEP_3)
	v_cmp_eq_u32_e64 s0, 1, v0
	v_dual_mov_b32 v0, s12 :: v_dual_mov_b32 v3, s15
	v_dual_mov_b32 v1, s13 :: v_dual_mov_b32 v2, s14
	s_xor_b32 s0, s0, -1
	s_delay_alu instid0(SALU_CYCLE_1)
	s_and_saveexec_b32 s5, s0
	s_cbranch_execz .LBB683_13
; %bb.12:
	s_waitcnt lgkmcnt(2)
	v_cmp_lt_f64_e64 s0, v[20:21], v[22:23]
	s_mov_b32 s10, 0x6a5dcb37
	s_mov_b32 s11, 0x3e5ade15
	s_delay_alu instid0(VALU_DEP_1) | instskip(SKIP_3) | instid1(VALU_DEP_1)
	v_cndmask_b32_e64 v1, v21, v23, s0
	v_cndmask_b32_e64 v0, v20, v22, s0
	s_mov_b32 s0, 0x652b82fe
	s_mov_b32 s1, 0x3ff71547
	v_add_f64 v[0:1], v[14:15], -v[0:1]
	s_delay_alu instid0(VALU_DEP_1) | instskip(SKIP_2) | instid1(VALU_DEP_1)
	v_mul_f64 v[2:3], v[0:1], s[0:1]
	s_mov_b32 s0, 0xfefa39ef
	s_mov_b32 s1, 0xbfe62e42
	v_rndne_f64_e32 v[2:3], v[2:3]
	s_delay_alu instid0(VALU_DEP_1) | instskip(SKIP_3) | instid1(VALU_DEP_2)
	v_fma_f64 v[12:13], v[2:3], s[0:1], v[0:1]
	s_mov_b32 s0, 0x3b39803f
	s_mov_b32 s1, 0xbc7abc9e
	v_cvt_i32_f64_e32 v20, v[2:3]
	v_fma_f64 v[12:13], v[2:3], s[0:1], v[12:13]
	s_mov_b32 s0, 0xfca7ab0c
	s_mov_b32 s1, 0x3e928af3
	s_delay_alu instid0(VALU_DEP_1) | instid1(SALU_CYCLE_1)
	v_fma_f64 v[14:15], v[12:13], s[10:11], s[0:1]
	s_mov_b32 s0, 0x623fde64
	s_mov_b32 s1, 0x3ec71dee
	s_delay_alu instid0(VALU_DEP_1) | instid1(SALU_CYCLE_1)
	;; [unrolled: 4-line block ×9, first 2 shown]
	v_fma_f64 v[14:15], v[12:13], v[14:15], s[0:1]
	v_cmp_nlt_f64_e64 s0, 0x40900000, v[0:1]
	v_cmp_ngt_f64_e64 s1, 0xc090cc00, v[0:1]
	s_delay_alu instid0(VALU_DEP_3) | instskip(NEXT) | instid1(VALU_DEP_1)
	v_fma_f64 v[14:15], v[12:13], v[14:15], 1.0
	v_fma_f64 v[2:3], v[12:13], v[14:15], 1.0
	s_delay_alu instid0(VALU_DEP_1) | instskip(NEXT) | instid1(VALU_DEP_1)
	v_ldexp_f64 v[2:3], v[2:3], v20
	v_cndmask_b32_e64 v3, 0x7ff00000, v3, s0
	s_and_b32 s0, s1, s0
	s_delay_alu instid0(VALU_DEP_2) | instid1(SALU_CYCLE_1)
	v_cndmask_b32_e64 v12, 0, v2, s0
	v_mov_b32_e32 v2, 0
	s_delay_alu instid0(VALU_DEP_3) | instskip(NEXT) | instid1(VALU_DEP_2)
	v_cndmask_b32_e64 v13, 0, v3, s1
	v_mov_b32_e32 v3, v2
	s_delay_alu instid0(VALU_DEP_2)
	v_add_f64 v[0:1], v[12:13], 0
.LBB683_13:
	s_or_b32 exec_lo, exec_lo, s5
.LBB683_14:
	s_delay_alu instid0(SALU_CYCLE_1)
	s_or_b32 exec_lo, exec_lo, s3
	s_and_saveexec_b32 s3, s4
	s_cbranch_execz .LBB683_18
; %bb.15:
	s_and_b32 s0, s16, exec_lo
	s_cselect_b32 s0, 0, s6
	s_cselect_b32 s1, 0, 0
	v_add_co_u32 v8, s0, v8, s0
	s_delay_alu instid0(VALU_DEP_1)
	v_add_co_ci_u32_e64 v9, s0, s1, v9, s0
	v_mov_b32_e32 v10, 0
	v_mov_b32_e32 v11, 0
	global_load_u8 v8, v[8:9], off
	s_waitcnt vmcnt(0)
	v_and_b32_e32 v8, 1, v8
	s_delay_alu instid0(VALU_DEP_1) | instskip(NEXT) | instid1(VALU_DEP_1)
	v_cmp_eq_u32_e64 s0, 1, v8
	s_xor_b32 s0, s0, -1
	s_delay_alu instid0(SALU_CYCLE_1)
	s_and_saveexec_b32 s4, s0
	s_cbranch_execz .LBB683_17
; %bb.16:
	s_waitcnt lgkmcnt(0)
	v_cmp_lt_f64_e64 s0, v[16:17], v[18:19]
	s_mov_b32 s10, 0x6a5dcb37
	s_mov_b32 s11, 0x3e5ade15
	s_delay_alu instid0(VALU_DEP_1) | instskip(SKIP_3) | instid1(VALU_DEP_1)
	v_cndmask_b32_e64 v9, v17, v19, s0
	v_cndmask_b32_e64 v8, v16, v18, s0
	s_mov_b32 s0, 0x652b82fe
	s_mov_b32 s1, 0x3ff71547
	v_add_f64 v[6:7], v[6:7], -v[8:9]
	s_delay_alu instid0(VALU_DEP_1) | instskip(SKIP_2) | instid1(VALU_DEP_1)
	v_mul_f64 v[8:9], v[6:7], s[0:1]
	s_mov_b32 s0, 0xfefa39ef
	s_mov_b32 s1, 0xbfe62e42
	v_rndne_f64_e32 v[8:9], v[8:9]
	s_delay_alu instid0(VALU_DEP_1) | instskip(SKIP_3) | instid1(VALU_DEP_2)
	v_fma_f64 v[10:11], v[8:9], s[0:1], v[6:7]
	s_mov_b32 s0, 0x3b39803f
	s_mov_b32 s1, 0xbc7abc9e
	v_cvt_i32_f64_e32 v16, v[8:9]
	v_fma_f64 v[10:11], v[8:9], s[0:1], v[10:11]
	s_mov_b32 s0, 0xfca7ab0c
	s_mov_b32 s1, 0x3e928af3
	s_delay_alu instid0(VALU_DEP_1) | instid1(SALU_CYCLE_1)
	v_fma_f64 v[14:15], v[10:11], s[10:11], s[0:1]
	s_mov_b32 s0, 0x623fde64
	s_mov_b32 s1, 0x3ec71dee
	s_delay_alu instid0(VALU_DEP_1) | instid1(SALU_CYCLE_1)
	;; [unrolled: 4-line block ×9, first 2 shown]
	v_fma_f64 v[14:15], v[10:11], v[14:15], s[0:1]
	v_cmp_nlt_f64_e64 s0, 0x40900000, v[6:7]
	v_cmp_ngt_f64_e64 s1, 0xc090cc00, v[6:7]
	s_delay_alu instid0(VALU_DEP_3) | instskip(NEXT) | instid1(VALU_DEP_1)
	v_fma_f64 v[14:15], v[10:11], v[14:15], 1.0
	v_fma_f64 v[8:9], v[10:11], v[14:15], 1.0
	s_delay_alu instid0(VALU_DEP_1) | instskip(NEXT) | instid1(VALU_DEP_1)
	v_ldexp_f64 v[8:9], v[8:9], v16
	v_cndmask_b32_e64 v9, 0x7ff00000, v9, s0
	s_and_b32 s0, s1, s0
	s_delay_alu instid0(VALU_DEP_2) | instid1(SALU_CYCLE_1)
	v_cndmask_b32_e64 v10, 0, v8, s0
	s_delay_alu instid0(VALU_DEP_2) | instskip(NEXT) | instid1(VALU_DEP_1)
	v_cndmask_b32_e64 v11, 0, v9, s1
	v_add_f64 v[2:3], v[2:3], v[10:11]
.LBB683_17:
	s_or_b32 exec_lo, exec_lo, s4
.LBB683_18:
	s_delay_alu instid0(SALU_CYCLE_1)
	s_or_b32 exec_lo, exec_lo, s3
	ds_bpermute_b32 v6, v25, v0
	ds_bpermute_b32 v7, v25, v1
	ds_bpermute_b32 v8, v25, v2
	ds_bpermute_b32 v9, v25, v3
	s_waitcnt lgkmcnt(2)
	v_add_f64 v[0:1], v[0:1], v[6:7]
	s_waitcnt lgkmcnt(0)
	v_add_f64 v[2:3], v[2:3], v[8:9]
	ds_bpermute_b32 v6, v26, v0
	ds_bpermute_b32 v7, v26, v1
	ds_bpermute_b32 v8, v26, v2
	ds_bpermute_b32 v9, v26, v3
	s_waitcnt lgkmcnt(2)
	v_add_f64 v[0:1], v[0:1], v[6:7]
	s_waitcnt lgkmcnt(0)
	v_add_f64 v[2:3], v[2:3], v[8:9]
	;; [unrolled: 8-line block ×4, first 2 shown]
	ds_bpermute_b32 v14, v29, v8
	ds_bpermute_b32 v15, v29, v9
	;; [unrolled: 1-line block ×4, first 2 shown]
	s_and_saveexec_b32 s0, vcc_lo
	s_cbranch_execz .LBB683_24
; %bb.19:
	v_add_co_u32 v0, vcc_lo, s8, v4
	v_add_co_ci_u32_e32 v1, vcc_lo, s9, v5, vcc_lo
	s_and_saveexec_b32 s0, s2
	s_cbranch_execz .LBB683_21
; %bb.20:
	s_waitcnt lgkmcnt(2)
	v_add_f64 v[4:5], v[8:9], v[14:15]
	s_delay_alu instid0(VALU_DEP_1) | instskip(SKIP_1) | instid1(VALU_DEP_2)
	v_div_scale_f64 v[8:9], null, v[4:5], v[4:5], v[12:13]
	v_div_scale_f64 v[18:19], vcc_lo, v[12:13], v[4:5], v[12:13]
	v_rcp_f64_e32 v[14:15], v[8:9]
	s_waitcnt_depctr 0xfff
	v_fma_f64 v[16:17], -v[8:9], v[14:15], 1.0
	s_delay_alu instid0(VALU_DEP_1) | instskip(NEXT) | instid1(VALU_DEP_1)
	v_fma_f64 v[14:15], v[14:15], v[16:17], v[14:15]
	v_fma_f64 v[16:17], -v[8:9], v[14:15], 1.0
	s_delay_alu instid0(VALU_DEP_1) | instskip(NEXT) | instid1(VALU_DEP_1)
	v_fma_f64 v[14:15], v[14:15], v[16:17], v[14:15]
	v_mul_f64 v[16:17], v[18:19], v[14:15]
	s_delay_alu instid0(VALU_DEP_1) | instskip(NEXT) | instid1(VALU_DEP_1)
	v_fma_f64 v[8:9], -v[8:9], v[16:17], v[18:19]
	v_div_fmas_f64 v[8:9], v[8:9], v[14:15], v[16:17]
	v_cmp_neq_f64_e32 vcc_lo, 0, v[4:5]
	s_delay_alu instid0(VALU_DEP_2) | instskip(NEXT) | instid1(VALU_DEP_1)
	v_div_fixup_f64 v[8:9], v[8:9], v[4:5], v[12:13]
	v_cndmask_b32_e32 v5, 0x7ff80000, v9, vcc_lo
	s_delay_alu instid0(VALU_DEP_2)
	v_cndmask_b32_e32 v4, 0, v8, vcc_lo
	global_store_b64 v[0:1], v[4:5], off
.LBB683_21:
	s_or_b32 exec_lo, exec_lo, s0
	v_cmp_ne_u32_e32 vcc_lo, 1, v24
	s_and_b32 exec_lo, exec_lo, vcc_lo
	s_cbranch_execz .LBB683_24
; %bb.22:
	s_and_b32 exec_lo, exec_lo, s2
	s_cbranch_execz .LBB683_24
; %bb.23:
	s_waitcnt lgkmcnt(0)
	v_add_f64 v[2:3], v[2:3], v[6:7]
	s_mov_b32 s7, 0
	s_delay_alu instid0(SALU_CYCLE_1) | instskip(NEXT) | instid1(SALU_CYCLE_1)
	s_lshl_b64 s[0:1], s[6:7], 3
	v_add_co_u32 v0, s0, v0, s0
	s_delay_alu instid0(VALU_DEP_1) | instskip(NEXT) | instid1(VALU_DEP_3)
	v_add_co_ci_u32_e64 v1, s0, s1, v1, s0
	v_div_scale_f64 v[4:5], null, v[2:3], v[2:3], v[10:11]
	v_div_scale_f64 v[12:13], vcc_lo, v[10:11], v[2:3], v[10:11]
	s_delay_alu instid0(VALU_DEP_2) | instskip(SKIP_2) | instid1(VALU_DEP_1)
	v_rcp_f64_e32 v[6:7], v[4:5]
	s_waitcnt_depctr 0xfff
	v_fma_f64 v[8:9], -v[4:5], v[6:7], 1.0
	v_fma_f64 v[6:7], v[6:7], v[8:9], v[6:7]
	s_delay_alu instid0(VALU_DEP_1) | instskip(NEXT) | instid1(VALU_DEP_1)
	v_fma_f64 v[8:9], -v[4:5], v[6:7], 1.0
	v_fma_f64 v[6:7], v[6:7], v[8:9], v[6:7]
	s_delay_alu instid0(VALU_DEP_1) | instskip(NEXT) | instid1(VALU_DEP_1)
	v_mul_f64 v[8:9], v[12:13], v[6:7]
	v_fma_f64 v[4:5], -v[4:5], v[8:9], v[12:13]
	s_delay_alu instid0(VALU_DEP_1) | instskip(SKIP_1) | instid1(VALU_DEP_2)
	v_div_fmas_f64 v[4:5], v[4:5], v[6:7], v[8:9]
	v_cmp_neq_f64_e32 vcc_lo, 0, v[2:3]
	v_div_fixup_f64 v[4:5], v[4:5], v[2:3], v[10:11]
	s_delay_alu instid0(VALU_DEP_1) | instskip(NEXT) | instid1(VALU_DEP_2)
	v_cndmask_b32_e32 v3, 0x7ff80000, v5, vcc_lo
	v_cndmask_b32_e32 v2, 0, v4, vcc_lo
	global_store_b64 v[0:1], v[2:3], off
.LBB683_24:
	s_nop 0
	s_sendmsg sendmsg(MSG_DEALLOC_VGPRS)
	s_endpgm
	.section	.rodata,"a",@progbits
	.p2align	6, 0x0
	.amdhsa_kernel _ZN12_GLOBAL__N_120softmax_warp_forwardIdddLi5ELb0ELb1ELi32EEEvPT0_PKT_iiiPKbib
		.amdhsa_group_segment_fixed_size 0
		.amdhsa_private_segment_fixed_size 0
		.amdhsa_kernarg_size 304
		.amdhsa_user_sgpr_count 15
		.amdhsa_user_sgpr_dispatch_ptr 0
		.amdhsa_user_sgpr_queue_ptr 0
		.amdhsa_user_sgpr_kernarg_segment_ptr 1
		.amdhsa_user_sgpr_dispatch_id 0
		.amdhsa_user_sgpr_private_segment_size 0
		.amdhsa_wavefront_size32 1
		.amdhsa_uses_dynamic_stack 0
		.amdhsa_enable_private_segment 0
		.amdhsa_system_sgpr_workgroup_id_x 1
		.amdhsa_system_sgpr_workgroup_id_y 0
		.amdhsa_system_sgpr_workgroup_id_z 0
		.amdhsa_system_sgpr_workgroup_info 0
		.amdhsa_system_vgpr_workitem_id 1
		.amdhsa_next_free_vgpr 30
		.amdhsa_next_free_sgpr 17
		.amdhsa_reserve_vcc 1
		.amdhsa_float_round_mode_32 0
		.amdhsa_float_round_mode_16_64 0
		.amdhsa_float_denorm_mode_32 3
		.amdhsa_float_denorm_mode_16_64 3
		.amdhsa_dx10_clamp 1
		.amdhsa_ieee_mode 1
		.amdhsa_fp16_overflow 0
		.amdhsa_workgroup_processor_mode 1
		.amdhsa_memory_ordered 1
		.amdhsa_forward_progress 0
		.amdhsa_shared_vgpr_count 0
		.amdhsa_exception_fp_ieee_invalid_op 0
		.amdhsa_exception_fp_denorm_src 0
		.amdhsa_exception_fp_ieee_div_zero 0
		.amdhsa_exception_fp_ieee_overflow 0
		.amdhsa_exception_fp_ieee_underflow 0
		.amdhsa_exception_fp_ieee_inexact 0
		.amdhsa_exception_int_div_zero 0
	.end_amdhsa_kernel
	.section	.text._ZN12_GLOBAL__N_120softmax_warp_forwardIdddLi5ELb0ELb1ELi32EEEvPT0_PKT_iiiPKbib,"axG",@progbits,_ZN12_GLOBAL__N_120softmax_warp_forwardIdddLi5ELb0ELb1ELi32EEEvPT0_PKT_iiiPKbib,comdat
.Lfunc_end683:
	.size	_ZN12_GLOBAL__N_120softmax_warp_forwardIdddLi5ELb0ELb1ELi32EEEvPT0_PKT_iiiPKbib, .Lfunc_end683-_ZN12_GLOBAL__N_120softmax_warp_forwardIdddLi5ELb0ELb1ELi32EEEvPT0_PKT_iiiPKbib
                                        ; -- End function
	.section	.AMDGPU.csdata,"",@progbits
; Kernel info:
; codeLenInByte = 3148
; NumSgprs: 19
; NumVgprs: 30
; ScratchSize: 0
; MemoryBound: 0
; FloatMode: 240
; IeeeMode: 1
; LDSByteSize: 0 bytes/workgroup (compile time only)
; SGPRBlocks: 2
; VGPRBlocks: 3
; NumSGPRsForWavesPerEU: 19
; NumVGPRsForWavesPerEU: 30
; Occupancy: 16
; WaveLimiterHint : 0
; COMPUTE_PGM_RSRC2:SCRATCH_EN: 0
; COMPUTE_PGM_RSRC2:USER_SGPR: 15
; COMPUTE_PGM_RSRC2:TRAP_HANDLER: 0
; COMPUTE_PGM_RSRC2:TGID_X_EN: 1
; COMPUTE_PGM_RSRC2:TGID_Y_EN: 0
; COMPUTE_PGM_RSRC2:TGID_Z_EN: 0
; COMPUTE_PGM_RSRC2:TIDIG_COMP_CNT: 1
	.section	.text._ZN12_GLOBAL__N_120softmax_warp_forwardIdddLi6ELb0ELb1ELi64EEEvPT0_PKT_iiiPKbib,"axG",@progbits,_ZN12_GLOBAL__N_120softmax_warp_forwardIdddLi6ELb0ELb1ELi64EEEvPT0_PKT_iiiPKbib,comdat
	.globl	_ZN12_GLOBAL__N_120softmax_warp_forwardIdddLi6ELb0ELb1ELi64EEEvPT0_PKT_iiiPKbib ; -- Begin function _ZN12_GLOBAL__N_120softmax_warp_forwardIdddLi6ELb0ELb1ELi64EEEvPT0_PKT_iiiPKbib
	.p2align	8
	.type	_ZN12_GLOBAL__N_120softmax_warp_forwardIdddLi6ELb0ELb1ELi64EEEvPT0_PKT_iiiPKbib,@function
_ZN12_GLOBAL__N_120softmax_warp_forwardIdddLi6ELb0ELb1ELi64EEEvPT0_PKT_iiiPKbib: ; @_ZN12_GLOBAL__N_120softmax_warp_forwardIdddLi6ELb0ELb1ELi64EEEvPT0_PKT_iiiPKbib
; %bb.0:
	s_clause 0x2
	s_load_b64 s[2:3], s[0:1], 0x28
	s_load_b32 s8, s[0:1], 0x3c
	s_load_b128 s[4:7], s[0:1], 0x10
	v_bfe_u32 v1, v0, 10, 10
	v_and_b32_e32 v0, 0x3ff, v0
	s_waitcnt lgkmcnt(0)
	s_bitcmp1_b32 s3, 0
	s_cselect_b32 s16, -1, 0
	s_lshr_b32 s7, s8, 16
	s_bitcmp0_b32 s3, 0
	s_mul_i32 s15, s15, s7
	s_delay_alu instid0(SALU_CYCLE_1) | instskip(NEXT) | instid1(VALU_DEP_1)
	v_add_lshl_u32 v1, s15, v1, 1
	v_mul_lo_u32 v6, v1, s5
	s_delay_alu instid0(VALU_DEP_1) | instskip(NEXT) | instid1(VALU_DEP_1)
	v_add_nc_u32_e32 v4, v6, v0
	v_ashrrev_i32_e32 v5, 31, v4
	s_delay_alu instid0(VALU_DEP_1)
	v_dual_mov_b32 v2, v4 :: v_dual_mov_b32 v3, v5
	s_cbranch_scc1 .LBB684_2
; %bb.1:
	s_abs_i32 s3, s2
	v_sub_nc_u32_e32 v7, 0, v6
	v_cvt_f32_u32_e32 v2, s3
	s_sub_i32 s7, 0, s3
	s_delay_alu instid0(VALU_DEP_2) | instskip(NEXT) | instid1(VALU_DEP_2)
	v_max_i32_e32 v7, v6, v7
	v_rcp_iflag_f32_e32 v2, v2
	v_xor_b32_e32 v6, s2, v6
	s_delay_alu instid0(VALU_DEP_1) | instskip(SKIP_2) | instid1(VALU_DEP_1)
	v_ashrrev_i32_e32 v6, 31, v6
	s_waitcnt_depctr 0xfff
	v_mul_f32_e32 v2, 0x4f7ffffe, v2
	v_cvt_u32_f32_e32 v2, v2
	s_delay_alu instid0(VALU_DEP_1) | instskip(NEXT) | instid1(VALU_DEP_1)
	v_mul_lo_u32 v3, s7, v2
	v_mul_hi_u32 v3, v2, v3
	s_delay_alu instid0(VALU_DEP_1) | instskip(NEXT) | instid1(VALU_DEP_1)
	v_add_nc_u32_e32 v2, v2, v3
	v_mul_hi_u32 v2, v7, v2
	s_delay_alu instid0(VALU_DEP_1) | instskip(NEXT) | instid1(VALU_DEP_1)
	v_mul_lo_u32 v3, v2, s3
	v_sub_nc_u32_e32 v3, v7, v3
	v_add_nc_u32_e32 v7, 1, v2
	s_delay_alu instid0(VALU_DEP_2) | instskip(SKIP_1) | instid1(VALU_DEP_2)
	v_subrev_nc_u32_e32 v8, s3, v3
	v_cmp_le_u32_e32 vcc_lo, s3, v3
	v_dual_cndmask_b32 v3, v3, v8 :: v_dual_cndmask_b32 v2, v2, v7
	s_delay_alu instid0(VALU_DEP_1) | instskip(NEXT) | instid1(VALU_DEP_2)
	v_cmp_le_u32_e32 vcc_lo, s3, v3
	v_add_nc_u32_e32 v7, 1, v2
	s_delay_alu instid0(VALU_DEP_1) | instskip(NEXT) | instid1(VALU_DEP_1)
	v_cndmask_b32_e32 v2, v2, v7, vcc_lo
	v_xor_b32_e32 v2, v2, v6
	s_delay_alu instid0(VALU_DEP_1) | instskip(NEXT) | instid1(VALU_DEP_1)
	v_sub_nc_u32_e32 v6, v2, v6
	v_mad_u64_u32 v[2:3], null, v6, s5, v[0:1]
	s_delay_alu instid0(VALU_DEP_1)
	v_ashrrev_i32_e32 v3, 31, v2
.LBB684_2:
	s_load_b128 s[8:11], s[0:1], 0x0
	v_lshlrev_b64 v[4:5], 3, v[4:5]
	v_sub_nc_u32_e32 v24, s4, v1
	v_mov_b32_e32 v6, 0
	v_mov_b32_e32 v7, 0xfff00000
	v_cmp_gt_i32_e64 s2, s6, v0
	s_delay_alu instid0(VALU_DEP_4) | instskip(NEXT) | instid1(VALU_DEP_3)
	v_cmp_lt_i32_e32 vcc_lo, 0, v24
	v_dual_mov_b32 v13, v7 :: v_dual_mov_b32 v12, v6
	s_delay_alu instid0(VALU_DEP_3) | instskip(SKIP_2) | instid1(VALU_DEP_1)
	s_and_b32 s5, s2, vcc_lo
	s_waitcnt lgkmcnt(0)
	v_add_co_u32 v0, s3, s10, v4
	v_add_co_ci_u32_e64 v1, s3, s11, v5, s3
	s_and_saveexec_b32 s3, s5
	s_cbranch_execz .LBB684_4
; %bb.3:
	global_load_b64 v[12:13], v[0:1], off
.LBB684_4:
	s_or_b32 exec_lo, exec_lo, s3
	v_cmp_lt_i32_e64 s3, 1, v24
	s_delay_alu instid0(VALU_DEP_1) | instskip(NEXT) | instid1(SALU_CYCLE_1)
	s_and_b32 s4, s2, s3
	s_and_saveexec_b32 s10, s4
	s_cbranch_execz .LBB684_6
; %bb.5:
	s_mov_b32 s7, 0
	s_delay_alu instid0(SALU_CYCLE_1) | instskip(NEXT) | instid1(SALU_CYCLE_1)
	s_lshl_b64 s[12:13], s[6:7], 3
	v_add_co_u32 v0, s3, v0, s12
	s_delay_alu instid0(VALU_DEP_1)
	v_add_co_ci_u32_e64 v1, s3, s13, v1, s3
	global_load_b64 v[6:7], v[0:1], off
.LBB684_6:
	s_or_b32 exec_lo, exec_lo, s10
	s_load_b64 s[0:1], s[0:1], 0x20
	v_mov_b32_e32 v0, 0
	v_mov_b32_e32 v1, 0xfff00000
	s_waitcnt lgkmcnt(0)
	v_add_co_u32 v8, s0, s0, v2
	s_delay_alu instid0(VALU_DEP_1)
	v_add_co_ci_u32_e64 v9, s0, s1, v3, s0
	s_and_saveexec_b32 s1, s5
	s_cbranch_execz .LBB684_8
; %bb.7:
	global_load_u8 v0, v[8:9], off
	s_waitcnt vmcnt(0)
	v_and_b32_e32 v0, 1, v0
	s_delay_alu instid0(VALU_DEP_1) | instskip(NEXT) | instid1(VALU_DEP_1)
	v_cmp_eq_u32_e64 s0, 1, v0
	v_cndmask_b32_e64 v1, v13, 0xfff00000, s0
	v_cndmask_b32_e64 v0, v12, 0, s0
.LBB684_8:
	s_or_b32 exec_lo, exec_lo, s1
	s_mov_b32 s12, 0
	s_mov_b32 s1, 0
	s_and_saveexec_b32 s3, s4
	s_cbranch_execz .LBB684_10
; %bb.9:
	s_and_b32 s0, s16, exec_lo
	s_cselect_b32 s0, 0, s6
	s_cselect_b32 s1, 0, 0
	v_add_co_u32 v2, s0, v8, s0
	s_delay_alu instid0(VALU_DEP_1) | instskip(SKIP_3) | instid1(VALU_DEP_1)
	v_add_co_ci_u32_e64 v3, s0, s1, v9, s0
	global_load_u8 v2, v[2:3], off
	s_waitcnt vmcnt(0)
	v_and_b32_e32 v2, 1, v2
	v_cmp_eq_u32_e64 s0, 1, v2
	s_delay_alu instid0(VALU_DEP_1) | instskip(NEXT) | instid1(SALU_CYCLE_1)
	s_xor_b32 s0, s0, -1
	s_and_b32 s1, s0, exec_lo
.LBB684_10:
	s_or_b32 exec_lo, exec_lo, s3
	v_mbcnt_lo_u32_b32 v16, -1, 0
	s_mov_b32 s13, s12
	s_mov_b32 s14, s12
	;; [unrolled: 1-line block ×3, first 2 shown]
	s_waitcnt vmcnt(0)
	v_cndmask_b32_e64 v3, 0xfff00000, v7, s1
	v_or_b32_e32 v2, 32, v16
	v_xor_b32_e32 v17, 16, v16
	s_delay_alu instid0(VALU_DEP_2) | instskip(NEXT) | instid1(VALU_DEP_2)
	v_cmp_gt_i32_e64 s0, 64, v2
	v_cmp_gt_i32_e64 s3, 64, v17
	s_delay_alu instid0(VALU_DEP_2) | instskip(NEXT) | instid1(VALU_DEP_2)
	v_cndmask_b32_e64 v2, v16, v2, s0
	v_cndmask_b32_e64 v17, v16, v17, s3
	s_delay_alu instid0(VALU_DEP_2) | instskip(NEXT) | instid1(VALU_DEP_2)
	v_lshlrev_b32_e32 v25, 2, v2
	v_lshlrev_b32_e32 v26, 2, v17
	v_xor_b32_e32 v17, 8, v16
	v_cndmask_b32_e64 v2, 0, v6, s1
	ds_bpermute_b32 v10, v25, v0
	ds_bpermute_b32 v11, v25, v1
	v_cmp_gt_i32_e64 s3, 64, v17
	s_delay_alu instid0(VALU_DEP_1) | instskip(NEXT) | instid1(VALU_DEP_1)
	v_cndmask_b32_e64 v17, v16, v17, s3
	v_lshlrev_b32_e32 v27, 2, v17
	v_xor_b32_e32 v17, 4, v16
	s_delay_alu instid0(VALU_DEP_1) | instskip(SKIP_2) | instid1(VALU_DEP_2)
	v_cmp_gt_i32_e64 s3, 64, v17
	s_waitcnt lgkmcnt(0)
	v_cmp_lt_f64_e64 s0, v[0:1], v[10:11]
	v_cndmask_b32_e64 v17, v16, v17, s3
	s_delay_alu instid0(VALU_DEP_1) | instskip(SKIP_1) | instid1(VALU_DEP_1)
	v_lshlrev_b32_e32 v28, 2, v17
	v_xor_b32_e32 v17, 2, v16
	v_cmp_gt_i32_e64 s3, 64, v17
	s_delay_alu instid0(VALU_DEP_1) | instskip(NEXT) | instid1(VALU_DEP_1)
	v_cndmask_b32_e64 v17, v16, v17, s3
	v_lshlrev_b32_e32 v29, 2, v17
	v_xor_b32_e32 v17, 1, v16
	s_delay_alu instid0(VALU_DEP_1) | instskip(NEXT) | instid1(VALU_DEP_1)
	v_cmp_gt_i32_e64 s3, 64, v17
	v_cndmask_b32_e64 v16, v16, v17, s3
	v_cndmask_b32_e64 v1, v1, v11, s0
	;; [unrolled: 1-line block ×3, first 2 shown]
	s_delay_alu instid0(VALU_DEP_3) | instskip(SKIP_4) | instid1(VALU_DEP_1)
	v_lshlrev_b32_e32 v30, 2, v16
	ds_bpermute_b32 v11, v26, v1
	ds_bpermute_b32 v10, v26, v0
	s_waitcnt lgkmcnt(0)
	v_cmp_lt_f64_e64 s0, v[0:1], v[10:11]
	v_cndmask_b32_e64 v1, v1, v11, s0
	v_cndmask_b32_e64 v0, v0, v10, s0
	ds_bpermute_b32 v11, v27, v1
	ds_bpermute_b32 v10, v27, v0
	s_waitcnt lgkmcnt(0)
	v_cmp_lt_f64_e64 s0, v[0:1], v[10:11]
	s_delay_alu instid0(VALU_DEP_1)
	v_cndmask_b32_e64 v1, v1, v11, s0
	v_cndmask_b32_e64 v0, v0, v10, s0
	ds_bpermute_b32 v11, v28, v1
	ds_bpermute_b32 v10, v28, v0
	s_waitcnt lgkmcnt(0)
	v_cmp_lt_f64_e64 s0, v[0:1], v[10:11]
	s_delay_alu instid0(VALU_DEP_1)
	;; [unrolled: 7-line block ×3, first 2 shown]
	v_cndmask_b32_e64 v21, v1, v11, s0
	v_cndmask_b32_e64 v20, v0, v10, s0
	v_mov_b32_e32 v10, 0
	ds_bpermute_b32 v14, v25, v2
	ds_bpermute_b32 v15, v25, v3
	v_mov_b32_e32 v11, 0
	s_waitcnt lgkmcnt(0)
	v_cmp_lt_f64_e64 s1, v[2:3], v[14:15]
	s_delay_alu instid0(VALU_DEP_1)
	v_cndmask_b32_e64 v3, v3, v15, s1
	v_cndmask_b32_e64 v2, v2, v14, s1
	ds_bpermute_b32 v15, v26, v3
	ds_bpermute_b32 v14, v26, v2
	s_waitcnt lgkmcnt(0)
	v_cmp_lt_f64_e64 s1, v[2:3], v[14:15]
	s_delay_alu instid0(VALU_DEP_1)
	v_cndmask_b32_e64 v3, v3, v15, s1
	v_cndmask_b32_e64 v2, v2, v14, s1
	ds_bpermute_b32 v15, v27, v3
	ds_bpermute_b32 v14, v27, v2
	;; [unrolled: 7-line block ×4, first 2 shown]
	s_waitcnt lgkmcnt(0)
	v_cmp_lt_f64_e64 s1, v[2:3], v[14:15]
	s_delay_alu instid0(VALU_DEP_1)
	v_cndmask_b32_e64 v17, v3, v15, s1
	v_cndmask_b32_e64 v16, v2, v14, s1
	v_dual_mov_b32 v0, s12 :: v_dual_mov_b32 v3, s15
	ds_bpermute_b32 v23, v30, v21
	ds_bpermute_b32 v22, v30, v20
	;; [unrolled: 1-line block ×4, first 2 shown]
	v_dual_mov_b32 v1, s13 :: v_dual_mov_b32 v2, s14
	v_dual_mov_b32 v15, v11 :: v_dual_mov_b32 v14, v10
	s_and_saveexec_b32 s3, s5
	s_cbranch_execz .LBB684_14
; %bb.11:
	global_load_u8 v0, v[8:9], off
	s_mov_b32 s13, s12
	s_mov_b32 s14, s12
	;; [unrolled: 1-line block ×3, first 2 shown]
	v_mov_b32_e32 v14, 0
	s_waitcnt vmcnt(0)
	v_dual_mov_b32 v15, 0 :: v_dual_and_b32 v0, 1, v0
	s_delay_alu instid0(VALU_DEP_1) | instskip(SKIP_2) | instid1(VALU_DEP_3)
	v_cmp_eq_u32_e64 s0, 1, v0
	v_dual_mov_b32 v0, s12 :: v_dual_mov_b32 v3, s15
	v_dual_mov_b32 v1, s13 :: v_dual_mov_b32 v2, s14
	s_xor_b32 s0, s0, -1
	s_delay_alu instid0(SALU_CYCLE_1)
	s_and_saveexec_b32 s5, s0
	s_cbranch_execz .LBB684_13
; %bb.12:
	s_waitcnt lgkmcnt(2)
	v_cmp_lt_f64_e64 s0, v[20:21], v[22:23]
	s_mov_b32 s10, 0x6a5dcb37
	s_mov_b32 s11, 0x3e5ade15
	s_delay_alu instid0(VALU_DEP_1) | instskip(SKIP_3) | instid1(VALU_DEP_1)
	v_cndmask_b32_e64 v1, v21, v23, s0
	v_cndmask_b32_e64 v0, v20, v22, s0
	s_mov_b32 s0, 0x652b82fe
	s_mov_b32 s1, 0x3ff71547
	v_add_f64 v[0:1], v[12:13], -v[0:1]
	s_delay_alu instid0(VALU_DEP_1) | instskip(SKIP_2) | instid1(VALU_DEP_1)
	v_mul_f64 v[2:3], v[0:1], s[0:1]
	s_mov_b32 s0, 0xfefa39ef
	s_mov_b32 s1, 0xbfe62e42
	v_rndne_f64_e32 v[2:3], v[2:3]
	s_delay_alu instid0(VALU_DEP_1) | instskip(SKIP_3) | instid1(VALU_DEP_2)
	v_fma_f64 v[12:13], v[2:3], s[0:1], v[0:1]
	s_mov_b32 s0, 0x3b39803f
	s_mov_b32 s1, 0xbc7abc9e
	v_cvt_i32_f64_e32 v20, v[2:3]
	v_fma_f64 v[12:13], v[2:3], s[0:1], v[12:13]
	s_mov_b32 s0, 0xfca7ab0c
	s_mov_b32 s1, 0x3e928af3
	s_delay_alu instid0(VALU_DEP_1) | instid1(SALU_CYCLE_1)
	v_fma_f64 v[14:15], v[12:13], s[10:11], s[0:1]
	s_mov_b32 s0, 0x623fde64
	s_mov_b32 s1, 0x3ec71dee
	s_delay_alu instid0(VALU_DEP_1) | instid1(SALU_CYCLE_1)
	;; [unrolled: 4-line block ×9, first 2 shown]
	v_fma_f64 v[14:15], v[12:13], v[14:15], s[0:1]
	v_cmp_nlt_f64_e64 s0, 0x40900000, v[0:1]
	v_cmp_ngt_f64_e64 s1, 0xc090cc00, v[0:1]
	s_delay_alu instid0(VALU_DEP_3) | instskip(NEXT) | instid1(VALU_DEP_1)
	v_fma_f64 v[14:15], v[12:13], v[14:15], 1.0
	v_fma_f64 v[2:3], v[12:13], v[14:15], 1.0
	s_delay_alu instid0(VALU_DEP_1) | instskip(NEXT) | instid1(VALU_DEP_1)
	v_ldexp_f64 v[2:3], v[2:3], v20
	v_cndmask_b32_e64 v3, 0x7ff00000, v3, s0
	s_and_b32 s0, s1, s0
	s_delay_alu instid0(VALU_DEP_2) | instid1(SALU_CYCLE_1)
	v_cndmask_b32_e64 v14, 0, v2, s0
	v_mov_b32_e32 v2, 0
	s_delay_alu instid0(VALU_DEP_3) | instskip(NEXT) | instid1(VALU_DEP_2)
	v_cndmask_b32_e64 v15, 0, v3, s1
	v_mov_b32_e32 v3, v2
	s_delay_alu instid0(VALU_DEP_2)
	v_add_f64 v[0:1], v[14:15], 0
.LBB684_13:
	s_or_b32 exec_lo, exec_lo, s5
.LBB684_14:
	s_delay_alu instid0(SALU_CYCLE_1)
	s_or_b32 exec_lo, exec_lo, s3
	s_and_saveexec_b32 s3, s4
	s_cbranch_execz .LBB684_18
; %bb.15:
	s_and_b32 s0, s16, exec_lo
	s_cselect_b32 s0, 0, s6
	s_cselect_b32 s1, 0, 0
	v_add_co_u32 v8, s0, v8, s0
	s_delay_alu instid0(VALU_DEP_1)
	v_add_co_ci_u32_e64 v9, s0, s1, v9, s0
	v_mov_b32_e32 v10, 0
	v_mov_b32_e32 v11, 0
	global_load_u8 v8, v[8:9], off
	s_waitcnt vmcnt(0)
	v_and_b32_e32 v8, 1, v8
	s_delay_alu instid0(VALU_DEP_1) | instskip(NEXT) | instid1(VALU_DEP_1)
	v_cmp_eq_u32_e64 s0, 1, v8
	s_xor_b32 s0, s0, -1
	s_delay_alu instid0(SALU_CYCLE_1)
	s_and_saveexec_b32 s4, s0
	s_cbranch_execz .LBB684_17
; %bb.16:
	s_waitcnt lgkmcnt(0)
	v_cmp_lt_f64_e64 s0, v[16:17], v[18:19]
	s_mov_b32 s10, 0x6a5dcb37
	s_mov_b32 s11, 0x3e5ade15
	s_delay_alu instid0(VALU_DEP_1) | instskip(SKIP_3) | instid1(VALU_DEP_1)
	v_cndmask_b32_e64 v9, v17, v19, s0
	v_cndmask_b32_e64 v8, v16, v18, s0
	s_mov_b32 s0, 0x652b82fe
	s_mov_b32 s1, 0x3ff71547
	v_add_f64 v[6:7], v[6:7], -v[8:9]
	s_delay_alu instid0(VALU_DEP_1) | instskip(SKIP_2) | instid1(VALU_DEP_1)
	v_mul_f64 v[8:9], v[6:7], s[0:1]
	s_mov_b32 s0, 0xfefa39ef
	s_mov_b32 s1, 0xbfe62e42
	v_rndne_f64_e32 v[8:9], v[8:9]
	s_delay_alu instid0(VALU_DEP_1) | instskip(SKIP_3) | instid1(VALU_DEP_2)
	v_fma_f64 v[10:11], v[8:9], s[0:1], v[6:7]
	s_mov_b32 s0, 0x3b39803f
	s_mov_b32 s1, 0xbc7abc9e
	v_cvt_i32_f64_e32 v16, v[8:9]
	v_fma_f64 v[10:11], v[8:9], s[0:1], v[10:11]
	s_mov_b32 s0, 0xfca7ab0c
	s_mov_b32 s1, 0x3e928af3
	s_delay_alu instid0(VALU_DEP_1) | instid1(SALU_CYCLE_1)
	v_fma_f64 v[12:13], v[10:11], s[10:11], s[0:1]
	s_mov_b32 s0, 0x623fde64
	s_mov_b32 s1, 0x3ec71dee
	s_delay_alu instid0(VALU_DEP_1) | instid1(SALU_CYCLE_1)
	;; [unrolled: 4-line block ×9, first 2 shown]
	v_fma_f64 v[12:13], v[10:11], v[12:13], s[0:1]
	v_cmp_nlt_f64_e64 s0, 0x40900000, v[6:7]
	v_cmp_ngt_f64_e64 s1, 0xc090cc00, v[6:7]
	s_delay_alu instid0(VALU_DEP_3) | instskip(NEXT) | instid1(VALU_DEP_1)
	v_fma_f64 v[12:13], v[10:11], v[12:13], 1.0
	v_fma_f64 v[8:9], v[10:11], v[12:13], 1.0
	s_delay_alu instid0(VALU_DEP_1) | instskip(NEXT) | instid1(VALU_DEP_1)
	v_ldexp_f64 v[8:9], v[8:9], v16
	v_cndmask_b32_e64 v9, 0x7ff00000, v9, s0
	s_and_b32 s0, s1, s0
	s_delay_alu instid0(VALU_DEP_2) | instid1(SALU_CYCLE_1)
	v_cndmask_b32_e64 v10, 0, v8, s0
	s_delay_alu instid0(VALU_DEP_2) | instskip(NEXT) | instid1(VALU_DEP_1)
	v_cndmask_b32_e64 v11, 0, v9, s1
	v_add_f64 v[2:3], v[2:3], v[10:11]
.LBB684_17:
	s_or_b32 exec_lo, exec_lo, s4
.LBB684_18:
	s_delay_alu instid0(SALU_CYCLE_1)
	s_or_b32 exec_lo, exec_lo, s3
	ds_bpermute_b32 v6, v25, v0
	ds_bpermute_b32 v7, v25, v1
	ds_bpermute_b32 v8, v25, v2
	ds_bpermute_b32 v9, v25, v3
	s_waitcnt lgkmcnt(2)
	v_add_f64 v[0:1], v[0:1], v[6:7]
	s_waitcnt lgkmcnt(0)
	v_add_f64 v[2:3], v[2:3], v[8:9]
	ds_bpermute_b32 v6, v26, v0
	ds_bpermute_b32 v7, v26, v1
	ds_bpermute_b32 v8, v26, v2
	ds_bpermute_b32 v9, v26, v3
	s_waitcnt lgkmcnt(2)
	v_add_f64 v[0:1], v[0:1], v[6:7]
	s_waitcnt lgkmcnt(0)
	v_add_f64 v[2:3], v[2:3], v[8:9]
	;; [unrolled: 8-line block ×5, first 2 shown]
	ds_bpermute_b32 v12, v30, v8
	ds_bpermute_b32 v13, v30, v9
	;; [unrolled: 1-line block ×4, first 2 shown]
	s_and_saveexec_b32 s0, vcc_lo
	s_cbranch_execz .LBB684_24
; %bb.19:
	v_add_co_u32 v0, vcc_lo, s8, v4
	v_add_co_ci_u32_e32 v1, vcc_lo, s9, v5, vcc_lo
	s_and_saveexec_b32 s0, s2
	s_cbranch_execz .LBB684_21
; %bb.20:
	s_waitcnt lgkmcnt(2)
	v_add_f64 v[4:5], v[8:9], v[12:13]
	s_delay_alu instid0(VALU_DEP_1) | instskip(SKIP_1) | instid1(VALU_DEP_2)
	v_div_scale_f64 v[8:9], null, v[4:5], v[4:5], v[14:15]
	v_div_scale_f64 v[18:19], vcc_lo, v[14:15], v[4:5], v[14:15]
	v_rcp_f64_e32 v[12:13], v[8:9]
	s_waitcnt_depctr 0xfff
	v_fma_f64 v[16:17], -v[8:9], v[12:13], 1.0
	s_delay_alu instid0(VALU_DEP_1) | instskip(NEXT) | instid1(VALU_DEP_1)
	v_fma_f64 v[12:13], v[12:13], v[16:17], v[12:13]
	v_fma_f64 v[16:17], -v[8:9], v[12:13], 1.0
	s_delay_alu instid0(VALU_DEP_1) | instskip(NEXT) | instid1(VALU_DEP_1)
	v_fma_f64 v[12:13], v[12:13], v[16:17], v[12:13]
	v_mul_f64 v[16:17], v[18:19], v[12:13]
	s_delay_alu instid0(VALU_DEP_1) | instskip(NEXT) | instid1(VALU_DEP_1)
	v_fma_f64 v[8:9], -v[8:9], v[16:17], v[18:19]
	v_div_fmas_f64 v[8:9], v[8:9], v[12:13], v[16:17]
	v_cmp_neq_f64_e32 vcc_lo, 0, v[4:5]
	s_delay_alu instid0(VALU_DEP_2) | instskip(NEXT) | instid1(VALU_DEP_1)
	v_div_fixup_f64 v[8:9], v[8:9], v[4:5], v[14:15]
	v_cndmask_b32_e32 v5, 0x7ff80000, v9, vcc_lo
	s_delay_alu instid0(VALU_DEP_2)
	v_cndmask_b32_e32 v4, 0, v8, vcc_lo
	global_store_b64 v[0:1], v[4:5], off
.LBB684_21:
	s_or_b32 exec_lo, exec_lo, s0
	v_cmp_ne_u32_e32 vcc_lo, 1, v24
	s_and_b32 exec_lo, exec_lo, vcc_lo
	s_cbranch_execz .LBB684_24
; %bb.22:
	s_and_b32 exec_lo, exec_lo, s2
	s_cbranch_execz .LBB684_24
; %bb.23:
	s_waitcnt lgkmcnt(0)
	v_add_f64 v[2:3], v[2:3], v[6:7]
	s_mov_b32 s7, 0
	s_delay_alu instid0(SALU_CYCLE_1) | instskip(NEXT) | instid1(SALU_CYCLE_1)
	s_lshl_b64 s[0:1], s[6:7], 3
	v_add_co_u32 v0, s0, v0, s0
	s_delay_alu instid0(VALU_DEP_1) | instskip(NEXT) | instid1(VALU_DEP_3)
	v_add_co_ci_u32_e64 v1, s0, s1, v1, s0
	v_div_scale_f64 v[4:5], null, v[2:3], v[2:3], v[10:11]
	v_div_scale_f64 v[12:13], vcc_lo, v[10:11], v[2:3], v[10:11]
	s_delay_alu instid0(VALU_DEP_2) | instskip(SKIP_2) | instid1(VALU_DEP_1)
	v_rcp_f64_e32 v[6:7], v[4:5]
	s_waitcnt_depctr 0xfff
	v_fma_f64 v[8:9], -v[4:5], v[6:7], 1.0
	v_fma_f64 v[6:7], v[6:7], v[8:9], v[6:7]
	s_delay_alu instid0(VALU_DEP_1) | instskip(NEXT) | instid1(VALU_DEP_1)
	v_fma_f64 v[8:9], -v[4:5], v[6:7], 1.0
	v_fma_f64 v[6:7], v[6:7], v[8:9], v[6:7]
	s_delay_alu instid0(VALU_DEP_1) | instskip(NEXT) | instid1(VALU_DEP_1)
	v_mul_f64 v[8:9], v[12:13], v[6:7]
	v_fma_f64 v[4:5], -v[4:5], v[8:9], v[12:13]
	s_delay_alu instid0(VALU_DEP_1) | instskip(SKIP_1) | instid1(VALU_DEP_2)
	v_div_fmas_f64 v[4:5], v[4:5], v[6:7], v[8:9]
	v_cmp_neq_f64_e32 vcc_lo, 0, v[2:3]
	v_div_fixup_f64 v[4:5], v[4:5], v[2:3], v[10:11]
	s_delay_alu instid0(VALU_DEP_1) | instskip(NEXT) | instid1(VALU_DEP_2)
	v_cndmask_b32_e32 v3, 0x7ff80000, v5, vcc_lo
	v_cndmask_b32_e32 v2, 0, v4, vcc_lo
	global_store_b64 v[0:1], v[2:3], off
.LBB684_24:
	s_nop 0
	s_sendmsg sendmsg(MSG_DEALLOC_VGPRS)
	s_endpgm
	.section	.rodata,"a",@progbits
	.p2align	6, 0x0
	.amdhsa_kernel _ZN12_GLOBAL__N_120softmax_warp_forwardIdddLi6ELb0ELb1ELi64EEEvPT0_PKT_iiiPKbib
		.amdhsa_group_segment_fixed_size 0
		.amdhsa_private_segment_fixed_size 0
		.amdhsa_kernarg_size 304
		.amdhsa_user_sgpr_count 15
		.amdhsa_user_sgpr_dispatch_ptr 0
		.amdhsa_user_sgpr_queue_ptr 0
		.amdhsa_user_sgpr_kernarg_segment_ptr 1
		.amdhsa_user_sgpr_dispatch_id 0
		.amdhsa_user_sgpr_private_segment_size 0
		.amdhsa_wavefront_size32 1
		.amdhsa_uses_dynamic_stack 0
		.amdhsa_enable_private_segment 0
		.amdhsa_system_sgpr_workgroup_id_x 1
		.amdhsa_system_sgpr_workgroup_id_y 0
		.amdhsa_system_sgpr_workgroup_id_z 0
		.amdhsa_system_sgpr_workgroup_info 0
		.amdhsa_system_vgpr_workitem_id 1
		.amdhsa_next_free_vgpr 31
		.amdhsa_next_free_sgpr 17
		.amdhsa_reserve_vcc 1
		.amdhsa_float_round_mode_32 0
		.amdhsa_float_round_mode_16_64 0
		.amdhsa_float_denorm_mode_32 3
		.amdhsa_float_denorm_mode_16_64 3
		.amdhsa_dx10_clamp 1
		.amdhsa_ieee_mode 1
		.amdhsa_fp16_overflow 0
		.amdhsa_workgroup_processor_mode 1
		.amdhsa_memory_ordered 1
		.amdhsa_forward_progress 0
		.amdhsa_shared_vgpr_count 0
		.amdhsa_exception_fp_ieee_invalid_op 0
		.amdhsa_exception_fp_denorm_src 0
		.amdhsa_exception_fp_ieee_div_zero 0
		.amdhsa_exception_fp_ieee_overflow 0
		.amdhsa_exception_fp_ieee_underflow 0
		.amdhsa_exception_fp_ieee_inexact 0
		.amdhsa_exception_int_div_zero 0
	.end_amdhsa_kernel
	.section	.text._ZN12_GLOBAL__N_120softmax_warp_forwardIdddLi6ELb0ELb1ELi64EEEvPT0_PKT_iiiPKbib,"axG",@progbits,_ZN12_GLOBAL__N_120softmax_warp_forwardIdddLi6ELb0ELb1ELi64EEEvPT0_PKT_iiiPKbib,comdat
.Lfunc_end684:
	.size	_ZN12_GLOBAL__N_120softmax_warp_forwardIdddLi6ELb0ELb1ELi64EEEvPT0_PKT_iiiPKbib, .Lfunc_end684-_ZN12_GLOBAL__N_120softmax_warp_forwardIdddLi6ELb0ELb1ELi64EEEvPT0_PKT_iiiPKbib
                                        ; -- End function
	.section	.AMDGPU.csdata,"",@progbits
; Kernel info:
; codeLenInByte = 3328
; NumSgprs: 19
; NumVgprs: 31
; ScratchSize: 0
; MemoryBound: 0
; FloatMode: 240
; IeeeMode: 1
; LDSByteSize: 0 bytes/workgroup (compile time only)
; SGPRBlocks: 2
; VGPRBlocks: 3
; NumSGPRsForWavesPerEU: 19
; NumVGPRsForWavesPerEU: 31
; Occupancy: 16
; WaveLimiterHint : 0
; COMPUTE_PGM_RSRC2:SCRATCH_EN: 0
; COMPUTE_PGM_RSRC2:USER_SGPR: 15
; COMPUTE_PGM_RSRC2:TRAP_HANDLER: 0
; COMPUTE_PGM_RSRC2:TGID_X_EN: 1
; COMPUTE_PGM_RSRC2:TGID_Y_EN: 0
; COMPUTE_PGM_RSRC2:TGID_Z_EN: 0
; COMPUTE_PGM_RSRC2:TIDIG_COMP_CNT: 1
	.section	.text._ZN12_GLOBAL__N_120softmax_warp_forwardIdddLi6ELb0ELb1ELi32EEEvPT0_PKT_iiiPKbib,"axG",@progbits,_ZN12_GLOBAL__N_120softmax_warp_forwardIdddLi6ELb0ELb1ELi32EEEvPT0_PKT_iiiPKbib,comdat
	.globl	_ZN12_GLOBAL__N_120softmax_warp_forwardIdddLi6ELb0ELb1ELi32EEEvPT0_PKT_iiiPKbib ; -- Begin function _ZN12_GLOBAL__N_120softmax_warp_forwardIdddLi6ELb0ELb1ELi32EEEvPT0_PKT_iiiPKbib
	.p2align	8
	.type	_ZN12_GLOBAL__N_120softmax_warp_forwardIdddLi6ELb0ELb1ELi32EEEvPT0_PKT_iiiPKbib,@function
_ZN12_GLOBAL__N_120softmax_warp_forwardIdddLi6ELb0ELb1ELi32EEEvPT0_PKT_iiiPKbib: ; @_ZN12_GLOBAL__N_120softmax_warp_forwardIdddLi6ELb0ELb1ELi32EEEvPT0_PKT_iiiPKbib
; %bb.0:
	s_clause 0x2
	s_load_b64 s[2:3], s[0:1], 0x28
	s_load_b32 s8, s[0:1], 0x3c
	s_load_b128 s[4:7], s[0:1], 0x10
	v_bfe_u32 v1, v0, 10, 10
	v_and_b32_e32 v2, 0x3ff, v0
	s_waitcnt lgkmcnt(0)
	s_bitcmp1_b32 s3, 0
	s_cselect_b32 s12, -1, 0
	s_lshr_b32 s7, s8, 16
	s_bitcmp0_b32 s3, 0
	s_mul_i32 s15, s15, s7
	s_delay_alu instid0(SALU_CYCLE_1) | instskip(NEXT) | instid1(VALU_DEP_1)
	v_add_lshl_u32 v5, s15, v1, 1
	v_mul_lo_u32 v6, v5, s5
	s_delay_alu instid0(VALU_DEP_1) | instskip(NEXT) | instid1(VALU_DEP_1)
	v_add_nc_u32_e32 v3, v6, v2
	v_ashrrev_i32_e32 v4, 31, v3
	s_delay_alu instid0(VALU_DEP_1)
	v_dual_mov_b32 v0, v3 :: v_dual_mov_b32 v1, v4
	s_cbranch_scc1 .LBB685_2
; %bb.1:
	s_abs_i32 s3, s2
	v_sub_nc_u32_e32 v7, 0, v6
	v_cvt_f32_u32_e32 v0, s3
	s_sub_i32 s7, 0, s3
	s_delay_alu instid0(VALU_DEP_2) | instskip(NEXT) | instid1(VALU_DEP_2)
	v_max_i32_e32 v7, v6, v7
	v_rcp_iflag_f32_e32 v0, v0
	v_xor_b32_e32 v6, s2, v6
	s_delay_alu instid0(VALU_DEP_1) | instskip(SKIP_2) | instid1(VALU_DEP_1)
	v_ashrrev_i32_e32 v6, 31, v6
	s_waitcnt_depctr 0xfff
	v_mul_f32_e32 v0, 0x4f7ffffe, v0
	v_cvt_u32_f32_e32 v0, v0
	s_delay_alu instid0(VALU_DEP_1) | instskip(NEXT) | instid1(VALU_DEP_1)
	v_mul_lo_u32 v1, s7, v0
	v_mul_hi_u32 v1, v0, v1
	s_delay_alu instid0(VALU_DEP_1) | instskip(NEXT) | instid1(VALU_DEP_1)
	v_add_nc_u32_e32 v0, v0, v1
	v_mul_hi_u32 v0, v7, v0
	s_delay_alu instid0(VALU_DEP_1) | instskip(NEXT) | instid1(VALU_DEP_1)
	v_mul_lo_u32 v1, v0, s3
	v_sub_nc_u32_e32 v1, v7, v1
	v_add_nc_u32_e32 v7, 1, v0
	s_delay_alu instid0(VALU_DEP_2) | instskip(SKIP_1) | instid1(VALU_DEP_2)
	v_subrev_nc_u32_e32 v8, s3, v1
	v_cmp_le_u32_e32 vcc_lo, s3, v1
	v_dual_cndmask_b32 v1, v1, v8 :: v_dual_cndmask_b32 v0, v0, v7
	s_delay_alu instid0(VALU_DEP_1) | instskip(NEXT) | instid1(VALU_DEP_2)
	v_cmp_le_u32_e32 vcc_lo, s3, v1
	v_add_nc_u32_e32 v7, 1, v0
	s_delay_alu instid0(VALU_DEP_1) | instskip(NEXT) | instid1(VALU_DEP_1)
	v_cndmask_b32_e32 v0, v0, v7, vcc_lo
	v_xor_b32_e32 v0, v0, v6
	s_delay_alu instid0(VALU_DEP_1) | instskip(NEXT) | instid1(VALU_DEP_1)
	v_sub_nc_u32_e32 v6, v0, v6
	v_mad_u64_u32 v[0:1], null, v6, s5, v[2:3]
	s_delay_alu instid0(VALU_DEP_1)
	v_ashrrev_i32_e32 v1, 31, v0
.LBB685_2:
	s_load_b128 s[8:11], s[0:1], 0x0
	v_lshlrev_b64 v[10:11], 3, v[3:4]
	v_sub_nc_u32_e32 v26, s4, v5
	v_mov_b32_e32 v16, 0
	v_mov_b32_e32 v17, 0xfff00000
	v_cmp_gt_i32_e64 s3, s6, v2
	s_delay_alu instid0(VALU_DEP_3) | instskip(SKIP_1) | instid1(VALU_DEP_4)
	v_mov_b32_e32 v8, v16
	v_cmp_lt_i32_e32 vcc_lo, 0, v26
	v_mov_b32_e32 v9, v17
	s_delay_alu instid0(VALU_DEP_4) | instskip(SKIP_2) | instid1(VALU_DEP_1)
	s_and_b32 s16, vcc_lo, s3
	s_waitcnt lgkmcnt(0)
	v_add_co_u32 v4, s2, s10, v10
	v_add_co_ci_u32_e64 v5, s2, s11, v11, s2
	s_and_saveexec_b32 s2, s16
	s_cbranch_execz .LBB685_4
; %bb.3:
	global_load_b64 v[8:9], v[4:5], off
.LBB685_4:
	s_or_b32 exec_lo, exec_lo, s2
	v_add_nc_u32_e32 v2, 32, v2
	s_delay_alu instid0(VALU_DEP_1) | instskip(NEXT) | instid1(VALU_DEP_1)
	v_cmp_gt_i32_e64 s2, s6, v2
	s_and_b32 s11, vcc_lo, s2
	s_delay_alu instid0(SALU_CYCLE_1)
	s_and_saveexec_b32 s4, s11
	s_cbranch_execz .LBB685_6
; %bb.5:
	global_load_b64 v[16:17], v[4:5], off offset:256
.LBB685_6:
	s_or_b32 exec_lo, exec_lo, s4
	v_mov_b32_e32 v12, 0
	v_mov_b32_e32 v13, 0xfff00000
	v_cmp_lt_i32_e64 s4, 1, v26
	s_delay_alu instid0(VALU_DEP_2) | instskip(NEXT) | instid1(VALU_DEP_2)
	v_dual_mov_b32 v2, v12 :: v_dual_mov_b32 v3, v13
	s_and_b32 s10, s4, s3
	s_delay_alu instid0(SALU_CYCLE_1)
	s_and_saveexec_b32 s13, s10
	s_cbranch_execz .LBB685_8
; %bb.7:
	s_mov_b32 s7, 0
	s_delay_alu instid0(SALU_CYCLE_1) | instskip(NEXT) | instid1(SALU_CYCLE_1)
	s_lshl_b64 s[14:15], s[6:7], 3
	v_add_co_u32 v2, s5, v4, s14
	s_delay_alu instid0(VALU_DEP_1)
	v_add_co_ci_u32_e64 v3, s5, s15, v5, s5
	global_load_b64 v[2:3], v[2:3], off
.LBB685_8:
	s_or_b32 exec_lo, exec_lo, s13
	s_and_b32 s5, s4, s2
	s_delay_alu instid0(SALU_CYCLE_1)
	s_and_saveexec_b32 s13, s5
	s_cbranch_execz .LBB685_10
; %bb.9:
	s_mov_b32 s7, 0
	s_delay_alu instid0(SALU_CYCLE_1) | instskip(NEXT) | instid1(SALU_CYCLE_1)
	s_lshl_b64 s[14:15], s[6:7], 3
	v_add_co_u32 v4, s4, v4, s14
	s_delay_alu instid0(VALU_DEP_1)
	v_add_co_ci_u32_e64 v5, s4, s15, v5, s4
	global_load_b64 v[12:13], v[4:5], off offset:256
.LBB685_10:
	s_or_b32 exec_lo, exec_lo, s13
	s_load_b64 s[0:1], s[0:1], 0x20
	s_waitcnt vmcnt(0)
	v_dual_mov_b32 v4, v8 :: v_dual_mov_b32 v5, v9
	v_dual_mov_b32 v6, v10 :: v_dual_mov_b32 v7, v11
	s_waitcnt lgkmcnt(0)
	v_add_co_u32 v14, s0, s0, v0
	s_delay_alu instid0(VALU_DEP_1)
	v_add_co_ci_u32_e64 v15, s0, s1, v1, s0
	s_mov_b32 s1, 0
	s_and_saveexec_b32 s4, s16
	s_cbranch_execz .LBB685_12
; %bb.11:
	global_load_u8 v0, v[14:15], off
	v_dual_mov_b32 v4, v8 :: v_dual_mov_b32 v7, v11
	v_dual_mov_b32 v6, v10 :: v_dual_mov_b32 v5, v9
	s_waitcnt vmcnt(0)
	v_and_b32_e32 v0, 1, v0
	s_delay_alu instid0(VALU_DEP_1) | instskip(NEXT) | instid1(VALU_DEP_1)
	v_cmp_eq_u32_e64 s0, 1, v0
	s_xor_b32 s0, s0, -1
	s_delay_alu instid0(SALU_CYCLE_1)
	s_and_b32 s1, s0, exec_lo
.LBB685_12:
	s_or_b32 exec_lo, exec_lo, s4
	s_and_saveexec_b32 s4, s11
	s_cbranch_execz .LBB685_16
; %bb.13:
	global_load_u8 v0, v[14:15], off offset:32
	s_waitcnt vmcnt(0)
	v_and_b32_e32 v0, 1, v0
	s_delay_alu instid0(VALU_DEP_1) | instskip(NEXT) | instid1(VALU_DEP_1)
	v_cmp_eq_u32_e64 s0, 1, v0
	s_xor_b32 s13, s0, -1
	s_mov_b32 s0, s1
	s_and_saveexec_b32 s7, s13
; %bb.14:
	v_cmp_gt_f64_e64 s0, v[4:5], v[16:17]
	s_delay_alu instid0(VALU_DEP_1) | instskip(NEXT) | instid1(SALU_CYCLE_1)
	s_and_b32 s0, s1, s0
	v_cndmask_b32_e64 v5, v17, v5, s0
	v_cndmask_b32_e64 v4, v16, v4, s0
	s_or_b32 s0, s1, exec_lo
; %bb.15:
	s_or_b32 exec_lo, exec_lo, s7
	s_delay_alu instid0(SALU_CYCLE_1) | instskip(SKIP_1) | instid1(SALU_CYCLE_1)
	s_and_not1_b32 s1, s1, exec_lo
	s_and_b32 s0, s0, exec_lo
	s_or_b32 s1, s1, s0
.LBB685_16:
	s_or_b32 exec_lo, exec_lo, s4
	v_cndmask_b32_e64 v1, 0xfff00000, v5, s1
	v_cndmask_b32_e64 v0, 0, v4, s1
	v_dual_mov_b32 v7, v3 :: v_dual_mov_b32 v6, v2
	s_and_b32 s0, s12, exec_lo
	s_delay_alu instid0(VALU_DEP_2)
	v_dual_mov_b32 v5, v1 :: v_dual_mov_b32 v4, v0
	s_mov_b32 s1, 0
	s_cselect_b32 s4, 0, s6
	s_and_saveexec_b32 s7, s10
	s_cbranch_execz .LBB685_18
; %bb.17:
	s_ashr_i32 s1, s4, 31
	v_add_co_u32 v4, s0, v14, s4
	s_delay_alu instid0(VALU_DEP_1) | instskip(SKIP_3) | instid1(VALU_DEP_1)
	v_add_co_ci_u32_e64 v5, s0, s1, v15, s0
	global_load_u8 v4, v[4:5], off
	s_waitcnt vmcnt(0)
	v_and_b32_e32 v4, 1, v4
	v_cmp_eq_u32_e64 s0, 1, v4
	v_dual_mov_b32 v7, v3 :: v_dual_mov_b32 v6, v2
	v_dual_mov_b32 v5, v1 :: v_dual_mov_b32 v4, v0
	s_delay_alu instid0(VALU_DEP_3) | instskip(NEXT) | instid1(SALU_CYCLE_1)
	s_xor_b32 s0, s0, -1
	s_and_b32 s1, s0, exec_lo
.LBB685_18:
	s_or_b32 exec_lo, exec_lo, s7
	s_and_saveexec_b32 s7, s5
	s_cbranch_execz .LBB685_22
; %bb.19:
	s_ashr_i32 s12, s4, 31
	v_add_co_u32 v0, s0, v14, s4
	s_delay_alu instid0(VALU_DEP_1) | instskip(SKIP_3) | instid1(VALU_DEP_1)
	v_add_co_ci_u32_e64 v1, s0, s12, v15, s0
	global_load_u8 v0, v[0:1], off offset:32
	s_waitcnt vmcnt(0)
	v_and_b32_e32 v0, 1, v0
	v_cmp_eq_u32_e64 s0, 1, v0
	s_delay_alu instid0(VALU_DEP_1)
	s_xor_b32 s13, s0, -1
	s_mov_b32 s0, s1
	s_and_saveexec_b32 s12, s13
; %bb.20:
	v_cmp_gt_f64_e64 s0, v[6:7], v[12:13]
	s_delay_alu instid0(VALU_DEP_1) | instskip(NEXT) | instid1(SALU_CYCLE_1)
	s_and_b32 s0, s1, s0
	v_cndmask_b32_e64 v7, v13, v7, s0
	v_cndmask_b32_e64 v6, v12, v6, s0
	s_or_b32 s0, s1, exec_lo
; %bb.21:
	s_or_b32 exec_lo, exec_lo, s12
	s_delay_alu instid0(SALU_CYCLE_1) | instskip(SKIP_1) | instid1(SALU_CYCLE_1)
	s_and_not1_b32 s1, s1, exec_lo
	s_and_b32 s0, s0, exec_lo
	s_or_b32 s1, s1, s0
.LBB685_22:
	s_or_b32 exec_lo, exec_lo, s7
	v_mbcnt_lo_u32_b32 v20, -1, 0
	v_cndmask_b32_e64 v6, 0, v6, s1
	v_cndmask_b32_e64 v7, 0xfff00000, v7, s1
	s_mov_b32 s12, 0
	s_delay_alu instid0(SALU_CYCLE_1) | instskip(SKIP_4) | instid1(VALU_DEP_2)
	s_mov_b32 s13, s12
	v_xor_b32_e32 v0, 16, v20
	v_xor_b32_e32 v21, 8, v20
	s_mov_b32 s14, s12
	s_mov_b32 s15, s12
	v_cmp_gt_i32_e64 s0, 32, v0
	s_delay_alu instid0(VALU_DEP_2) | instskip(NEXT) | instid1(VALU_DEP_2)
	v_cmp_gt_i32_e64 s1, 32, v21
	v_cndmask_b32_e64 v0, v20, v0, s0
	s_delay_alu instid0(VALU_DEP_2) | instskip(NEXT) | instid1(VALU_DEP_2)
	v_cndmask_b32_e64 v21, v20, v21, s1
	v_lshlrev_b32_e32 v27, 2, v0
	s_delay_alu instid0(VALU_DEP_2)
	v_lshlrev_b32_e32 v28, 2, v21
	v_xor_b32_e32 v21, 4, v20
	ds_bpermute_b32 v0, v27, v4
	ds_bpermute_b32 v1, v27, v5
	;; [unrolled: 1-line block ×4, first 2 shown]
	s_waitcnt lgkmcnt(2)
	v_cmp_lt_f64_e64 s0, v[4:5], v[0:1]
	s_delay_alu instid0(VALU_DEP_1)
	v_cndmask_b32_e64 v1, v5, v1, s0
	v_cndmask_b32_e64 v0, v4, v0, s0
	s_waitcnt lgkmcnt(0)
	v_cmp_lt_f64_e64 s0, v[6:7], v[18:19]
	ds_bpermute_b32 v5, v28, v1
	ds_bpermute_b32 v4, v28, v0
	s_waitcnt lgkmcnt(0)
	v_cmp_lt_f64_e64 s1, v[0:1], v[4:5]
	v_cndmask_b32_e64 v7, v7, v19, s0
	v_cndmask_b32_e64 v6, v6, v18, s0
	v_cmp_gt_i32_e64 s0, 32, v21
	ds_bpermute_b32 v19, v28, v7
	ds_bpermute_b32 v18, v28, v6
	v_cndmask_b32_e64 v21, v20, v21, s0
	s_delay_alu instid0(VALU_DEP_1)
	v_lshlrev_b32_e32 v29, 2, v21
	v_xor_b32_e32 v21, 2, v20
	v_cndmask_b32_e64 v1, v1, v5, s1
	v_cndmask_b32_e64 v0, v0, v4, s1
	s_waitcnt lgkmcnt(0)
	v_cmp_lt_f64_e64 s0, v[6:7], v[18:19]
	ds_bpermute_b32 v5, v29, v1
	ds_bpermute_b32 v4, v29, v0
	s_waitcnt lgkmcnt(0)
	v_cmp_lt_f64_e64 s1, v[0:1], v[4:5]
	v_cndmask_b32_e64 v7, v7, v19, s0
	v_cndmask_b32_e64 v6, v6, v18, s0
	v_cmp_gt_i32_e64 s0, 32, v21
	ds_bpermute_b32 v19, v29, v7
	ds_bpermute_b32 v18, v29, v6
	v_cndmask_b32_e64 v21, v20, v21, s0
	s_delay_alu instid0(VALU_DEP_1)
	v_lshlrev_b32_e32 v30, 2, v21
	v_xor_b32_e32 v21, 1, v20
	v_cndmask_b32_e64 v1, v1, v5, s1
	v_cndmask_b32_e64 v0, v0, v4, s1
	s_waitcnt lgkmcnt(0)
	v_cmp_lt_f64_e64 s0, v[6:7], v[18:19]
	ds_bpermute_b32 v5, v30, v1
	ds_bpermute_b32 v4, v30, v0
	s_waitcnt lgkmcnt(0)
	v_cmp_lt_f64_e64 s1, v[0:1], v[4:5]
	v_cndmask_b32_e64 v7, v7, v19, s0
	v_cndmask_b32_e64 v6, v6, v18, s0
	v_cmp_gt_i32_e64 s0, 32, v21
	ds_bpermute_b32 v19, v30, v7
	ds_bpermute_b32 v18, v30, v6
	v_cndmask_b32_e64 v20, v20, v21, s0
	s_delay_alu instid0(VALU_DEP_1)
	v_lshlrev_b32_e32 v31, 2, v20
	v_cndmask_b32_e64 v25, v1, v5, s1
	v_cndmask_b32_e64 v24, v0, v4, s1
	s_waitcnt lgkmcnt(0)
	v_cmp_lt_f64_e64 s0, v[6:7], v[18:19]
	v_mov_b32_e32 v0, 0
	v_mov_b32_e32 v1, 0
	s_delay_alu instid0(VALU_DEP_3)
	v_cndmask_b32_e64 v21, v7, v19, s0
	v_cndmask_b32_e64 v20, v6, v18, s0
	v_mov_b32_e32 v4, s12
	v_mov_b32_e32 v6, s14
	ds_bpermute_b32 v33, v31, v25
	ds_bpermute_b32 v32, v31, v24
	;; [unrolled: 1-line block ×4, first 2 shown]
	v_mov_b32_e32 v19, v1
	v_mov_b32_e32 v5, s13
	v_dual_mov_b32 v7, s15 :: v_dual_mov_b32 v18, v0
	s_waitcnt lgkmcnt(2)
	v_cmp_lt_f64_e64 s1, v[24:25], v[32:33]
	s_delay_alu instid0(VALU_DEP_1)
	v_cndmask_b32_e64 v25, v25, v33, s1
	v_cndmask_b32_e64 v24, v24, v32, s1
	s_and_saveexec_b32 s7, s16
	s_cbranch_execz .LBB685_26
; %bb.23:
	global_load_u8 v4, v[14:15], off
	v_mov_b32_e32 v18, 0
	s_waitcnt vmcnt(0)
	v_dual_mov_b32 v19, 0 :: v_dual_and_b32 v4, 1, v4
	s_delay_alu instid0(VALU_DEP_1) | instskip(SKIP_2) | instid1(VALU_DEP_3)
	v_cmp_eq_u32_e64 s0, 1, v4
	v_dual_mov_b32 v4, s12 :: v_dual_mov_b32 v7, s15
	v_dual_mov_b32 v5, s13 :: v_dual_mov_b32 v6, s14
	s_xor_b32 s0, s0, -1
	s_delay_alu instid0(SALU_CYCLE_1)
	s_and_saveexec_b32 s12, s0
	s_cbranch_execz .LBB685_25
; %bb.24:
	v_add_f64 v[4:5], v[8:9], -v[24:25]
	s_mov_b32 s0, 0x652b82fe
	s_mov_b32 s1, 0x3ff71547
	;; [unrolled: 1-line block ×4, first 2 shown]
	s_delay_alu instid0(VALU_DEP_1) | instskip(SKIP_2) | instid1(VALU_DEP_1)
	v_mul_f64 v[6:7], v[4:5], s[0:1]
	s_mov_b32 s0, 0xfefa39ef
	s_mov_b32 s1, 0xbfe62e42
	v_rndne_f64_e32 v[6:7], v[6:7]
	s_delay_alu instid0(VALU_DEP_1) | instskip(SKIP_3) | instid1(VALU_DEP_2)
	v_fma_f64 v[8:9], v[6:7], s[0:1], v[4:5]
	s_mov_b32 s0, 0x3b39803f
	s_mov_b32 s1, 0xbc7abc9e
	v_cvt_i32_f64_e32 v32, v[6:7]
	v_fma_f64 v[8:9], v[6:7], s[0:1], v[8:9]
	s_mov_b32 s0, 0xfca7ab0c
	s_mov_b32 s1, 0x3e928af3
	s_delay_alu instid0(VALU_DEP_1) | instid1(SALU_CYCLE_1)
	v_fma_f64 v[18:19], v[8:9], s[14:15], s[0:1]
	s_mov_b32 s0, 0x623fde64
	s_mov_b32 s1, 0x3ec71dee
	s_delay_alu instid0(VALU_DEP_1) | instid1(SALU_CYCLE_1)
	v_fma_f64 v[18:19], v[8:9], v[18:19], s[0:1]
	s_mov_b32 s0, 0x7c89e6b0
	s_mov_b32 s1, 0x3efa0199
	s_delay_alu instid0(VALU_DEP_1) | instid1(SALU_CYCLE_1)
	v_fma_f64 v[18:19], v[8:9], v[18:19], s[0:1]
	s_mov_b32 s0, 0x14761f6e
	s_mov_b32 s1, 0x3f2a01a0
	s_delay_alu instid0(VALU_DEP_1) | instid1(SALU_CYCLE_1)
	v_fma_f64 v[18:19], v[8:9], v[18:19], s[0:1]
	s_mov_b32 s0, 0x1852b7b0
	s_mov_b32 s1, 0x3f56c16c
	s_delay_alu instid0(VALU_DEP_1) | instid1(SALU_CYCLE_1)
	v_fma_f64 v[18:19], v[8:9], v[18:19], s[0:1]
	s_mov_b32 s0, 0x11122322
	s_mov_b32 s1, 0x3f811111
	s_delay_alu instid0(VALU_DEP_1) | instid1(SALU_CYCLE_1)
	v_fma_f64 v[18:19], v[8:9], v[18:19], s[0:1]
	s_mov_b32 s0, 0x555502a1
	s_mov_b32 s1, 0x3fa55555
	s_delay_alu instid0(VALU_DEP_1) | instid1(SALU_CYCLE_1)
	v_fma_f64 v[18:19], v[8:9], v[18:19], s[0:1]
	s_mov_b32 s0, 0x55555511
	s_mov_b32 s1, 0x3fc55555
	s_delay_alu instid0(VALU_DEP_1) | instid1(SALU_CYCLE_1)
	v_fma_f64 v[18:19], v[8:9], v[18:19], s[0:1]
	s_mov_b32 s0, 11
	s_mov_b32 s1, 0x3fe00000
	s_delay_alu instid0(VALU_DEP_1) | instid1(SALU_CYCLE_1)
	v_fma_f64 v[18:19], v[8:9], v[18:19], s[0:1]
	v_cmp_nlt_f64_e64 s0, 0x40900000, v[4:5]
	v_cmp_ngt_f64_e64 s1, 0xc090cc00, v[4:5]
	s_delay_alu instid0(VALU_DEP_3) | instskip(NEXT) | instid1(VALU_DEP_1)
	v_fma_f64 v[18:19], v[8:9], v[18:19], 1.0
	v_fma_f64 v[6:7], v[8:9], v[18:19], 1.0
	s_delay_alu instid0(VALU_DEP_1) | instskip(NEXT) | instid1(VALU_DEP_1)
	v_ldexp_f64 v[6:7], v[6:7], v32
	v_cndmask_b32_e64 v7, 0x7ff00000, v7, s0
	s_and_b32 s0, s1, s0
	s_delay_alu instid0(VALU_DEP_2) | instid1(SALU_CYCLE_1)
	v_cndmask_b32_e64 v18, 0, v6, s0
	v_mov_b32_e32 v6, 0
	s_delay_alu instid0(VALU_DEP_3) | instskip(NEXT) | instid1(VALU_DEP_2)
	v_cndmask_b32_e64 v19, 0, v7, s1
	v_mov_b32_e32 v7, v6
	s_delay_alu instid0(VALU_DEP_2)
	v_add_f64 v[4:5], v[18:19], 0
.LBB685_25:
	s_or_b32 exec_lo, exec_lo, s12
.LBB685_26:
	s_delay_alu instid0(SALU_CYCLE_1)
	s_or_b32 exec_lo, exec_lo, s7
	s_and_saveexec_b32 s7, s11
	s_cbranch_execz .LBB685_30
; %bb.27:
	global_load_u8 v0, v[14:15], off offset:32
	s_waitcnt vmcnt(0)
	v_and_b32_e32 v0, 1, v0
	s_delay_alu instid0(VALU_DEP_1) | instskip(SKIP_2) | instid1(VALU_DEP_3)
	v_cmp_eq_u32_e64 s0, 1, v0
	v_mov_b32_e32 v0, 0
	v_mov_b32_e32 v1, 0
	s_xor_b32 s0, s0, -1
	s_delay_alu instid0(SALU_CYCLE_1)
	s_and_saveexec_b32 s11, s0
	s_cbranch_execz .LBB685_29
; %bb.28:
	v_add_f64 v[0:1], v[16:17], -v[24:25]
	s_mov_b32 s0, 0x652b82fe
	s_mov_b32 s1, 0x3ff71547
	;; [unrolled: 1-line block ×4, first 2 shown]
	s_delay_alu instid0(VALU_DEP_1) | instskip(SKIP_2) | instid1(VALU_DEP_1)
	v_mul_f64 v[8:9], v[0:1], s[0:1]
	s_mov_b32 s0, 0xfefa39ef
	s_mov_b32 s1, 0xbfe62e42
	v_rndne_f64_e32 v[8:9], v[8:9]
	s_delay_alu instid0(VALU_DEP_1) | instskip(SKIP_3) | instid1(VALU_DEP_2)
	v_fma_f64 v[16:17], v[8:9], s[0:1], v[0:1]
	s_mov_b32 s0, 0x3b39803f
	s_mov_b32 s1, 0xbc7abc9e
	v_cvt_i32_f64_e32 v32, v[8:9]
	v_fma_f64 v[16:17], v[8:9], s[0:1], v[16:17]
	s_mov_b32 s0, 0xfca7ab0c
	s_mov_b32 s1, 0x3e928af3
	s_delay_alu instid0(VALU_DEP_1) | instid1(SALU_CYCLE_1)
	v_fma_f64 v[24:25], v[16:17], s[12:13], s[0:1]
	s_mov_b32 s0, 0x623fde64
	s_mov_b32 s1, 0x3ec71dee
	s_delay_alu instid0(VALU_DEP_1) | instid1(SALU_CYCLE_1)
	;; [unrolled: 4-line block ×9, first 2 shown]
	v_fma_f64 v[24:25], v[16:17], v[24:25], s[0:1]
	v_cmp_nlt_f64_e64 s0, 0x40900000, v[0:1]
	v_cmp_ngt_f64_e64 s1, 0xc090cc00, v[0:1]
	s_delay_alu instid0(VALU_DEP_3) | instskip(NEXT) | instid1(VALU_DEP_1)
	v_fma_f64 v[24:25], v[16:17], v[24:25], 1.0
	v_fma_f64 v[8:9], v[16:17], v[24:25], 1.0
	s_delay_alu instid0(VALU_DEP_1) | instskip(NEXT) | instid1(VALU_DEP_1)
	v_ldexp_f64 v[8:9], v[8:9], v32
	v_cndmask_b32_e64 v9, 0x7ff00000, v9, s0
	s_and_b32 s0, s1, s0
	s_delay_alu instid0(VALU_DEP_2) | instid1(SALU_CYCLE_1)
	v_cndmask_b32_e64 v0, 0, v8, s0
	s_delay_alu instid0(VALU_DEP_2) | instskip(NEXT) | instid1(VALU_DEP_1)
	v_cndmask_b32_e64 v1, 0, v9, s1
	v_add_f64 v[4:5], v[4:5], v[0:1]
.LBB685_29:
	s_or_b32 exec_lo, exec_lo, s11
.LBB685_30:
	s_delay_alu instid0(SALU_CYCLE_1) | instskip(SKIP_4) | instid1(VALU_DEP_1)
	s_or_b32 exec_lo, exec_lo, s7
	s_waitcnt lgkmcnt(0)
	v_cmp_lt_f64_e64 s0, v[20:21], v[22:23]
	v_mov_b32_e32 v8, 0
	v_mov_b32_e32 v9, 0
	v_dual_mov_b32 v17, v9 :: v_dual_mov_b32 v16, v8
	s_delay_alu instid0(VALU_DEP_4)
	v_cndmask_b32_e64 v21, v21, v23, s0
	v_cndmask_b32_e64 v20, v20, v22, s0
	s_and_saveexec_b32 s7, s10
	s_cbranch_execz .LBB685_34
; %bb.31:
	s_ashr_i32 s1, s4, 31
	v_add_co_u32 v16, s0, v14, s4
	s_delay_alu instid0(VALU_DEP_1) | instskip(SKIP_3) | instid1(VALU_DEP_1)
	v_add_co_ci_u32_e64 v17, s0, s1, v15, s0
	global_load_u8 v16, v[16:17], off
	s_waitcnt vmcnt(0)
	v_and_b32_e32 v16, 1, v16
	v_cmp_eq_u32_e64 s0, 1, v16
	v_mov_b32_e32 v16, 0
	v_mov_b32_e32 v17, 0
	s_delay_alu instid0(VALU_DEP_3) | instskip(NEXT) | instid1(SALU_CYCLE_1)
	s_xor_b32 s0, s0, -1
	s_and_saveexec_b32 s10, s0
	s_cbranch_execz .LBB685_33
; %bb.32:
	v_add_f64 v[2:3], v[2:3], -v[20:21]
	s_mov_b32 s0, 0x652b82fe
	s_mov_b32 s1, 0x3ff71547
	;; [unrolled: 1-line block ×4, first 2 shown]
	s_delay_alu instid0(VALU_DEP_1) | instskip(SKIP_2) | instid1(VALU_DEP_1)
	v_mul_f64 v[16:17], v[2:3], s[0:1]
	s_mov_b32 s0, 0xfefa39ef
	s_mov_b32 s1, 0xbfe62e42
	v_rndne_f64_e32 v[16:17], v[16:17]
	s_delay_alu instid0(VALU_DEP_1) | instskip(SKIP_3) | instid1(VALU_DEP_2)
	v_fma_f64 v[22:23], v[16:17], s[0:1], v[2:3]
	s_mov_b32 s0, 0x3b39803f
	s_mov_b32 s1, 0xbc7abc9e
	v_cvt_i32_f64_e32 v32, v[16:17]
	v_fma_f64 v[22:23], v[16:17], s[0:1], v[22:23]
	s_mov_b32 s0, 0xfca7ab0c
	s_mov_b32 s1, 0x3e928af3
	s_delay_alu instid0(VALU_DEP_1) | instid1(SALU_CYCLE_1)
	v_fma_f64 v[24:25], v[22:23], s[12:13], s[0:1]
	s_mov_b32 s0, 0x623fde64
	s_mov_b32 s1, 0x3ec71dee
	s_delay_alu instid0(VALU_DEP_1) | instid1(SALU_CYCLE_1)
	;; [unrolled: 4-line block ×9, first 2 shown]
	v_fma_f64 v[24:25], v[22:23], v[24:25], s[0:1]
	v_cmp_nlt_f64_e64 s0, 0x40900000, v[2:3]
	v_cmp_ngt_f64_e64 s1, 0xc090cc00, v[2:3]
	s_delay_alu instid0(VALU_DEP_3) | instskip(NEXT) | instid1(VALU_DEP_1)
	v_fma_f64 v[24:25], v[22:23], v[24:25], 1.0
	v_fma_f64 v[16:17], v[22:23], v[24:25], 1.0
	s_delay_alu instid0(VALU_DEP_1) | instskip(NEXT) | instid1(VALU_DEP_1)
	v_ldexp_f64 v[16:17], v[16:17], v32
	v_cndmask_b32_e64 v17, 0x7ff00000, v17, s0
	s_and_b32 s0, s1, s0
	s_delay_alu instid0(VALU_DEP_2) | instid1(SALU_CYCLE_1)
	v_cndmask_b32_e64 v16, 0, v16, s0
	s_delay_alu instid0(VALU_DEP_2) | instskip(NEXT) | instid1(VALU_DEP_1)
	v_cndmask_b32_e64 v17, 0, v17, s1
	v_add_f64 v[6:7], v[6:7], v[16:17]
.LBB685_33:
	s_or_b32 exec_lo, exec_lo, s10
.LBB685_34:
	s_delay_alu instid0(SALU_CYCLE_1)
	s_or_b32 exec_lo, exec_lo, s7
	s_and_saveexec_b32 s7, s5
	s_cbranch_execz .LBB685_38
; %bb.35:
	s_ashr_i32 s1, s4, 31
	v_add_co_u32 v2, s0, v14, s4
	s_delay_alu instid0(VALU_DEP_1)
	v_add_co_ci_u32_e64 v3, s0, s1, v15, s0
	v_mov_b32_e32 v8, 0
	v_mov_b32_e32 v9, 0
	global_load_u8 v2, v[2:3], off offset:32
	s_waitcnt vmcnt(0)
	v_and_b32_e32 v2, 1, v2
	s_delay_alu instid0(VALU_DEP_1) | instskip(NEXT) | instid1(VALU_DEP_1)
	v_cmp_eq_u32_e64 s0, 1, v2
	s_xor_b32 s0, s0, -1
	s_delay_alu instid0(SALU_CYCLE_1)
	s_and_saveexec_b32 s4, s0
	s_cbranch_execz .LBB685_37
; %bb.36:
	v_add_f64 v[2:3], v[12:13], -v[20:21]
	s_mov_b32 s0, 0x652b82fe
	s_mov_b32 s1, 0x3ff71547
	s_mov_b32 s10, 0x6a5dcb37
	s_mov_b32 s11, 0x3e5ade15
	s_delay_alu instid0(VALU_DEP_1) | instskip(SKIP_2) | instid1(VALU_DEP_1)
	v_mul_f64 v[8:9], v[2:3], s[0:1]
	s_mov_b32 s0, 0xfefa39ef
	s_mov_b32 s1, 0xbfe62e42
	v_rndne_f64_e32 v[8:9], v[8:9]
	s_delay_alu instid0(VALU_DEP_1) | instskip(SKIP_3) | instid1(VALU_DEP_2)
	v_fma_f64 v[12:13], v[8:9], s[0:1], v[2:3]
	s_mov_b32 s0, 0x3b39803f
	s_mov_b32 s1, 0xbc7abc9e
	v_cvt_i32_f64_e32 v20, v[8:9]
	v_fma_f64 v[12:13], v[8:9], s[0:1], v[12:13]
	s_mov_b32 s0, 0xfca7ab0c
	s_mov_b32 s1, 0x3e928af3
	s_delay_alu instid0(VALU_DEP_1) | instid1(SALU_CYCLE_1)
	v_fma_f64 v[14:15], v[12:13], s[10:11], s[0:1]
	s_mov_b32 s0, 0x623fde64
	s_mov_b32 s1, 0x3ec71dee
	s_delay_alu instid0(VALU_DEP_1) | instid1(SALU_CYCLE_1)
	;; [unrolled: 4-line block ×9, first 2 shown]
	v_fma_f64 v[14:15], v[12:13], v[14:15], s[0:1]
	v_cmp_nlt_f64_e64 s0, 0x40900000, v[2:3]
	v_cmp_ngt_f64_e64 s1, 0xc090cc00, v[2:3]
	s_delay_alu instid0(VALU_DEP_3) | instskip(NEXT) | instid1(VALU_DEP_1)
	v_fma_f64 v[14:15], v[12:13], v[14:15], 1.0
	v_fma_f64 v[8:9], v[12:13], v[14:15], 1.0
	s_delay_alu instid0(VALU_DEP_1) | instskip(NEXT) | instid1(VALU_DEP_1)
	v_ldexp_f64 v[8:9], v[8:9], v20
	v_cndmask_b32_e64 v9, 0x7ff00000, v9, s0
	s_and_b32 s0, s1, s0
	s_delay_alu instid0(VALU_DEP_2) | instid1(SALU_CYCLE_1)
	v_cndmask_b32_e64 v8, 0, v8, s0
	s_delay_alu instid0(VALU_DEP_2) | instskip(NEXT) | instid1(VALU_DEP_1)
	v_cndmask_b32_e64 v9, 0, v9, s1
	v_add_f64 v[6:7], v[6:7], v[8:9]
.LBB685_37:
	s_or_b32 exec_lo, exec_lo, s4
.LBB685_38:
	s_delay_alu instid0(SALU_CYCLE_1)
	s_or_b32 exec_lo, exec_lo, s7
	ds_bpermute_b32 v2, v27, v4
	ds_bpermute_b32 v3, v27, v5
	ds_bpermute_b32 v12, v27, v6
	ds_bpermute_b32 v13, v27, v7
	s_waitcnt lgkmcnt(2)
	v_add_f64 v[2:3], v[4:5], v[2:3]
	s_waitcnt lgkmcnt(0)
	v_add_f64 v[4:5], v[6:7], v[12:13]
	ds_bpermute_b32 v6, v28, v2
	ds_bpermute_b32 v7, v28, v3
	ds_bpermute_b32 v12, v28, v4
	ds_bpermute_b32 v13, v28, v5
	s_waitcnt lgkmcnt(2)
	v_add_f64 v[2:3], v[2:3], v[6:7]
	s_waitcnt lgkmcnt(0)
	v_add_f64 v[4:5], v[4:5], v[12:13]
	;; [unrolled: 8-line block ×4, first 2 shown]
	ds_bpermute_b32 v14, v31, v12
	ds_bpermute_b32 v15, v31, v13
	;; [unrolled: 1-line block ×4, first 2 shown]
	s_and_saveexec_b32 s0, vcc_lo
	s_cbranch_execz .LBB685_46
; %bb.39:
	v_add_co_u32 v2, vcc_lo, s8, v10
	v_add_co_ci_u32_e32 v3, vcc_lo, s9, v11, vcc_lo
	s_and_saveexec_b32 s1, s3
	s_cbranch_execz .LBB685_42
; %bb.40:
	s_waitcnt lgkmcnt(2)
	v_add_f64 v[10:11], v[12:13], v[14:15]
	s_delay_alu instid0(VALU_DEP_1) | instskip(SKIP_2) | instid1(VALU_DEP_3)
	v_div_scale_f64 v[12:13], null, v[10:11], v[10:11], v[18:19]
	v_div_scale_f64 v[22:23], vcc_lo, v[18:19], v[10:11], v[18:19]
	v_cmp_eq_f64_e64 s0, 0, v[10:11]
	v_rcp_f64_e32 v[14:15], v[12:13]
	s_waitcnt_depctr 0xfff
	v_fma_f64 v[20:21], -v[12:13], v[14:15], 1.0
	s_delay_alu instid0(VALU_DEP_1) | instskip(NEXT) | instid1(VALU_DEP_1)
	v_fma_f64 v[14:15], v[14:15], v[20:21], v[14:15]
	v_fma_f64 v[20:21], -v[12:13], v[14:15], 1.0
	s_delay_alu instid0(VALU_DEP_1) | instskip(NEXT) | instid1(VALU_DEP_1)
	v_fma_f64 v[14:15], v[14:15], v[20:21], v[14:15]
	v_mul_f64 v[20:21], v[22:23], v[14:15]
	s_delay_alu instid0(VALU_DEP_1) | instskip(NEXT) | instid1(VALU_DEP_1)
	v_fma_f64 v[12:13], -v[12:13], v[20:21], v[22:23]
	v_div_fmas_f64 v[12:13], v[12:13], v[14:15], v[20:21]
	s_delay_alu instid0(VALU_DEP_1) | instskip(NEXT) | instid1(VALU_DEP_1)
	v_div_fixup_f64 v[12:13], v[12:13], v[10:11], v[18:19]
	v_cndmask_b32_e64 v13, v13, 0x7ff80000, s0
	s_delay_alu instid0(VALU_DEP_2)
	v_cndmask_b32_e64 v12, v12, 0, s0
	global_store_b64 v[2:3], v[12:13], off
	s_and_b32 exec_lo, exec_lo, s2
	s_cbranch_execz .LBB685_42
; %bb.41:
	v_div_scale_f64 v[12:13], null, v[10:11], v[10:11], v[0:1]
	v_div_scale_f64 v[20:21], vcc_lo, v[0:1], v[10:11], v[0:1]
	s_delay_alu instid0(VALU_DEP_2) | instskip(SKIP_2) | instid1(VALU_DEP_1)
	v_rcp_f64_e32 v[14:15], v[12:13]
	s_waitcnt_depctr 0xfff
	v_fma_f64 v[18:19], -v[12:13], v[14:15], 1.0
	v_fma_f64 v[14:15], v[14:15], v[18:19], v[14:15]
	s_delay_alu instid0(VALU_DEP_1) | instskip(NEXT) | instid1(VALU_DEP_1)
	v_fma_f64 v[18:19], -v[12:13], v[14:15], 1.0
	v_fma_f64 v[14:15], v[14:15], v[18:19], v[14:15]
	s_delay_alu instid0(VALU_DEP_1) | instskip(NEXT) | instid1(VALU_DEP_1)
	v_mul_f64 v[18:19], v[20:21], v[14:15]
	v_fma_f64 v[12:13], -v[12:13], v[18:19], v[20:21]
	s_delay_alu instid0(VALU_DEP_1) | instskip(NEXT) | instid1(VALU_DEP_1)
	v_div_fmas_f64 v[12:13], v[12:13], v[14:15], v[18:19]
	v_div_fixup_f64 v[0:1], v[12:13], v[10:11], v[0:1]
	s_delay_alu instid0(VALU_DEP_1) | instskip(NEXT) | instid1(VALU_DEP_2)
	v_cndmask_b32_e64 v1, v1, 0x7ff80000, s0
	v_cndmask_b32_e64 v0, v0, 0, s0
	global_store_b64 v[2:3], v[0:1], off offset:256
.LBB685_42:
	s_or_b32 exec_lo, exec_lo, s1
	v_cmp_ne_u32_e32 vcc_lo, 1, v26
	s_and_b32 exec_lo, exec_lo, vcc_lo
	s_cbranch_execz .LBB685_46
; %bb.43:
	s_and_b32 exec_lo, exec_lo, s3
	s_cbranch_execz .LBB685_46
; %bb.44:
	s_waitcnt lgkmcnt(0)
	v_add_f64 v[0:1], v[4:5], v[6:7]
	s_mov_b32 s7, 0
	s_delay_alu instid0(SALU_CYCLE_1) | instskip(NEXT) | instid1(VALU_DEP_1)
	s_lshl_b64 s[4:5], s[6:7], 3
	v_div_scale_f64 v[4:5], null, v[0:1], v[0:1], v[16:17]
	v_div_scale_f64 v[12:13], vcc_lo, v[16:17], v[0:1], v[16:17]
	v_cmp_eq_f64_e64 s0, 0, v[0:1]
	s_delay_alu instid0(VALU_DEP_3) | instskip(SKIP_2) | instid1(VALU_DEP_1)
	v_rcp_f64_e32 v[6:7], v[4:5]
	s_waitcnt_depctr 0xfff
	v_fma_f64 v[10:11], -v[4:5], v[6:7], 1.0
	v_fma_f64 v[6:7], v[6:7], v[10:11], v[6:7]
	s_delay_alu instid0(VALU_DEP_1) | instskip(NEXT) | instid1(VALU_DEP_1)
	v_fma_f64 v[10:11], -v[4:5], v[6:7], 1.0
	v_fma_f64 v[6:7], v[6:7], v[10:11], v[6:7]
	s_delay_alu instid0(VALU_DEP_1) | instskip(NEXT) | instid1(VALU_DEP_1)
	v_mul_f64 v[10:11], v[12:13], v[6:7]
	v_fma_f64 v[4:5], -v[4:5], v[10:11], v[12:13]
	s_delay_alu instid0(VALU_DEP_1) | instskip(SKIP_2) | instid1(VALU_DEP_3)
	v_div_fmas_f64 v[4:5], v[4:5], v[6:7], v[10:11]
	v_add_co_u32 v6, vcc_lo, v2, s4
	v_add_co_ci_u32_e32 v7, vcc_lo, s5, v3, vcc_lo
	v_div_fixup_f64 v[4:5], v[4:5], v[0:1], v[16:17]
	s_delay_alu instid0(VALU_DEP_1) | instskip(NEXT) | instid1(VALU_DEP_2)
	v_cndmask_b32_e64 v5, v5, 0x7ff80000, s0
	v_cndmask_b32_e64 v4, v4, 0, s0
	global_store_b64 v[6:7], v[4:5], off
	s_and_b32 exec_lo, exec_lo, s2
	s_cbranch_execz .LBB685_46
; %bb.45:
	v_div_scale_f64 v[4:5], null, v[0:1], v[0:1], v[8:9]
	v_div_scale_f64 v[12:13], vcc_lo, v[8:9], v[0:1], v[8:9]
	s_ashr_i32 s7, s6, 31
	s_delay_alu instid0(SALU_CYCLE_1) | instskip(NEXT) | instid1(VALU_DEP_2)
	s_lshl_b64 s[2:3], s[6:7], 3
	v_rcp_f64_e32 v[6:7], v[4:5]
	s_waitcnt_depctr 0xfff
	v_fma_f64 v[10:11], -v[4:5], v[6:7], 1.0
	s_delay_alu instid0(VALU_DEP_1) | instskip(NEXT) | instid1(VALU_DEP_1)
	v_fma_f64 v[6:7], v[6:7], v[10:11], v[6:7]
	v_fma_f64 v[10:11], -v[4:5], v[6:7], 1.0
	s_delay_alu instid0(VALU_DEP_1) | instskip(NEXT) | instid1(VALU_DEP_1)
	v_fma_f64 v[6:7], v[6:7], v[10:11], v[6:7]
	v_mul_f64 v[10:11], v[12:13], v[6:7]
	s_delay_alu instid0(VALU_DEP_1) | instskip(NEXT) | instid1(VALU_DEP_1)
	v_fma_f64 v[4:5], -v[4:5], v[10:11], v[12:13]
	v_div_fmas_f64 v[4:5], v[4:5], v[6:7], v[10:11]
	v_add_co_u32 v2, vcc_lo, v2, s2
	v_add_co_ci_u32_e32 v3, vcc_lo, s3, v3, vcc_lo
	s_delay_alu instid0(VALU_DEP_3) | instskip(NEXT) | instid1(VALU_DEP_1)
	v_div_fixup_f64 v[0:1], v[4:5], v[0:1], v[8:9]
	v_cndmask_b32_e64 v1, v1, 0x7ff80000, s0
	s_delay_alu instid0(VALU_DEP_2)
	v_cndmask_b32_e64 v0, v0, 0, s0
	global_store_b64 v[2:3], v[0:1], off offset:256
.LBB685_46:
	s_nop 0
	s_sendmsg sendmsg(MSG_DEALLOC_VGPRS)
	s_endpgm
	.section	.rodata,"a",@progbits
	.p2align	6, 0x0
	.amdhsa_kernel _ZN12_GLOBAL__N_120softmax_warp_forwardIdddLi6ELb0ELb1ELi32EEEvPT0_PKT_iiiPKbib
		.amdhsa_group_segment_fixed_size 0
		.amdhsa_private_segment_fixed_size 0
		.amdhsa_kernarg_size 304
		.amdhsa_user_sgpr_count 15
		.amdhsa_user_sgpr_dispatch_ptr 0
		.amdhsa_user_sgpr_queue_ptr 0
		.amdhsa_user_sgpr_kernarg_segment_ptr 1
		.amdhsa_user_sgpr_dispatch_id 0
		.amdhsa_user_sgpr_private_segment_size 0
		.amdhsa_wavefront_size32 1
		.amdhsa_uses_dynamic_stack 0
		.amdhsa_enable_private_segment 0
		.amdhsa_system_sgpr_workgroup_id_x 1
		.amdhsa_system_sgpr_workgroup_id_y 0
		.amdhsa_system_sgpr_workgroup_id_z 0
		.amdhsa_system_sgpr_workgroup_info 0
		.amdhsa_system_vgpr_workitem_id 1
		.amdhsa_next_free_vgpr 34
		.amdhsa_next_free_sgpr 17
		.amdhsa_reserve_vcc 1
		.amdhsa_float_round_mode_32 0
		.amdhsa_float_round_mode_16_64 0
		.amdhsa_float_denorm_mode_32 3
		.amdhsa_float_denorm_mode_16_64 3
		.amdhsa_dx10_clamp 1
		.amdhsa_ieee_mode 1
		.amdhsa_fp16_overflow 0
		.amdhsa_workgroup_processor_mode 1
		.amdhsa_memory_ordered 1
		.amdhsa_forward_progress 0
		.amdhsa_shared_vgpr_count 0
		.amdhsa_exception_fp_ieee_invalid_op 0
		.amdhsa_exception_fp_denorm_src 0
		.amdhsa_exception_fp_ieee_div_zero 0
		.amdhsa_exception_fp_ieee_overflow 0
		.amdhsa_exception_fp_ieee_underflow 0
		.amdhsa_exception_fp_ieee_inexact 0
		.amdhsa_exception_int_div_zero 0
	.end_amdhsa_kernel
	.section	.text._ZN12_GLOBAL__N_120softmax_warp_forwardIdddLi6ELb0ELb1ELi32EEEvPT0_PKT_iiiPKbib,"axG",@progbits,_ZN12_GLOBAL__N_120softmax_warp_forwardIdddLi6ELb0ELb1ELi32EEEvPT0_PKT_iiiPKbib,comdat
.Lfunc_end685:
	.size	_ZN12_GLOBAL__N_120softmax_warp_forwardIdddLi6ELb0ELb1ELi32EEEvPT0_PKT_iiiPKbib, .Lfunc_end685-_ZN12_GLOBAL__N_120softmax_warp_forwardIdddLi6ELb0ELb1ELi32EEEvPT0_PKT_iiiPKbib
                                        ; -- End function
	.section	.AMDGPU.csdata,"",@progbits
; Kernel info:
; codeLenInByte = 4984
; NumSgprs: 19
; NumVgprs: 34
; ScratchSize: 0
; MemoryBound: 0
; FloatMode: 240
; IeeeMode: 1
; LDSByteSize: 0 bytes/workgroup (compile time only)
; SGPRBlocks: 2
; VGPRBlocks: 4
; NumSGPRsForWavesPerEU: 19
; NumVGPRsForWavesPerEU: 34
; Occupancy: 16
; WaveLimiterHint : 0
; COMPUTE_PGM_RSRC2:SCRATCH_EN: 0
; COMPUTE_PGM_RSRC2:USER_SGPR: 15
; COMPUTE_PGM_RSRC2:TRAP_HANDLER: 0
; COMPUTE_PGM_RSRC2:TGID_X_EN: 1
; COMPUTE_PGM_RSRC2:TGID_Y_EN: 0
; COMPUTE_PGM_RSRC2:TGID_Z_EN: 0
; COMPUTE_PGM_RSRC2:TIDIG_COMP_CNT: 1
	.section	.text._ZN12_GLOBAL__N_120softmax_warp_forwardIdddLi7ELb0ELb1ELi64EEEvPT0_PKT_iiiPKbib,"axG",@progbits,_ZN12_GLOBAL__N_120softmax_warp_forwardIdddLi7ELb0ELb1ELi64EEEvPT0_PKT_iiiPKbib,comdat
	.globl	_ZN12_GLOBAL__N_120softmax_warp_forwardIdddLi7ELb0ELb1ELi64EEEvPT0_PKT_iiiPKbib ; -- Begin function _ZN12_GLOBAL__N_120softmax_warp_forwardIdddLi7ELb0ELb1ELi64EEEvPT0_PKT_iiiPKbib
	.p2align	8
	.type	_ZN12_GLOBAL__N_120softmax_warp_forwardIdddLi7ELb0ELb1ELi64EEEvPT0_PKT_iiiPKbib,@function
_ZN12_GLOBAL__N_120softmax_warp_forwardIdddLi7ELb0ELb1ELi64EEEvPT0_PKT_iiiPKbib: ; @_ZN12_GLOBAL__N_120softmax_warp_forwardIdddLi7ELb0ELb1ELi64EEEvPT0_PKT_iiiPKbib
; %bb.0:
	s_clause 0x2
	s_load_b64 s[2:3], s[0:1], 0x28
	s_load_b32 s8, s[0:1], 0x3c
	s_load_b128 s[4:7], s[0:1], 0x10
	v_bfe_u32 v1, v0, 10, 10
	v_and_b32_e32 v2, 0x3ff, v0
	s_waitcnt lgkmcnt(0)
	s_bitcmp1_b32 s3, 0
	s_cselect_b32 s12, -1, 0
	s_lshr_b32 s7, s8, 16
	s_bitcmp0_b32 s3, 0
	s_mul_i32 s15, s15, s7
	s_delay_alu instid0(SALU_CYCLE_1) | instskip(NEXT) | instid1(VALU_DEP_1)
	v_add_lshl_u32 v5, s15, v1, 1
	v_mul_lo_u32 v6, v5, s5
	s_delay_alu instid0(VALU_DEP_1) | instskip(NEXT) | instid1(VALU_DEP_1)
	v_add_nc_u32_e32 v3, v6, v2
	v_ashrrev_i32_e32 v4, 31, v3
	s_delay_alu instid0(VALU_DEP_1)
	v_dual_mov_b32 v0, v3 :: v_dual_mov_b32 v1, v4
	s_cbranch_scc1 .LBB686_2
; %bb.1:
	s_abs_i32 s3, s2
	v_sub_nc_u32_e32 v7, 0, v6
	v_cvt_f32_u32_e32 v0, s3
	s_sub_i32 s7, 0, s3
	s_delay_alu instid0(VALU_DEP_2) | instskip(NEXT) | instid1(VALU_DEP_2)
	v_max_i32_e32 v7, v6, v7
	v_rcp_iflag_f32_e32 v0, v0
	v_xor_b32_e32 v6, s2, v6
	s_delay_alu instid0(VALU_DEP_1) | instskip(SKIP_2) | instid1(VALU_DEP_1)
	v_ashrrev_i32_e32 v6, 31, v6
	s_waitcnt_depctr 0xfff
	v_mul_f32_e32 v0, 0x4f7ffffe, v0
	v_cvt_u32_f32_e32 v0, v0
	s_delay_alu instid0(VALU_DEP_1) | instskip(NEXT) | instid1(VALU_DEP_1)
	v_mul_lo_u32 v1, s7, v0
	v_mul_hi_u32 v1, v0, v1
	s_delay_alu instid0(VALU_DEP_1) | instskip(NEXT) | instid1(VALU_DEP_1)
	v_add_nc_u32_e32 v0, v0, v1
	v_mul_hi_u32 v0, v7, v0
	s_delay_alu instid0(VALU_DEP_1) | instskip(NEXT) | instid1(VALU_DEP_1)
	v_mul_lo_u32 v1, v0, s3
	v_sub_nc_u32_e32 v1, v7, v1
	v_add_nc_u32_e32 v7, 1, v0
	s_delay_alu instid0(VALU_DEP_2) | instskip(SKIP_1) | instid1(VALU_DEP_2)
	v_subrev_nc_u32_e32 v8, s3, v1
	v_cmp_le_u32_e32 vcc_lo, s3, v1
	v_dual_cndmask_b32 v1, v1, v8 :: v_dual_cndmask_b32 v0, v0, v7
	s_delay_alu instid0(VALU_DEP_1) | instskip(NEXT) | instid1(VALU_DEP_2)
	v_cmp_le_u32_e32 vcc_lo, s3, v1
	v_add_nc_u32_e32 v7, 1, v0
	s_delay_alu instid0(VALU_DEP_1) | instskip(NEXT) | instid1(VALU_DEP_1)
	v_cndmask_b32_e32 v0, v0, v7, vcc_lo
	v_xor_b32_e32 v0, v0, v6
	s_delay_alu instid0(VALU_DEP_1) | instskip(NEXT) | instid1(VALU_DEP_1)
	v_sub_nc_u32_e32 v6, v0, v6
	v_mad_u64_u32 v[0:1], null, v6, s5, v[2:3]
	s_delay_alu instid0(VALU_DEP_1)
	v_ashrrev_i32_e32 v1, 31, v0
.LBB686_2:
	s_load_b128 s[8:11], s[0:1], 0x0
	v_lshlrev_b64 v[10:11], 3, v[3:4]
	v_sub_nc_u32_e32 v26, s4, v5
	v_mov_b32_e32 v16, 0
	v_mov_b32_e32 v17, 0xfff00000
	v_cmp_gt_i32_e64 s3, s6, v2
	s_delay_alu instid0(VALU_DEP_3) | instskip(SKIP_1) | instid1(VALU_DEP_4)
	v_mov_b32_e32 v8, v16
	v_cmp_lt_i32_e32 vcc_lo, 0, v26
	v_mov_b32_e32 v9, v17
	s_delay_alu instid0(VALU_DEP_4) | instskip(SKIP_2) | instid1(VALU_DEP_1)
	s_and_b32 s16, vcc_lo, s3
	s_waitcnt lgkmcnt(0)
	v_add_co_u32 v4, s2, s10, v10
	v_add_co_ci_u32_e64 v5, s2, s11, v11, s2
	s_and_saveexec_b32 s2, s16
	s_cbranch_execz .LBB686_4
; %bb.3:
	global_load_b64 v[8:9], v[4:5], off
.LBB686_4:
	s_or_b32 exec_lo, exec_lo, s2
	v_add_nc_u32_e32 v2, 64, v2
	s_delay_alu instid0(VALU_DEP_1) | instskip(NEXT) | instid1(VALU_DEP_1)
	v_cmp_gt_i32_e64 s2, s6, v2
	s_and_b32 s11, vcc_lo, s2
	s_delay_alu instid0(SALU_CYCLE_1)
	s_and_saveexec_b32 s4, s11
	s_cbranch_execz .LBB686_6
; %bb.5:
	global_load_b64 v[16:17], v[4:5], off offset:512
.LBB686_6:
	s_or_b32 exec_lo, exec_lo, s4
	v_mov_b32_e32 v12, 0
	v_mov_b32_e32 v13, 0xfff00000
	v_cmp_lt_i32_e64 s4, 1, v26
	s_delay_alu instid0(VALU_DEP_2) | instskip(NEXT) | instid1(VALU_DEP_2)
	v_dual_mov_b32 v2, v12 :: v_dual_mov_b32 v3, v13
	s_and_b32 s10, s4, s3
	s_delay_alu instid0(SALU_CYCLE_1)
	s_and_saveexec_b32 s13, s10
	s_cbranch_execz .LBB686_8
; %bb.7:
	s_mov_b32 s7, 0
	s_delay_alu instid0(SALU_CYCLE_1) | instskip(NEXT) | instid1(SALU_CYCLE_1)
	s_lshl_b64 s[14:15], s[6:7], 3
	v_add_co_u32 v2, s5, v4, s14
	s_delay_alu instid0(VALU_DEP_1)
	v_add_co_ci_u32_e64 v3, s5, s15, v5, s5
	global_load_b64 v[2:3], v[2:3], off
.LBB686_8:
	s_or_b32 exec_lo, exec_lo, s13
	s_and_b32 s5, s4, s2
	s_delay_alu instid0(SALU_CYCLE_1)
	s_and_saveexec_b32 s13, s5
	s_cbranch_execz .LBB686_10
; %bb.9:
	s_mov_b32 s7, 0
	s_delay_alu instid0(SALU_CYCLE_1) | instskip(NEXT) | instid1(SALU_CYCLE_1)
	s_lshl_b64 s[14:15], s[6:7], 3
	v_add_co_u32 v4, s4, v4, s14
	s_delay_alu instid0(VALU_DEP_1)
	v_add_co_ci_u32_e64 v5, s4, s15, v5, s4
	global_load_b64 v[12:13], v[4:5], off offset:512
.LBB686_10:
	s_or_b32 exec_lo, exec_lo, s13
	s_load_b64 s[0:1], s[0:1], 0x20
	s_waitcnt vmcnt(0)
	v_dual_mov_b32 v4, v8 :: v_dual_mov_b32 v5, v9
	v_dual_mov_b32 v6, v10 :: v_dual_mov_b32 v7, v11
	s_waitcnt lgkmcnt(0)
	v_add_co_u32 v14, s0, s0, v0
	s_delay_alu instid0(VALU_DEP_1)
	v_add_co_ci_u32_e64 v15, s0, s1, v1, s0
	s_mov_b32 s1, 0
	s_and_saveexec_b32 s4, s16
	s_cbranch_execz .LBB686_12
; %bb.11:
	global_load_u8 v0, v[14:15], off
	v_dual_mov_b32 v4, v8 :: v_dual_mov_b32 v7, v11
	v_dual_mov_b32 v6, v10 :: v_dual_mov_b32 v5, v9
	s_waitcnt vmcnt(0)
	v_and_b32_e32 v0, 1, v0
	s_delay_alu instid0(VALU_DEP_1) | instskip(NEXT) | instid1(VALU_DEP_1)
	v_cmp_eq_u32_e64 s0, 1, v0
	s_xor_b32 s0, s0, -1
	s_delay_alu instid0(SALU_CYCLE_1)
	s_and_b32 s1, s0, exec_lo
.LBB686_12:
	s_or_b32 exec_lo, exec_lo, s4
	s_and_saveexec_b32 s4, s11
	s_cbranch_execz .LBB686_16
; %bb.13:
	global_load_u8 v0, v[14:15], off offset:64
	s_waitcnt vmcnt(0)
	v_and_b32_e32 v0, 1, v0
	s_delay_alu instid0(VALU_DEP_1) | instskip(NEXT) | instid1(VALU_DEP_1)
	v_cmp_eq_u32_e64 s0, 1, v0
	s_xor_b32 s13, s0, -1
	s_mov_b32 s0, s1
	s_and_saveexec_b32 s7, s13
; %bb.14:
	v_cmp_gt_f64_e64 s0, v[4:5], v[16:17]
	s_delay_alu instid0(VALU_DEP_1) | instskip(NEXT) | instid1(SALU_CYCLE_1)
	s_and_b32 s0, s1, s0
	v_cndmask_b32_e64 v5, v17, v5, s0
	v_cndmask_b32_e64 v4, v16, v4, s0
	s_or_b32 s0, s1, exec_lo
; %bb.15:
	s_or_b32 exec_lo, exec_lo, s7
	s_delay_alu instid0(SALU_CYCLE_1) | instskip(SKIP_1) | instid1(SALU_CYCLE_1)
	s_and_not1_b32 s1, s1, exec_lo
	s_and_b32 s0, s0, exec_lo
	s_or_b32 s1, s1, s0
.LBB686_16:
	s_or_b32 exec_lo, exec_lo, s4
	v_cndmask_b32_e64 v1, 0xfff00000, v5, s1
	v_cndmask_b32_e64 v0, 0, v4, s1
	v_dual_mov_b32 v7, v3 :: v_dual_mov_b32 v6, v2
	s_and_b32 s0, s12, exec_lo
	s_delay_alu instid0(VALU_DEP_2)
	v_dual_mov_b32 v5, v1 :: v_dual_mov_b32 v4, v0
	s_mov_b32 s1, 0
	s_cselect_b32 s4, 0, s6
	s_and_saveexec_b32 s7, s10
	s_cbranch_execz .LBB686_18
; %bb.17:
	s_ashr_i32 s1, s4, 31
	v_add_co_u32 v4, s0, v14, s4
	s_delay_alu instid0(VALU_DEP_1) | instskip(SKIP_3) | instid1(VALU_DEP_1)
	v_add_co_ci_u32_e64 v5, s0, s1, v15, s0
	global_load_u8 v4, v[4:5], off
	s_waitcnt vmcnt(0)
	v_and_b32_e32 v4, 1, v4
	v_cmp_eq_u32_e64 s0, 1, v4
	v_dual_mov_b32 v7, v3 :: v_dual_mov_b32 v6, v2
	v_dual_mov_b32 v5, v1 :: v_dual_mov_b32 v4, v0
	s_delay_alu instid0(VALU_DEP_3) | instskip(NEXT) | instid1(SALU_CYCLE_1)
	s_xor_b32 s0, s0, -1
	s_and_b32 s1, s0, exec_lo
.LBB686_18:
	s_or_b32 exec_lo, exec_lo, s7
	s_and_saveexec_b32 s7, s5
	s_cbranch_execz .LBB686_22
; %bb.19:
	s_ashr_i32 s12, s4, 31
	v_add_co_u32 v0, s0, v14, s4
	s_delay_alu instid0(VALU_DEP_1) | instskip(SKIP_3) | instid1(VALU_DEP_1)
	v_add_co_ci_u32_e64 v1, s0, s12, v15, s0
	global_load_u8 v0, v[0:1], off offset:64
	s_waitcnt vmcnt(0)
	v_and_b32_e32 v0, 1, v0
	v_cmp_eq_u32_e64 s0, 1, v0
	s_delay_alu instid0(VALU_DEP_1)
	s_xor_b32 s13, s0, -1
	s_mov_b32 s0, s1
	s_and_saveexec_b32 s12, s13
; %bb.20:
	v_cmp_gt_f64_e64 s0, v[6:7], v[12:13]
	s_delay_alu instid0(VALU_DEP_1) | instskip(NEXT) | instid1(SALU_CYCLE_1)
	s_and_b32 s0, s1, s0
	v_cndmask_b32_e64 v7, v13, v7, s0
	v_cndmask_b32_e64 v6, v12, v6, s0
	s_or_b32 s0, s1, exec_lo
; %bb.21:
	s_or_b32 exec_lo, exec_lo, s12
	s_delay_alu instid0(SALU_CYCLE_1) | instskip(SKIP_1) | instid1(SALU_CYCLE_1)
	s_and_not1_b32 s1, s1, exec_lo
	s_and_b32 s0, s0, exec_lo
	s_or_b32 s1, s1, s0
.LBB686_22:
	s_or_b32 exec_lo, exec_lo, s7
	v_mbcnt_lo_u32_b32 v20, -1, 0
	v_cndmask_b32_e64 v6, 0, v6, s1
	v_cndmask_b32_e64 v7, 0xfff00000, v7, s1
	s_mov_b32 s12, 0
	s_delay_alu instid0(SALU_CYCLE_1) | instskip(SKIP_4) | instid1(VALU_DEP_2)
	s_mov_b32 s13, s12
	v_or_b32_e32 v0, 32, v20
	v_xor_b32_e32 v21, 16, v20
	s_mov_b32 s14, s12
	s_mov_b32 s15, s12
	v_cmp_gt_i32_e64 s0, 64, v0
	s_delay_alu instid0(VALU_DEP_2) | instskip(NEXT) | instid1(VALU_DEP_2)
	v_cmp_gt_i32_e64 s1, 64, v21
	v_cndmask_b32_e64 v0, v20, v0, s0
	s_delay_alu instid0(VALU_DEP_2) | instskip(NEXT) | instid1(VALU_DEP_2)
	v_cndmask_b32_e64 v21, v20, v21, s1
	v_lshlrev_b32_e32 v27, 2, v0
	s_delay_alu instid0(VALU_DEP_2)
	v_lshlrev_b32_e32 v28, 2, v21
	v_xor_b32_e32 v21, 8, v20
	ds_bpermute_b32 v0, v27, v4
	ds_bpermute_b32 v1, v27, v5
	ds_bpermute_b32 v18, v27, v6
	ds_bpermute_b32 v19, v27, v7
	s_waitcnt lgkmcnt(2)
	v_cmp_lt_f64_e64 s0, v[4:5], v[0:1]
	s_delay_alu instid0(VALU_DEP_1)
	v_cndmask_b32_e64 v1, v5, v1, s0
	v_cndmask_b32_e64 v0, v4, v0, s0
	s_waitcnt lgkmcnt(0)
	v_cmp_lt_f64_e64 s0, v[6:7], v[18:19]
	ds_bpermute_b32 v5, v28, v1
	ds_bpermute_b32 v4, v28, v0
	s_waitcnt lgkmcnt(0)
	v_cmp_lt_f64_e64 s1, v[0:1], v[4:5]
	v_cndmask_b32_e64 v7, v7, v19, s0
	v_cndmask_b32_e64 v6, v6, v18, s0
	v_cmp_gt_i32_e64 s0, 64, v21
	ds_bpermute_b32 v19, v28, v7
	ds_bpermute_b32 v18, v28, v6
	v_cndmask_b32_e64 v21, v20, v21, s0
	s_delay_alu instid0(VALU_DEP_1)
	v_lshlrev_b32_e32 v29, 2, v21
	v_xor_b32_e32 v21, 4, v20
	v_cndmask_b32_e64 v1, v1, v5, s1
	v_cndmask_b32_e64 v0, v0, v4, s1
	s_waitcnt lgkmcnt(0)
	v_cmp_lt_f64_e64 s0, v[6:7], v[18:19]
	ds_bpermute_b32 v5, v29, v1
	ds_bpermute_b32 v4, v29, v0
	s_waitcnt lgkmcnt(0)
	v_cmp_lt_f64_e64 s1, v[0:1], v[4:5]
	v_cndmask_b32_e64 v7, v7, v19, s0
	v_cndmask_b32_e64 v6, v6, v18, s0
	v_cmp_gt_i32_e64 s0, 64, v21
	ds_bpermute_b32 v19, v29, v7
	ds_bpermute_b32 v18, v29, v6
	v_cndmask_b32_e64 v21, v20, v21, s0
	s_delay_alu instid0(VALU_DEP_1)
	v_lshlrev_b32_e32 v30, 2, v21
	v_xor_b32_e32 v21, 2, v20
	;; [unrolled: 17-line block ×3, first 2 shown]
	v_cndmask_b32_e64 v1, v1, v5, s1
	v_cndmask_b32_e64 v0, v0, v4, s1
	s_waitcnt lgkmcnt(0)
	v_cmp_lt_f64_e64 s0, v[6:7], v[18:19]
	ds_bpermute_b32 v5, v31, v1
	ds_bpermute_b32 v4, v31, v0
	s_waitcnt lgkmcnt(0)
	v_cmp_lt_f64_e64 s1, v[0:1], v[4:5]
	v_cndmask_b32_e64 v7, v7, v19, s0
	v_cndmask_b32_e64 v6, v6, v18, s0
	v_cmp_gt_i32_e64 s0, 64, v21
	ds_bpermute_b32 v19, v31, v7
	ds_bpermute_b32 v18, v31, v6
	v_cndmask_b32_e64 v20, v20, v21, s0
	s_delay_alu instid0(VALU_DEP_1)
	v_lshlrev_b32_e32 v32, 2, v20
	v_cndmask_b32_e64 v25, v1, v5, s1
	v_cndmask_b32_e64 v24, v0, v4, s1
	s_waitcnt lgkmcnt(0)
	v_cmp_lt_f64_e64 s0, v[6:7], v[18:19]
	v_mov_b32_e32 v0, 0
	v_mov_b32_e32 v1, 0
	s_delay_alu instid0(VALU_DEP_3)
	v_cndmask_b32_e64 v21, v7, v19, s0
	v_cndmask_b32_e64 v20, v6, v18, s0
	v_dual_mov_b32 v4, s12 :: v_dual_mov_b32 v7, s15
	ds_bpermute_b32 v34, v32, v25
	ds_bpermute_b32 v33, v32, v24
	;; [unrolled: 1-line block ×4, first 2 shown]
	v_dual_mov_b32 v5, s13 :: v_dual_mov_b32 v6, s14
	v_dual_mov_b32 v19, v1 :: v_dual_mov_b32 v18, v0
	s_waitcnt lgkmcnt(2)
	v_cmp_lt_f64_e64 s1, v[24:25], v[33:34]
	s_delay_alu instid0(VALU_DEP_1)
	v_cndmask_b32_e64 v25, v25, v34, s1
	v_cndmask_b32_e64 v24, v24, v33, s1
	s_and_saveexec_b32 s7, s16
	s_cbranch_execz .LBB686_26
; %bb.23:
	global_load_u8 v4, v[14:15], off
	v_mov_b32_e32 v18, 0
	s_waitcnt vmcnt(0)
	v_dual_mov_b32 v19, 0 :: v_dual_and_b32 v4, 1, v4
	s_delay_alu instid0(VALU_DEP_1) | instskip(SKIP_2) | instid1(VALU_DEP_3)
	v_cmp_eq_u32_e64 s0, 1, v4
	v_dual_mov_b32 v4, s12 :: v_dual_mov_b32 v7, s15
	v_dual_mov_b32 v5, s13 :: v_dual_mov_b32 v6, s14
	s_xor_b32 s0, s0, -1
	s_delay_alu instid0(SALU_CYCLE_1)
	s_and_saveexec_b32 s12, s0
	s_cbranch_execz .LBB686_25
; %bb.24:
	v_add_f64 v[4:5], v[8:9], -v[24:25]
	s_mov_b32 s0, 0x652b82fe
	s_mov_b32 s1, 0x3ff71547
	;; [unrolled: 1-line block ×4, first 2 shown]
	s_delay_alu instid0(VALU_DEP_1) | instskip(SKIP_2) | instid1(VALU_DEP_1)
	v_mul_f64 v[6:7], v[4:5], s[0:1]
	s_mov_b32 s0, 0xfefa39ef
	s_mov_b32 s1, 0xbfe62e42
	v_rndne_f64_e32 v[6:7], v[6:7]
	s_delay_alu instid0(VALU_DEP_1) | instskip(SKIP_3) | instid1(VALU_DEP_2)
	v_fma_f64 v[8:9], v[6:7], s[0:1], v[4:5]
	s_mov_b32 s0, 0x3b39803f
	s_mov_b32 s1, 0xbc7abc9e
	v_cvt_i32_f64_e32 v33, v[6:7]
	v_fma_f64 v[8:9], v[6:7], s[0:1], v[8:9]
	s_mov_b32 s0, 0xfca7ab0c
	s_mov_b32 s1, 0x3e928af3
	s_delay_alu instid0(VALU_DEP_1) | instid1(SALU_CYCLE_1)
	v_fma_f64 v[18:19], v[8:9], s[14:15], s[0:1]
	s_mov_b32 s0, 0x623fde64
	s_mov_b32 s1, 0x3ec71dee
	s_delay_alu instid0(VALU_DEP_1) | instid1(SALU_CYCLE_1)
	;; [unrolled: 4-line block ×9, first 2 shown]
	v_fma_f64 v[18:19], v[8:9], v[18:19], s[0:1]
	v_cmp_nlt_f64_e64 s0, 0x40900000, v[4:5]
	v_cmp_ngt_f64_e64 s1, 0xc090cc00, v[4:5]
	s_delay_alu instid0(VALU_DEP_3) | instskip(NEXT) | instid1(VALU_DEP_1)
	v_fma_f64 v[18:19], v[8:9], v[18:19], 1.0
	v_fma_f64 v[6:7], v[8:9], v[18:19], 1.0
	s_delay_alu instid0(VALU_DEP_1) | instskip(NEXT) | instid1(VALU_DEP_1)
	v_ldexp_f64 v[6:7], v[6:7], v33
	v_cndmask_b32_e64 v7, 0x7ff00000, v7, s0
	s_and_b32 s0, s1, s0
	s_delay_alu instid0(VALU_DEP_2) | instid1(SALU_CYCLE_1)
	v_cndmask_b32_e64 v18, 0, v6, s0
	v_mov_b32_e32 v6, 0
	s_delay_alu instid0(VALU_DEP_3) | instskip(NEXT) | instid1(VALU_DEP_2)
	v_cndmask_b32_e64 v19, 0, v7, s1
	v_mov_b32_e32 v7, v6
	s_delay_alu instid0(VALU_DEP_2)
	v_add_f64 v[4:5], v[18:19], 0
.LBB686_25:
	s_or_b32 exec_lo, exec_lo, s12
.LBB686_26:
	s_delay_alu instid0(SALU_CYCLE_1)
	s_or_b32 exec_lo, exec_lo, s7
	s_and_saveexec_b32 s7, s11
	s_cbranch_execz .LBB686_30
; %bb.27:
	global_load_u8 v0, v[14:15], off offset:64
	s_waitcnt vmcnt(0)
	v_and_b32_e32 v0, 1, v0
	s_delay_alu instid0(VALU_DEP_1) | instskip(SKIP_2) | instid1(VALU_DEP_3)
	v_cmp_eq_u32_e64 s0, 1, v0
	v_mov_b32_e32 v0, 0
	v_mov_b32_e32 v1, 0
	s_xor_b32 s0, s0, -1
	s_delay_alu instid0(SALU_CYCLE_1)
	s_and_saveexec_b32 s11, s0
	s_cbranch_execz .LBB686_29
; %bb.28:
	v_add_f64 v[0:1], v[16:17], -v[24:25]
	s_mov_b32 s0, 0x652b82fe
	s_mov_b32 s1, 0x3ff71547
	;; [unrolled: 1-line block ×4, first 2 shown]
	s_delay_alu instid0(VALU_DEP_1) | instskip(SKIP_2) | instid1(VALU_DEP_1)
	v_mul_f64 v[8:9], v[0:1], s[0:1]
	s_mov_b32 s0, 0xfefa39ef
	s_mov_b32 s1, 0xbfe62e42
	v_rndne_f64_e32 v[8:9], v[8:9]
	s_delay_alu instid0(VALU_DEP_1) | instskip(SKIP_3) | instid1(VALU_DEP_2)
	v_fma_f64 v[16:17], v[8:9], s[0:1], v[0:1]
	s_mov_b32 s0, 0x3b39803f
	s_mov_b32 s1, 0xbc7abc9e
	v_cvt_i32_f64_e32 v33, v[8:9]
	v_fma_f64 v[16:17], v[8:9], s[0:1], v[16:17]
	s_mov_b32 s0, 0xfca7ab0c
	s_mov_b32 s1, 0x3e928af3
	s_delay_alu instid0(VALU_DEP_1) | instid1(SALU_CYCLE_1)
	v_fma_f64 v[24:25], v[16:17], s[12:13], s[0:1]
	s_mov_b32 s0, 0x623fde64
	s_mov_b32 s1, 0x3ec71dee
	s_delay_alu instid0(VALU_DEP_1) | instid1(SALU_CYCLE_1)
	;; [unrolled: 4-line block ×9, first 2 shown]
	v_fma_f64 v[24:25], v[16:17], v[24:25], s[0:1]
	v_cmp_nlt_f64_e64 s0, 0x40900000, v[0:1]
	v_cmp_ngt_f64_e64 s1, 0xc090cc00, v[0:1]
	s_delay_alu instid0(VALU_DEP_3) | instskip(NEXT) | instid1(VALU_DEP_1)
	v_fma_f64 v[24:25], v[16:17], v[24:25], 1.0
	v_fma_f64 v[8:9], v[16:17], v[24:25], 1.0
	s_delay_alu instid0(VALU_DEP_1) | instskip(NEXT) | instid1(VALU_DEP_1)
	v_ldexp_f64 v[8:9], v[8:9], v33
	v_cndmask_b32_e64 v9, 0x7ff00000, v9, s0
	s_and_b32 s0, s1, s0
	s_delay_alu instid0(VALU_DEP_2) | instid1(SALU_CYCLE_1)
	v_cndmask_b32_e64 v0, 0, v8, s0
	s_delay_alu instid0(VALU_DEP_2) | instskip(NEXT) | instid1(VALU_DEP_1)
	v_cndmask_b32_e64 v1, 0, v9, s1
	v_add_f64 v[4:5], v[4:5], v[0:1]
.LBB686_29:
	s_or_b32 exec_lo, exec_lo, s11
.LBB686_30:
	s_delay_alu instid0(SALU_CYCLE_1) | instskip(SKIP_4) | instid1(VALU_DEP_1)
	s_or_b32 exec_lo, exec_lo, s7
	s_waitcnt lgkmcnt(0)
	v_cmp_lt_f64_e64 s0, v[20:21], v[22:23]
	v_mov_b32_e32 v8, 0
	v_mov_b32_e32 v9, 0
	v_dual_mov_b32 v17, v9 :: v_dual_mov_b32 v16, v8
	s_delay_alu instid0(VALU_DEP_4)
	v_cndmask_b32_e64 v21, v21, v23, s0
	v_cndmask_b32_e64 v20, v20, v22, s0
	s_and_saveexec_b32 s7, s10
	s_cbranch_execz .LBB686_34
; %bb.31:
	s_ashr_i32 s1, s4, 31
	v_add_co_u32 v16, s0, v14, s4
	s_delay_alu instid0(VALU_DEP_1) | instskip(SKIP_3) | instid1(VALU_DEP_1)
	v_add_co_ci_u32_e64 v17, s0, s1, v15, s0
	global_load_u8 v16, v[16:17], off
	s_waitcnt vmcnt(0)
	v_and_b32_e32 v16, 1, v16
	v_cmp_eq_u32_e64 s0, 1, v16
	v_mov_b32_e32 v16, 0
	v_mov_b32_e32 v17, 0
	s_delay_alu instid0(VALU_DEP_3) | instskip(NEXT) | instid1(SALU_CYCLE_1)
	s_xor_b32 s0, s0, -1
	s_and_saveexec_b32 s10, s0
	s_cbranch_execz .LBB686_33
; %bb.32:
	v_add_f64 v[2:3], v[2:3], -v[20:21]
	s_mov_b32 s0, 0x652b82fe
	s_mov_b32 s1, 0x3ff71547
	;; [unrolled: 1-line block ×4, first 2 shown]
	s_delay_alu instid0(VALU_DEP_1) | instskip(SKIP_2) | instid1(VALU_DEP_1)
	v_mul_f64 v[16:17], v[2:3], s[0:1]
	s_mov_b32 s0, 0xfefa39ef
	s_mov_b32 s1, 0xbfe62e42
	v_rndne_f64_e32 v[16:17], v[16:17]
	s_delay_alu instid0(VALU_DEP_1) | instskip(SKIP_3) | instid1(VALU_DEP_2)
	v_fma_f64 v[22:23], v[16:17], s[0:1], v[2:3]
	s_mov_b32 s0, 0x3b39803f
	s_mov_b32 s1, 0xbc7abc9e
	v_cvt_i32_f64_e32 v33, v[16:17]
	v_fma_f64 v[22:23], v[16:17], s[0:1], v[22:23]
	s_mov_b32 s0, 0xfca7ab0c
	s_mov_b32 s1, 0x3e928af3
	s_delay_alu instid0(VALU_DEP_1) | instid1(SALU_CYCLE_1)
	v_fma_f64 v[24:25], v[22:23], s[12:13], s[0:1]
	s_mov_b32 s0, 0x623fde64
	s_mov_b32 s1, 0x3ec71dee
	s_delay_alu instid0(VALU_DEP_1) | instid1(SALU_CYCLE_1)
	;; [unrolled: 4-line block ×9, first 2 shown]
	v_fma_f64 v[24:25], v[22:23], v[24:25], s[0:1]
	v_cmp_nlt_f64_e64 s0, 0x40900000, v[2:3]
	v_cmp_ngt_f64_e64 s1, 0xc090cc00, v[2:3]
	s_delay_alu instid0(VALU_DEP_3) | instskip(NEXT) | instid1(VALU_DEP_1)
	v_fma_f64 v[24:25], v[22:23], v[24:25], 1.0
	v_fma_f64 v[16:17], v[22:23], v[24:25], 1.0
	s_delay_alu instid0(VALU_DEP_1) | instskip(NEXT) | instid1(VALU_DEP_1)
	v_ldexp_f64 v[16:17], v[16:17], v33
	v_cndmask_b32_e64 v17, 0x7ff00000, v17, s0
	s_and_b32 s0, s1, s0
	s_delay_alu instid0(VALU_DEP_2) | instid1(SALU_CYCLE_1)
	v_cndmask_b32_e64 v16, 0, v16, s0
	s_delay_alu instid0(VALU_DEP_2) | instskip(NEXT) | instid1(VALU_DEP_1)
	v_cndmask_b32_e64 v17, 0, v17, s1
	v_add_f64 v[6:7], v[6:7], v[16:17]
.LBB686_33:
	s_or_b32 exec_lo, exec_lo, s10
.LBB686_34:
	s_delay_alu instid0(SALU_CYCLE_1)
	s_or_b32 exec_lo, exec_lo, s7
	s_and_saveexec_b32 s7, s5
	s_cbranch_execz .LBB686_38
; %bb.35:
	s_ashr_i32 s1, s4, 31
	v_add_co_u32 v2, s0, v14, s4
	s_delay_alu instid0(VALU_DEP_1)
	v_add_co_ci_u32_e64 v3, s0, s1, v15, s0
	v_mov_b32_e32 v8, 0
	v_mov_b32_e32 v9, 0
	global_load_u8 v2, v[2:3], off offset:64
	s_waitcnt vmcnt(0)
	v_and_b32_e32 v2, 1, v2
	s_delay_alu instid0(VALU_DEP_1) | instskip(NEXT) | instid1(VALU_DEP_1)
	v_cmp_eq_u32_e64 s0, 1, v2
	s_xor_b32 s0, s0, -1
	s_delay_alu instid0(SALU_CYCLE_1)
	s_and_saveexec_b32 s4, s0
	s_cbranch_execz .LBB686_37
; %bb.36:
	v_add_f64 v[2:3], v[12:13], -v[20:21]
	s_mov_b32 s0, 0x652b82fe
	s_mov_b32 s1, 0x3ff71547
	s_mov_b32 s10, 0x6a5dcb37
	s_mov_b32 s11, 0x3e5ade15
	s_delay_alu instid0(VALU_DEP_1) | instskip(SKIP_2) | instid1(VALU_DEP_1)
	v_mul_f64 v[8:9], v[2:3], s[0:1]
	s_mov_b32 s0, 0xfefa39ef
	s_mov_b32 s1, 0xbfe62e42
	v_rndne_f64_e32 v[8:9], v[8:9]
	s_delay_alu instid0(VALU_DEP_1) | instskip(SKIP_3) | instid1(VALU_DEP_2)
	v_fma_f64 v[12:13], v[8:9], s[0:1], v[2:3]
	s_mov_b32 s0, 0x3b39803f
	s_mov_b32 s1, 0xbc7abc9e
	v_cvt_i32_f64_e32 v20, v[8:9]
	v_fma_f64 v[12:13], v[8:9], s[0:1], v[12:13]
	s_mov_b32 s0, 0xfca7ab0c
	s_mov_b32 s1, 0x3e928af3
	s_delay_alu instid0(VALU_DEP_1) | instid1(SALU_CYCLE_1)
	v_fma_f64 v[14:15], v[12:13], s[10:11], s[0:1]
	s_mov_b32 s0, 0x623fde64
	s_mov_b32 s1, 0x3ec71dee
	s_delay_alu instid0(VALU_DEP_1) | instid1(SALU_CYCLE_1)
	;; [unrolled: 4-line block ×9, first 2 shown]
	v_fma_f64 v[14:15], v[12:13], v[14:15], s[0:1]
	v_cmp_nlt_f64_e64 s0, 0x40900000, v[2:3]
	v_cmp_ngt_f64_e64 s1, 0xc090cc00, v[2:3]
	s_delay_alu instid0(VALU_DEP_3) | instskip(NEXT) | instid1(VALU_DEP_1)
	v_fma_f64 v[14:15], v[12:13], v[14:15], 1.0
	v_fma_f64 v[8:9], v[12:13], v[14:15], 1.0
	s_delay_alu instid0(VALU_DEP_1) | instskip(NEXT) | instid1(VALU_DEP_1)
	v_ldexp_f64 v[8:9], v[8:9], v20
	v_cndmask_b32_e64 v9, 0x7ff00000, v9, s0
	s_and_b32 s0, s1, s0
	s_delay_alu instid0(VALU_DEP_2) | instid1(SALU_CYCLE_1)
	v_cndmask_b32_e64 v8, 0, v8, s0
	s_delay_alu instid0(VALU_DEP_2) | instskip(NEXT) | instid1(VALU_DEP_1)
	v_cndmask_b32_e64 v9, 0, v9, s1
	v_add_f64 v[6:7], v[6:7], v[8:9]
.LBB686_37:
	s_or_b32 exec_lo, exec_lo, s4
.LBB686_38:
	s_delay_alu instid0(SALU_CYCLE_1)
	s_or_b32 exec_lo, exec_lo, s7
	ds_bpermute_b32 v2, v27, v4
	ds_bpermute_b32 v3, v27, v5
	ds_bpermute_b32 v12, v27, v6
	ds_bpermute_b32 v13, v27, v7
	s_waitcnt lgkmcnt(2)
	v_add_f64 v[2:3], v[4:5], v[2:3]
	s_waitcnt lgkmcnt(0)
	v_add_f64 v[4:5], v[6:7], v[12:13]
	ds_bpermute_b32 v6, v28, v2
	ds_bpermute_b32 v7, v28, v3
	ds_bpermute_b32 v12, v28, v4
	ds_bpermute_b32 v13, v28, v5
	s_waitcnt lgkmcnt(2)
	v_add_f64 v[2:3], v[2:3], v[6:7]
	s_waitcnt lgkmcnt(0)
	v_add_f64 v[4:5], v[4:5], v[12:13]
	;; [unrolled: 8-line block ×5, first 2 shown]
	ds_bpermute_b32 v14, v32, v12
	ds_bpermute_b32 v15, v32, v13
	;; [unrolled: 1-line block ×4, first 2 shown]
	s_and_saveexec_b32 s0, vcc_lo
	s_cbranch_execz .LBB686_46
; %bb.39:
	v_add_co_u32 v2, vcc_lo, s8, v10
	v_add_co_ci_u32_e32 v3, vcc_lo, s9, v11, vcc_lo
	s_and_saveexec_b32 s1, s3
	s_cbranch_execz .LBB686_42
; %bb.40:
	s_waitcnt lgkmcnt(2)
	v_add_f64 v[10:11], v[12:13], v[14:15]
	s_delay_alu instid0(VALU_DEP_1) | instskip(SKIP_2) | instid1(VALU_DEP_3)
	v_div_scale_f64 v[12:13], null, v[10:11], v[10:11], v[18:19]
	v_div_scale_f64 v[22:23], vcc_lo, v[18:19], v[10:11], v[18:19]
	v_cmp_eq_f64_e64 s0, 0, v[10:11]
	v_rcp_f64_e32 v[14:15], v[12:13]
	s_waitcnt_depctr 0xfff
	v_fma_f64 v[20:21], -v[12:13], v[14:15], 1.0
	s_delay_alu instid0(VALU_DEP_1) | instskip(NEXT) | instid1(VALU_DEP_1)
	v_fma_f64 v[14:15], v[14:15], v[20:21], v[14:15]
	v_fma_f64 v[20:21], -v[12:13], v[14:15], 1.0
	s_delay_alu instid0(VALU_DEP_1) | instskip(NEXT) | instid1(VALU_DEP_1)
	v_fma_f64 v[14:15], v[14:15], v[20:21], v[14:15]
	v_mul_f64 v[20:21], v[22:23], v[14:15]
	s_delay_alu instid0(VALU_DEP_1) | instskip(NEXT) | instid1(VALU_DEP_1)
	v_fma_f64 v[12:13], -v[12:13], v[20:21], v[22:23]
	v_div_fmas_f64 v[12:13], v[12:13], v[14:15], v[20:21]
	s_delay_alu instid0(VALU_DEP_1) | instskip(NEXT) | instid1(VALU_DEP_1)
	v_div_fixup_f64 v[12:13], v[12:13], v[10:11], v[18:19]
	v_cndmask_b32_e64 v13, v13, 0x7ff80000, s0
	s_delay_alu instid0(VALU_DEP_2)
	v_cndmask_b32_e64 v12, v12, 0, s0
	global_store_b64 v[2:3], v[12:13], off
	s_and_b32 exec_lo, exec_lo, s2
	s_cbranch_execz .LBB686_42
; %bb.41:
	v_div_scale_f64 v[12:13], null, v[10:11], v[10:11], v[0:1]
	v_div_scale_f64 v[20:21], vcc_lo, v[0:1], v[10:11], v[0:1]
	s_delay_alu instid0(VALU_DEP_2) | instskip(SKIP_2) | instid1(VALU_DEP_1)
	v_rcp_f64_e32 v[14:15], v[12:13]
	s_waitcnt_depctr 0xfff
	v_fma_f64 v[18:19], -v[12:13], v[14:15], 1.0
	v_fma_f64 v[14:15], v[14:15], v[18:19], v[14:15]
	s_delay_alu instid0(VALU_DEP_1) | instskip(NEXT) | instid1(VALU_DEP_1)
	v_fma_f64 v[18:19], -v[12:13], v[14:15], 1.0
	v_fma_f64 v[14:15], v[14:15], v[18:19], v[14:15]
	s_delay_alu instid0(VALU_DEP_1) | instskip(NEXT) | instid1(VALU_DEP_1)
	v_mul_f64 v[18:19], v[20:21], v[14:15]
	v_fma_f64 v[12:13], -v[12:13], v[18:19], v[20:21]
	s_delay_alu instid0(VALU_DEP_1) | instskip(NEXT) | instid1(VALU_DEP_1)
	v_div_fmas_f64 v[12:13], v[12:13], v[14:15], v[18:19]
	v_div_fixup_f64 v[0:1], v[12:13], v[10:11], v[0:1]
	s_delay_alu instid0(VALU_DEP_1) | instskip(NEXT) | instid1(VALU_DEP_2)
	v_cndmask_b32_e64 v1, v1, 0x7ff80000, s0
	v_cndmask_b32_e64 v0, v0, 0, s0
	global_store_b64 v[2:3], v[0:1], off offset:512
.LBB686_42:
	s_or_b32 exec_lo, exec_lo, s1
	v_cmp_ne_u32_e32 vcc_lo, 1, v26
	s_and_b32 exec_lo, exec_lo, vcc_lo
	s_cbranch_execz .LBB686_46
; %bb.43:
	s_and_b32 exec_lo, exec_lo, s3
	s_cbranch_execz .LBB686_46
; %bb.44:
	s_waitcnt lgkmcnt(0)
	v_add_f64 v[0:1], v[4:5], v[6:7]
	s_mov_b32 s7, 0
	s_delay_alu instid0(SALU_CYCLE_1) | instskip(NEXT) | instid1(VALU_DEP_1)
	s_lshl_b64 s[4:5], s[6:7], 3
	v_div_scale_f64 v[4:5], null, v[0:1], v[0:1], v[16:17]
	v_div_scale_f64 v[12:13], vcc_lo, v[16:17], v[0:1], v[16:17]
	v_cmp_eq_f64_e64 s0, 0, v[0:1]
	s_delay_alu instid0(VALU_DEP_3) | instskip(SKIP_2) | instid1(VALU_DEP_1)
	v_rcp_f64_e32 v[6:7], v[4:5]
	s_waitcnt_depctr 0xfff
	v_fma_f64 v[10:11], -v[4:5], v[6:7], 1.0
	v_fma_f64 v[6:7], v[6:7], v[10:11], v[6:7]
	s_delay_alu instid0(VALU_DEP_1) | instskip(NEXT) | instid1(VALU_DEP_1)
	v_fma_f64 v[10:11], -v[4:5], v[6:7], 1.0
	v_fma_f64 v[6:7], v[6:7], v[10:11], v[6:7]
	s_delay_alu instid0(VALU_DEP_1) | instskip(NEXT) | instid1(VALU_DEP_1)
	v_mul_f64 v[10:11], v[12:13], v[6:7]
	v_fma_f64 v[4:5], -v[4:5], v[10:11], v[12:13]
	s_delay_alu instid0(VALU_DEP_1) | instskip(SKIP_2) | instid1(VALU_DEP_3)
	v_div_fmas_f64 v[4:5], v[4:5], v[6:7], v[10:11]
	v_add_co_u32 v6, vcc_lo, v2, s4
	v_add_co_ci_u32_e32 v7, vcc_lo, s5, v3, vcc_lo
	v_div_fixup_f64 v[4:5], v[4:5], v[0:1], v[16:17]
	s_delay_alu instid0(VALU_DEP_1) | instskip(NEXT) | instid1(VALU_DEP_2)
	v_cndmask_b32_e64 v5, v5, 0x7ff80000, s0
	v_cndmask_b32_e64 v4, v4, 0, s0
	global_store_b64 v[6:7], v[4:5], off
	s_and_b32 exec_lo, exec_lo, s2
	s_cbranch_execz .LBB686_46
; %bb.45:
	v_div_scale_f64 v[4:5], null, v[0:1], v[0:1], v[8:9]
	v_div_scale_f64 v[12:13], vcc_lo, v[8:9], v[0:1], v[8:9]
	s_ashr_i32 s7, s6, 31
	s_delay_alu instid0(SALU_CYCLE_1) | instskip(NEXT) | instid1(VALU_DEP_2)
	s_lshl_b64 s[2:3], s[6:7], 3
	v_rcp_f64_e32 v[6:7], v[4:5]
	s_waitcnt_depctr 0xfff
	v_fma_f64 v[10:11], -v[4:5], v[6:7], 1.0
	s_delay_alu instid0(VALU_DEP_1) | instskip(NEXT) | instid1(VALU_DEP_1)
	v_fma_f64 v[6:7], v[6:7], v[10:11], v[6:7]
	v_fma_f64 v[10:11], -v[4:5], v[6:7], 1.0
	s_delay_alu instid0(VALU_DEP_1) | instskip(NEXT) | instid1(VALU_DEP_1)
	v_fma_f64 v[6:7], v[6:7], v[10:11], v[6:7]
	v_mul_f64 v[10:11], v[12:13], v[6:7]
	s_delay_alu instid0(VALU_DEP_1) | instskip(NEXT) | instid1(VALU_DEP_1)
	v_fma_f64 v[4:5], -v[4:5], v[10:11], v[12:13]
	v_div_fmas_f64 v[4:5], v[4:5], v[6:7], v[10:11]
	v_add_co_u32 v2, vcc_lo, v2, s2
	v_add_co_ci_u32_e32 v3, vcc_lo, s3, v3, vcc_lo
	s_delay_alu instid0(VALU_DEP_3) | instskip(NEXT) | instid1(VALU_DEP_1)
	v_div_fixup_f64 v[0:1], v[4:5], v[0:1], v[8:9]
	v_cndmask_b32_e64 v1, v1, 0x7ff80000, s0
	s_delay_alu instid0(VALU_DEP_2)
	v_cndmask_b32_e64 v0, v0, 0, s0
	global_store_b64 v[2:3], v[0:1], off offset:512
.LBB686_46:
	s_nop 0
	s_sendmsg sendmsg(MSG_DEALLOC_VGPRS)
	s_endpgm
	.section	.rodata,"a",@progbits
	.p2align	6, 0x0
	.amdhsa_kernel _ZN12_GLOBAL__N_120softmax_warp_forwardIdddLi7ELb0ELb1ELi64EEEvPT0_PKT_iiiPKbib
		.amdhsa_group_segment_fixed_size 0
		.amdhsa_private_segment_fixed_size 0
		.amdhsa_kernarg_size 304
		.amdhsa_user_sgpr_count 15
		.amdhsa_user_sgpr_dispatch_ptr 0
		.amdhsa_user_sgpr_queue_ptr 0
		.amdhsa_user_sgpr_kernarg_segment_ptr 1
		.amdhsa_user_sgpr_dispatch_id 0
		.amdhsa_user_sgpr_private_segment_size 0
		.amdhsa_wavefront_size32 1
		.amdhsa_uses_dynamic_stack 0
		.amdhsa_enable_private_segment 0
		.amdhsa_system_sgpr_workgroup_id_x 1
		.amdhsa_system_sgpr_workgroup_id_y 0
		.amdhsa_system_sgpr_workgroup_id_z 0
		.amdhsa_system_sgpr_workgroup_info 0
		.amdhsa_system_vgpr_workitem_id 1
		.amdhsa_next_free_vgpr 35
		.amdhsa_next_free_sgpr 17
		.amdhsa_reserve_vcc 1
		.amdhsa_float_round_mode_32 0
		.amdhsa_float_round_mode_16_64 0
		.amdhsa_float_denorm_mode_32 3
		.amdhsa_float_denorm_mode_16_64 3
		.amdhsa_dx10_clamp 1
		.amdhsa_ieee_mode 1
		.amdhsa_fp16_overflow 0
		.amdhsa_workgroup_processor_mode 1
		.amdhsa_memory_ordered 1
		.amdhsa_forward_progress 0
		.amdhsa_shared_vgpr_count 0
		.amdhsa_exception_fp_ieee_invalid_op 0
		.amdhsa_exception_fp_denorm_src 0
		.amdhsa_exception_fp_ieee_div_zero 0
		.amdhsa_exception_fp_ieee_overflow 0
		.amdhsa_exception_fp_ieee_underflow 0
		.amdhsa_exception_fp_ieee_inexact 0
		.amdhsa_exception_int_div_zero 0
	.end_amdhsa_kernel
	.section	.text._ZN12_GLOBAL__N_120softmax_warp_forwardIdddLi7ELb0ELb1ELi64EEEvPT0_PKT_iiiPKbib,"axG",@progbits,_ZN12_GLOBAL__N_120softmax_warp_forwardIdddLi7ELb0ELb1ELi64EEEvPT0_PKT_iiiPKbib,comdat
.Lfunc_end686:
	.size	_ZN12_GLOBAL__N_120softmax_warp_forwardIdddLi7ELb0ELb1ELi64EEEvPT0_PKT_iiiPKbib, .Lfunc_end686-_ZN12_GLOBAL__N_120softmax_warp_forwardIdddLi7ELb0ELb1ELi64EEEvPT0_PKT_iiiPKbib
                                        ; -- End function
	.section	.AMDGPU.csdata,"",@progbits
; Kernel info:
; codeLenInByte = 5156
; NumSgprs: 19
; NumVgprs: 35
; ScratchSize: 0
; MemoryBound: 0
; FloatMode: 240
; IeeeMode: 1
; LDSByteSize: 0 bytes/workgroup (compile time only)
; SGPRBlocks: 2
; VGPRBlocks: 4
; NumSGPRsForWavesPerEU: 19
; NumVGPRsForWavesPerEU: 35
; Occupancy: 16
; WaveLimiterHint : 0
; COMPUTE_PGM_RSRC2:SCRATCH_EN: 0
; COMPUTE_PGM_RSRC2:USER_SGPR: 15
; COMPUTE_PGM_RSRC2:TRAP_HANDLER: 0
; COMPUTE_PGM_RSRC2:TGID_X_EN: 1
; COMPUTE_PGM_RSRC2:TGID_Y_EN: 0
; COMPUTE_PGM_RSRC2:TGID_Z_EN: 0
; COMPUTE_PGM_RSRC2:TIDIG_COMP_CNT: 1
	.section	.text._ZN12_GLOBAL__N_120softmax_warp_forwardIdddLi7ELb0ELb1ELi32EEEvPT0_PKT_iiiPKbib,"axG",@progbits,_ZN12_GLOBAL__N_120softmax_warp_forwardIdddLi7ELb0ELb1ELi32EEEvPT0_PKT_iiiPKbib,comdat
	.globl	_ZN12_GLOBAL__N_120softmax_warp_forwardIdddLi7ELb0ELb1ELi32EEEvPT0_PKT_iiiPKbib ; -- Begin function _ZN12_GLOBAL__N_120softmax_warp_forwardIdddLi7ELb0ELb1ELi32EEEvPT0_PKT_iiiPKbib
	.p2align	8
	.type	_ZN12_GLOBAL__N_120softmax_warp_forwardIdddLi7ELb0ELb1ELi32EEEvPT0_PKT_iiiPKbib,@function
_ZN12_GLOBAL__N_120softmax_warp_forwardIdddLi7ELb0ELb1ELi32EEEvPT0_PKT_iiiPKbib: ; @_ZN12_GLOBAL__N_120softmax_warp_forwardIdddLi7ELb0ELb1ELi32EEEvPT0_PKT_iiiPKbib
; %bb.0:
	s_clause 0x2
	s_load_b64 s[2:3], s[0:1], 0x28
	s_load_b32 s4, s[0:1], 0x3c
	s_load_b128 s[8:11], s[0:1], 0x10
	v_bfe_u32 v1, v0, 10, 10
	v_and_b32_e32 v2, 0x3ff, v0
	s_waitcnt lgkmcnt(0)
	s_bitcmp1_b32 s3, 0
	s_cselect_b32 s16, -1, 0
	s_lshr_b32 s4, s4, 16
	s_bitcmp0_b32 s3, 0
	s_mul_i32 s15, s15, s4
	s_delay_alu instid0(SALU_CYCLE_1) | instskip(NEXT) | instid1(VALU_DEP_1)
	v_add_lshl_u32 v5, s15, v1, 1
	v_mul_lo_u32 v6, v5, s9
	s_delay_alu instid0(VALU_DEP_1) | instskip(NEXT) | instid1(VALU_DEP_1)
	v_add_nc_u32_e32 v3, v6, v2
	v_ashrrev_i32_e32 v4, 31, v3
	s_delay_alu instid0(VALU_DEP_1)
	v_dual_mov_b32 v0, v3 :: v_dual_mov_b32 v1, v4
	s_cbranch_scc1 .LBB687_2
; %bb.1:
	s_abs_i32 s3, s2
	v_sub_nc_u32_e32 v7, 0, v6
	v_cvt_f32_u32_e32 v0, s3
	s_sub_i32 s4, 0, s3
	s_delay_alu instid0(VALU_DEP_2) | instskip(NEXT) | instid1(VALU_DEP_2)
	v_max_i32_e32 v7, v6, v7
	v_rcp_iflag_f32_e32 v0, v0
	v_xor_b32_e32 v6, s2, v6
	s_delay_alu instid0(VALU_DEP_1) | instskip(SKIP_2) | instid1(VALU_DEP_1)
	v_ashrrev_i32_e32 v6, 31, v6
	s_waitcnt_depctr 0xfff
	v_mul_f32_e32 v0, 0x4f7ffffe, v0
	v_cvt_u32_f32_e32 v0, v0
	s_delay_alu instid0(VALU_DEP_1) | instskip(NEXT) | instid1(VALU_DEP_1)
	v_mul_lo_u32 v1, s4, v0
	v_mul_hi_u32 v1, v0, v1
	s_delay_alu instid0(VALU_DEP_1) | instskip(NEXT) | instid1(VALU_DEP_1)
	v_add_nc_u32_e32 v0, v0, v1
	v_mul_hi_u32 v0, v7, v0
	s_delay_alu instid0(VALU_DEP_1) | instskip(NEXT) | instid1(VALU_DEP_1)
	v_mul_lo_u32 v1, v0, s3
	v_sub_nc_u32_e32 v1, v7, v1
	v_add_nc_u32_e32 v7, 1, v0
	s_delay_alu instid0(VALU_DEP_2) | instskip(SKIP_1) | instid1(VALU_DEP_2)
	v_subrev_nc_u32_e32 v8, s3, v1
	v_cmp_le_u32_e32 vcc_lo, s3, v1
	v_dual_cndmask_b32 v1, v1, v8 :: v_dual_cndmask_b32 v0, v0, v7
	s_delay_alu instid0(VALU_DEP_1) | instskip(NEXT) | instid1(VALU_DEP_2)
	v_cmp_le_u32_e32 vcc_lo, s3, v1
	v_add_nc_u32_e32 v7, 1, v0
	s_delay_alu instid0(VALU_DEP_1) | instskip(NEXT) | instid1(VALU_DEP_1)
	v_cndmask_b32_e32 v0, v0, v7, vcc_lo
	v_xor_b32_e32 v0, v0, v6
	s_delay_alu instid0(VALU_DEP_1) | instskip(NEXT) | instid1(VALU_DEP_1)
	v_sub_nc_u32_e32 v6, v0, v6
	v_mad_u64_u32 v[0:1], null, v6, s9, v[2:3]
	s_delay_alu instid0(VALU_DEP_1)
	v_ashrrev_i32_e32 v1, 31, v0
.LBB687_2:
	s_load_b128 s[12:15], s[0:1], 0x0
	v_lshlrev_b64 v[10:11], 3, v[3:4]
	v_sub_nc_u32_e32 v34, s8, v5
	v_mov_b32_e32 v26, 0
	v_mov_b32_e32 v27, 0xfff00000
	v_cmp_gt_i32_e64 s5, s10, v2
	s_delay_alu instid0(VALU_DEP_3) | instskip(SKIP_1) | instid1(VALU_DEP_4)
	v_mov_b32_e32 v8, v26
	v_cmp_lt_i32_e32 vcc_lo, 0, v34
	v_mov_b32_e32 v9, v27
	s_delay_alu instid0(VALU_DEP_4) | instskip(SKIP_2) | instid1(VALU_DEP_1)
	s_and_b32 s22, vcc_lo, s5
	s_waitcnt lgkmcnt(0)
	v_add_co_u32 v4, s2, s14, v10
	v_add_co_ci_u32_e64 v5, s2, s15, v11, s2
	s_and_saveexec_b32 s2, s22
	s_cbranch_execz .LBB687_4
; %bb.3:
	global_load_b64 v[8:9], v[4:5], off
.LBB687_4:
	s_or_b32 exec_lo, exec_lo, s2
	v_add_nc_u32_e32 v3, 32, v2
	s_delay_alu instid0(VALU_DEP_1) | instskip(NEXT) | instid1(VALU_DEP_1)
	v_cmp_gt_i32_e64 s4, s10, v3
	s_and_b32 s21, vcc_lo, s4
	s_delay_alu instid0(SALU_CYCLE_1)
	s_and_saveexec_b32 s2, s21
	s_cbranch_execz .LBB687_6
; %bb.5:
	global_load_b64 v[26:27], v[4:5], off offset:256
.LBB687_6:
	s_or_b32 exec_lo, exec_lo, s2
	v_dual_mov_b32 v22, 0 :: v_dual_add_nc_u32 v3, 64, v2
	v_mov_b32_e32 v23, 0xfff00000
	s_delay_alu instid0(VALU_DEP_2) | instskip(NEXT) | instid1(VALU_DEP_2)
	v_cmp_gt_i32_e64 s3, s10, v3
	v_dual_mov_b32 v25, v23 :: v_dual_mov_b32 v24, v22
	s_delay_alu instid0(VALU_DEP_2) | instskip(NEXT) | instid1(SALU_CYCLE_1)
	s_and_b32 s20, vcc_lo, s3
	s_and_saveexec_b32 s2, s20
	s_cbranch_execz .LBB687_8
; %bb.7:
	global_load_b64 v[24:25], v[4:5], off offset:512
.LBB687_8:
	s_or_b32 exec_lo, exec_lo, s2
	v_add_nc_u32_e32 v2, 0x60, v2
	s_delay_alu instid0(VALU_DEP_1) | instskip(NEXT) | instid1(VALU_DEP_1)
	v_cmp_gt_i32_e64 s2, s10, v2
	s_and_b32 s15, vcc_lo, s2
	s_delay_alu instid0(SALU_CYCLE_1)
	s_and_saveexec_b32 s6, s15
	s_cbranch_execz .LBB687_10
; %bb.9:
	global_load_b64 v[22:23], v[4:5], off offset:768
.LBB687_10:
	s_or_b32 exec_lo, exec_lo, s6
	v_mov_b32_e32 v18, 0
	v_mov_b32_e32 v19, 0xfff00000
	v_cmp_lt_i32_e64 s6, 1, v34
	s_delay_alu instid0(VALU_DEP_2) | instskip(NEXT) | instid1(VALU_DEP_2)
	v_dual_mov_b32 v2, v18 :: v_dual_mov_b32 v3, v19
	s_and_b32 s14, s6, s5
	s_delay_alu instid0(SALU_CYCLE_1)
	s_and_saveexec_b32 s8, s14
	s_cbranch_execz .LBB687_12
; %bb.11:
	s_mov_b32 s11, 0
	s_delay_alu instid0(SALU_CYCLE_1) | instskip(NEXT) | instid1(SALU_CYCLE_1)
	s_lshl_b64 s[18:19], s[10:11], 3
	v_add_co_u32 v2, s7, v4, s18
	s_delay_alu instid0(VALU_DEP_1)
	v_add_co_ci_u32_e64 v3, s7, s19, v5, s7
	global_load_b64 v[2:3], v[2:3], off
.LBB687_12:
	s_or_b32 exec_lo, exec_lo, s8
	s_and_b32 s9, s6, s4
	s_delay_alu instid0(SALU_CYCLE_1)
	s_and_saveexec_b32 s8, s9
	s_cbranch_execz .LBB687_14
; %bb.13:
	s_mov_b32 s11, 0
	s_delay_alu instid0(SALU_CYCLE_1) | instskip(NEXT) | instid1(SALU_CYCLE_1)
	s_lshl_b64 s[18:19], s[10:11], 3
	v_add_co_u32 v6, s7, v4, s18
	s_delay_alu instid0(VALU_DEP_1)
	v_add_co_ci_u32_e64 v7, s7, s19, v5, s7
	global_load_b64 v[18:19], v[6:7], off offset:256
.LBB687_14:
	s_or_b32 exec_lo, exec_lo, s8
	v_mov_b32_e32 v12, 0
	v_mov_b32_e32 v13, 0xfff00000
	s_and_b32 s8, s6, s3
	s_delay_alu instid0(VALU_DEP_1)
	v_dual_mov_b32 v17, v13 :: v_dual_mov_b32 v16, v12
	s_and_saveexec_b32 s17, s8
	s_cbranch_execz .LBB687_16
; %bb.15:
	s_mov_b32 s11, 0
	s_delay_alu instid0(SALU_CYCLE_1) | instskip(NEXT) | instid1(SALU_CYCLE_1)
	s_lshl_b64 s[18:19], s[10:11], 3
	v_add_co_u32 v6, s7, v4, s18
	s_delay_alu instid0(VALU_DEP_1)
	v_add_co_ci_u32_e64 v7, s7, s19, v5, s7
	global_load_b64 v[16:17], v[6:7], off offset:512
.LBB687_16:
	s_or_b32 exec_lo, exec_lo, s17
	s_and_b32 s7, s6, s2
	s_delay_alu instid0(SALU_CYCLE_1)
	s_and_saveexec_b32 s17, s7
	s_cbranch_execz .LBB687_18
; %bb.17:
	s_mov_b32 s11, 0
	s_delay_alu instid0(SALU_CYCLE_1) | instskip(NEXT) | instid1(SALU_CYCLE_1)
	s_lshl_b64 s[18:19], s[10:11], 3
	v_add_co_u32 v4, s6, v4, s18
	s_delay_alu instid0(VALU_DEP_1)
	v_add_co_ci_u32_e64 v5, s6, s19, v5, s6
	global_load_b64 v[12:13], v[4:5], off offset:768
.LBB687_18:
	s_or_b32 exec_lo, exec_lo, s17
	s_load_b64 s[0:1], s[0:1], 0x20
	s_waitcnt vmcnt(0)
	v_dual_mov_b32 v4, v8 :: v_dual_mov_b32 v5, v9
	v_dual_mov_b32 v6, v10 :: v_dual_mov_b32 v7, v11
	s_waitcnt lgkmcnt(0)
	v_add_co_u32 v14, s0, s0, v0
	s_delay_alu instid0(VALU_DEP_1)
	v_add_co_ci_u32_e64 v15, s0, s1, v1, s0
	s_mov_b32 s1, 0
	s_and_saveexec_b32 s6, s22
	s_cbranch_execnz .LBB687_22
; %bb.19:
	s_or_b32 exec_lo, exec_lo, s6
	s_and_saveexec_b32 s6, s21
	s_cbranch_execnz .LBB687_23
.LBB687_20:
	s_or_b32 exec_lo, exec_lo, s6
	s_and_saveexec_b32 s6, s20
	s_cbranch_execnz .LBB687_26
.LBB687_21:
	s_or_b32 exec_lo, exec_lo, s6
	s_and_saveexec_b32 s6, s15
	s_cbranch_execnz .LBB687_29
	s_branch .LBB687_32
.LBB687_22:
	global_load_u8 v0, v[14:15], off
	v_dual_mov_b32 v4, v8 :: v_dual_mov_b32 v7, v11
	v_dual_mov_b32 v6, v10 :: v_dual_mov_b32 v5, v9
	s_waitcnt vmcnt(0)
	v_and_b32_e32 v0, 1, v0
	s_delay_alu instid0(VALU_DEP_1) | instskip(NEXT) | instid1(VALU_DEP_1)
	v_cmp_eq_u32_e64 s0, 1, v0
	s_xor_b32 s0, s0, -1
	s_delay_alu instid0(SALU_CYCLE_1)
	s_and_b32 s1, s0, exec_lo
	s_or_b32 exec_lo, exec_lo, s6
	s_and_saveexec_b32 s6, s21
	s_cbranch_execz .LBB687_20
.LBB687_23:
	global_load_u8 v0, v[14:15], off offset:32
	s_waitcnt vmcnt(0)
	v_and_b32_e32 v0, 1, v0
	s_delay_alu instid0(VALU_DEP_1) | instskip(NEXT) | instid1(VALU_DEP_1)
	v_cmp_eq_u32_e64 s0, 1, v0
	s_xor_b32 s17, s0, -1
	s_mov_b32 s0, s1
	s_and_saveexec_b32 s11, s17
; %bb.24:
	v_cmp_gt_f64_e64 s0, v[4:5], v[26:27]
	s_delay_alu instid0(VALU_DEP_1) | instskip(NEXT) | instid1(SALU_CYCLE_1)
	s_and_b32 s0, s1, s0
	v_cndmask_b32_e64 v5, v27, v5, s0
	v_cndmask_b32_e64 v4, v26, v4, s0
	s_or_b32 s0, s1, exec_lo
; %bb.25:
	s_or_b32 exec_lo, exec_lo, s11
	s_delay_alu instid0(SALU_CYCLE_1) | instskip(SKIP_1) | instid1(SALU_CYCLE_1)
	s_and_not1_b32 s1, s1, exec_lo
	s_and_b32 s0, s0, exec_lo
	s_or_b32 s1, s1, s0
	s_or_b32 exec_lo, exec_lo, s6
	s_and_saveexec_b32 s6, s20
	s_cbranch_execz .LBB687_21
.LBB687_26:
	global_load_u8 v0, v[14:15], off offset:64
	s_waitcnt vmcnt(0)
	v_and_b32_e32 v0, 1, v0
	s_delay_alu instid0(VALU_DEP_1) | instskip(NEXT) | instid1(VALU_DEP_1)
	v_cmp_eq_u32_e64 s0, 1, v0
	s_xor_b32 s17, s0, -1
	s_mov_b32 s0, s1
	s_and_saveexec_b32 s11, s17
; %bb.27:
	v_cmp_gt_f64_e64 s0, v[4:5], v[24:25]
	s_delay_alu instid0(VALU_DEP_1) | instskip(NEXT) | instid1(SALU_CYCLE_1)
	s_and_b32 s0, s1, s0
	v_cndmask_b32_e64 v5, v25, v5, s0
	v_cndmask_b32_e64 v4, v24, v4, s0
	s_or_b32 s0, s1, exec_lo
; %bb.28:
	s_or_b32 exec_lo, exec_lo, s11
	s_delay_alu instid0(SALU_CYCLE_1) | instskip(SKIP_1) | instid1(SALU_CYCLE_1)
	s_and_not1_b32 s1, s1, exec_lo
	s_and_b32 s0, s0, exec_lo
	s_or_b32 s1, s1, s0
	s_or_b32 exec_lo, exec_lo, s6
	s_and_saveexec_b32 s6, s15
	s_cbranch_execz .LBB687_32
.LBB687_29:
	global_load_u8 v0, v[14:15], off offset:96
	s_waitcnt vmcnt(0)
	v_and_b32_e32 v0, 1, v0
	s_delay_alu instid0(VALU_DEP_1) | instskip(NEXT) | instid1(VALU_DEP_1)
	v_cmp_eq_u32_e64 s0, 1, v0
	s_xor_b32 s17, s0, -1
	s_mov_b32 s0, s1
	s_and_saveexec_b32 s11, s17
; %bb.30:
	v_cmp_gt_f64_e64 s0, v[4:5], v[22:23]
	s_delay_alu instid0(VALU_DEP_1) | instskip(NEXT) | instid1(SALU_CYCLE_1)
	s_and_b32 s0, s1, s0
	v_cndmask_b32_e64 v5, v23, v5, s0
	v_cndmask_b32_e64 v4, v22, v4, s0
	s_or_b32 s0, s1, exec_lo
; %bb.31:
	s_or_b32 exec_lo, exec_lo, s11
	s_delay_alu instid0(SALU_CYCLE_1) | instskip(SKIP_1) | instid1(SALU_CYCLE_1)
	s_and_not1_b32 s1, s1, exec_lo
	s_and_b32 s0, s0, exec_lo
	s_or_b32 s1, s1, s0
.LBB687_32:
	s_or_b32 exec_lo, exec_lo, s6
	v_cndmask_b32_e64 v1, 0xfff00000, v5, s1
	v_cndmask_b32_e64 v0, 0, v4, s1
	v_dual_mov_b32 v7, v3 :: v_dual_mov_b32 v6, v2
	s_and_b32 s0, s16, exec_lo
	s_delay_alu instid0(VALU_DEP_2)
	v_dual_mov_b32 v5, v1 :: v_dual_mov_b32 v4, v0
	s_mov_b32 s1, 0
	s_cselect_b32 s6, 0, s10
	s_and_saveexec_b32 s11, s14
	s_cbranch_execnz .LBB687_36
; %bb.33:
	s_or_b32 exec_lo, exec_lo, s11
	s_and_saveexec_b32 s11, s9
	s_cbranch_execnz .LBB687_37
.LBB687_34:
	s_or_b32 exec_lo, exec_lo, s11
	s_and_saveexec_b32 s11, s8
	s_cbranch_execnz .LBB687_40
.LBB687_35:
	s_or_b32 exec_lo, exec_lo, s11
	s_and_saveexec_b32 s11, s7
	s_cbranch_execnz .LBB687_43
	s_branch .LBB687_46
.LBB687_36:
	s_ashr_i32 s1, s6, 31
	v_add_co_u32 v4, s0, v14, s6
	s_delay_alu instid0(VALU_DEP_1) | instskip(SKIP_3) | instid1(VALU_DEP_1)
	v_add_co_ci_u32_e64 v5, s0, s1, v15, s0
	global_load_u8 v4, v[4:5], off
	s_waitcnt vmcnt(0)
	v_and_b32_e32 v4, 1, v4
	v_cmp_eq_u32_e64 s0, 1, v4
	v_dual_mov_b32 v7, v3 :: v_dual_mov_b32 v6, v2
	v_dual_mov_b32 v5, v1 :: v_dual_mov_b32 v4, v0
	s_delay_alu instid0(VALU_DEP_3) | instskip(NEXT) | instid1(SALU_CYCLE_1)
	s_xor_b32 s0, s0, -1
	s_and_b32 s1, s0, exec_lo
	s_or_b32 exec_lo, exec_lo, s11
	s_and_saveexec_b32 s11, s9
	s_cbranch_execz .LBB687_34
.LBB687_37:
	s_ashr_i32 s16, s6, 31
	v_add_co_u32 v0, s0, v14, s6
	s_delay_alu instid0(VALU_DEP_1) | instskip(SKIP_3) | instid1(VALU_DEP_1)
	v_add_co_ci_u32_e64 v1, s0, s16, v15, s0
	global_load_u8 v0, v[0:1], off offset:32
	s_waitcnt vmcnt(0)
	v_and_b32_e32 v0, 1, v0
	v_cmp_eq_u32_e64 s0, 1, v0
	s_delay_alu instid0(VALU_DEP_1)
	s_xor_b32 s17, s0, -1
	s_mov_b32 s0, s1
	s_and_saveexec_b32 s16, s17
; %bb.38:
	v_cmp_gt_f64_e64 s0, v[6:7], v[18:19]
	s_delay_alu instid0(VALU_DEP_1) | instskip(NEXT) | instid1(SALU_CYCLE_1)
	s_and_b32 s0, s1, s0
	v_cndmask_b32_e64 v7, v19, v7, s0
	v_cndmask_b32_e64 v6, v18, v6, s0
	s_or_b32 s0, s1, exec_lo
; %bb.39:
	s_or_b32 exec_lo, exec_lo, s16
	s_delay_alu instid0(SALU_CYCLE_1) | instskip(SKIP_1) | instid1(SALU_CYCLE_1)
	s_and_not1_b32 s1, s1, exec_lo
	s_and_b32 s0, s0, exec_lo
	s_or_b32 s1, s1, s0
	s_or_b32 exec_lo, exec_lo, s11
	s_and_saveexec_b32 s11, s8
	s_cbranch_execz .LBB687_35
.LBB687_40:
	s_ashr_i32 s16, s6, 31
	v_add_co_u32 v0, s0, v14, s6
	s_delay_alu instid0(VALU_DEP_1) | instskip(SKIP_3) | instid1(VALU_DEP_1)
	v_add_co_ci_u32_e64 v1, s0, s16, v15, s0
	global_load_u8 v0, v[0:1], off offset:64
	s_waitcnt vmcnt(0)
	v_and_b32_e32 v0, 1, v0
	v_cmp_eq_u32_e64 s0, 1, v0
	s_delay_alu instid0(VALU_DEP_1)
	s_xor_b32 s17, s0, -1
	s_mov_b32 s0, s1
	s_and_saveexec_b32 s16, s17
; %bb.41:
	v_cmp_gt_f64_e64 s0, v[6:7], v[16:17]
	s_delay_alu instid0(VALU_DEP_1) | instskip(NEXT) | instid1(SALU_CYCLE_1)
	s_and_b32 s0, s1, s0
	v_cndmask_b32_e64 v7, v17, v7, s0
	v_cndmask_b32_e64 v6, v16, v6, s0
	s_or_b32 s0, s1, exec_lo
; %bb.42:
	s_or_b32 exec_lo, exec_lo, s16
	s_delay_alu instid0(SALU_CYCLE_1) | instskip(SKIP_1) | instid1(SALU_CYCLE_1)
	s_and_not1_b32 s1, s1, exec_lo
	s_and_b32 s0, s0, exec_lo
	s_or_b32 s1, s1, s0
	s_or_b32 exec_lo, exec_lo, s11
	s_and_saveexec_b32 s11, s7
	s_cbranch_execz .LBB687_46
.LBB687_43:
	s_ashr_i32 s16, s6, 31
	v_add_co_u32 v0, s0, v14, s6
	s_delay_alu instid0(VALU_DEP_1) | instskip(SKIP_3) | instid1(VALU_DEP_1)
	v_add_co_ci_u32_e64 v1, s0, s16, v15, s0
	global_load_u8 v0, v[0:1], off offset:96
	s_waitcnt vmcnt(0)
	v_and_b32_e32 v0, 1, v0
	v_cmp_eq_u32_e64 s0, 1, v0
	s_delay_alu instid0(VALU_DEP_1)
	s_xor_b32 s17, s0, -1
	s_mov_b32 s0, s1
	s_and_saveexec_b32 s16, s17
; %bb.44:
	v_cmp_gt_f64_e64 s0, v[6:7], v[12:13]
	s_delay_alu instid0(VALU_DEP_1) | instskip(NEXT) | instid1(SALU_CYCLE_1)
	s_and_b32 s0, s1, s0
	v_cndmask_b32_e64 v7, v13, v7, s0
	v_cndmask_b32_e64 v6, v12, v6, s0
	s_or_b32 s0, s1, exec_lo
; %bb.45:
	s_or_b32 exec_lo, exec_lo, s16
	s_delay_alu instid0(SALU_CYCLE_1) | instskip(SKIP_1) | instid1(SALU_CYCLE_1)
	s_and_not1_b32 s1, s1, exec_lo
	s_and_b32 s0, s0, exec_lo
	s_or_b32 s1, s1, s0
.LBB687_46:
	s_or_b32 exec_lo, exec_lo, s11
	v_mbcnt_lo_u32_b32 v28, -1, 0
	v_cndmask_b32_e64 v6, 0, v6, s1
	v_cndmask_b32_e64 v7, 0xfff00000, v7, s1
	s_mov_b32 s16, 0
	s_delay_alu instid0(SALU_CYCLE_1) | instskip(SKIP_4) | instid1(VALU_DEP_2)
	s_mov_b32 s17, s16
	v_xor_b32_e32 v0, 16, v28
	v_xor_b32_e32 v29, 8, v28
	s_mov_b32 s18, s16
	s_mov_b32 s19, s16
	v_cmp_gt_i32_e64 s0, 32, v0
	s_delay_alu instid0(VALU_DEP_2) | instskip(NEXT) | instid1(VALU_DEP_2)
	v_cmp_gt_i32_e64 s1, 32, v29
	v_cndmask_b32_e64 v0, v28, v0, s0
	s_delay_alu instid0(VALU_DEP_2) | instskip(NEXT) | instid1(VALU_DEP_2)
	v_cndmask_b32_e64 v29, v28, v29, s1
	v_lshlrev_b32_e32 v35, 2, v0
	s_delay_alu instid0(VALU_DEP_2)
	v_lshlrev_b32_e32 v36, 2, v29
	v_xor_b32_e32 v29, 4, v28
	ds_bpermute_b32 v0, v35, v4
	ds_bpermute_b32 v1, v35, v5
	;; [unrolled: 1-line block ×4, first 2 shown]
	s_waitcnt lgkmcnt(2)
	v_cmp_lt_f64_e64 s0, v[4:5], v[0:1]
	s_delay_alu instid0(VALU_DEP_1)
	v_cndmask_b32_e64 v1, v5, v1, s0
	v_cndmask_b32_e64 v0, v4, v0, s0
	s_waitcnt lgkmcnt(0)
	v_cmp_lt_f64_e64 s0, v[6:7], v[20:21]
	ds_bpermute_b32 v5, v36, v1
	ds_bpermute_b32 v4, v36, v0
	s_waitcnt lgkmcnt(0)
	v_cmp_lt_f64_e64 s1, v[0:1], v[4:5]
	v_cndmask_b32_e64 v7, v7, v21, s0
	v_cndmask_b32_e64 v6, v6, v20, s0
	v_cmp_gt_i32_e64 s0, 32, v29
	ds_bpermute_b32 v21, v36, v7
	ds_bpermute_b32 v20, v36, v6
	v_cndmask_b32_e64 v29, v28, v29, s0
	s_delay_alu instid0(VALU_DEP_1)
	v_lshlrev_b32_e32 v37, 2, v29
	v_xor_b32_e32 v29, 2, v28
	v_cndmask_b32_e64 v1, v1, v5, s1
	v_cndmask_b32_e64 v0, v0, v4, s1
	s_waitcnt lgkmcnt(0)
	v_cmp_lt_f64_e64 s0, v[6:7], v[20:21]
	ds_bpermute_b32 v5, v37, v1
	ds_bpermute_b32 v4, v37, v0
	s_waitcnt lgkmcnt(0)
	v_cmp_lt_f64_e64 s1, v[0:1], v[4:5]
	v_cndmask_b32_e64 v7, v7, v21, s0
	v_cndmask_b32_e64 v6, v6, v20, s0
	v_cmp_gt_i32_e64 s0, 32, v29
	ds_bpermute_b32 v21, v37, v7
	ds_bpermute_b32 v20, v37, v6
	v_cndmask_b32_e64 v29, v28, v29, s0
	s_delay_alu instid0(VALU_DEP_1)
	v_lshlrev_b32_e32 v38, 2, v29
	v_xor_b32_e32 v29, 1, v28
	v_cndmask_b32_e64 v1, v1, v5, s1
	v_cndmask_b32_e64 v0, v0, v4, s1
	s_waitcnt lgkmcnt(0)
	v_cmp_lt_f64_e64 s0, v[6:7], v[20:21]
	ds_bpermute_b32 v5, v38, v1
	ds_bpermute_b32 v4, v38, v0
	s_waitcnt lgkmcnt(0)
	v_cmp_lt_f64_e64 s1, v[0:1], v[4:5]
	v_cndmask_b32_e64 v7, v7, v21, s0
	v_cndmask_b32_e64 v6, v6, v20, s0
	v_cmp_gt_i32_e64 s0, 32, v29
	ds_bpermute_b32 v21, v38, v7
	ds_bpermute_b32 v20, v38, v6
	v_cndmask_b32_e64 v28, v28, v29, s0
	s_delay_alu instid0(VALU_DEP_1)
	v_lshlrev_b32_e32 v39, 2, v28
	v_cndmask_b32_e64 v33, v1, v5, s1
	v_cndmask_b32_e64 v32, v0, v4, s1
	s_waitcnt lgkmcnt(0)
	v_cmp_lt_f64_e64 s0, v[6:7], v[20:21]
	v_mov_b32_e32 v0, 0
	v_mov_b32_e32 v1, 0
	s_delay_alu instid0(VALU_DEP_3)
	v_cndmask_b32_e64 v29, v7, v21, s0
	v_cndmask_b32_e64 v28, v6, v20, s0
	v_mov_b32_e32 v4, s16
	v_mov_b32_e32 v6, s18
	ds_bpermute_b32 v41, v39, v33
	ds_bpermute_b32 v40, v39, v32
	ds_bpermute_b32 v31, v39, v29
	ds_bpermute_b32 v30, v39, v28
	v_mov_b32_e32 v21, v1
	v_mov_b32_e32 v5, s17
	v_dual_mov_b32 v7, s19 :: v_dual_mov_b32 v20, v0
	s_waitcnt lgkmcnt(2)
	v_cmp_lt_f64_e64 s1, v[32:33], v[40:41]
	s_delay_alu instid0(VALU_DEP_1)
	v_cndmask_b32_e64 v33, v33, v41, s1
	v_cndmask_b32_e64 v32, v32, v40, s1
	s_and_saveexec_b32 s11, s22
	s_cbranch_execz .LBB687_50
; %bb.47:
	global_load_u8 v4, v[14:15], off
	v_mov_b32_e32 v20, 0
	s_waitcnt vmcnt(0)
	v_dual_mov_b32 v21, 0 :: v_dual_and_b32 v4, 1, v4
	s_delay_alu instid0(VALU_DEP_1) | instskip(SKIP_2) | instid1(VALU_DEP_3)
	v_cmp_eq_u32_e64 s0, 1, v4
	v_dual_mov_b32 v4, s16 :: v_dual_mov_b32 v7, s19
	v_dual_mov_b32 v5, s17 :: v_dual_mov_b32 v6, s18
	s_xor_b32 s0, s0, -1
	s_delay_alu instid0(SALU_CYCLE_1)
	s_and_saveexec_b32 s16, s0
	s_cbranch_execz .LBB687_49
; %bb.48:
	v_add_f64 v[4:5], v[8:9], -v[32:33]
	s_mov_b32 s0, 0x652b82fe
	s_mov_b32 s1, 0x3ff71547
	;; [unrolled: 1-line block ×4, first 2 shown]
	s_delay_alu instid0(VALU_DEP_1) | instskip(SKIP_2) | instid1(VALU_DEP_1)
	v_mul_f64 v[6:7], v[4:5], s[0:1]
	s_mov_b32 s0, 0xfefa39ef
	s_mov_b32 s1, 0xbfe62e42
	v_rndne_f64_e32 v[6:7], v[6:7]
	s_delay_alu instid0(VALU_DEP_1) | instskip(SKIP_3) | instid1(VALU_DEP_2)
	v_fma_f64 v[8:9], v[6:7], s[0:1], v[4:5]
	s_mov_b32 s0, 0x3b39803f
	s_mov_b32 s1, 0xbc7abc9e
	v_cvt_i32_f64_e32 v40, v[6:7]
	v_fma_f64 v[8:9], v[6:7], s[0:1], v[8:9]
	s_mov_b32 s0, 0xfca7ab0c
	s_mov_b32 s1, 0x3e928af3
	s_delay_alu instid0(VALU_DEP_1) | instid1(SALU_CYCLE_1)
	v_fma_f64 v[20:21], v[8:9], s[18:19], s[0:1]
	s_mov_b32 s0, 0x623fde64
	s_mov_b32 s1, 0x3ec71dee
	s_delay_alu instid0(VALU_DEP_1) | instid1(SALU_CYCLE_1)
	;; [unrolled: 4-line block ×9, first 2 shown]
	v_fma_f64 v[20:21], v[8:9], v[20:21], s[0:1]
	v_cmp_nlt_f64_e64 s0, 0x40900000, v[4:5]
	v_cmp_ngt_f64_e64 s1, 0xc090cc00, v[4:5]
	s_delay_alu instid0(VALU_DEP_3) | instskip(NEXT) | instid1(VALU_DEP_1)
	v_fma_f64 v[20:21], v[8:9], v[20:21], 1.0
	v_fma_f64 v[6:7], v[8:9], v[20:21], 1.0
	s_delay_alu instid0(VALU_DEP_1) | instskip(NEXT) | instid1(VALU_DEP_1)
	v_ldexp_f64 v[6:7], v[6:7], v40
	v_cndmask_b32_e64 v7, 0x7ff00000, v7, s0
	s_and_b32 s0, s1, s0
	s_delay_alu instid0(VALU_DEP_2) | instid1(SALU_CYCLE_1)
	v_cndmask_b32_e64 v20, 0, v6, s0
	v_mov_b32_e32 v6, 0
	s_delay_alu instid0(VALU_DEP_3) | instskip(NEXT) | instid1(VALU_DEP_2)
	v_cndmask_b32_e64 v21, 0, v7, s1
	v_mov_b32_e32 v7, v6
	s_delay_alu instid0(VALU_DEP_2)
	v_add_f64 v[4:5], v[20:21], 0
.LBB687_49:
	s_or_b32 exec_lo, exec_lo, s16
.LBB687_50:
	s_delay_alu instid0(SALU_CYCLE_1)
	s_or_b32 exec_lo, exec_lo, s11
	s_and_saveexec_b32 s11, s21
	s_cbranch_execz .LBB687_54
; %bb.51:
	global_load_u8 v0, v[14:15], off offset:32
	s_waitcnt vmcnt(0)
	v_and_b32_e32 v0, 1, v0
	s_delay_alu instid0(VALU_DEP_1) | instskip(SKIP_2) | instid1(VALU_DEP_3)
	v_cmp_eq_u32_e64 s0, 1, v0
	v_mov_b32_e32 v0, 0
	v_mov_b32_e32 v1, 0
	s_xor_b32 s0, s0, -1
	s_delay_alu instid0(SALU_CYCLE_1)
	s_and_saveexec_b32 s16, s0
	s_cbranch_execz .LBB687_53
; %bb.52:
	v_add_f64 v[0:1], v[26:27], -v[32:33]
	s_mov_b32 s0, 0x652b82fe
	s_mov_b32 s1, 0x3ff71547
	;; [unrolled: 1-line block ×4, first 2 shown]
	s_delay_alu instid0(VALU_DEP_1) | instskip(SKIP_2) | instid1(VALU_DEP_1)
	v_mul_f64 v[8:9], v[0:1], s[0:1]
	s_mov_b32 s0, 0xfefa39ef
	s_mov_b32 s1, 0xbfe62e42
	v_rndne_f64_e32 v[8:9], v[8:9]
	s_delay_alu instid0(VALU_DEP_1) | instskip(SKIP_3) | instid1(VALU_DEP_2)
	v_fma_f64 v[26:27], v[8:9], s[0:1], v[0:1]
	s_mov_b32 s0, 0x3b39803f
	s_mov_b32 s1, 0xbc7abc9e
	v_cvt_i32_f64_e32 v42, v[8:9]
	v_fma_f64 v[26:27], v[8:9], s[0:1], v[26:27]
	s_mov_b32 s0, 0xfca7ab0c
	s_mov_b32 s1, 0x3e928af3
	s_delay_alu instid0(VALU_DEP_1) | instid1(SALU_CYCLE_1)
	v_fma_f64 v[40:41], v[26:27], s[18:19], s[0:1]
	s_mov_b32 s0, 0x623fde64
	s_mov_b32 s1, 0x3ec71dee
	s_delay_alu instid0(VALU_DEP_1) | instid1(SALU_CYCLE_1)
	;; [unrolled: 4-line block ×9, first 2 shown]
	v_fma_f64 v[40:41], v[26:27], v[40:41], s[0:1]
	v_cmp_nlt_f64_e64 s0, 0x40900000, v[0:1]
	v_cmp_ngt_f64_e64 s1, 0xc090cc00, v[0:1]
	s_delay_alu instid0(VALU_DEP_3) | instskip(NEXT) | instid1(VALU_DEP_1)
	v_fma_f64 v[40:41], v[26:27], v[40:41], 1.0
	v_fma_f64 v[8:9], v[26:27], v[40:41], 1.0
	s_delay_alu instid0(VALU_DEP_1) | instskip(NEXT) | instid1(VALU_DEP_1)
	v_ldexp_f64 v[8:9], v[8:9], v42
	v_cndmask_b32_e64 v9, 0x7ff00000, v9, s0
	s_and_b32 s0, s1, s0
	s_delay_alu instid0(VALU_DEP_2) | instid1(SALU_CYCLE_1)
	v_cndmask_b32_e64 v0, 0, v8, s0
	s_delay_alu instid0(VALU_DEP_2) | instskip(NEXT) | instid1(VALU_DEP_1)
	v_cndmask_b32_e64 v1, 0, v9, s1
	v_add_f64 v[4:5], v[4:5], v[0:1]
.LBB687_53:
	s_or_b32 exec_lo, exec_lo, s16
.LBB687_54:
	s_delay_alu instid0(SALU_CYCLE_1) | instskip(SKIP_2) | instid1(VALU_DEP_1)
	s_or_b32 exec_lo, exec_lo, s11
	v_mov_b32_e32 v8, 0
	v_mov_b32_e32 v9, 0
	v_dual_mov_b32 v27, v9 :: v_dual_mov_b32 v26, v8
	s_and_saveexec_b32 s11, s20
	s_cbranch_execz .LBB687_58
; %bb.55:
	global_load_u8 v26, v[14:15], off offset:64
	s_waitcnt vmcnt(0)
	v_and_b32_e32 v26, 1, v26
	s_delay_alu instid0(VALU_DEP_1) | instskip(SKIP_2) | instid1(VALU_DEP_3)
	v_cmp_eq_u32_e64 s0, 1, v26
	v_mov_b32_e32 v26, 0
	v_mov_b32_e32 v27, 0
	s_xor_b32 s0, s0, -1
	s_delay_alu instid0(SALU_CYCLE_1)
	s_and_saveexec_b32 s16, s0
	s_cbranch_execz .LBB687_57
; %bb.56:
	v_add_f64 v[24:25], v[24:25], -v[32:33]
	s_mov_b32 s0, 0x652b82fe
	s_mov_b32 s1, 0x3ff71547
	;; [unrolled: 1-line block ×4, first 2 shown]
	s_delay_alu instid0(VALU_DEP_1) | instskip(SKIP_2) | instid1(VALU_DEP_1)
	v_mul_f64 v[26:27], v[24:25], s[0:1]
	s_mov_b32 s0, 0xfefa39ef
	s_mov_b32 s1, 0xbfe62e42
	v_rndne_f64_e32 v[26:27], v[26:27]
	s_delay_alu instid0(VALU_DEP_1) | instskip(SKIP_3) | instid1(VALU_DEP_2)
	v_fma_f64 v[40:41], v[26:27], s[0:1], v[24:25]
	s_mov_b32 s0, 0x3b39803f
	s_mov_b32 s1, 0xbc7abc9e
	v_cvt_i32_f64_e32 v44, v[26:27]
	v_fma_f64 v[40:41], v[26:27], s[0:1], v[40:41]
	s_mov_b32 s0, 0xfca7ab0c
	s_mov_b32 s1, 0x3e928af3
	s_delay_alu instid0(VALU_DEP_1) | instid1(SALU_CYCLE_1)
	v_fma_f64 v[42:43], v[40:41], s[18:19], s[0:1]
	s_mov_b32 s0, 0x623fde64
	s_mov_b32 s1, 0x3ec71dee
	s_delay_alu instid0(VALU_DEP_1) | instid1(SALU_CYCLE_1)
	;; [unrolled: 4-line block ×9, first 2 shown]
	v_fma_f64 v[42:43], v[40:41], v[42:43], s[0:1]
	v_cmp_nlt_f64_e64 s0, 0x40900000, v[24:25]
	v_cmp_ngt_f64_e64 s1, 0xc090cc00, v[24:25]
	s_delay_alu instid0(VALU_DEP_3) | instskip(NEXT) | instid1(VALU_DEP_1)
	v_fma_f64 v[42:43], v[40:41], v[42:43], 1.0
	v_fma_f64 v[26:27], v[40:41], v[42:43], 1.0
	s_delay_alu instid0(VALU_DEP_1) | instskip(NEXT) | instid1(VALU_DEP_1)
	v_ldexp_f64 v[26:27], v[26:27], v44
	v_cndmask_b32_e64 v27, 0x7ff00000, v27, s0
	s_and_b32 s0, s1, s0
	s_delay_alu instid0(VALU_DEP_2) | instid1(SALU_CYCLE_1)
	v_cndmask_b32_e64 v26, 0, v26, s0
	s_delay_alu instid0(VALU_DEP_2) | instskip(NEXT) | instid1(VALU_DEP_1)
	v_cndmask_b32_e64 v27, 0, v27, s1
	v_add_f64 v[4:5], v[4:5], v[26:27]
.LBB687_57:
	s_or_b32 exec_lo, exec_lo, s16
.LBB687_58:
	s_delay_alu instid0(SALU_CYCLE_1)
	s_or_b32 exec_lo, exec_lo, s11
	s_and_saveexec_b32 s11, s15
	s_cbranch_execz .LBB687_62
; %bb.59:
	global_load_u8 v8, v[14:15], off offset:96
	s_waitcnt vmcnt(0)
	v_and_b32_e32 v8, 1, v8
	s_delay_alu instid0(VALU_DEP_1) | instskip(SKIP_2) | instid1(VALU_DEP_3)
	v_cmp_eq_u32_e64 s0, 1, v8
	v_mov_b32_e32 v8, 0
	v_mov_b32_e32 v9, 0
	s_xor_b32 s0, s0, -1
	s_delay_alu instid0(SALU_CYCLE_1)
	s_and_saveexec_b32 s15, s0
	s_cbranch_execz .LBB687_61
; %bb.60:
	v_add_f64 v[8:9], v[22:23], -v[32:33]
	s_mov_b32 s0, 0x652b82fe
	s_mov_b32 s1, 0x3ff71547
	;; [unrolled: 1-line block ×4, first 2 shown]
	s_delay_alu instid0(VALU_DEP_1) | instskip(SKIP_2) | instid1(VALU_DEP_1)
	v_mul_f64 v[22:23], v[8:9], s[0:1]
	s_mov_b32 s0, 0xfefa39ef
	s_mov_b32 s1, 0xbfe62e42
	v_rndne_f64_e32 v[22:23], v[22:23]
	s_delay_alu instid0(VALU_DEP_1) | instskip(SKIP_3) | instid1(VALU_DEP_2)
	v_fma_f64 v[24:25], v[22:23], s[0:1], v[8:9]
	s_mov_b32 s0, 0x3b39803f
	s_mov_b32 s1, 0xbc7abc9e
	v_cvt_i32_f64_e32 v40, v[22:23]
	v_fma_f64 v[24:25], v[22:23], s[0:1], v[24:25]
	s_mov_b32 s0, 0xfca7ab0c
	s_mov_b32 s1, 0x3e928af3
	s_delay_alu instid0(VALU_DEP_1) | instid1(SALU_CYCLE_1)
	v_fma_f64 v[32:33], v[24:25], s[16:17], s[0:1]
	s_mov_b32 s0, 0x623fde64
	s_mov_b32 s1, 0x3ec71dee
	s_delay_alu instid0(VALU_DEP_1) | instid1(SALU_CYCLE_1)
	;; [unrolled: 4-line block ×9, first 2 shown]
	v_fma_f64 v[32:33], v[24:25], v[32:33], s[0:1]
	v_cmp_nlt_f64_e64 s0, 0x40900000, v[8:9]
	v_cmp_ngt_f64_e64 s1, 0xc090cc00, v[8:9]
	s_delay_alu instid0(VALU_DEP_3) | instskip(NEXT) | instid1(VALU_DEP_1)
	v_fma_f64 v[32:33], v[24:25], v[32:33], 1.0
	v_fma_f64 v[22:23], v[24:25], v[32:33], 1.0
	s_delay_alu instid0(VALU_DEP_1) | instskip(NEXT) | instid1(VALU_DEP_1)
	v_ldexp_f64 v[22:23], v[22:23], v40
	v_cndmask_b32_e64 v23, 0x7ff00000, v23, s0
	s_and_b32 s0, s1, s0
	s_delay_alu instid0(VALU_DEP_2) | instid1(SALU_CYCLE_1)
	v_cndmask_b32_e64 v8, 0, v22, s0
	s_delay_alu instid0(VALU_DEP_2) | instskip(NEXT) | instid1(VALU_DEP_1)
	v_cndmask_b32_e64 v9, 0, v23, s1
	v_add_f64 v[4:5], v[4:5], v[8:9]
.LBB687_61:
	s_or_b32 exec_lo, exec_lo, s15
.LBB687_62:
	s_delay_alu instid0(SALU_CYCLE_1) | instskip(SKIP_4) | instid1(VALU_DEP_1)
	s_or_b32 exec_lo, exec_lo, s11
	s_waitcnt lgkmcnt(0)
	v_cmp_lt_f64_e64 s0, v[28:29], v[30:31]
	v_mov_b32_e32 v22, 0
	v_mov_b32_e32 v23, 0
	v_dual_mov_b32 v25, v23 :: v_dual_mov_b32 v24, v22
	s_delay_alu instid0(VALU_DEP_4)
	v_cndmask_b32_e64 v29, v29, v31, s0
	v_cndmask_b32_e64 v28, v28, v30, s0
	s_and_saveexec_b32 s11, s14
	s_cbranch_execz .LBB687_66
; %bb.63:
	s_ashr_i32 s1, s6, 31
	v_add_co_u32 v24, s0, v14, s6
	s_delay_alu instid0(VALU_DEP_1) | instskip(SKIP_3) | instid1(VALU_DEP_1)
	v_add_co_ci_u32_e64 v25, s0, s1, v15, s0
	global_load_u8 v24, v[24:25], off
	s_waitcnt vmcnt(0)
	v_and_b32_e32 v24, 1, v24
	v_cmp_eq_u32_e64 s0, 1, v24
	v_mov_b32_e32 v24, 0
	v_mov_b32_e32 v25, 0
	s_delay_alu instid0(VALU_DEP_3) | instskip(NEXT) | instid1(SALU_CYCLE_1)
	s_xor_b32 s0, s0, -1
	s_and_saveexec_b32 s14, s0
	s_cbranch_execz .LBB687_65
; %bb.64:
	v_add_f64 v[2:3], v[2:3], -v[28:29]
	s_mov_b32 s0, 0x652b82fe
	s_mov_b32 s1, 0x3ff71547
	;; [unrolled: 1-line block ×4, first 2 shown]
	s_delay_alu instid0(VALU_DEP_1) | instskip(SKIP_2) | instid1(VALU_DEP_1)
	v_mul_f64 v[24:25], v[2:3], s[0:1]
	s_mov_b32 s0, 0xfefa39ef
	s_mov_b32 s1, 0xbfe62e42
	v_rndne_f64_e32 v[24:25], v[24:25]
	s_delay_alu instid0(VALU_DEP_1) | instskip(SKIP_3) | instid1(VALU_DEP_2)
	v_fma_f64 v[30:31], v[24:25], s[0:1], v[2:3]
	s_mov_b32 s0, 0x3b39803f
	s_mov_b32 s1, 0xbc7abc9e
	v_cvt_i32_f64_e32 v40, v[24:25]
	v_fma_f64 v[30:31], v[24:25], s[0:1], v[30:31]
	s_mov_b32 s0, 0xfca7ab0c
	s_mov_b32 s1, 0x3e928af3
	s_delay_alu instid0(VALU_DEP_1) | instid1(SALU_CYCLE_1)
	v_fma_f64 v[32:33], v[30:31], s[16:17], s[0:1]
	s_mov_b32 s0, 0x623fde64
	s_mov_b32 s1, 0x3ec71dee
	s_delay_alu instid0(VALU_DEP_1) | instid1(SALU_CYCLE_1)
	;; [unrolled: 4-line block ×9, first 2 shown]
	v_fma_f64 v[32:33], v[30:31], v[32:33], s[0:1]
	v_cmp_nlt_f64_e64 s0, 0x40900000, v[2:3]
	v_cmp_ngt_f64_e64 s1, 0xc090cc00, v[2:3]
	s_delay_alu instid0(VALU_DEP_3) | instskip(NEXT) | instid1(VALU_DEP_1)
	v_fma_f64 v[32:33], v[30:31], v[32:33], 1.0
	v_fma_f64 v[24:25], v[30:31], v[32:33], 1.0
	s_delay_alu instid0(VALU_DEP_1) | instskip(NEXT) | instid1(VALU_DEP_1)
	v_ldexp_f64 v[24:25], v[24:25], v40
	v_cndmask_b32_e64 v25, 0x7ff00000, v25, s0
	s_and_b32 s0, s1, s0
	s_delay_alu instid0(VALU_DEP_2) | instid1(SALU_CYCLE_1)
	v_cndmask_b32_e64 v24, 0, v24, s0
	s_delay_alu instid0(VALU_DEP_2) | instskip(NEXT) | instid1(VALU_DEP_1)
	v_cndmask_b32_e64 v25, 0, v25, s1
	v_add_f64 v[6:7], v[6:7], v[24:25]
.LBB687_65:
	s_or_b32 exec_lo, exec_lo, s14
.LBB687_66:
	s_delay_alu instid0(SALU_CYCLE_1)
	s_or_b32 exec_lo, exec_lo, s11
	s_and_saveexec_b32 s11, s9
	s_cbranch_execz .LBB687_70
; %bb.67:
	s_ashr_i32 s1, s6, 31
	v_add_co_u32 v2, s0, v14, s6
	s_delay_alu instid0(VALU_DEP_1)
	v_add_co_ci_u32_e64 v3, s0, s1, v15, s0
	v_mov_b32_e32 v22, 0
	v_mov_b32_e32 v23, 0
	global_load_u8 v2, v[2:3], off offset:32
	s_waitcnt vmcnt(0)
	v_and_b32_e32 v2, 1, v2
	s_delay_alu instid0(VALU_DEP_1) | instskip(NEXT) | instid1(VALU_DEP_1)
	v_cmp_eq_u32_e64 s0, 1, v2
	s_xor_b32 s0, s0, -1
	s_delay_alu instid0(SALU_CYCLE_1)
	s_and_saveexec_b32 s9, s0
	s_cbranch_execz .LBB687_69
; %bb.68:
	v_add_f64 v[2:3], v[18:19], -v[28:29]
	s_mov_b32 s0, 0x652b82fe
	s_mov_b32 s1, 0x3ff71547
	;; [unrolled: 1-line block ×4, first 2 shown]
	s_delay_alu instid0(VALU_DEP_1) | instskip(SKIP_2) | instid1(VALU_DEP_1)
	v_mul_f64 v[18:19], v[2:3], s[0:1]
	s_mov_b32 s0, 0xfefa39ef
	s_mov_b32 s1, 0xbfe62e42
	v_rndne_f64_e32 v[18:19], v[18:19]
	s_delay_alu instid0(VALU_DEP_1) | instskip(SKIP_3) | instid1(VALU_DEP_2)
	v_fma_f64 v[22:23], v[18:19], s[0:1], v[2:3]
	s_mov_b32 s0, 0x3b39803f
	s_mov_b32 s1, 0xbc7abc9e
	v_cvt_i32_f64_e32 v32, v[18:19]
	v_fma_f64 v[22:23], v[18:19], s[0:1], v[22:23]
	s_mov_b32 s0, 0xfca7ab0c
	s_mov_b32 s1, 0x3e928af3
	s_delay_alu instid0(VALU_DEP_1) | instid1(SALU_CYCLE_1)
	v_fma_f64 v[30:31], v[22:23], s[14:15], s[0:1]
	s_mov_b32 s0, 0x623fde64
	s_mov_b32 s1, 0x3ec71dee
	s_delay_alu instid0(VALU_DEP_1) | instid1(SALU_CYCLE_1)
	;; [unrolled: 4-line block ×9, first 2 shown]
	v_fma_f64 v[30:31], v[22:23], v[30:31], s[0:1]
	v_cmp_nlt_f64_e64 s0, 0x40900000, v[2:3]
	v_cmp_ngt_f64_e64 s1, 0xc090cc00, v[2:3]
	s_delay_alu instid0(VALU_DEP_3) | instskip(NEXT) | instid1(VALU_DEP_1)
	v_fma_f64 v[30:31], v[22:23], v[30:31], 1.0
	v_fma_f64 v[18:19], v[22:23], v[30:31], 1.0
	s_delay_alu instid0(VALU_DEP_1) | instskip(NEXT) | instid1(VALU_DEP_1)
	v_ldexp_f64 v[18:19], v[18:19], v32
	v_cndmask_b32_e64 v19, 0x7ff00000, v19, s0
	s_and_b32 s0, s1, s0
	s_delay_alu instid0(VALU_DEP_2) | instid1(SALU_CYCLE_1)
	v_cndmask_b32_e64 v22, 0, v18, s0
	s_delay_alu instid0(VALU_DEP_2) | instskip(NEXT) | instid1(VALU_DEP_1)
	v_cndmask_b32_e64 v23, 0, v19, s1
	v_add_f64 v[6:7], v[6:7], v[22:23]
.LBB687_69:
	s_or_b32 exec_lo, exec_lo, s9
.LBB687_70:
	s_delay_alu instid0(SALU_CYCLE_1) | instskip(SKIP_2) | instid1(VALU_DEP_1)
	s_or_b32 exec_lo, exec_lo, s11
	v_mov_b32_e32 v2, 0
	v_mov_b32_e32 v3, 0
	v_dual_mov_b32 v19, v3 :: v_dual_mov_b32 v18, v2
	s_and_saveexec_b32 s9, s8
	s_cbranch_execz .LBB687_74
; %bb.71:
	s_ashr_i32 s1, s6, 31
	v_add_co_u32 v18, s0, v14, s6
	s_delay_alu instid0(VALU_DEP_1) | instskip(SKIP_3) | instid1(VALU_DEP_1)
	v_add_co_ci_u32_e64 v19, s0, s1, v15, s0
	global_load_u8 v18, v[18:19], off offset:64
	s_waitcnt vmcnt(0)
	v_and_b32_e32 v18, 1, v18
	v_cmp_eq_u32_e64 s0, 1, v18
	v_mov_b32_e32 v18, 0
	v_mov_b32_e32 v19, 0
	s_delay_alu instid0(VALU_DEP_3) | instskip(NEXT) | instid1(SALU_CYCLE_1)
	s_xor_b32 s0, s0, -1
	s_and_saveexec_b32 s8, s0
	s_cbranch_execz .LBB687_73
; %bb.72:
	v_add_f64 v[16:17], v[16:17], -v[28:29]
	s_mov_b32 s0, 0x652b82fe
	s_mov_b32 s1, 0x3ff71547
	;; [unrolled: 1-line block ×4, first 2 shown]
	s_delay_alu instid0(VALU_DEP_1) | instskip(SKIP_2) | instid1(VALU_DEP_1)
	v_mul_f64 v[18:19], v[16:17], s[0:1]
	s_mov_b32 s0, 0xfefa39ef
	s_mov_b32 s1, 0xbfe62e42
	v_rndne_f64_e32 v[18:19], v[18:19]
	s_delay_alu instid0(VALU_DEP_1) | instskip(SKIP_3) | instid1(VALU_DEP_2)
	v_fma_f64 v[30:31], v[18:19], s[0:1], v[16:17]
	s_mov_b32 s0, 0x3b39803f
	s_mov_b32 s1, 0xbc7abc9e
	v_cvt_i32_f64_e32 v40, v[18:19]
	v_fma_f64 v[30:31], v[18:19], s[0:1], v[30:31]
	s_mov_b32 s0, 0xfca7ab0c
	s_mov_b32 s1, 0x3e928af3
	s_delay_alu instid0(VALU_DEP_1) | instid1(SALU_CYCLE_1)
	v_fma_f64 v[32:33], v[30:31], s[14:15], s[0:1]
	s_mov_b32 s0, 0x623fde64
	s_mov_b32 s1, 0x3ec71dee
	s_delay_alu instid0(VALU_DEP_1) | instid1(SALU_CYCLE_1)
	;; [unrolled: 4-line block ×9, first 2 shown]
	v_fma_f64 v[32:33], v[30:31], v[32:33], s[0:1]
	v_cmp_nlt_f64_e64 s0, 0x40900000, v[16:17]
	v_cmp_ngt_f64_e64 s1, 0xc090cc00, v[16:17]
	s_delay_alu instid0(VALU_DEP_3) | instskip(NEXT) | instid1(VALU_DEP_1)
	v_fma_f64 v[32:33], v[30:31], v[32:33], 1.0
	v_fma_f64 v[18:19], v[30:31], v[32:33], 1.0
	s_delay_alu instid0(VALU_DEP_1) | instskip(NEXT) | instid1(VALU_DEP_1)
	v_ldexp_f64 v[18:19], v[18:19], v40
	v_cndmask_b32_e64 v19, 0x7ff00000, v19, s0
	s_and_b32 s0, s1, s0
	s_delay_alu instid0(VALU_DEP_2) | instid1(SALU_CYCLE_1)
	v_cndmask_b32_e64 v18, 0, v18, s0
	s_delay_alu instid0(VALU_DEP_2) | instskip(NEXT) | instid1(VALU_DEP_1)
	v_cndmask_b32_e64 v19, 0, v19, s1
	v_add_f64 v[6:7], v[6:7], v[18:19]
.LBB687_73:
	s_or_b32 exec_lo, exec_lo, s8
.LBB687_74:
	s_delay_alu instid0(SALU_CYCLE_1)
	s_or_b32 exec_lo, exec_lo, s9
	s_and_saveexec_b32 s8, s7
	s_cbranch_execz .LBB687_78
; %bb.75:
	s_ashr_i32 s1, s6, 31
	v_add_co_u32 v2, s0, v14, s6
	s_delay_alu instid0(VALU_DEP_1) | instskip(SKIP_3) | instid1(VALU_DEP_1)
	v_add_co_ci_u32_e64 v3, s0, s1, v15, s0
	global_load_u8 v2, v[2:3], off offset:96
	s_waitcnt vmcnt(0)
	v_and_b32_e32 v2, 1, v2
	v_cmp_eq_u32_e64 s0, 1, v2
	v_mov_b32_e32 v2, 0
	v_mov_b32_e32 v3, 0
	s_delay_alu instid0(VALU_DEP_3) | instskip(NEXT) | instid1(SALU_CYCLE_1)
	s_xor_b32 s0, s0, -1
	s_and_saveexec_b32 s6, s0
	s_cbranch_execz .LBB687_77
; %bb.76:
	v_add_f64 v[2:3], v[12:13], -v[28:29]
	s_mov_b32 s0, 0x652b82fe
	s_mov_b32 s1, 0x3ff71547
	;; [unrolled: 1-line block ×4, first 2 shown]
	s_delay_alu instid0(VALU_DEP_1) | instskip(SKIP_2) | instid1(VALU_DEP_1)
	v_mul_f64 v[12:13], v[2:3], s[0:1]
	s_mov_b32 s0, 0xfefa39ef
	s_mov_b32 s1, 0xbfe62e42
	v_rndne_f64_e32 v[12:13], v[12:13]
	s_delay_alu instid0(VALU_DEP_1) | instskip(SKIP_3) | instid1(VALU_DEP_2)
	v_fma_f64 v[14:15], v[12:13], s[0:1], v[2:3]
	s_mov_b32 s0, 0x3b39803f
	s_mov_b32 s1, 0xbc7abc9e
	v_cvt_i32_f64_e32 v28, v[12:13]
	v_fma_f64 v[14:15], v[12:13], s[0:1], v[14:15]
	s_mov_b32 s0, 0xfca7ab0c
	s_mov_b32 s1, 0x3e928af3
	s_delay_alu instid0(VALU_DEP_1) | instid1(SALU_CYCLE_1)
	v_fma_f64 v[16:17], v[14:15], s[14:15], s[0:1]
	s_mov_b32 s0, 0x623fde64
	s_mov_b32 s1, 0x3ec71dee
	s_delay_alu instid0(VALU_DEP_1) | instid1(SALU_CYCLE_1)
	;; [unrolled: 4-line block ×9, first 2 shown]
	v_fma_f64 v[16:17], v[14:15], v[16:17], s[0:1]
	v_cmp_nlt_f64_e64 s0, 0x40900000, v[2:3]
	v_cmp_ngt_f64_e64 s1, 0xc090cc00, v[2:3]
	s_delay_alu instid0(VALU_DEP_3) | instskip(NEXT) | instid1(VALU_DEP_1)
	v_fma_f64 v[16:17], v[14:15], v[16:17], 1.0
	v_fma_f64 v[12:13], v[14:15], v[16:17], 1.0
	s_delay_alu instid0(VALU_DEP_1) | instskip(NEXT) | instid1(VALU_DEP_1)
	v_ldexp_f64 v[12:13], v[12:13], v28
	v_cndmask_b32_e64 v13, 0x7ff00000, v13, s0
	s_and_b32 s0, s1, s0
	s_delay_alu instid0(VALU_DEP_2) | instid1(SALU_CYCLE_1)
	v_cndmask_b32_e64 v2, 0, v12, s0
	s_delay_alu instid0(VALU_DEP_2) | instskip(NEXT) | instid1(VALU_DEP_1)
	v_cndmask_b32_e64 v3, 0, v13, s1
	v_add_f64 v[6:7], v[6:7], v[2:3]
.LBB687_77:
	s_or_b32 exec_lo, exec_lo, s6
.LBB687_78:
	s_delay_alu instid0(SALU_CYCLE_1)
	s_or_b32 exec_lo, exec_lo, s8
	ds_bpermute_b32 v12, v35, v4
	ds_bpermute_b32 v13, v35, v5
	ds_bpermute_b32 v14, v35, v6
	ds_bpermute_b32 v15, v35, v7
	s_waitcnt lgkmcnt(2)
	v_add_f64 v[4:5], v[4:5], v[12:13]
	s_waitcnt lgkmcnt(0)
	v_add_f64 v[6:7], v[6:7], v[14:15]
	ds_bpermute_b32 v12, v36, v4
	ds_bpermute_b32 v13, v36, v5
	ds_bpermute_b32 v14, v36, v6
	ds_bpermute_b32 v15, v36, v7
	s_waitcnt lgkmcnt(2)
	v_add_f64 v[4:5], v[4:5], v[12:13]
	s_waitcnt lgkmcnt(0)
	v_add_f64 v[6:7], v[6:7], v[14:15]
	;; [unrolled: 8-line block ×4, first 2 shown]
	ds_bpermute_b32 v16, v39, v14
	ds_bpermute_b32 v17, v39, v15
	;; [unrolled: 1-line block ×4, first 2 shown]
	s_and_saveexec_b32 s0, vcc_lo
	s_cbranch_execz .LBB687_90
; %bb.79:
	v_add_co_u32 v4, vcc_lo, s12, v10
	v_add_co_ci_u32_e32 v5, vcc_lo, s13, v11, vcc_lo
	s_and_saveexec_b32 s1, s5
	s_cbranch_execz .LBB687_84
; %bb.80:
	s_waitcnt lgkmcnt(2)
	v_add_f64 v[10:11], v[14:15], v[16:17]
	s_delay_alu instid0(VALU_DEP_1) | instskip(SKIP_2) | instid1(VALU_DEP_3)
	v_div_scale_f64 v[14:15], null, v[10:11], v[10:11], v[20:21]
	v_div_scale_f64 v[30:31], vcc_lo, v[20:21], v[10:11], v[20:21]
	v_cmp_eq_f64_e64 s0, 0, v[10:11]
	v_rcp_f64_e32 v[16:17], v[14:15]
	s_waitcnt_depctr 0xfff
	v_fma_f64 v[28:29], -v[14:15], v[16:17], 1.0
	s_delay_alu instid0(VALU_DEP_1) | instskip(NEXT) | instid1(VALU_DEP_1)
	v_fma_f64 v[16:17], v[16:17], v[28:29], v[16:17]
	v_fma_f64 v[28:29], -v[14:15], v[16:17], 1.0
	s_delay_alu instid0(VALU_DEP_1) | instskip(NEXT) | instid1(VALU_DEP_1)
	v_fma_f64 v[16:17], v[16:17], v[28:29], v[16:17]
	v_mul_f64 v[28:29], v[30:31], v[16:17]
	s_delay_alu instid0(VALU_DEP_1) | instskip(NEXT) | instid1(VALU_DEP_1)
	v_fma_f64 v[14:15], -v[14:15], v[28:29], v[30:31]
	v_div_fmas_f64 v[14:15], v[14:15], v[16:17], v[28:29]
	s_delay_alu instid0(VALU_DEP_1) | instskip(NEXT) | instid1(VALU_DEP_1)
	v_div_fixup_f64 v[14:15], v[14:15], v[10:11], v[20:21]
	v_cndmask_b32_e64 v15, v15, 0x7ff80000, s0
	s_delay_alu instid0(VALU_DEP_2)
	v_cndmask_b32_e64 v14, v14, 0, s0
	global_store_b64 v[4:5], v[14:15], off
	s_and_b32 exec_lo, exec_lo, s4
	s_cbranch_execz .LBB687_84
; %bb.81:
	v_div_scale_f64 v[14:15], null, v[10:11], v[10:11], v[0:1]
	v_div_scale_f64 v[28:29], vcc_lo, v[0:1], v[10:11], v[0:1]
	s_delay_alu instid0(VALU_DEP_2) | instskip(SKIP_2) | instid1(VALU_DEP_1)
	v_rcp_f64_e32 v[16:17], v[14:15]
	s_waitcnt_depctr 0xfff
	v_fma_f64 v[20:21], -v[14:15], v[16:17], 1.0
	v_fma_f64 v[16:17], v[16:17], v[20:21], v[16:17]
	s_delay_alu instid0(VALU_DEP_1) | instskip(NEXT) | instid1(VALU_DEP_1)
	v_fma_f64 v[20:21], -v[14:15], v[16:17], 1.0
	v_fma_f64 v[16:17], v[16:17], v[20:21], v[16:17]
	s_delay_alu instid0(VALU_DEP_1) | instskip(NEXT) | instid1(VALU_DEP_1)
	v_mul_f64 v[20:21], v[28:29], v[16:17]
	v_fma_f64 v[14:15], -v[14:15], v[20:21], v[28:29]
	s_delay_alu instid0(VALU_DEP_1) | instskip(NEXT) | instid1(VALU_DEP_1)
	v_div_fmas_f64 v[14:15], v[14:15], v[16:17], v[20:21]
	v_div_fixup_f64 v[0:1], v[14:15], v[10:11], v[0:1]
	s_delay_alu instid0(VALU_DEP_1) | instskip(NEXT) | instid1(VALU_DEP_2)
	v_cndmask_b32_e64 v1, v1, 0x7ff80000, s0
	v_cndmask_b32_e64 v0, v0, 0, s0
	global_store_b64 v[4:5], v[0:1], off offset:256
	s_and_b32 exec_lo, exec_lo, s3
	s_cbranch_execz .LBB687_84
; %bb.82:
	v_div_scale_f64 v[0:1], null, v[10:11], v[10:11], v[26:27]
	v_div_scale_f64 v[20:21], vcc_lo, v[26:27], v[10:11], v[26:27]
	s_delay_alu instid0(VALU_DEP_2) | instskip(SKIP_2) | instid1(VALU_DEP_1)
	v_rcp_f64_e32 v[14:15], v[0:1]
	s_waitcnt_depctr 0xfff
	v_fma_f64 v[16:17], -v[0:1], v[14:15], 1.0
	v_fma_f64 v[14:15], v[14:15], v[16:17], v[14:15]
	s_delay_alu instid0(VALU_DEP_1) | instskip(NEXT) | instid1(VALU_DEP_1)
	v_fma_f64 v[16:17], -v[0:1], v[14:15], 1.0
	v_fma_f64 v[14:15], v[14:15], v[16:17], v[14:15]
	s_delay_alu instid0(VALU_DEP_1) | instskip(NEXT) | instid1(VALU_DEP_1)
	v_mul_f64 v[16:17], v[20:21], v[14:15]
	v_fma_f64 v[0:1], -v[0:1], v[16:17], v[20:21]
	s_delay_alu instid0(VALU_DEP_1) | instskip(NEXT) | instid1(VALU_DEP_1)
	v_div_fmas_f64 v[0:1], v[0:1], v[14:15], v[16:17]
	v_div_fixup_f64 v[0:1], v[0:1], v[10:11], v[26:27]
	s_delay_alu instid0(VALU_DEP_1) | instskip(NEXT) | instid1(VALU_DEP_2)
	v_cndmask_b32_e64 v1, v1, 0x7ff80000, s0
	v_cndmask_b32_e64 v0, v0, 0, s0
	global_store_b64 v[4:5], v[0:1], off offset:512
	;; [unrolled: 23-line block ×3, first 2 shown]
.LBB687_84:
	s_or_b32 exec_lo, exec_lo, s1
	v_cmp_ne_u32_e32 vcc_lo, 1, v34
	s_and_b32 exec_lo, exec_lo, vcc_lo
	s_cbranch_execz .LBB687_90
; %bb.85:
	s_and_b32 exec_lo, exec_lo, s5
	s_cbranch_execz .LBB687_90
; %bb.86:
	s_waitcnt lgkmcnt(0)
	v_add_f64 v[0:1], v[6:7], v[12:13]
	s_ashr_i32 s11, s10, 31
	s_delay_alu instid0(SALU_CYCLE_1) | instskip(NEXT) | instid1(VALU_DEP_1)
	s_lshl_b64 s[6:7], s[10:11], 3
	v_div_scale_f64 v[6:7], null, v[0:1], v[0:1], v[24:25]
	v_div_scale_f64 v[12:13], vcc_lo, v[24:25], v[0:1], v[24:25]
	v_cmp_eq_f64_e64 s0, 0, v[0:1]
	s_delay_alu instid0(VALU_DEP_3) | instskip(SKIP_2) | instid1(VALU_DEP_1)
	v_rcp_f64_e32 v[8:9], v[6:7]
	s_waitcnt_depctr 0xfff
	v_fma_f64 v[10:11], -v[6:7], v[8:9], 1.0
	v_fma_f64 v[8:9], v[8:9], v[10:11], v[8:9]
	s_delay_alu instid0(VALU_DEP_1) | instskip(NEXT) | instid1(VALU_DEP_1)
	v_fma_f64 v[10:11], -v[6:7], v[8:9], 1.0
	v_fma_f64 v[8:9], v[8:9], v[10:11], v[8:9]
	s_delay_alu instid0(VALU_DEP_1) | instskip(NEXT) | instid1(VALU_DEP_1)
	v_mul_f64 v[10:11], v[12:13], v[8:9]
	v_fma_f64 v[6:7], -v[6:7], v[10:11], v[12:13]
	s_delay_alu instid0(VALU_DEP_1) | instskip(SKIP_2) | instid1(VALU_DEP_3)
	v_div_fmas_f64 v[6:7], v[6:7], v[8:9], v[10:11]
	v_add_co_u32 v4, vcc_lo, v4, s6
	v_add_co_ci_u32_e32 v5, vcc_lo, s7, v5, vcc_lo
	v_div_fixup_f64 v[6:7], v[6:7], v[0:1], v[24:25]
	s_delay_alu instid0(VALU_DEP_1) | instskip(NEXT) | instid1(VALU_DEP_2)
	v_cndmask_b32_e64 v7, v7, 0x7ff80000, s0
	v_cndmask_b32_e64 v6, v6, 0, s0
	global_store_b64 v[4:5], v[6:7], off
	s_and_b32 exec_lo, exec_lo, s4
	s_cbranch_execz .LBB687_90
; %bb.87:
	v_div_scale_f64 v[6:7], null, v[0:1], v[0:1], v[22:23]
	v_div_scale_f64 v[12:13], vcc_lo, v[22:23], v[0:1], v[22:23]
	s_delay_alu instid0(VALU_DEP_2) | instskip(SKIP_2) | instid1(VALU_DEP_1)
	v_rcp_f64_e32 v[8:9], v[6:7]
	s_waitcnt_depctr 0xfff
	v_fma_f64 v[10:11], -v[6:7], v[8:9], 1.0
	v_fma_f64 v[8:9], v[8:9], v[10:11], v[8:9]
	s_delay_alu instid0(VALU_DEP_1) | instskip(NEXT) | instid1(VALU_DEP_1)
	v_fma_f64 v[10:11], -v[6:7], v[8:9], 1.0
	v_fma_f64 v[8:9], v[8:9], v[10:11], v[8:9]
	s_delay_alu instid0(VALU_DEP_1) | instskip(NEXT) | instid1(VALU_DEP_1)
	v_mul_f64 v[10:11], v[12:13], v[8:9]
	v_fma_f64 v[6:7], -v[6:7], v[10:11], v[12:13]
	s_delay_alu instid0(VALU_DEP_1) | instskip(NEXT) | instid1(VALU_DEP_1)
	v_div_fmas_f64 v[6:7], v[6:7], v[8:9], v[10:11]
	v_div_fixup_f64 v[6:7], v[6:7], v[0:1], v[22:23]
	s_delay_alu instid0(VALU_DEP_1) | instskip(NEXT) | instid1(VALU_DEP_2)
	v_cndmask_b32_e64 v7, v7, 0x7ff80000, s0
	v_cndmask_b32_e64 v6, v6, 0, s0
	global_store_b64 v[4:5], v[6:7], off offset:256
	s_and_b32 exec_lo, exec_lo, s3
	s_cbranch_execz .LBB687_90
; %bb.88:
	v_div_scale_f64 v[6:7], null, v[0:1], v[0:1], v[18:19]
	v_div_scale_f64 v[12:13], vcc_lo, v[18:19], v[0:1], v[18:19]
	s_delay_alu instid0(VALU_DEP_2) | instskip(SKIP_2) | instid1(VALU_DEP_1)
	v_rcp_f64_e32 v[8:9], v[6:7]
	s_waitcnt_depctr 0xfff
	v_fma_f64 v[10:11], -v[6:7], v[8:9], 1.0
	v_fma_f64 v[8:9], v[8:9], v[10:11], v[8:9]
	s_delay_alu instid0(VALU_DEP_1) | instskip(NEXT) | instid1(VALU_DEP_1)
	v_fma_f64 v[10:11], -v[6:7], v[8:9], 1.0
	v_fma_f64 v[8:9], v[8:9], v[10:11], v[8:9]
	s_delay_alu instid0(VALU_DEP_1) | instskip(NEXT) | instid1(VALU_DEP_1)
	v_mul_f64 v[10:11], v[12:13], v[8:9]
	v_fma_f64 v[6:7], -v[6:7], v[10:11], v[12:13]
	s_delay_alu instid0(VALU_DEP_1) | instskip(NEXT) | instid1(VALU_DEP_1)
	v_div_fmas_f64 v[6:7], v[6:7], v[8:9], v[10:11]
	v_div_fixup_f64 v[6:7], v[6:7], v[0:1], v[18:19]
	s_delay_alu instid0(VALU_DEP_1) | instskip(NEXT) | instid1(VALU_DEP_2)
	v_cndmask_b32_e64 v7, v7, 0x7ff80000, s0
	v_cndmask_b32_e64 v6, v6, 0, s0
	global_store_b64 v[4:5], v[6:7], off offset:512
	;; [unrolled: 23-line block ×3, first 2 shown]
.LBB687_90:
	s_nop 0
	s_sendmsg sendmsg(MSG_DEALLOC_VGPRS)
	s_endpgm
	.section	.rodata,"a",@progbits
	.p2align	6, 0x0
	.amdhsa_kernel _ZN12_GLOBAL__N_120softmax_warp_forwardIdddLi7ELb0ELb1ELi32EEEvPT0_PKT_iiiPKbib
		.amdhsa_group_segment_fixed_size 0
		.amdhsa_private_segment_fixed_size 0
		.amdhsa_kernarg_size 304
		.amdhsa_user_sgpr_count 15
		.amdhsa_user_sgpr_dispatch_ptr 0
		.amdhsa_user_sgpr_queue_ptr 0
		.amdhsa_user_sgpr_kernarg_segment_ptr 1
		.amdhsa_user_sgpr_dispatch_id 0
		.amdhsa_user_sgpr_private_segment_size 0
		.amdhsa_wavefront_size32 1
		.amdhsa_uses_dynamic_stack 0
		.amdhsa_enable_private_segment 0
		.amdhsa_system_sgpr_workgroup_id_x 1
		.amdhsa_system_sgpr_workgroup_id_y 0
		.amdhsa_system_sgpr_workgroup_id_z 0
		.amdhsa_system_sgpr_workgroup_info 0
		.amdhsa_system_vgpr_workitem_id 1
		.amdhsa_next_free_vgpr 45
		.amdhsa_next_free_sgpr 23
		.amdhsa_reserve_vcc 1
		.amdhsa_float_round_mode_32 0
		.amdhsa_float_round_mode_16_64 0
		.amdhsa_float_denorm_mode_32 3
		.amdhsa_float_denorm_mode_16_64 3
		.amdhsa_dx10_clamp 1
		.amdhsa_ieee_mode 1
		.amdhsa_fp16_overflow 0
		.amdhsa_workgroup_processor_mode 1
		.amdhsa_memory_ordered 1
		.amdhsa_forward_progress 0
		.amdhsa_shared_vgpr_count 0
		.amdhsa_exception_fp_ieee_invalid_op 0
		.amdhsa_exception_fp_denorm_src 0
		.amdhsa_exception_fp_ieee_div_zero 0
		.amdhsa_exception_fp_ieee_overflow 0
		.amdhsa_exception_fp_ieee_underflow 0
		.amdhsa_exception_fp_ieee_inexact 0
		.amdhsa_exception_int_div_zero 0
	.end_amdhsa_kernel
	.section	.text._ZN12_GLOBAL__N_120softmax_warp_forwardIdddLi7ELb0ELb1ELi32EEEvPT0_PKT_iiiPKbib,"axG",@progbits,_ZN12_GLOBAL__N_120softmax_warp_forwardIdddLi7ELb0ELb1ELi32EEEvPT0_PKT_iiiPKbib,comdat
.Lfunc_end687:
	.size	_ZN12_GLOBAL__N_120softmax_warp_forwardIdddLi7ELb0ELb1ELi32EEEvPT0_PKT_iiiPKbib, .Lfunc_end687-_ZN12_GLOBAL__N_120softmax_warp_forwardIdddLi7ELb0ELb1ELi32EEEvPT0_PKT_iiiPKbib
                                        ; -- End function
	.section	.AMDGPU.csdata,"",@progbits
; Kernel info:
; codeLenInByte = 8564
; NumSgprs: 25
; NumVgprs: 45
; ScratchSize: 0
; MemoryBound: 0
; FloatMode: 240
; IeeeMode: 1
; LDSByteSize: 0 bytes/workgroup (compile time only)
; SGPRBlocks: 3
; VGPRBlocks: 5
; NumSGPRsForWavesPerEU: 25
; NumVGPRsForWavesPerEU: 45
; Occupancy: 16
; WaveLimiterHint : 0
; COMPUTE_PGM_RSRC2:SCRATCH_EN: 0
; COMPUTE_PGM_RSRC2:USER_SGPR: 15
; COMPUTE_PGM_RSRC2:TRAP_HANDLER: 0
; COMPUTE_PGM_RSRC2:TGID_X_EN: 1
; COMPUTE_PGM_RSRC2:TGID_Y_EN: 0
; COMPUTE_PGM_RSRC2:TGID_Z_EN: 0
; COMPUTE_PGM_RSRC2:TIDIG_COMP_CNT: 1
	.section	.text._ZN12_GLOBAL__N_120softmax_warp_forwardIdddLi8ELb0ELb1ELi64EEEvPT0_PKT_iiiPKbib,"axG",@progbits,_ZN12_GLOBAL__N_120softmax_warp_forwardIdddLi8ELb0ELb1ELi64EEEvPT0_PKT_iiiPKbib,comdat
	.globl	_ZN12_GLOBAL__N_120softmax_warp_forwardIdddLi8ELb0ELb1ELi64EEEvPT0_PKT_iiiPKbib ; -- Begin function _ZN12_GLOBAL__N_120softmax_warp_forwardIdddLi8ELb0ELb1ELi64EEEvPT0_PKT_iiiPKbib
	.p2align	8
	.type	_ZN12_GLOBAL__N_120softmax_warp_forwardIdddLi8ELb0ELb1ELi64EEEvPT0_PKT_iiiPKbib,@function
_ZN12_GLOBAL__N_120softmax_warp_forwardIdddLi8ELb0ELb1ELi64EEEvPT0_PKT_iiiPKbib: ; @_ZN12_GLOBAL__N_120softmax_warp_forwardIdddLi8ELb0ELb1ELi64EEEvPT0_PKT_iiiPKbib
; %bb.0:
	s_clause 0x1
	s_load_b32 s2, s[0:1], 0x3c
	s_load_b128 s[4:7], s[0:1], 0x10
	v_bfe_u32 v3, v0, 10, 10
	s_waitcnt lgkmcnt(0)
	s_lshr_b32 s2, s2, 16
	s_delay_alu instid0(VALU_DEP_1) | instid1(SALU_CYCLE_1)
	v_mad_u64_u32 v[1:2], null, s15, s2, v[3:4]
	s_load_b64 s[2:3], s[0:1], 0x28
	v_and_b32_e32 v4, 0x3ff, v0
	s_delay_alu instid0(VALU_DEP_2) | instskip(NEXT) | instid1(VALU_DEP_1)
	v_mul_lo_u32 v5, v1, s5
	v_add_nc_u32_e32 v2, v5, v4
	s_delay_alu instid0(VALU_DEP_1) | instskip(SKIP_2) | instid1(VALU_DEP_1)
	v_ashrrev_i32_e32 v3, 31, v2
	s_waitcnt lgkmcnt(0)
	s_bitcmp0_b32 s3, 0
	v_dual_mov_b32 v9, v3 :: v_dual_mov_b32 v8, v2
	s_cbranch_scc1 .LBB688_2
; %bb.1:
	s_abs_i32 s3, s2
	v_sub_nc_u32_e32 v7, 0, v5
	v_cvt_f32_u32_e32 v0, s3
	s_sub_i32 s7, 0, s3
	s_delay_alu instid0(VALU_DEP_2) | instskip(NEXT) | instid1(VALU_DEP_2)
	v_max_i32_e32 v7, v5, v7
	v_rcp_iflag_f32_e32 v0, v0
	v_xor_b32_e32 v5, s2, v5
	s_delay_alu instid0(VALU_DEP_1) | instskip(SKIP_2) | instid1(VALU_DEP_1)
	v_ashrrev_i32_e32 v5, 31, v5
	s_waitcnt_depctr 0xfff
	v_mul_f32_e32 v0, 0x4f7ffffe, v0
	v_cvt_u32_f32_e32 v0, v0
	s_delay_alu instid0(VALU_DEP_1) | instskip(NEXT) | instid1(VALU_DEP_1)
	v_mul_lo_u32 v6, s7, v0
	v_mul_hi_u32 v6, v0, v6
	s_delay_alu instid0(VALU_DEP_1) | instskip(NEXT) | instid1(VALU_DEP_1)
	v_add_nc_u32_e32 v0, v0, v6
	v_mul_hi_u32 v0, v7, v0
	s_delay_alu instid0(VALU_DEP_1) | instskip(NEXT) | instid1(VALU_DEP_1)
	v_mul_lo_u32 v6, v0, s3
	v_sub_nc_u32_e32 v6, v7, v6
	v_add_nc_u32_e32 v7, 1, v0
	s_delay_alu instid0(VALU_DEP_2) | instskip(SKIP_1) | instid1(VALU_DEP_3)
	v_subrev_nc_u32_e32 v8, s3, v6
	v_cmp_le_u32_e32 vcc_lo, s3, v6
	v_cndmask_b32_e32 v0, v0, v7, vcc_lo
	s_delay_alu instid0(VALU_DEP_3) | instskip(NEXT) | instid1(VALU_DEP_2)
	v_cndmask_b32_e32 v6, v6, v8, vcc_lo
	v_add_nc_u32_e32 v7, 1, v0
	s_delay_alu instid0(VALU_DEP_2) | instskip(NEXT) | instid1(VALU_DEP_2)
	v_cmp_le_u32_e32 vcc_lo, s3, v6
	v_cndmask_b32_e32 v0, v0, v7, vcc_lo
	s_delay_alu instid0(VALU_DEP_1) | instskip(NEXT) | instid1(VALU_DEP_1)
	v_xor_b32_e32 v0, v0, v5
	v_sub_nc_u32_e32 v0, v0, v5
	s_delay_alu instid0(VALU_DEP_1) | instskip(NEXT) | instid1(VALU_DEP_1)
	v_mad_u64_u32 v[8:9], null, v0, s5, v[4:5]
	v_ashrrev_i32_e32 v9, 31, v8
.LBB688_2:
	s_load_b128 s[8:11], s[0:1], 0x0
	v_sub_nc_u32_e32 v20, s4, v1
	v_lshlrev_b64 v[0:1], 3, v[2:3]
	v_mov_b32_e32 v12, 0
	v_mov_b32_e32 v13, 0xfff00000
	v_cmp_gt_i32_e32 vcc_lo, s6, v4
	v_cmp_lt_i32_e64 s5, 0, v20
	s_delay_alu instid0(VALU_DEP_3) | instskip(SKIP_2) | instid1(VALU_DEP_1)
	v_dual_mov_b32 v19, v13 :: v_dual_mov_b32 v18, v12
	s_waitcnt lgkmcnt(0)
	v_add_co_u32 v10, s2, s10, v0
	v_add_co_ci_u32_e64 v11, s2, s11, v1, s2
	s_and_b32 s11, s5, vcc_lo
	s_delay_alu instid0(SALU_CYCLE_1)
	s_and_saveexec_b32 s2, s11
	s_cbranch_execz .LBB688_4
; %bb.3:
	global_load_b64 v[18:19], v[10:11], off
.LBB688_4:
	s_or_b32 exec_lo, exec_lo, s2
	v_add_nc_u32_e32 v2, 64, v4
	s_delay_alu instid0(VALU_DEP_1) | instskip(NEXT) | instid1(VALU_DEP_1)
	v_cmp_gt_i32_e64 s4, s6, v2
	s_and_b32 s10, s5, s4
	s_delay_alu instid0(SALU_CYCLE_1)
	s_and_saveexec_b32 s2, s10
	s_cbranch_execz .LBB688_6
; %bb.5:
	global_load_b64 v[12:13], v[10:11], off offset:512
.LBB688_6:
	s_or_b32 exec_lo, exec_lo, s2
	v_dual_mov_b32 v2, 0 :: v_dual_add_nc_u32 v5, 0x80, v4
	v_mov_b32_e32 v3, 0xfff00000
	s_delay_alu instid0(VALU_DEP_2) | instskip(NEXT) | instid1(VALU_DEP_2)
	v_cmp_gt_i32_e64 s3, s6, v5
	v_dual_mov_b32 v7, v3 :: v_dual_mov_b32 v6, v2
	s_delay_alu instid0(VALU_DEP_2) | instskip(NEXT) | instid1(SALU_CYCLE_1)
	s_and_b32 s7, s5, s3
	s_and_saveexec_b32 s2, s7
	s_cbranch_execz .LBB688_8
; %bb.7:
	global_load_b64 v[6:7], v[10:11], off offset:1024
.LBB688_8:
	s_or_b32 exec_lo, exec_lo, s2
	v_add_nc_u32_e32 v4, 0xc0, v4
	s_delay_alu instid0(VALU_DEP_1) | instskip(NEXT) | instid1(VALU_DEP_1)
	v_cmp_gt_i32_e64 s2, s6, v4
	s_and_b32 s5, s5, s2
	s_delay_alu instid0(SALU_CYCLE_1)
	s_and_saveexec_b32 s6, s5
	s_cbranch_execz .LBB688_10
; %bb.9:
	global_load_b64 v[2:3], v[10:11], off offset:1536
.LBB688_10:
	s_or_b32 exec_lo, exec_lo, s6
	s_load_b64 s[0:1], s[0:1], 0x20
	s_waitcnt lgkmcnt(0)
	v_add_co_u32 v4, s0, s0, v8
	s_delay_alu instid0(VALU_DEP_1)
	v_add_co_ci_u32_e64 v5, s0, s1, v9, s0
	s_mov_b32 s1, 0
	s_and_saveexec_b32 s6, s11
	s_cbranch_execz .LBB688_12
; %bb.11:
	global_load_u8 v8, v[4:5], off
	s_waitcnt vmcnt(0)
	v_and_b32_e32 v8, 1, v8
	s_delay_alu instid0(VALU_DEP_1) | instskip(NEXT) | instid1(VALU_DEP_1)
	v_cmp_eq_u32_e64 s0, 1, v8
	s_xor_b32 s0, s0, -1
	s_delay_alu instid0(SALU_CYCLE_1)
	s_and_b32 s1, s0, exec_lo
.LBB688_12:
	s_or_b32 exec_lo, exec_lo, s6
	s_waitcnt vmcnt(0)
	v_dual_mov_b32 v8, v18 :: v_dual_mov_b32 v9, v19
	s_and_saveexec_b32 s6, s10
	s_cbranch_execnz .LBB688_15
; %bb.13:
	s_or_b32 exec_lo, exec_lo, s6
	s_and_saveexec_b32 s6, s7
	s_cbranch_execnz .LBB688_18
.LBB688_14:
	s_or_b32 exec_lo, exec_lo, s6
	s_and_saveexec_b32 s6, s5
	s_cbranch_execnz .LBB688_21
	s_branch .LBB688_24
.LBB688_15:
	global_load_u8 v8, v[4:5], off offset:64
	s_waitcnt vmcnt(0)
	v_and_b32_e32 v8, 1, v8
	s_delay_alu instid0(VALU_DEP_1) | instskip(SKIP_1) | instid1(VALU_DEP_2)
	v_cmp_eq_u32_e64 s0, 1, v8
	v_dual_mov_b32 v8, v18 :: v_dual_mov_b32 v9, v19
	s_xor_b32 s13, s0, -1
	s_mov_b32 s0, s1
	s_and_saveexec_b32 s12, s13
; %bb.16:
	v_cmp_gt_f64_e64 s0, v[18:19], v[12:13]
	s_delay_alu instid0(VALU_DEP_1) | instskip(NEXT) | instid1(SALU_CYCLE_1)
	s_and_b32 s0, s1, s0
	v_cndmask_b32_e64 v9, v13, v19, s0
	v_cndmask_b32_e64 v8, v12, v18, s0
	s_or_b32 s0, s1, exec_lo
; %bb.17:
	s_or_b32 exec_lo, exec_lo, s12
	s_delay_alu instid0(SALU_CYCLE_1) | instskip(SKIP_1) | instid1(SALU_CYCLE_1)
	s_and_not1_b32 s1, s1, exec_lo
	s_and_b32 s0, s0, exec_lo
	s_or_b32 s1, s1, s0
	s_or_b32 exec_lo, exec_lo, s6
	s_and_saveexec_b32 s6, s7
	s_cbranch_execz .LBB688_14
.LBB688_18:
	global_load_u8 v10, v[4:5], off offset:128
	s_waitcnt vmcnt(0)
	v_and_b32_e32 v10, 1, v10
	s_delay_alu instid0(VALU_DEP_1) | instskip(NEXT) | instid1(VALU_DEP_1)
	v_cmp_eq_u32_e64 s0, 1, v10
	s_xor_b32 s13, s0, -1
	s_mov_b32 s0, s1
	s_and_saveexec_b32 s12, s13
; %bb.19:
	v_cmp_gt_f64_e64 s0, v[8:9], v[6:7]
	s_delay_alu instid0(VALU_DEP_1) | instskip(NEXT) | instid1(SALU_CYCLE_1)
	s_and_b32 s0, s1, s0
	v_cndmask_b32_e64 v9, v7, v9, s0
	v_cndmask_b32_e64 v8, v6, v8, s0
	s_or_b32 s0, s1, exec_lo
; %bb.20:
	s_or_b32 exec_lo, exec_lo, s12
	s_delay_alu instid0(SALU_CYCLE_1) | instskip(SKIP_1) | instid1(SALU_CYCLE_1)
	s_and_not1_b32 s1, s1, exec_lo
	s_and_b32 s0, s0, exec_lo
	s_or_b32 s1, s1, s0
	s_or_b32 exec_lo, exec_lo, s6
	s_and_saveexec_b32 s6, s5
	s_cbranch_execz .LBB688_24
.LBB688_21:
	global_load_u8 v10, v[4:5], off offset:192
	s_waitcnt vmcnt(0)
	v_and_b32_e32 v10, 1, v10
	s_delay_alu instid0(VALU_DEP_1) | instskip(NEXT) | instid1(VALU_DEP_1)
	v_cmp_eq_u32_e64 s0, 1, v10
	s_xor_b32 s13, s0, -1
	s_mov_b32 s0, s1
	s_and_saveexec_b32 s12, s13
; %bb.22:
	v_cmp_gt_f64_e64 s0, v[8:9], v[2:3]
	s_delay_alu instid0(VALU_DEP_1) | instskip(NEXT) | instid1(SALU_CYCLE_1)
	s_and_b32 s0, s1, s0
	v_cndmask_b32_e64 v9, v3, v9, s0
	v_cndmask_b32_e64 v8, v2, v8, s0
	s_or_b32 s0, s1, exec_lo
; %bb.23:
	s_or_b32 exec_lo, exec_lo, s12
	s_delay_alu instid0(SALU_CYCLE_1) | instskip(SKIP_1) | instid1(SALU_CYCLE_1)
	s_and_not1_b32 s1, s1, exec_lo
	s_and_b32 s0, s0, exec_lo
	s_or_b32 s1, s1, s0
.LBB688_24:
	s_or_b32 exec_lo, exec_lo, s6
	v_mbcnt_lo_u32_b32 v14, -1, 0
	v_cndmask_b32_e64 v8, 0, v8, s1
	v_cndmask_b32_e64 v9, 0xfff00000, v9, s1
	s_delay_alu instid0(VALU_DEP_3) | instskip(SKIP_1) | instid1(VALU_DEP_2)
	v_or_b32_e32 v10, 32, v14
	v_xor_b32_e32 v15, 16, v14
	v_cmp_gt_i32_e64 s0, 64, v10
	s_delay_alu instid0(VALU_DEP_2) | instskip(NEXT) | instid1(VALU_DEP_2)
	v_cmp_gt_i32_e64 s1, 64, v15
	v_cndmask_b32_e64 v10, v14, v10, s0
	s_delay_alu instid0(VALU_DEP_2) | instskip(NEXT) | instid1(VALU_DEP_2)
	v_cndmask_b32_e64 v15, v14, v15, s1
	v_lshlrev_b32_e32 v21, 2, v10
	s_delay_alu instid0(VALU_DEP_2) | instskip(SKIP_4) | instid1(VALU_DEP_1)
	v_lshlrev_b32_e32 v22, 2, v15
	v_xor_b32_e32 v15, 8, v14
	ds_bpermute_b32 v10, v21, v8
	ds_bpermute_b32 v11, v21, v9
	v_cmp_gt_i32_e64 s1, 64, v15
	v_cndmask_b32_e64 v15, v14, v15, s1
	s_delay_alu instid0(VALU_DEP_1) | instskip(SKIP_1) | instid1(VALU_DEP_1)
	v_lshlrev_b32_e32 v23, 2, v15
	v_xor_b32_e32 v15, 4, v14
	v_cmp_gt_i32_e64 s1, 64, v15
	s_waitcnt lgkmcnt(0)
	v_cmp_lt_f64_e64 s0, v[8:9], v[10:11]
	s_delay_alu instid0(VALU_DEP_2) | instskip(NEXT) | instid1(VALU_DEP_1)
	v_cndmask_b32_e64 v15, v14, v15, s1
	v_lshlrev_b32_e32 v24, 2, v15
	v_xor_b32_e32 v15, 2, v14
	s_delay_alu instid0(VALU_DEP_1) | instskip(NEXT) | instid1(VALU_DEP_1)
	v_cmp_gt_i32_e64 s1, 64, v15
	v_cndmask_b32_e64 v15, v14, v15, s1
	s_delay_alu instid0(VALU_DEP_1) | instskip(SKIP_1) | instid1(VALU_DEP_1)
	v_lshlrev_b32_e32 v25, 2, v15
	v_xor_b32_e32 v15, 1, v14
	v_cmp_gt_i32_e64 s1, 64, v15
	s_delay_alu instid0(VALU_DEP_1) | instskip(SKIP_2) | instid1(VALU_DEP_3)
	v_cndmask_b32_e64 v14, v14, v15, s1
	v_cndmask_b32_e64 v9, v9, v11, s0
	;; [unrolled: 1-line block ×3, first 2 shown]
	v_lshlrev_b32_e32 v26, 2, v14
	ds_bpermute_b32 v11, v22, v9
	ds_bpermute_b32 v10, v22, v8
	s_waitcnt lgkmcnt(0)
	v_cmp_lt_f64_e64 s0, v[8:9], v[10:11]
	s_delay_alu instid0(VALU_DEP_1)
	v_cndmask_b32_e64 v9, v9, v11, s0
	v_cndmask_b32_e64 v8, v8, v10, s0
	ds_bpermute_b32 v11, v23, v9
	ds_bpermute_b32 v10, v23, v8
	s_waitcnt lgkmcnt(0)
	v_cmp_lt_f64_e64 s0, v[8:9], v[10:11]
	s_delay_alu instid0(VALU_DEP_1)
	v_cndmask_b32_e64 v9, v9, v11, s0
	v_cndmask_b32_e64 v8, v8, v10, s0
	ds_bpermute_b32 v11, v24, v9
	ds_bpermute_b32 v10, v24, v8
	s_waitcnt lgkmcnt(0)
	v_cmp_lt_f64_e64 s0, v[8:9], v[10:11]
	s_delay_alu instid0(VALU_DEP_1)
	v_cndmask_b32_e64 v9, v9, v11, s0
	v_cndmask_b32_e64 v8, v8, v10, s0
	ds_bpermute_b32 v11, v25, v9
	ds_bpermute_b32 v10, v25, v8
	s_waitcnt lgkmcnt(0)
	v_cmp_lt_f64_e64 s0, v[8:9], v[10:11]
	s_delay_alu instid0(VALU_DEP_1)
	v_cndmask_b32_e64 v15, v9, v11, s0
	v_cndmask_b32_e64 v14, v8, v10, s0
	v_mov_b32_e32 v8, 0
	v_mov_b32_e32 v9, 0
	ds_bpermute_b32 v17, v26, v15
	ds_bpermute_b32 v16, v26, v14
	v_dual_mov_b32 v11, v9 :: v_dual_mov_b32 v10, v8
	s_waitcnt lgkmcnt(0)
	v_cmp_lt_f64_e64 s0, v[14:15], v[16:17]
	s_delay_alu instid0(VALU_DEP_1)
	v_cndmask_b32_e64 v17, v15, v17, s0
	v_cndmask_b32_e64 v16, v14, v16, s0
	v_dual_mov_b32 v15, v9 :: v_dual_mov_b32 v14, v8
	s_and_saveexec_b32 s6, s11
	s_cbranch_execz .LBB688_28
; %bb.25:
	global_load_u8 v10, v[4:5], off
	v_mov_b32_e32 v14, 0
	s_waitcnt vmcnt(0)
	v_dual_mov_b32 v15, 0 :: v_dual_and_b32 v10, 1, v10
	s_delay_alu instid0(VALU_DEP_1) | instskip(NEXT) | instid1(VALU_DEP_2)
	v_cmp_eq_u32_e64 s0, 1, v10
	v_dual_mov_b32 v10, v14 :: v_dual_mov_b32 v11, v15
	s_delay_alu instid0(VALU_DEP_2) | instskip(NEXT) | instid1(SALU_CYCLE_1)
	s_xor_b32 s0, s0, -1
	s_and_saveexec_b32 s11, s0
	s_cbranch_execz .LBB688_27
; %bb.26:
	v_add_f64 v[10:11], v[18:19], -v[16:17]
	s_mov_b32 s0, 0x652b82fe
	s_mov_b32 s1, 0x3ff71547
	;; [unrolled: 1-line block ×4, first 2 shown]
	s_delay_alu instid0(VALU_DEP_1) | instskip(SKIP_2) | instid1(VALU_DEP_1)
	v_mul_f64 v[14:15], v[10:11], s[0:1]
	s_mov_b32 s0, 0xfefa39ef
	s_mov_b32 s1, 0xbfe62e42
	v_rndne_f64_e32 v[14:15], v[14:15]
	s_delay_alu instid0(VALU_DEP_1) | instskip(SKIP_3) | instid1(VALU_DEP_2)
	v_fma_f64 v[18:19], v[14:15], s[0:1], v[10:11]
	s_mov_b32 s0, 0x3b39803f
	s_mov_b32 s1, 0xbc7abc9e
	v_cvt_i32_f64_e32 v29, v[14:15]
	v_fma_f64 v[18:19], v[14:15], s[0:1], v[18:19]
	s_mov_b32 s0, 0xfca7ab0c
	s_mov_b32 s1, 0x3e928af3
	s_delay_alu instid0(VALU_DEP_1) | instid1(SALU_CYCLE_1)
	v_fma_f64 v[27:28], v[18:19], s[12:13], s[0:1]
	s_mov_b32 s0, 0x623fde64
	s_mov_b32 s1, 0x3ec71dee
	s_delay_alu instid0(VALU_DEP_1) | instid1(SALU_CYCLE_1)
	;; [unrolled: 4-line block ×9, first 2 shown]
	v_fma_f64 v[27:28], v[18:19], v[27:28], s[0:1]
	v_cmp_nlt_f64_e64 s0, 0x40900000, v[10:11]
	v_cmp_ngt_f64_e64 s1, 0xc090cc00, v[10:11]
	s_delay_alu instid0(VALU_DEP_3) | instskip(NEXT) | instid1(VALU_DEP_1)
	v_fma_f64 v[27:28], v[18:19], v[27:28], 1.0
	v_fma_f64 v[14:15], v[18:19], v[27:28], 1.0
	s_delay_alu instid0(VALU_DEP_1) | instskip(NEXT) | instid1(VALU_DEP_1)
	v_ldexp_f64 v[14:15], v[14:15], v29
	v_cndmask_b32_e64 v15, 0x7ff00000, v15, s0
	s_and_b32 s0, s1, s0
	s_delay_alu instid0(VALU_DEP_2) | instid1(SALU_CYCLE_1)
	v_cndmask_b32_e64 v10, 0, v14, s0
	s_delay_alu instid0(VALU_DEP_2) | instskip(NEXT) | instid1(VALU_DEP_1)
	v_cndmask_b32_e64 v11, 0, v15, s1
	v_add_f64 v[14:15], v[10:11], 0
.LBB688_27:
	s_or_b32 exec_lo, exec_lo, s11
.LBB688_28:
	s_delay_alu instid0(SALU_CYCLE_1)
	s_or_b32 exec_lo, exec_lo, s6
	v_dual_mov_b32 v19, v9 :: v_dual_mov_b32 v18, v8
	s_and_saveexec_b32 s6, s10
	s_cbranch_execz .LBB688_32
; %bb.29:
	global_load_u8 v18, v[4:5], off offset:64
	s_waitcnt vmcnt(0)
	v_and_b32_e32 v18, 1, v18
	s_delay_alu instid0(VALU_DEP_1) | instskip(SKIP_2) | instid1(VALU_DEP_3)
	v_cmp_eq_u32_e64 s0, 1, v18
	v_mov_b32_e32 v18, 0
	v_mov_b32_e32 v19, 0
	s_xor_b32 s0, s0, -1
	s_delay_alu instid0(SALU_CYCLE_1)
	s_and_saveexec_b32 s10, s0
	s_cbranch_execz .LBB688_31
; %bb.30:
	v_add_f64 v[12:13], v[12:13], -v[16:17]
	s_mov_b32 s0, 0x652b82fe
	s_mov_b32 s1, 0x3ff71547
	s_mov_b32 s12, 0x6a5dcb37
	s_mov_b32 s13, 0x3e5ade15
	s_delay_alu instid0(VALU_DEP_1) | instskip(SKIP_2) | instid1(VALU_DEP_1)
	v_mul_f64 v[18:19], v[12:13], s[0:1]
	s_mov_b32 s0, 0xfefa39ef
	s_mov_b32 s1, 0xbfe62e42
	v_rndne_f64_e32 v[18:19], v[18:19]
	s_delay_alu instid0(VALU_DEP_1) | instskip(SKIP_3) | instid1(VALU_DEP_2)
	v_fma_f64 v[27:28], v[18:19], s[0:1], v[12:13]
	s_mov_b32 s0, 0x3b39803f
	s_mov_b32 s1, 0xbc7abc9e
	v_cvt_i32_f64_e32 v31, v[18:19]
	v_fma_f64 v[27:28], v[18:19], s[0:1], v[27:28]
	s_mov_b32 s0, 0xfca7ab0c
	s_mov_b32 s1, 0x3e928af3
	s_delay_alu instid0(VALU_DEP_1) | instid1(SALU_CYCLE_1)
	v_fma_f64 v[29:30], v[27:28], s[12:13], s[0:1]
	s_mov_b32 s0, 0x623fde64
	s_mov_b32 s1, 0x3ec71dee
	s_delay_alu instid0(VALU_DEP_1) | instid1(SALU_CYCLE_1)
	;; [unrolled: 4-line block ×9, first 2 shown]
	v_fma_f64 v[29:30], v[27:28], v[29:30], s[0:1]
	v_cmp_nlt_f64_e64 s0, 0x40900000, v[12:13]
	v_cmp_ngt_f64_e64 s1, 0xc090cc00, v[12:13]
	s_delay_alu instid0(VALU_DEP_3) | instskip(NEXT) | instid1(VALU_DEP_1)
	v_fma_f64 v[29:30], v[27:28], v[29:30], 1.0
	v_fma_f64 v[18:19], v[27:28], v[29:30], 1.0
	s_delay_alu instid0(VALU_DEP_1) | instskip(NEXT) | instid1(VALU_DEP_1)
	v_ldexp_f64 v[18:19], v[18:19], v31
	v_cndmask_b32_e64 v19, 0x7ff00000, v19, s0
	s_and_b32 s0, s1, s0
	s_delay_alu instid0(VALU_DEP_2) | instid1(SALU_CYCLE_1)
	v_cndmask_b32_e64 v18, 0, v18, s0
	s_delay_alu instid0(VALU_DEP_2) | instskip(NEXT) | instid1(VALU_DEP_1)
	v_cndmask_b32_e64 v19, 0, v19, s1
	v_add_f64 v[14:15], v[14:15], v[18:19]
.LBB688_31:
	s_or_b32 exec_lo, exec_lo, s10
.LBB688_32:
	s_delay_alu instid0(SALU_CYCLE_1)
	s_or_b32 exec_lo, exec_lo, s6
	s_and_saveexec_b32 s6, s7
	s_cbranch_execz .LBB688_36
; %bb.33:
	global_load_u8 v8, v[4:5], off offset:128
	s_waitcnt vmcnt(0)
	v_and_b32_e32 v8, 1, v8
	s_delay_alu instid0(VALU_DEP_1) | instskip(SKIP_2) | instid1(VALU_DEP_3)
	v_cmp_eq_u32_e64 s0, 1, v8
	v_mov_b32_e32 v8, 0
	v_mov_b32_e32 v9, 0
	s_xor_b32 s0, s0, -1
	s_delay_alu instid0(SALU_CYCLE_1)
	s_and_saveexec_b32 s7, s0
	s_cbranch_execz .LBB688_35
; %bb.34:
	v_add_f64 v[6:7], v[6:7], -v[16:17]
	s_mov_b32 s0, 0x652b82fe
	s_mov_b32 s1, 0x3ff71547
	;; [unrolled: 1-line block ×4, first 2 shown]
	s_delay_alu instid0(VALU_DEP_1) | instskip(SKIP_2) | instid1(VALU_DEP_1)
	v_mul_f64 v[8:9], v[6:7], s[0:1]
	s_mov_b32 s0, 0xfefa39ef
	s_mov_b32 s1, 0xbfe62e42
	v_rndne_f64_e32 v[8:9], v[8:9]
	s_delay_alu instid0(VALU_DEP_1) | instskip(SKIP_3) | instid1(VALU_DEP_2)
	v_fma_f64 v[12:13], v[8:9], s[0:1], v[6:7]
	s_mov_b32 s0, 0x3b39803f
	s_mov_b32 s1, 0xbc7abc9e
	v_cvt_i32_f64_e32 v29, v[8:9]
	v_fma_f64 v[12:13], v[8:9], s[0:1], v[12:13]
	s_mov_b32 s0, 0xfca7ab0c
	s_mov_b32 s1, 0x3e928af3
	s_delay_alu instid0(VALU_DEP_1) | instid1(SALU_CYCLE_1)
	v_fma_f64 v[27:28], v[12:13], s[10:11], s[0:1]
	s_mov_b32 s0, 0x623fde64
	s_mov_b32 s1, 0x3ec71dee
	s_delay_alu instid0(VALU_DEP_1) | instid1(SALU_CYCLE_1)
	;; [unrolled: 4-line block ×9, first 2 shown]
	v_fma_f64 v[27:28], v[12:13], v[27:28], s[0:1]
	v_cmp_nlt_f64_e64 s0, 0x40900000, v[6:7]
	v_cmp_ngt_f64_e64 s1, 0xc090cc00, v[6:7]
	s_delay_alu instid0(VALU_DEP_3) | instskip(NEXT) | instid1(VALU_DEP_1)
	v_fma_f64 v[27:28], v[12:13], v[27:28], 1.0
	v_fma_f64 v[8:9], v[12:13], v[27:28], 1.0
	s_delay_alu instid0(VALU_DEP_1) | instskip(NEXT) | instid1(VALU_DEP_1)
	v_ldexp_f64 v[8:9], v[8:9], v29
	v_cndmask_b32_e64 v9, 0x7ff00000, v9, s0
	s_and_b32 s0, s1, s0
	s_delay_alu instid0(VALU_DEP_2) | instid1(SALU_CYCLE_1)
	v_cndmask_b32_e64 v8, 0, v8, s0
	s_delay_alu instid0(VALU_DEP_2) | instskip(NEXT) | instid1(VALU_DEP_1)
	v_cndmask_b32_e64 v9, 0, v9, s1
	v_add_f64 v[14:15], v[14:15], v[8:9]
.LBB688_35:
	s_or_b32 exec_lo, exec_lo, s7
.LBB688_36:
	s_delay_alu instid0(SALU_CYCLE_1)
	s_or_b32 exec_lo, exec_lo, s6
	v_mov_b32_e32 v6, 0
	v_mov_b32_e32 v7, 0
	s_and_saveexec_b32 s6, s5
	s_cbranch_execz .LBB688_40
; %bb.37:
	global_load_u8 v4, v[4:5], off offset:192
	v_mov_b32_e32 v6, 0
	s_waitcnt vmcnt(0)
	v_dual_mov_b32 v7, 0 :: v_dual_and_b32 v4, 1, v4
	s_delay_alu instid0(VALU_DEP_1) | instskip(NEXT) | instid1(VALU_DEP_1)
	v_cmp_eq_u32_e64 s0, 1, v4
	s_xor_b32 s0, s0, -1
	s_delay_alu instid0(SALU_CYCLE_1)
	s_and_saveexec_b32 s5, s0
	s_cbranch_execz .LBB688_39
; %bb.38:
	v_add_f64 v[2:3], v[2:3], -v[16:17]
	s_mov_b32 s0, 0x652b82fe
	s_mov_b32 s1, 0x3ff71547
	;; [unrolled: 1-line block ×4, first 2 shown]
	s_delay_alu instid0(VALU_DEP_1) | instskip(SKIP_2) | instid1(VALU_DEP_1)
	v_mul_f64 v[4:5], v[2:3], s[0:1]
	s_mov_b32 s0, 0xfefa39ef
	s_mov_b32 s1, 0xbfe62e42
	v_rndne_f64_e32 v[4:5], v[4:5]
	s_delay_alu instid0(VALU_DEP_1) | instskip(SKIP_3) | instid1(VALU_DEP_2)
	v_fma_f64 v[6:7], v[4:5], s[0:1], v[2:3]
	s_mov_b32 s0, 0x3b39803f
	s_mov_b32 s1, 0xbc7abc9e
	v_cvt_i32_f64_e32 v16, v[4:5]
	v_fma_f64 v[6:7], v[4:5], s[0:1], v[6:7]
	s_mov_b32 s0, 0xfca7ab0c
	s_mov_b32 s1, 0x3e928af3
	s_delay_alu instid0(VALU_DEP_1) | instid1(SALU_CYCLE_1)
	v_fma_f64 v[12:13], v[6:7], s[10:11], s[0:1]
	s_mov_b32 s0, 0x623fde64
	s_mov_b32 s1, 0x3ec71dee
	s_delay_alu instid0(VALU_DEP_1) | instid1(SALU_CYCLE_1)
	;; [unrolled: 4-line block ×9, first 2 shown]
	v_fma_f64 v[12:13], v[6:7], v[12:13], s[0:1]
	v_cmp_nlt_f64_e64 s0, 0x40900000, v[2:3]
	v_cmp_ngt_f64_e64 s1, 0xc090cc00, v[2:3]
	s_delay_alu instid0(VALU_DEP_3) | instskip(NEXT) | instid1(VALU_DEP_1)
	v_fma_f64 v[12:13], v[6:7], v[12:13], 1.0
	v_fma_f64 v[4:5], v[6:7], v[12:13], 1.0
	s_delay_alu instid0(VALU_DEP_1) | instskip(NEXT) | instid1(VALU_DEP_1)
	v_ldexp_f64 v[4:5], v[4:5], v16
	v_cndmask_b32_e64 v5, 0x7ff00000, v5, s0
	s_and_b32 s0, s1, s0
	s_delay_alu instid0(VALU_DEP_2) | instid1(SALU_CYCLE_1)
	v_cndmask_b32_e64 v6, 0, v4, s0
	s_delay_alu instid0(VALU_DEP_2) | instskip(NEXT) | instid1(VALU_DEP_1)
	v_cndmask_b32_e64 v7, 0, v5, s1
	v_add_f64 v[14:15], v[14:15], v[6:7]
.LBB688_39:
	s_or_b32 exec_lo, exec_lo, s5
.LBB688_40:
	s_delay_alu instid0(SALU_CYCLE_1)
	s_or_b32 exec_lo, exec_lo, s6
	ds_bpermute_b32 v2, v21, v14
	ds_bpermute_b32 v3, v21, v15
	s_mov_b32 s1, exec_lo
	s_waitcnt lgkmcnt(0)
	v_add_f64 v[2:3], v[14:15], v[2:3]
	ds_bpermute_b32 v4, v22, v2
	ds_bpermute_b32 v5, v22, v3
	s_waitcnt lgkmcnt(0)
	v_add_f64 v[2:3], v[2:3], v[4:5]
	ds_bpermute_b32 v4, v23, v2
	ds_bpermute_b32 v5, v23, v3
	;; [unrolled: 4-line block ×5, first 2 shown]
	v_cmpx_lt_i32_e32 0, v20
	s_cbranch_execz .LBB688_46
; %bb.41:
	s_and_b32 exec_lo, exec_lo, vcc_lo
	s_cbranch_execz .LBB688_46
; %bb.42:
	s_waitcnt lgkmcnt(0)
	v_add_f64 v[2:3], v[2:3], v[4:5]
	s_delay_alu instid0(VALU_DEP_1) | instskip(SKIP_2) | instid1(VALU_DEP_3)
	v_div_scale_f64 v[4:5], null, v[2:3], v[2:3], v[10:11]
	v_div_scale_f64 v[16:17], vcc_lo, v[10:11], v[2:3], v[10:11]
	v_cmp_eq_f64_e64 s0, 0, v[2:3]
	v_rcp_f64_e32 v[12:13], v[4:5]
	s_waitcnt_depctr 0xfff
	v_fma_f64 v[14:15], -v[4:5], v[12:13], 1.0
	s_delay_alu instid0(VALU_DEP_1) | instskip(NEXT) | instid1(VALU_DEP_1)
	v_fma_f64 v[12:13], v[12:13], v[14:15], v[12:13]
	v_fma_f64 v[14:15], -v[4:5], v[12:13], 1.0
	s_delay_alu instid0(VALU_DEP_1) | instskip(NEXT) | instid1(VALU_DEP_1)
	v_fma_f64 v[12:13], v[12:13], v[14:15], v[12:13]
	v_mul_f64 v[14:15], v[16:17], v[12:13]
	s_delay_alu instid0(VALU_DEP_1) | instskip(NEXT) | instid1(VALU_DEP_1)
	v_fma_f64 v[4:5], -v[4:5], v[14:15], v[16:17]
	v_div_fmas_f64 v[4:5], v[4:5], v[12:13], v[14:15]
	v_add_co_u32 v0, vcc_lo, s8, v0
	v_add_co_ci_u32_e32 v1, vcc_lo, s9, v1, vcc_lo
	s_delay_alu instid0(VALU_DEP_3) | instskip(NEXT) | instid1(VALU_DEP_1)
	v_div_fixup_f64 v[4:5], v[4:5], v[2:3], v[10:11]
	v_cndmask_b32_e64 v5, v5, 0x7ff80000, s0
	s_delay_alu instid0(VALU_DEP_2)
	v_cndmask_b32_e64 v4, v4, 0, s0
	global_store_b64 v[0:1], v[4:5], off
	s_and_b32 exec_lo, exec_lo, s4
	s_cbranch_execz .LBB688_46
; %bb.43:
	v_div_scale_f64 v[4:5], null, v[2:3], v[2:3], v[18:19]
	v_div_scale_f64 v[14:15], vcc_lo, v[18:19], v[2:3], v[18:19]
	s_delay_alu instid0(VALU_DEP_2) | instskip(SKIP_2) | instid1(VALU_DEP_1)
	v_rcp_f64_e32 v[10:11], v[4:5]
	s_waitcnt_depctr 0xfff
	v_fma_f64 v[12:13], -v[4:5], v[10:11], 1.0
	v_fma_f64 v[10:11], v[10:11], v[12:13], v[10:11]
	s_delay_alu instid0(VALU_DEP_1) | instskip(NEXT) | instid1(VALU_DEP_1)
	v_fma_f64 v[12:13], -v[4:5], v[10:11], 1.0
	v_fma_f64 v[10:11], v[10:11], v[12:13], v[10:11]
	s_delay_alu instid0(VALU_DEP_1) | instskip(NEXT) | instid1(VALU_DEP_1)
	v_mul_f64 v[12:13], v[14:15], v[10:11]
	v_fma_f64 v[4:5], -v[4:5], v[12:13], v[14:15]
	s_delay_alu instid0(VALU_DEP_1) | instskip(NEXT) | instid1(VALU_DEP_1)
	v_div_fmas_f64 v[4:5], v[4:5], v[10:11], v[12:13]
	v_div_fixup_f64 v[4:5], v[4:5], v[2:3], v[18:19]
	s_delay_alu instid0(VALU_DEP_1) | instskip(NEXT) | instid1(VALU_DEP_2)
	v_cndmask_b32_e64 v5, v5, 0x7ff80000, s0
	v_cndmask_b32_e64 v4, v4, 0, s0
	global_store_b64 v[0:1], v[4:5], off offset:512
	s_and_b32 exec_lo, exec_lo, s3
	s_cbranch_execz .LBB688_46
; %bb.44:
	v_div_scale_f64 v[4:5], null, v[2:3], v[2:3], v[8:9]
	v_div_scale_f64 v[14:15], vcc_lo, v[8:9], v[2:3], v[8:9]
	s_delay_alu instid0(VALU_DEP_2) | instskip(SKIP_2) | instid1(VALU_DEP_1)
	v_rcp_f64_e32 v[10:11], v[4:5]
	s_waitcnt_depctr 0xfff
	v_fma_f64 v[12:13], -v[4:5], v[10:11], 1.0
	v_fma_f64 v[10:11], v[10:11], v[12:13], v[10:11]
	s_delay_alu instid0(VALU_DEP_1) | instskip(NEXT) | instid1(VALU_DEP_1)
	v_fma_f64 v[12:13], -v[4:5], v[10:11], 1.0
	v_fma_f64 v[10:11], v[10:11], v[12:13], v[10:11]
	s_delay_alu instid0(VALU_DEP_1) | instskip(NEXT) | instid1(VALU_DEP_1)
	v_mul_f64 v[12:13], v[14:15], v[10:11]
	v_fma_f64 v[4:5], -v[4:5], v[12:13], v[14:15]
	s_delay_alu instid0(VALU_DEP_1) | instskip(NEXT) | instid1(VALU_DEP_1)
	v_div_fmas_f64 v[4:5], v[4:5], v[10:11], v[12:13]
	v_div_fixup_f64 v[4:5], v[4:5], v[2:3], v[8:9]
	s_delay_alu instid0(VALU_DEP_1) | instskip(NEXT) | instid1(VALU_DEP_2)
	v_cndmask_b32_e64 v5, v5, 0x7ff80000, s0
	v_cndmask_b32_e64 v4, v4, 0, s0
	global_store_b64 v[0:1], v[4:5], off offset:1024
	;; [unrolled: 23-line block ×3, first 2 shown]
.LBB688_46:
	s_nop 0
	s_sendmsg sendmsg(MSG_DEALLOC_VGPRS)
	s_endpgm
	.section	.rodata,"a",@progbits
	.p2align	6, 0x0
	.amdhsa_kernel _ZN12_GLOBAL__N_120softmax_warp_forwardIdddLi8ELb0ELb1ELi64EEEvPT0_PKT_iiiPKbib
		.amdhsa_group_segment_fixed_size 0
		.amdhsa_private_segment_fixed_size 0
		.amdhsa_kernarg_size 304
		.amdhsa_user_sgpr_count 15
		.amdhsa_user_sgpr_dispatch_ptr 0
		.amdhsa_user_sgpr_queue_ptr 0
		.amdhsa_user_sgpr_kernarg_segment_ptr 1
		.amdhsa_user_sgpr_dispatch_id 0
		.amdhsa_user_sgpr_private_segment_size 0
		.amdhsa_wavefront_size32 1
		.amdhsa_uses_dynamic_stack 0
		.amdhsa_enable_private_segment 0
		.amdhsa_system_sgpr_workgroup_id_x 1
		.amdhsa_system_sgpr_workgroup_id_y 0
		.amdhsa_system_sgpr_workgroup_id_z 0
		.amdhsa_system_sgpr_workgroup_info 0
		.amdhsa_system_vgpr_workitem_id 1
		.amdhsa_next_free_vgpr 32
		.amdhsa_next_free_sgpr 16
		.amdhsa_reserve_vcc 1
		.amdhsa_float_round_mode_32 0
		.amdhsa_float_round_mode_16_64 0
		.amdhsa_float_denorm_mode_32 3
		.amdhsa_float_denorm_mode_16_64 3
		.amdhsa_dx10_clamp 1
		.amdhsa_ieee_mode 1
		.amdhsa_fp16_overflow 0
		.amdhsa_workgroup_processor_mode 1
		.amdhsa_memory_ordered 1
		.amdhsa_forward_progress 0
		.amdhsa_shared_vgpr_count 0
		.amdhsa_exception_fp_ieee_invalid_op 0
		.amdhsa_exception_fp_denorm_src 0
		.amdhsa_exception_fp_ieee_div_zero 0
		.amdhsa_exception_fp_ieee_overflow 0
		.amdhsa_exception_fp_ieee_underflow 0
		.amdhsa_exception_fp_ieee_inexact 0
		.amdhsa_exception_int_div_zero 0
	.end_amdhsa_kernel
	.section	.text._ZN12_GLOBAL__N_120softmax_warp_forwardIdddLi8ELb0ELb1ELi64EEEvPT0_PKT_iiiPKbib,"axG",@progbits,_ZN12_GLOBAL__N_120softmax_warp_forwardIdddLi8ELb0ELb1ELi64EEEvPT0_PKT_iiiPKbib,comdat
.Lfunc_end688:
	.size	_ZN12_GLOBAL__N_120softmax_warp_forwardIdddLi8ELb0ELb1ELi64EEEvPT0_PKT_iiiPKbib, .Lfunc_end688-_ZN12_GLOBAL__N_120softmax_warp_forwardIdddLi8ELb0ELb1ELi64EEEvPT0_PKT_iiiPKbib
                                        ; -- End function
	.section	.AMDGPU.csdata,"",@progbits
; Kernel info:
; codeLenInByte = 4488
; NumSgprs: 18
; NumVgprs: 32
; ScratchSize: 0
; MemoryBound: 0
; FloatMode: 240
; IeeeMode: 1
; LDSByteSize: 0 bytes/workgroup (compile time only)
; SGPRBlocks: 2
; VGPRBlocks: 3
; NumSGPRsForWavesPerEU: 18
; NumVGPRsForWavesPerEU: 32
; Occupancy: 16
; WaveLimiterHint : 0
; COMPUTE_PGM_RSRC2:SCRATCH_EN: 0
; COMPUTE_PGM_RSRC2:USER_SGPR: 15
; COMPUTE_PGM_RSRC2:TRAP_HANDLER: 0
; COMPUTE_PGM_RSRC2:TGID_X_EN: 1
; COMPUTE_PGM_RSRC2:TGID_Y_EN: 0
; COMPUTE_PGM_RSRC2:TGID_Z_EN: 0
; COMPUTE_PGM_RSRC2:TIDIG_COMP_CNT: 1
	.section	.text._ZN12_GLOBAL__N_120softmax_warp_forwardIdddLi8ELb0ELb1ELi32EEEvPT0_PKT_iiiPKbib,"axG",@progbits,_ZN12_GLOBAL__N_120softmax_warp_forwardIdddLi8ELb0ELb1ELi32EEEvPT0_PKT_iiiPKbib,comdat
	.globl	_ZN12_GLOBAL__N_120softmax_warp_forwardIdddLi8ELb0ELb1ELi32EEEvPT0_PKT_iiiPKbib ; -- Begin function _ZN12_GLOBAL__N_120softmax_warp_forwardIdddLi8ELb0ELb1ELi32EEEvPT0_PKT_iiiPKbib
	.p2align	8
	.type	_ZN12_GLOBAL__N_120softmax_warp_forwardIdddLi8ELb0ELb1ELi32EEEvPT0_PKT_iiiPKbib,@function
_ZN12_GLOBAL__N_120softmax_warp_forwardIdddLi8ELb0ELb1ELi32EEEvPT0_PKT_iiiPKbib: ; @_ZN12_GLOBAL__N_120softmax_warp_forwardIdddLi8ELb0ELb1ELi32EEEvPT0_PKT_iiiPKbib
; %bb.0:
	s_clause 0x1
	s_load_b32 s2, s[0:1], 0x3c
	s_load_b128 s[8:11], s[0:1], 0x10
	v_bfe_u32 v3, v0, 10, 10
	s_waitcnt lgkmcnt(0)
	s_lshr_b32 s2, s2, 16
	s_delay_alu instid0(VALU_DEP_1) | instid1(SALU_CYCLE_1)
	v_mad_u64_u32 v[1:2], null, s15, s2, v[3:4]
	s_load_b64 s[2:3], s[0:1], 0x28
	v_and_b32_e32 v4, 0x3ff, v0
	s_delay_alu instid0(VALU_DEP_2) | instskip(NEXT) | instid1(VALU_DEP_1)
	v_mul_lo_u32 v5, v1, s9
	v_add_nc_u32_e32 v2, v5, v4
	s_delay_alu instid0(VALU_DEP_1) | instskip(SKIP_2) | instid1(VALU_DEP_1)
	v_ashrrev_i32_e32 v3, 31, v2
	s_waitcnt lgkmcnt(0)
	s_bitcmp0_b32 s3, 0
	v_dual_mov_b32 v11, v3 :: v_dual_mov_b32 v10, v2
	s_cbranch_scc1 .LBB689_2
; %bb.1:
	s_abs_i32 s3, s2
	v_sub_nc_u32_e32 v7, 0, v5
	v_cvt_f32_u32_e32 v0, s3
	s_sub_i32 s4, 0, s3
	s_delay_alu instid0(VALU_DEP_2) | instskip(NEXT) | instid1(VALU_DEP_2)
	v_max_i32_e32 v7, v5, v7
	v_rcp_iflag_f32_e32 v0, v0
	v_xor_b32_e32 v5, s2, v5
	s_delay_alu instid0(VALU_DEP_1) | instskip(SKIP_2) | instid1(VALU_DEP_1)
	v_ashrrev_i32_e32 v5, 31, v5
	s_waitcnt_depctr 0xfff
	v_mul_f32_e32 v0, 0x4f7ffffe, v0
	v_cvt_u32_f32_e32 v0, v0
	s_delay_alu instid0(VALU_DEP_1) | instskip(NEXT) | instid1(VALU_DEP_1)
	v_mul_lo_u32 v6, s4, v0
	v_mul_hi_u32 v6, v0, v6
	s_delay_alu instid0(VALU_DEP_1) | instskip(NEXT) | instid1(VALU_DEP_1)
	v_add_nc_u32_e32 v0, v0, v6
	v_mul_hi_u32 v0, v7, v0
	s_delay_alu instid0(VALU_DEP_1) | instskip(NEXT) | instid1(VALU_DEP_1)
	v_mul_lo_u32 v6, v0, s3
	v_sub_nc_u32_e32 v6, v7, v6
	v_add_nc_u32_e32 v7, 1, v0
	s_delay_alu instid0(VALU_DEP_2) | instskip(SKIP_1) | instid1(VALU_DEP_3)
	v_subrev_nc_u32_e32 v8, s3, v6
	v_cmp_le_u32_e32 vcc_lo, s3, v6
	v_cndmask_b32_e32 v0, v0, v7, vcc_lo
	s_delay_alu instid0(VALU_DEP_3) | instskip(NEXT) | instid1(VALU_DEP_2)
	v_cndmask_b32_e32 v6, v6, v8, vcc_lo
	v_add_nc_u32_e32 v7, 1, v0
	s_delay_alu instid0(VALU_DEP_2) | instskip(NEXT) | instid1(VALU_DEP_2)
	v_cmp_le_u32_e32 vcc_lo, s3, v6
	v_cndmask_b32_e32 v0, v0, v7, vcc_lo
	s_delay_alu instid0(VALU_DEP_1) | instskip(NEXT) | instid1(VALU_DEP_1)
	v_xor_b32_e32 v0, v0, v5
	v_sub_nc_u32_e32 v0, v0, v5
	s_delay_alu instid0(VALU_DEP_1) | instskip(NEXT) | instid1(VALU_DEP_1)
	v_mad_u64_u32 v[10:11], null, v0, s9, v[4:5]
	v_ashrrev_i32_e32 v11, 31, v10
.LBB689_2:
	s_load_b128 s[12:15], s[0:1], 0x0
	v_sub_nc_u32_e32 v28, s8, v1
	v_lshlrev_b64 v[0:1], 3, v[2:3]
	v_mov_b32_e32 v26, 0
	v_mov_b32_e32 v27, 0xfff00000
	v_cmp_gt_i32_e32 vcc_lo, s10, v4
	v_cmp_lt_i32_e64 s9, 0, v28
	s_delay_alu instid0(VALU_DEP_3) | instskip(NEXT) | instid1(VALU_DEP_2)
	v_dual_mov_b32 v22, v26 :: v_dual_mov_b32 v23, v27
	s_and_b32 s19, s9, vcc_lo
	s_waitcnt lgkmcnt(0)
	v_add_co_u32 v14, s2, s14, v0
	s_delay_alu instid0(VALU_DEP_1)
	v_add_co_ci_u32_e64 v15, s2, s15, v1, s2
	s_and_saveexec_b32 s2, s19
	s_cbranch_execz .LBB689_4
; %bb.3:
	global_load_b64 v[22:23], v[14:15], off
.LBB689_4:
	s_or_b32 exec_lo, exec_lo, s2
	v_add_nc_u32_e32 v2, 32, v4
	s_delay_alu instid0(VALU_DEP_1) | instskip(NEXT) | instid1(VALU_DEP_1)
	v_cmp_gt_i32_e64 s8, s10, v2
	s_and_b32 s18, s9, s8
	s_delay_alu instid0(SALU_CYCLE_1)
	s_and_saveexec_b32 s2, s18
	s_cbranch_execz .LBB689_6
; %bb.5:
	global_load_b64 v[26:27], v[14:15], off offset:256
.LBB689_6:
	s_or_b32 exec_lo, exec_lo, s2
	v_add_nc_u32_e32 v2, 64, v4
	v_mov_b32_e32 v20, 0
	v_mov_b32_e32 v21, 0xfff00000
	s_delay_alu instid0(VALU_DEP_3) | instskip(NEXT) | instid1(VALU_DEP_2)
	v_cmp_gt_i32_e64 s7, s10, v2
	v_dual_mov_b32 v25, v21 :: v_dual_mov_b32 v24, v20
	s_delay_alu instid0(VALU_DEP_2) | instskip(NEXT) | instid1(SALU_CYCLE_1)
	s_and_b32 s17, s9, s7
	s_and_saveexec_b32 s2, s17
	s_cbranch_execz .LBB689_8
; %bb.7:
	global_load_b64 v[24:25], v[14:15], off offset:512
.LBB689_8:
	s_or_b32 exec_lo, exec_lo, s2
	v_add_nc_u32_e32 v2, 0x60, v4
	s_delay_alu instid0(VALU_DEP_1) | instskip(NEXT) | instid1(VALU_DEP_1)
	v_cmp_gt_i32_e64 s6, s10, v2
	s_and_b32 s16, s9, s6
	s_delay_alu instid0(SALU_CYCLE_1)
	s_and_saveexec_b32 s2, s16
	s_cbranch_execz .LBB689_10
; %bb.9:
	global_load_b64 v[20:21], v[14:15], off offset:768
.LBB689_10:
	s_or_b32 exec_lo, exec_lo, s2
	v_mov_b32_e32 v8, 0
	v_mov_b32_e32 v9, 0xfff00000
	s_delay_alu instid0(VALU_DEP_1) | instskip(NEXT) | instid1(VALU_DEP_1)
	v_dual_mov_b32 v13, v9 :: v_dual_add_nc_u32 v2, 0x80, v4
	v_cmp_gt_i32_e64 s5, s10, v2
	s_delay_alu instid0(VALU_DEP_4) | instskip(NEXT) | instid1(VALU_DEP_2)
	v_mov_b32_e32 v12, v8
	s_and_b32 s15, s9, s5
	s_delay_alu instid0(SALU_CYCLE_1)
	s_and_saveexec_b32 s2, s15
	s_cbranch_execz .LBB689_12
; %bb.11:
	global_load_b64 v[12:13], v[14:15], off offset:1024
.LBB689_12:
	s_or_b32 exec_lo, exec_lo, s2
	v_add_nc_u32_e32 v2, 0xa0, v4
	s_delay_alu instid0(VALU_DEP_1) | instskip(NEXT) | instid1(VALU_DEP_1)
	v_cmp_gt_i32_e64 s4, s10, v2
	s_and_b32 s14, s9, s4
	s_delay_alu instid0(SALU_CYCLE_1)
	s_and_saveexec_b32 s2, s14
	s_cbranch_execz .LBB689_14
; %bb.13:
	global_load_b64 v[8:9], v[14:15], off offset:1280
.LBB689_14:
	s_or_b32 exec_lo, exec_lo, s2
	v_dual_mov_b32 v2, 0 :: v_dual_add_nc_u32 v5, 0xc0, v4
	v_mov_b32_e32 v3, 0xfff00000
	s_delay_alu instid0(VALU_DEP_2) | instskip(NEXT) | instid1(VALU_DEP_2)
	v_cmp_gt_i32_e64 s3, s10, v5
	v_dual_mov_b32 v7, v3 :: v_dual_mov_b32 v6, v2
	s_delay_alu instid0(VALU_DEP_2) | instskip(NEXT) | instid1(SALU_CYCLE_1)
	s_and_b32 s11, s9, s3
	s_and_saveexec_b32 s2, s11
	s_cbranch_execz .LBB689_16
; %bb.15:
	global_load_b64 v[6:7], v[14:15], off offset:1536
.LBB689_16:
	s_or_b32 exec_lo, exec_lo, s2
	v_add_nc_u32_e32 v4, 0xe0, v4
	s_delay_alu instid0(VALU_DEP_1) | instskip(NEXT) | instid1(VALU_DEP_1)
	v_cmp_gt_i32_e64 s2, s10, v4
	s_and_b32 s9, s9, s2
	s_delay_alu instid0(SALU_CYCLE_1)
	s_and_saveexec_b32 s10, s9
	s_cbranch_execz .LBB689_18
; %bb.17:
	global_load_b64 v[2:3], v[14:15], off offset:1792
.LBB689_18:
	s_or_b32 exec_lo, exec_lo, s10
	s_load_b64 s[0:1], s[0:1], 0x20
	s_waitcnt lgkmcnt(0)
	v_add_co_u32 v4, s0, s0, v10
	s_delay_alu instid0(VALU_DEP_1)
	v_add_co_ci_u32_e64 v5, s0, s1, v11, s0
	s_mov_b32 s1, 0
	s_and_saveexec_b32 s10, s19
	s_cbranch_execz .LBB689_20
; %bb.19:
	global_load_u8 v10, v[4:5], off
	s_waitcnt vmcnt(0)
	v_and_b32_e32 v10, 1, v10
	s_delay_alu instid0(VALU_DEP_1) | instskip(NEXT) | instid1(VALU_DEP_1)
	v_cmp_eq_u32_e64 s0, 1, v10
	s_xor_b32 s0, s0, -1
	s_delay_alu instid0(SALU_CYCLE_1)
	s_and_b32 s1, s0, exec_lo
.LBB689_20:
	s_or_b32 exec_lo, exec_lo, s10
	s_waitcnt vmcnt(0)
	v_dual_mov_b32 v10, v22 :: v_dual_mov_b32 v11, v23
	s_and_saveexec_b32 s10, s18
	s_cbranch_execnz .LBB689_27
; %bb.21:
	s_or_b32 exec_lo, exec_lo, s10
	s_and_saveexec_b32 s10, s17
	s_cbranch_execnz .LBB689_30
.LBB689_22:
	s_or_b32 exec_lo, exec_lo, s10
	s_and_saveexec_b32 s10, s16
	s_cbranch_execnz .LBB689_33
.LBB689_23:
	s_or_b32 exec_lo, exec_lo, s10
	s_and_saveexec_b32 s10, s15
	s_cbranch_execnz .LBB689_36
.LBB689_24:
	s_or_b32 exec_lo, exec_lo, s10
	s_and_saveexec_b32 s10, s14
	s_cbranch_execnz .LBB689_39
.LBB689_25:
	s_or_b32 exec_lo, exec_lo, s10
	s_and_saveexec_b32 s10, s11
	s_cbranch_execnz .LBB689_42
.LBB689_26:
	s_or_b32 exec_lo, exec_lo, s10
	s_and_saveexec_b32 s10, s9
	s_cbranch_execnz .LBB689_45
	s_branch .LBB689_48
.LBB689_27:
	global_load_u8 v10, v[4:5], off offset:32
	s_waitcnt vmcnt(0)
	v_and_b32_e32 v10, 1, v10
	s_delay_alu instid0(VALU_DEP_1) | instskip(SKIP_1) | instid1(VALU_DEP_2)
	v_cmp_eq_u32_e64 s0, 1, v10
	v_dual_mov_b32 v10, v22 :: v_dual_mov_b32 v11, v23
	s_xor_b32 s21, s0, -1
	s_mov_b32 s0, s1
	s_and_saveexec_b32 s20, s21
; %bb.28:
	v_cmp_gt_f64_e64 s0, v[22:23], v[26:27]
	s_delay_alu instid0(VALU_DEP_1) | instskip(NEXT) | instid1(SALU_CYCLE_1)
	s_and_b32 s0, s1, s0
	v_cndmask_b32_e64 v11, v27, v23, s0
	v_cndmask_b32_e64 v10, v26, v22, s0
	s_or_b32 s0, s1, exec_lo
; %bb.29:
	s_or_b32 exec_lo, exec_lo, s20
	s_delay_alu instid0(SALU_CYCLE_1) | instskip(SKIP_1) | instid1(SALU_CYCLE_1)
	s_and_not1_b32 s1, s1, exec_lo
	s_and_b32 s0, s0, exec_lo
	s_or_b32 s1, s1, s0
	s_or_b32 exec_lo, exec_lo, s10
	s_and_saveexec_b32 s10, s17
	s_cbranch_execz .LBB689_22
.LBB689_30:
	global_load_u8 v14, v[4:5], off offset:64
	s_waitcnt vmcnt(0)
	v_and_b32_e32 v14, 1, v14
	s_delay_alu instid0(VALU_DEP_1) | instskip(NEXT) | instid1(VALU_DEP_1)
	v_cmp_eq_u32_e64 s0, 1, v14
	s_xor_b32 s21, s0, -1
	s_mov_b32 s0, s1
	s_and_saveexec_b32 s20, s21
; %bb.31:
	v_cmp_gt_f64_e64 s0, v[10:11], v[24:25]
	s_delay_alu instid0(VALU_DEP_1) | instskip(NEXT) | instid1(SALU_CYCLE_1)
	s_and_b32 s0, s1, s0
	v_cndmask_b32_e64 v11, v25, v11, s0
	v_cndmask_b32_e64 v10, v24, v10, s0
	s_or_b32 s0, s1, exec_lo
; %bb.32:
	s_or_b32 exec_lo, exec_lo, s20
	s_delay_alu instid0(SALU_CYCLE_1) | instskip(SKIP_1) | instid1(SALU_CYCLE_1)
	s_and_not1_b32 s1, s1, exec_lo
	s_and_b32 s0, s0, exec_lo
	s_or_b32 s1, s1, s0
	s_or_b32 exec_lo, exec_lo, s10
	s_and_saveexec_b32 s10, s16
	s_cbranch_execz .LBB689_23
.LBB689_33:
	global_load_u8 v14, v[4:5], off offset:96
	s_waitcnt vmcnt(0)
	v_and_b32_e32 v14, 1, v14
	s_delay_alu instid0(VALU_DEP_1) | instskip(NEXT) | instid1(VALU_DEP_1)
	v_cmp_eq_u32_e64 s0, 1, v14
	s_xor_b32 s21, s0, -1
	s_mov_b32 s0, s1
	s_and_saveexec_b32 s20, s21
; %bb.34:
	v_cmp_gt_f64_e64 s0, v[10:11], v[20:21]
	s_delay_alu instid0(VALU_DEP_1) | instskip(NEXT) | instid1(SALU_CYCLE_1)
	s_and_b32 s0, s1, s0
	v_cndmask_b32_e64 v11, v21, v11, s0
	v_cndmask_b32_e64 v10, v20, v10, s0
	s_or_b32 s0, s1, exec_lo
; %bb.35:
	s_or_b32 exec_lo, exec_lo, s20
	s_delay_alu instid0(SALU_CYCLE_1) | instskip(SKIP_1) | instid1(SALU_CYCLE_1)
	s_and_not1_b32 s1, s1, exec_lo
	s_and_b32 s0, s0, exec_lo
	s_or_b32 s1, s1, s0
	s_or_b32 exec_lo, exec_lo, s10
	s_and_saveexec_b32 s10, s15
	s_cbranch_execz .LBB689_24
.LBB689_36:
	global_load_u8 v14, v[4:5], off offset:128
	s_waitcnt vmcnt(0)
	v_and_b32_e32 v14, 1, v14
	s_delay_alu instid0(VALU_DEP_1) | instskip(NEXT) | instid1(VALU_DEP_1)
	v_cmp_eq_u32_e64 s0, 1, v14
	s_xor_b32 s21, s0, -1
	s_mov_b32 s0, s1
	s_and_saveexec_b32 s20, s21
; %bb.37:
	v_cmp_gt_f64_e64 s0, v[10:11], v[12:13]
	s_delay_alu instid0(VALU_DEP_1) | instskip(NEXT) | instid1(SALU_CYCLE_1)
	s_and_b32 s0, s1, s0
	v_cndmask_b32_e64 v11, v13, v11, s0
	v_cndmask_b32_e64 v10, v12, v10, s0
	s_or_b32 s0, s1, exec_lo
; %bb.38:
	s_or_b32 exec_lo, exec_lo, s20
	s_delay_alu instid0(SALU_CYCLE_1) | instskip(SKIP_1) | instid1(SALU_CYCLE_1)
	s_and_not1_b32 s1, s1, exec_lo
	s_and_b32 s0, s0, exec_lo
	s_or_b32 s1, s1, s0
	s_or_b32 exec_lo, exec_lo, s10
	s_and_saveexec_b32 s10, s14
	s_cbranch_execz .LBB689_25
.LBB689_39:
	global_load_u8 v14, v[4:5], off offset:160
	s_waitcnt vmcnt(0)
	v_and_b32_e32 v14, 1, v14
	s_delay_alu instid0(VALU_DEP_1) | instskip(NEXT) | instid1(VALU_DEP_1)
	v_cmp_eq_u32_e64 s0, 1, v14
	s_xor_b32 s21, s0, -1
	s_mov_b32 s0, s1
	s_and_saveexec_b32 s20, s21
; %bb.40:
	v_cmp_gt_f64_e64 s0, v[10:11], v[8:9]
	s_delay_alu instid0(VALU_DEP_1) | instskip(NEXT) | instid1(SALU_CYCLE_1)
	s_and_b32 s0, s1, s0
	v_cndmask_b32_e64 v11, v9, v11, s0
	v_cndmask_b32_e64 v10, v8, v10, s0
	s_or_b32 s0, s1, exec_lo
; %bb.41:
	s_or_b32 exec_lo, exec_lo, s20
	s_delay_alu instid0(SALU_CYCLE_1) | instskip(SKIP_1) | instid1(SALU_CYCLE_1)
	s_and_not1_b32 s1, s1, exec_lo
	s_and_b32 s0, s0, exec_lo
	s_or_b32 s1, s1, s0
	s_or_b32 exec_lo, exec_lo, s10
	s_and_saveexec_b32 s10, s11
	s_cbranch_execz .LBB689_26
.LBB689_42:
	global_load_u8 v14, v[4:5], off offset:192
	s_waitcnt vmcnt(0)
	v_and_b32_e32 v14, 1, v14
	s_delay_alu instid0(VALU_DEP_1) | instskip(NEXT) | instid1(VALU_DEP_1)
	v_cmp_eq_u32_e64 s0, 1, v14
	s_xor_b32 s21, s0, -1
	s_mov_b32 s0, s1
	s_and_saveexec_b32 s20, s21
; %bb.43:
	v_cmp_gt_f64_e64 s0, v[10:11], v[6:7]
	s_delay_alu instid0(VALU_DEP_1) | instskip(NEXT) | instid1(SALU_CYCLE_1)
	s_and_b32 s0, s1, s0
	v_cndmask_b32_e64 v11, v7, v11, s0
	v_cndmask_b32_e64 v10, v6, v10, s0
	s_or_b32 s0, s1, exec_lo
; %bb.44:
	s_or_b32 exec_lo, exec_lo, s20
	s_delay_alu instid0(SALU_CYCLE_1) | instskip(SKIP_1) | instid1(SALU_CYCLE_1)
	s_and_not1_b32 s1, s1, exec_lo
	s_and_b32 s0, s0, exec_lo
	s_or_b32 s1, s1, s0
	s_or_b32 exec_lo, exec_lo, s10
	s_and_saveexec_b32 s10, s9
	s_cbranch_execz .LBB689_48
.LBB689_45:
	global_load_u8 v14, v[4:5], off offset:224
	s_waitcnt vmcnt(0)
	v_and_b32_e32 v14, 1, v14
	s_delay_alu instid0(VALU_DEP_1) | instskip(NEXT) | instid1(VALU_DEP_1)
	v_cmp_eq_u32_e64 s0, 1, v14
	s_xor_b32 s21, s0, -1
	s_mov_b32 s0, s1
	s_and_saveexec_b32 s20, s21
; %bb.46:
	v_cmp_gt_f64_e64 s0, v[10:11], v[2:3]
	s_delay_alu instid0(VALU_DEP_1) | instskip(NEXT) | instid1(SALU_CYCLE_1)
	s_and_b32 s0, s1, s0
	v_cndmask_b32_e64 v11, v3, v11, s0
	v_cndmask_b32_e64 v10, v2, v10, s0
	s_or_b32 s0, s1, exec_lo
; %bb.47:
	s_or_b32 exec_lo, exec_lo, s20
	s_delay_alu instid0(SALU_CYCLE_1) | instskip(SKIP_1) | instid1(SALU_CYCLE_1)
	s_and_not1_b32 s1, s1, exec_lo
	s_and_b32 s0, s0, exec_lo
	s_or_b32 s1, s1, s0
.LBB689_48:
	s_or_b32 exec_lo, exec_lo, s10
	v_mbcnt_lo_u32_b32 v16, -1, 0
	v_cndmask_b32_e64 v10, 0, v10, s1
	v_cndmask_b32_e64 v11, 0xfff00000, v11, s1
	s_delay_alu instid0(VALU_DEP_3) | instskip(SKIP_1) | instid1(VALU_DEP_2)
	v_xor_b32_e32 v14, 16, v16
	v_xor_b32_e32 v17, 8, v16
	v_cmp_gt_i32_e64 s0, 32, v14
	s_delay_alu instid0(VALU_DEP_2) | instskip(NEXT) | instid1(VALU_DEP_2)
	v_cmp_gt_i32_e64 s1, 32, v17
	v_cndmask_b32_e64 v14, v16, v14, s0
	s_delay_alu instid0(VALU_DEP_2) | instskip(NEXT) | instid1(VALU_DEP_2)
	v_cndmask_b32_e64 v17, v16, v17, s1
	v_lshlrev_b32_e32 v29, 2, v14
	s_delay_alu instid0(VALU_DEP_2) | instskip(SKIP_4) | instid1(VALU_DEP_1)
	v_lshlrev_b32_e32 v30, 2, v17
	v_xor_b32_e32 v17, 4, v16
	ds_bpermute_b32 v14, v29, v10
	ds_bpermute_b32 v15, v29, v11
	v_cmp_gt_i32_e64 s1, 32, v17
	v_cndmask_b32_e64 v17, v16, v17, s1
	s_delay_alu instid0(VALU_DEP_1) | instskip(SKIP_1) | instid1(VALU_DEP_1)
	v_lshlrev_b32_e32 v31, 2, v17
	v_xor_b32_e32 v17, 2, v16
	v_cmp_gt_i32_e64 s1, 32, v17
	s_waitcnt lgkmcnt(0)
	v_cmp_lt_f64_e64 s0, v[10:11], v[14:15]
	s_delay_alu instid0(VALU_DEP_2) | instskip(NEXT) | instid1(VALU_DEP_1)
	v_cndmask_b32_e64 v17, v16, v17, s1
	v_lshlrev_b32_e32 v32, 2, v17
	v_xor_b32_e32 v17, 1, v16
	s_delay_alu instid0(VALU_DEP_1) | instskip(NEXT) | instid1(VALU_DEP_1)
	v_cmp_gt_i32_e64 s1, 32, v17
	v_cndmask_b32_e64 v16, v16, v17, s1
	s_delay_alu instid0(VALU_DEP_1)
	v_lshlrev_b32_e32 v33, 2, v16
	v_cndmask_b32_e64 v11, v11, v15, s0
	v_cndmask_b32_e64 v10, v10, v14, s0
	ds_bpermute_b32 v15, v30, v11
	ds_bpermute_b32 v14, v30, v10
	s_waitcnt lgkmcnt(0)
	v_cmp_lt_f64_e64 s0, v[10:11], v[14:15]
	s_delay_alu instid0(VALU_DEP_1)
	v_cndmask_b32_e64 v11, v11, v15, s0
	v_cndmask_b32_e64 v10, v10, v14, s0
	ds_bpermute_b32 v15, v31, v11
	ds_bpermute_b32 v14, v31, v10
	s_waitcnt lgkmcnt(0)
	v_cmp_lt_f64_e64 s0, v[10:11], v[14:15]
	s_delay_alu instid0(VALU_DEP_1)
	;; [unrolled: 7-line block ×3, first 2 shown]
	v_cndmask_b32_e64 v17, v11, v15, s0
	v_cndmask_b32_e64 v16, v10, v14, s0
	v_mov_b32_e32 v10, 0
	v_mov_b32_e32 v11, 0
	ds_bpermute_b32 v19, v33, v17
	ds_bpermute_b32 v18, v33, v16
	v_dual_mov_b32 v15, v11 :: v_dual_mov_b32 v14, v10
	s_waitcnt lgkmcnt(0)
	v_cmp_lt_f64_e64 s0, v[16:17], v[18:19]
	s_delay_alu instid0(VALU_DEP_1)
	v_cndmask_b32_e64 v19, v17, v19, s0
	v_cndmask_b32_e64 v18, v16, v18, s0
	v_dual_mov_b32 v17, v11 :: v_dual_mov_b32 v16, v10
	s_and_saveexec_b32 s10, s19
	s_cbranch_execz .LBB689_52
; %bb.49:
	global_load_u8 v14, v[4:5], off
	v_mov_b32_e32 v16, 0
	s_waitcnt vmcnt(0)
	v_dual_mov_b32 v17, 0 :: v_dual_and_b32 v14, 1, v14
	s_delay_alu instid0(VALU_DEP_1) | instskip(NEXT) | instid1(VALU_DEP_2)
	v_cmp_eq_u32_e64 s0, 1, v14
	v_dual_mov_b32 v14, v16 :: v_dual_mov_b32 v15, v17
	s_delay_alu instid0(VALU_DEP_2) | instskip(NEXT) | instid1(SALU_CYCLE_1)
	s_xor_b32 s0, s0, -1
	s_and_saveexec_b32 s19, s0
	s_cbranch_execz .LBB689_51
; %bb.50:
	v_add_f64 v[14:15], v[22:23], -v[18:19]
	s_mov_b32 s0, 0x652b82fe
	s_mov_b32 s1, 0x3ff71547
	;; [unrolled: 1-line block ×4, first 2 shown]
	s_delay_alu instid0(VALU_DEP_1) | instskip(SKIP_2) | instid1(VALU_DEP_1)
	v_mul_f64 v[16:17], v[14:15], s[0:1]
	s_mov_b32 s0, 0xfefa39ef
	s_mov_b32 s1, 0xbfe62e42
	v_rndne_f64_e32 v[16:17], v[16:17]
	s_delay_alu instid0(VALU_DEP_1) | instskip(SKIP_3) | instid1(VALU_DEP_2)
	v_fma_f64 v[22:23], v[16:17], s[0:1], v[14:15]
	s_mov_b32 s0, 0x3b39803f
	s_mov_b32 s1, 0xbc7abc9e
	v_cvt_i32_f64_e32 v36, v[16:17]
	v_fma_f64 v[22:23], v[16:17], s[0:1], v[22:23]
	s_mov_b32 s0, 0xfca7ab0c
	s_mov_b32 s1, 0x3e928af3
	s_delay_alu instid0(VALU_DEP_1) | instid1(SALU_CYCLE_1)
	v_fma_f64 v[34:35], v[22:23], s[20:21], s[0:1]
	s_mov_b32 s0, 0x623fde64
	s_mov_b32 s1, 0x3ec71dee
	s_delay_alu instid0(VALU_DEP_1) | instid1(SALU_CYCLE_1)
	;; [unrolled: 4-line block ×9, first 2 shown]
	v_fma_f64 v[34:35], v[22:23], v[34:35], s[0:1]
	v_cmp_nlt_f64_e64 s0, 0x40900000, v[14:15]
	v_cmp_ngt_f64_e64 s1, 0xc090cc00, v[14:15]
	s_delay_alu instid0(VALU_DEP_3) | instskip(NEXT) | instid1(VALU_DEP_1)
	v_fma_f64 v[34:35], v[22:23], v[34:35], 1.0
	v_fma_f64 v[16:17], v[22:23], v[34:35], 1.0
	s_delay_alu instid0(VALU_DEP_1) | instskip(NEXT) | instid1(VALU_DEP_1)
	v_ldexp_f64 v[16:17], v[16:17], v36
	v_cndmask_b32_e64 v17, 0x7ff00000, v17, s0
	s_and_b32 s0, s1, s0
	s_delay_alu instid0(VALU_DEP_2) | instid1(SALU_CYCLE_1)
	v_cndmask_b32_e64 v14, 0, v16, s0
	s_delay_alu instid0(VALU_DEP_2) | instskip(NEXT) | instid1(VALU_DEP_1)
	v_cndmask_b32_e64 v15, 0, v17, s1
	v_add_f64 v[16:17], v[14:15], 0
.LBB689_51:
	s_or_b32 exec_lo, exec_lo, s19
.LBB689_52:
	s_delay_alu instid0(SALU_CYCLE_1)
	s_or_b32 exec_lo, exec_lo, s10
	v_dual_mov_b32 v23, v11 :: v_dual_mov_b32 v22, v10
	s_and_saveexec_b32 s10, s18
	s_cbranch_execz .LBB689_56
; %bb.53:
	global_load_u8 v22, v[4:5], off offset:32
	s_waitcnt vmcnt(0)
	v_and_b32_e32 v22, 1, v22
	s_delay_alu instid0(VALU_DEP_1) | instskip(SKIP_2) | instid1(VALU_DEP_3)
	v_cmp_eq_u32_e64 s0, 1, v22
	v_mov_b32_e32 v22, 0
	v_mov_b32_e32 v23, 0
	s_xor_b32 s0, s0, -1
	s_delay_alu instid0(SALU_CYCLE_1)
	s_and_saveexec_b32 s18, s0
	s_cbranch_execz .LBB689_55
; %bb.54:
	v_add_f64 v[22:23], v[26:27], -v[18:19]
	s_mov_b32 s0, 0x652b82fe
	s_mov_b32 s1, 0x3ff71547
	;; [unrolled: 1-line block ×4, first 2 shown]
	s_delay_alu instid0(VALU_DEP_1) | instskip(SKIP_2) | instid1(VALU_DEP_1)
	v_mul_f64 v[26:27], v[22:23], s[0:1]
	s_mov_b32 s0, 0xfefa39ef
	s_mov_b32 s1, 0xbfe62e42
	v_rndne_f64_e32 v[26:27], v[26:27]
	s_delay_alu instid0(VALU_DEP_1) | instskip(SKIP_3) | instid1(VALU_DEP_2)
	v_fma_f64 v[34:35], v[26:27], s[0:1], v[22:23]
	s_mov_b32 s0, 0x3b39803f
	s_mov_b32 s1, 0xbc7abc9e
	v_cvt_i32_f64_e32 v38, v[26:27]
	v_fma_f64 v[34:35], v[26:27], s[0:1], v[34:35]
	s_mov_b32 s0, 0xfca7ab0c
	s_mov_b32 s1, 0x3e928af3
	s_delay_alu instid0(VALU_DEP_1) | instid1(SALU_CYCLE_1)
	v_fma_f64 v[36:37], v[34:35], s[20:21], s[0:1]
	s_mov_b32 s0, 0x623fde64
	s_mov_b32 s1, 0x3ec71dee
	s_delay_alu instid0(VALU_DEP_1) | instid1(SALU_CYCLE_1)
	;; [unrolled: 4-line block ×9, first 2 shown]
	v_fma_f64 v[36:37], v[34:35], v[36:37], s[0:1]
	v_cmp_nlt_f64_e64 s0, 0x40900000, v[22:23]
	v_cmp_ngt_f64_e64 s1, 0xc090cc00, v[22:23]
	s_delay_alu instid0(VALU_DEP_3) | instskip(NEXT) | instid1(VALU_DEP_1)
	v_fma_f64 v[36:37], v[34:35], v[36:37], 1.0
	v_fma_f64 v[26:27], v[34:35], v[36:37], 1.0
	s_delay_alu instid0(VALU_DEP_1) | instskip(NEXT) | instid1(VALU_DEP_1)
	v_ldexp_f64 v[26:27], v[26:27], v38
	v_cndmask_b32_e64 v27, 0x7ff00000, v27, s0
	s_and_b32 s0, s1, s0
	s_delay_alu instid0(VALU_DEP_2) | instid1(SALU_CYCLE_1)
	v_cndmask_b32_e64 v22, 0, v26, s0
	s_delay_alu instid0(VALU_DEP_2) | instskip(NEXT) | instid1(VALU_DEP_1)
	v_cndmask_b32_e64 v23, 0, v27, s1
	v_add_f64 v[16:17], v[16:17], v[22:23]
.LBB689_55:
	s_or_b32 exec_lo, exec_lo, s18
.LBB689_56:
	s_delay_alu instid0(SALU_CYCLE_1)
	s_or_b32 exec_lo, exec_lo, s10
	s_and_saveexec_b32 s10, s17
	s_cbranch_execz .LBB689_60
; %bb.57:
	global_load_u8 v10, v[4:5], off offset:64
	s_waitcnt vmcnt(0)
	v_and_b32_e32 v10, 1, v10
	s_delay_alu instid0(VALU_DEP_1) | instskip(SKIP_2) | instid1(VALU_DEP_3)
	v_cmp_eq_u32_e64 s0, 1, v10
	v_mov_b32_e32 v10, 0
	v_mov_b32_e32 v11, 0
	s_xor_b32 s0, s0, -1
	s_delay_alu instid0(SALU_CYCLE_1)
	s_and_saveexec_b32 s17, s0
	s_cbranch_execz .LBB689_59
; %bb.58:
	v_add_f64 v[10:11], v[24:25], -v[18:19]
	s_mov_b32 s0, 0x652b82fe
	s_mov_b32 s1, 0x3ff71547
	;; [unrolled: 1-line block ×4, first 2 shown]
	s_delay_alu instid0(VALU_DEP_1) | instskip(SKIP_2) | instid1(VALU_DEP_1)
	v_mul_f64 v[24:25], v[10:11], s[0:1]
	s_mov_b32 s0, 0xfefa39ef
	s_mov_b32 s1, 0xbfe62e42
	v_rndne_f64_e32 v[24:25], v[24:25]
	s_delay_alu instid0(VALU_DEP_1) | instskip(SKIP_3) | instid1(VALU_DEP_2)
	v_fma_f64 v[26:27], v[24:25], s[0:1], v[10:11]
	s_mov_b32 s0, 0x3b39803f
	s_mov_b32 s1, 0xbc7abc9e
	v_cvt_i32_f64_e32 v36, v[24:25]
	v_fma_f64 v[26:27], v[24:25], s[0:1], v[26:27]
	s_mov_b32 s0, 0xfca7ab0c
	s_mov_b32 s1, 0x3e928af3
	s_delay_alu instid0(VALU_DEP_1) | instid1(SALU_CYCLE_1)
	v_fma_f64 v[34:35], v[26:27], s[18:19], s[0:1]
	s_mov_b32 s0, 0x623fde64
	s_mov_b32 s1, 0x3ec71dee
	s_delay_alu instid0(VALU_DEP_1) | instid1(SALU_CYCLE_1)
	v_fma_f64 v[34:35], v[26:27], v[34:35], s[0:1]
	s_mov_b32 s0, 0x7c89e6b0
	s_mov_b32 s1, 0x3efa0199
	s_delay_alu instid0(VALU_DEP_1) | instid1(SALU_CYCLE_1)
	v_fma_f64 v[34:35], v[26:27], v[34:35], s[0:1]
	s_mov_b32 s0, 0x14761f6e
	s_mov_b32 s1, 0x3f2a01a0
	s_delay_alu instid0(VALU_DEP_1) | instid1(SALU_CYCLE_1)
	v_fma_f64 v[34:35], v[26:27], v[34:35], s[0:1]
	s_mov_b32 s0, 0x1852b7b0
	s_mov_b32 s1, 0x3f56c16c
	s_delay_alu instid0(VALU_DEP_1) | instid1(SALU_CYCLE_1)
	v_fma_f64 v[34:35], v[26:27], v[34:35], s[0:1]
	s_mov_b32 s0, 0x11122322
	s_mov_b32 s1, 0x3f811111
	s_delay_alu instid0(VALU_DEP_1) | instid1(SALU_CYCLE_1)
	v_fma_f64 v[34:35], v[26:27], v[34:35], s[0:1]
	s_mov_b32 s0, 0x555502a1
	s_mov_b32 s1, 0x3fa55555
	s_delay_alu instid0(VALU_DEP_1) | instid1(SALU_CYCLE_1)
	v_fma_f64 v[34:35], v[26:27], v[34:35], s[0:1]
	s_mov_b32 s0, 0x55555511
	s_mov_b32 s1, 0x3fc55555
	s_delay_alu instid0(VALU_DEP_1) | instid1(SALU_CYCLE_1)
	v_fma_f64 v[34:35], v[26:27], v[34:35], s[0:1]
	s_mov_b32 s0, 11
	s_mov_b32 s1, 0x3fe00000
	s_delay_alu instid0(VALU_DEP_1) | instid1(SALU_CYCLE_1)
	v_fma_f64 v[34:35], v[26:27], v[34:35], s[0:1]
	v_cmp_nlt_f64_e64 s0, 0x40900000, v[10:11]
	v_cmp_ngt_f64_e64 s1, 0xc090cc00, v[10:11]
	s_delay_alu instid0(VALU_DEP_3) | instskip(NEXT) | instid1(VALU_DEP_1)
	v_fma_f64 v[34:35], v[26:27], v[34:35], 1.0
	v_fma_f64 v[24:25], v[26:27], v[34:35], 1.0
	s_delay_alu instid0(VALU_DEP_1) | instskip(NEXT) | instid1(VALU_DEP_1)
	v_ldexp_f64 v[24:25], v[24:25], v36
	v_cndmask_b32_e64 v25, 0x7ff00000, v25, s0
	s_and_b32 s0, s1, s0
	s_delay_alu instid0(VALU_DEP_2) | instid1(SALU_CYCLE_1)
	v_cndmask_b32_e64 v10, 0, v24, s0
	s_delay_alu instid0(VALU_DEP_2) | instskip(NEXT) | instid1(VALU_DEP_1)
	v_cndmask_b32_e64 v11, 0, v25, s1
	v_add_f64 v[16:17], v[16:17], v[10:11]
.LBB689_59:
	s_or_b32 exec_lo, exec_lo, s17
.LBB689_60:
	s_delay_alu instid0(SALU_CYCLE_1) | instskip(SKIP_2) | instid1(VALU_DEP_1)
	s_or_b32 exec_lo, exec_lo, s10
	v_mov_b32_e32 v24, 0
	v_mov_b32_e32 v25, 0
	v_dual_mov_b32 v27, v25 :: v_dual_mov_b32 v26, v24
	s_and_saveexec_b32 s10, s16
	s_cbranch_execz .LBB689_64
; %bb.61:
	global_load_u8 v26, v[4:5], off offset:96
	s_waitcnt vmcnt(0)
	v_and_b32_e32 v26, 1, v26
	s_delay_alu instid0(VALU_DEP_1) | instskip(SKIP_2) | instid1(VALU_DEP_3)
	v_cmp_eq_u32_e64 s0, 1, v26
	v_mov_b32_e32 v26, 0
	v_mov_b32_e32 v27, 0
	s_xor_b32 s0, s0, -1
	s_delay_alu instid0(SALU_CYCLE_1)
	s_and_saveexec_b32 s16, s0
	s_cbranch_execz .LBB689_63
; %bb.62:
	v_add_f64 v[20:21], v[20:21], -v[18:19]
	s_mov_b32 s0, 0x652b82fe
	s_mov_b32 s1, 0x3ff71547
	s_mov_b32 s18, 0x6a5dcb37
	s_mov_b32 s19, 0x3e5ade15
	s_delay_alu instid0(VALU_DEP_1) | instskip(SKIP_2) | instid1(VALU_DEP_1)
	v_mul_f64 v[26:27], v[20:21], s[0:1]
	s_mov_b32 s0, 0xfefa39ef
	s_mov_b32 s1, 0xbfe62e42
	v_rndne_f64_e32 v[26:27], v[26:27]
	s_delay_alu instid0(VALU_DEP_1) | instskip(SKIP_3) | instid1(VALU_DEP_2)
	v_fma_f64 v[34:35], v[26:27], s[0:1], v[20:21]
	s_mov_b32 s0, 0x3b39803f
	s_mov_b32 s1, 0xbc7abc9e
	v_cvt_i32_f64_e32 v38, v[26:27]
	v_fma_f64 v[34:35], v[26:27], s[0:1], v[34:35]
	s_mov_b32 s0, 0xfca7ab0c
	s_mov_b32 s1, 0x3e928af3
	s_delay_alu instid0(VALU_DEP_1) | instid1(SALU_CYCLE_1)
	v_fma_f64 v[36:37], v[34:35], s[18:19], s[0:1]
	s_mov_b32 s0, 0x623fde64
	s_mov_b32 s1, 0x3ec71dee
	s_delay_alu instid0(VALU_DEP_1) | instid1(SALU_CYCLE_1)
	;; [unrolled: 4-line block ×9, first 2 shown]
	v_fma_f64 v[36:37], v[34:35], v[36:37], s[0:1]
	v_cmp_nlt_f64_e64 s0, 0x40900000, v[20:21]
	v_cmp_ngt_f64_e64 s1, 0xc090cc00, v[20:21]
	s_delay_alu instid0(VALU_DEP_3) | instskip(NEXT) | instid1(VALU_DEP_1)
	v_fma_f64 v[36:37], v[34:35], v[36:37], 1.0
	v_fma_f64 v[26:27], v[34:35], v[36:37], 1.0
	s_delay_alu instid0(VALU_DEP_1) | instskip(NEXT) | instid1(VALU_DEP_1)
	v_ldexp_f64 v[26:27], v[26:27], v38
	v_cndmask_b32_e64 v27, 0x7ff00000, v27, s0
	s_and_b32 s0, s1, s0
	s_delay_alu instid0(VALU_DEP_2) | instid1(SALU_CYCLE_1)
	v_cndmask_b32_e64 v26, 0, v26, s0
	s_delay_alu instid0(VALU_DEP_2) | instskip(NEXT) | instid1(VALU_DEP_1)
	v_cndmask_b32_e64 v27, 0, v27, s1
	v_add_f64 v[16:17], v[16:17], v[26:27]
.LBB689_63:
	s_or_b32 exec_lo, exec_lo, s16
.LBB689_64:
	s_delay_alu instid0(SALU_CYCLE_1)
	s_or_b32 exec_lo, exec_lo, s10
	s_and_saveexec_b32 s10, s15
	s_cbranch_execz .LBB689_68
; %bb.65:
	global_load_u8 v20, v[4:5], off offset:128
	v_mov_b32_e32 v24, 0
	s_waitcnt vmcnt(0)
	v_dual_mov_b32 v25, 0 :: v_dual_and_b32 v20, 1, v20
	s_delay_alu instid0(VALU_DEP_1) | instskip(NEXT) | instid1(VALU_DEP_1)
	v_cmp_eq_u32_e64 s0, 1, v20
	s_xor_b32 s0, s0, -1
	s_delay_alu instid0(SALU_CYCLE_1)
	s_and_saveexec_b32 s15, s0
	s_cbranch_execz .LBB689_67
; %bb.66:
	v_add_f64 v[12:13], v[12:13], -v[18:19]
	s_mov_b32 s0, 0x652b82fe
	s_mov_b32 s1, 0x3ff71547
	;; [unrolled: 1-line block ×4, first 2 shown]
	s_delay_alu instid0(VALU_DEP_1) | instskip(SKIP_2) | instid1(VALU_DEP_1)
	v_mul_f64 v[20:21], v[12:13], s[0:1]
	s_mov_b32 s0, 0xfefa39ef
	s_mov_b32 s1, 0xbfe62e42
	v_rndne_f64_e32 v[20:21], v[20:21]
	s_delay_alu instid0(VALU_DEP_1) | instskip(SKIP_3) | instid1(VALU_DEP_2)
	v_fma_f64 v[24:25], v[20:21], s[0:1], v[12:13]
	s_mov_b32 s0, 0x3b39803f
	s_mov_b32 s1, 0xbc7abc9e
	v_cvt_i32_f64_e32 v36, v[20:21]
	v_fma_f64 v[24:25], v[20:21], s[0:1], v[24:25]
	s_mov_b32 s0, 0xfca7ab0c
	s_mov_b32 s1, 0x3e928af3
	s_delay_alu instid0(VALU_DEP_1) | instid1(SALU_CYCLE_1)
	v_fma_f64 v[34:35], v[24:25], s[16:17], s[0:1]
	s_mov_b32 s0, 0x623fde64
	s_mov_b32 s1, 0x3ec71dee
	s_delay_alu instid0(VALU_DEP_1) | instid1(SALU_CYCLE_1)
	;; [unrolled: 4-line block ×9, first 2 shown]
	v_fma_f64 v[34:35], v[24:25], v[34:35], s[0:1]
	v_cmp_nlt_f64_e64 s0, 0x40900000, v[12:13]
	v_cmp_ngt_f64_e64 s1, 0xc090cc00, v[12:13]
	s_delay_alu instid0(VALU_DEP_3) | instskip(NEXT) | instid1(VALU_DEP_1)
	v_fma_f64 v[34:35], v[24:25], v[34:35], 1.0
	v_fma_f64 v[20:21], v[24:25], v[34:35], 1.0
	s_delay_alu instid0(VALU_DEP_1) | instskip(NEXT) | instid1(VALU_DEP_1)
	v_ldexp_f64 v[20:21], v[20:21], v36
	v_cndmask_b32_e64 v21, 0x7ff00000, v21, s0
	s_and_b32 s0, s1, s0
	s_delay_alu instid0(VALU_DEP_2) | instid1(SALU_CYCLE_1)
	v_cndmask_b32_e64 v24, 0, v20, s0
	s_delay_alu instid0(VALU_DEP_2) | instskip(NEXT) | instid1(VALU_DEP_1)
	v_cndmask_b32_e64 v25, 0, v21, s1
	v_add_f64 v[16:17], v[16:17], v[24:25]
.LBB689_67:
	s_or_b32 exec_lo, exec_lo, s15
.LBB689_68:
	s_delay_alu instid0(SALU_CYCLE_1) | instskip(SKIP_2) | instid1(VALU_DEP_1)
	s_or_b32 exec_lo, exec_lo, s10
	v_mov_b32_e32 v12, 0
	v_mov_b32_e32 v13, 0
	v_dual_mov_b32 v21, v13 :: v_dual_mov_b32 v20, v12
	s_and_saveexec_b32 s10, s14
	s_cbranch_execz .LBB689_72
; %bb.69:
	global_load_u8 v20, v[4:5], off offset:160
	s_waitcnt vmcnt(0)
	v_and_b32_e32 v20, 1, v20
	s_delay_alu instid0(VALU_DEP_1) | instskip(SKIP_2) | instid1(VALU_DEP_3)
	v_cmp_eq_u32_e64 s0, 1, v20
	v_mov_b32_e32 v20, 0
	v_mov_b32_e32 v21, 0
	s_xor_b32 s0, s0, -1
	s_delay_alu instid0(SALU_CYCLE_1)
	s_and_saveexec_b32 s14, s0
	s_cbranch_execz .LBB689_71
; %bb.70:
	v_add_f64 v[8:9], v[8:9], -v[18:19]
	s_mov_b32 s0, 0x652b82fe
	s_mov_b32 s1, 0x3ff71547
	;; [unrolled: 1-line block ×4, first 2 shown]
	s_delay_alu instid0(VALU_DEP_1) | instskip(SKIP_2) | instid1(VALU_DEP_1)
	v_mul_f64 v[20:21], v[8:9], s[0:1]
	s_mov_b32 s0, 0xfefa39ef
	s_mov_b32 s1, 0xbfe62e42
	v_rndne_f64_e32 v[20:21], v[20:21]
	s_delay_alu instid0(VALU_DEP_1) | instskip(SKIP_3) | instid1(VALU_DEP_2)
	v_fma_f64 v[34:35], v[20:21], s[0:1], v[8:9]
	s_mov_b32 s0, 0x3b39803f
	s_mov_b32 s1, 0xbc7abc9e
	v_cvt_i32_f64_e32 v38, v[20:21]
	v_fma_f64 v[34:35], v[20:21], s[0:1], v[34:35]
	s_mov_b32 s0, 0xfca7ab0c
	s_mov_b32 s1, 0x3e928af3
	s_delay_alu instid0(VALU_DEP_1) | instid1(SALU_CYCLE_1)
	v_fma_f64 v[36:37], v[34:35], s[16:17], s[0:1]
	s_mov_b32 s0, 0x623fde64
	s_mov_b32 s1, 0x3ec71dee
	s_delay_alu instid0(VALU_DEP_1) | instid1(SALU_CYCLE_1)
	;; [unrolled: 4-line block ×9, first 2 shown]
	v_fma_f64 v[36:37], v[34:35], v[36:37], s[0:1]
	v_cmp_nlt_f64_e64 s0, 0x40900000, v[8:9]
	v_cmp_ngt_f64_e64 s1, 0xc090cc00, v[8:9]
	s_delay_alu instid0(VALU_DEP_3) | instskip(NEXT) | instid1(VALU_DEP_1)
	v_fma_f64 v[36:37], v[34:35], v[36:37], 1.0
	v_fma_f64 v[20:21], v[34:35], v[36:37], 1.0
	s_delay_alu instid0(VALU_DEP_1) | instskip(NEXT) | instid1(VALU_DEP_1)
	v_ldexp_f64 v[20:21], v[20:21], v38
	v_cndmask_b32_e64 v21, 0x7ff00000, v21, s0
	s_and_b32 s0, s1, s0
	s_delay_alu instid0(VALU_DEP_2) | instid1(SALU_CYCLE_1)
	v_cndmask_b32_e64 v20, 0, v20, s0
	s_delay_alu instid0(VALU_DEP_2) | instskip(NEXT) | instid1(VALU_DEP_1)
	v_cndmask_b32_e64 v21, 0, v21, s1
	v_add_f64 v[16:17], v[16:17], v[20:21]
.LBB689_71:
	s_or_b32 exec_lo, exec_lo, s14
.LBB689_72:
	s_delay_alu instid0(SALU_CYCLE_1)
	s_or_b32 exec_lo, exec_lo, s10
	s_and_saveexec_b32 s10, s11
	s_cbranch_execz .LBB689_76
; %bb.73:
	global_load_u8 v8, v[4:5], off offset:192
	v_mov_b32_e32 v12, 0
	s_waitcnt vmcnt(0)
	v_dual_mov_b32 v13, 0 :: v_dual_and_b32 v8, 1, v8
	s_delay_alu instid0(VALU_DEP_1) | instskip(NEXT) | instid1(VALU_DEP_1)
	v_cmp_eq_u32_e64 s0, 1, v8
	s_xor_b32 s0, s0, -1
	s_delay_alu instid0(SALU_CYCLE_1)
	s_and_saveexec_b32 s11, s0
	s_cbranch_execz .LBB689_75
; %bb.74:
	v_add_f64 v[6:7], v[6:7], -v[18:19]
	s_mov_b32 s0, 0x652b82fe
	s_mov_b32 s1, 0x3ff71547
	;; [unrolled: 1-line block ×4, first 2 shown]
	s_delay_alu instid0(VALU_DEP_1) | instskip(SKIP_2) | instid1(VALU_DEP_1)
	v_mul_f64 v[8:9], v[6:7], s[0:1]
	s_mov_b32 s0, 0xfefa39ef
	s_mov_b32 s1, 0xbfe62e42
	v_rndne_f64_e32 v[8:9], v[8:9]
	s_delay_alu instid0(VALU_DEP_1) | instskip(SKIP_3) | instid1(VALU_DEP_2)
	v_fma_f64 v[12:13], v[8:9], s[0:1], v[6:7]
	s_mov_b32 s0, 0x3b39803f
	s_mov_b32 s1, 0xbc7abc9e
	v_cvt_i32_f64_e32 v36, v[8:9]
	v_fma_f64 v[12:13], v[8:9], s[0:1], v[12:13]
	s_mov_b32 s0, 0xfca7ab0c
	s_mov_b32 s1, 0x3e928af3
	s_delay_alu instid0(VALU_DEP_1) | instid1(SALU_CYCLE_1)
	v_fma_f64 v[34:35], v[12:13], s[14:15], s[0:1]
	s_mov_b32 s0, 0x623fde64
	s_mov_b32 s1, 0x3ec71dee
	s_delay_alu instid0(VALU_DEP_1) | instid1(SALU_CYCLE_1)
	;; [unrolled: 4-line block ×9, first 2 shown]
	v_fma_f64 v[34:35], v[12:13], v[34:35], s[0:1]
	v_cmp_nlt_f64_e64 s0, 0x40900000, v[6:7]
	v_cmp_ngt_f64_e64 s1, 0xc090cc00, v[6:7]
	s_delay_alu instid0(VALU_DEP_3) | instskip(NEXT) | instid1(VALU_DEP_1)
	v_fma_f64 v[34:35], v[12:13], v[34:35], 1.0
	v_fma_f64 v[8:9], v[12:13], v[34:35], 1.0
	s_delay_alu instid0(VALU_DEP_1) | instskip(NEXT) | instid1(VALU_DEP_1)
	v_ldexp_f64 v[8:9], v[8:9], v36
	v_cndmask_b32_e64 v9, 0x7ff00000, v9, s0
	s_and_b32 s0, s1, s0
	s_delay_alu instid0(VALU_DEP_2) | instid1(SALU_CYCLE_1)
	v_cndmask_b32_e64 v12, 0, v8, s0
	s_delay_alu instid0(VALU_DEP_2) | instskip(NEXT) | instid1(VALU_DEP_1)
	v_cndmask_b32_e64 v13, 0, v9, s1
	v_add_f64 v[16:17], v[16:17], v[12:13]
.LBB689_75:
	s_or_b32 exec_lo, exec_lo, s11
.LBB689_76:
	s_delay_alu instid0(SALU_CYCLE_1)
	s_or_b32 exec_lo, exec_lo, s10
	v_mov_b32_e32 v6, 0
	v_mov_b32_e32 v7, 0
	s_and_saveexec_b32 s10, s9
	s_cbranch_execz .LBB689_80
; %bb.77:
	global_load_u8 v4, v[4:5], off offset:224
	v_mov_b32_e32 v6, 0
	s_waitcnt vmcnt(0)
	v_dual_mov_b32 v7, 0 :: v_dual_and_b32 v4, 1, v4
	s_delay_alu instid0(VALU_DEP_1) | instskip(NEXT) | instid1(VALU_DEP_1)
	v_cmp_eq_u32_e64 s0, 1, v4
	s_xor_b32 s0, s0, -1
	s_delay_alu instid0(SALU_CYCLE_1)
	s_and_saveexec_b32 s9, s0
	s_cbranch_execz .LBB689_79
; %bb.78:
	v_add_f64 v[2:3], v[2:3], -v[18:19]
	s_mov_b32 s0, 0x652b82fe
	s_mov_b32 s1, 0x3ff71547
	;; [unrolled: 1-line block ×4, first 2 shown]
	s_delay_alu instid0(VALU_DEP_1) | instskip(SKIP_2) | instid1(VALU_DEP_1)
	v_mul_f64 v[4:5], v[2:3], s[0:1]
	s_mov_b32 s0, 0xfefa39ef
	s_mov_b32 s1, 0xbfe62e42
	v_rndne_f64_e32 v[4:5], v[4:5]
	s_delay_alu instid0(VALU_DEP_1) | instskip(SKIP_3) | instid1(VALU_DEP_2)
	v_fma_f64 v[6:7], v[4:5], s[0:1], v[2:3]
	s_mov_b32 s0, 0x3b39803f
	s_mov_b32 s1, 0xbc7abc9e
	v_cvt_i32_f64_e32 v18, v[4:5]
	v_fma_f64 v[6:7], v[4:5], s[0:1], v[6:7]
	s_mov_b32 s0, 0xfca7ab0c
	s_mov_b32 s1, 0x3e928af3
	s_delay_alu instid0(VALU_DEP_1) | instid1(SALU_CYCLE_1)
	v_fma_f64 v[8:9], v[6:7], s[14:15], s[0:1]
	s_mov_b32 s0, 0x623fde64
	s_mov_b32 s1, 0x3ec71dee
	s_delay_alu instid0(VALU_DEP_1) | instid1(SALU_CYCLE_1)
	v_fma_f64 v[8:9], v[6:7], v[8:9], s[0:1]
	s_mov_b32 s0, 0x7c89e6b0
	s_mov_b32 s1, 0x3efa0199
	s_delay_alu instid0(VALU_DEP_1) | instid1(SALU_CYCLE_1)
	v_fma_f64 v[8:9], v[6:7], v[8:9], s[0:1]
	s_mov_b32 s0, 0x14761f6e
	s_mov_b32 s1, 0x3f2a01a0
	s_delay_alu instid0(VALU_DEP_1) | instid1(SALU_CYCLE_1)
	v_fma_f64 v[8:9], v[6:7], v[8:9], s[0:1]
	s_mov_b32 s0, 0x1852b7b0
	s_mov_b32 s1, 0x3f56c16c
	s_delay_alu instid0(VALU_DEP_1) | instid1(SALU_CYCLE_1)
	v_fma_f64 v[8:9], v[6:7], v[8:9], s[0:1]
	s_mov_b32 s0, 0x11122322
	s_mov_b32 s1, 0x3f811111
	s_delay_alu instid0(VALU_DEP_1) | instid1(SALU_CYCLE_1)
	v_fma_f64 v[8:9], v[6:7], v[8:9], s[0:1]
	s_mov_b32 s0, 0x555502a1
	s_mov_b32 s1, 0x3fa55555
	s_delay_alu instid0(VALU_DEP_1) | instid1(SALU_CYCLE_1)
	v_fma_f64 v[8:9], v[6:7], v[8:9], s[0:1]
	s_mov_b32 s0, 0x55555511
	s_mov_b32 s1, 0x3fc55555
	s_delay_alu instid0(VALU_DEP_1) | instid1(SALU_CYCLE_1)
	v_fma_f64 v[8:9], v[6:7], v[8:9], s[0:1]
	s_mov_b32 s0, 11
	s_mov_b32 s1, 0x3fe00000
	s_delay_alu instid0(VALU_DEP_1) | instid1(SALU_CYCLE_1)
	v_fma_f64 v[8:9], v[6:7], v[8:9], s[0:1]
	v_cmp_nlt_f64_e64 s0, 0x40900000, v[2:3]
	v_cmp_ngt_f64_e64 s1, 0xc090cc00, v[2:3]
	s_delay_alu instid0(VALU_DEP_3) | instskip(NEXT) | instid1(VALU_DEP_1)
	v_fma_f64 v[8:9], v[6:7], v[8:9], 1.0
	v_fma_f64 v[4:5], v[6:7], v[8:9], 1.0
	s_delay_alu instid0(VALU_DEP_1) | instskip(NEXT) | instid1(VALU_DEP_1)
	v_ldexp_f64 v[4:5], v[4:5], v18
	v_cndmask_b32_e64 v5, 0x7ff00000, v5, s0
	s_and_b32 s0, s1, s0
	s_delay_alu instid0(VALU_DEP_2) | instid1(SALU_CYCLE_1)
	v_cndmask_b32_e64 v6, 0, v4, s0
	s_delay_alu instid0(VALU_DEP_2) | instskip(NEXT) | instid1(VALU_DEP_1)
	v_cndmask_b32_e64 v7, 0, v5, s1
	v_add_f64 v[16:17], v[16:17], v[6:7]
.LBB689_79:
	s_or_b32 exec_lo, exec_lo, s9
.LBB689_80:
	s_delay_alu instid0(SALU_CYCLE_1)
	s_or_b32 exec_lo, exec_lo, s10
	ds_bpermute_b32 v2, v29, v16
	ds_bpermute_b32 v3, v29, v17
	s_mov_b32 s1, exec_lo
	s_waitcnt lgkmcnt(0)
	v_add_f64 v[2:3], v[16:17], v[2:3]
	ds_bpermute_b32 v4, v30, v2
	ds_bpermute_b32 v5, v30, v3
	s_waitcnt lgkmcnt(0)
	v_add_f64 v[2:3], v[2:3], v[4:5]
	ds_bpermute_b32 v4, v31, v2
	ds_bpermute_b32 v5, v31, v3
	;; [unrolled: 4-line block ×4, first 2 shown]
	v_cmpx_lt_i32_e32 0, v28
	s_cbranch_execz .LBB689_90
; %bb.81:
	s_and_b32 exec_lo, exec_lo, vcc_lo
	s_cbranch_execz .LBB689_90
; %bb.82:
	s_waitcnt lgkmcnt(0)
	v_add_f64 v[2:3], v[2:3], v[4:5]
	s_delay_alu instid0(VALU_DEP_1) | instskip(SKIP_2) | instid1(VALU_DEP_3)
	v_div_scale_f64 v[4:5], null, v[2:3], v[2:3], v[14:15]
	v_div_scale_f64 v[18:19], vcc_lo, v[14:15], v[2:3], v[14:15]
	v_cmp_eq_f64_e64 s0, 0, v[2:3]
	v_rcp_f64_e32 v[8:9], v[4:5]
	s_waitcnt_depctr 0xfff
	v_fma_f64 v[16:17], -v[4:5], v[8:9], 1.0
	s_delay_alu instid0(VALU_DEP_1) | instskip(NEXT) | instid1(VALU_DEP_1)
	v_fma_f64 v[8:9], v[8:9], v[16:17], v[8:9]
	v_fma_f64 v[16:17], -v[4:5], v[8:9], 1.0
	s_delay_alu instid0(VALU_DEP_1) | instskip(NEXT) | instid1(VALU_DEP_1)
	v_fma_f64 v[8:9], v[8:9], v[16:17], v[8:9]
	v_mul_f64 v[16:17], v[18:19], v[8:9]
	s_delay_alu instid0(VALU_DEP_1) | instskip(NEXT) | instid1(VALU_DEP_1)
	v_fma_f64 v[4:5], -v[4:5], v[16:17], v[18:19]
	v_div_fmas_f64 v[4:5], v[4:5], v[8:9], v[16:17]
	v_add_co_u32 v0, vcc_lo, s12, v0
	v_add_co_ci_u32_e32 v1, vcc_lo, s13, v1, vcc_lo
	s_delay_alu instid0(VALU_DEP_3) | instskip(NEXT) | instid1(VALU_DEP_1)
	v_div_fixup_f64 v[4:5], v[4:5], v[2:3], v[14:15]
	v_cndmask_b32_e64 v5, v5, 0x7ff80000, s0
	s_delay_alu instid0(VALU_DEP_2)
	v_cndmask_b32_e64 v4, v4, 0, s0
	global_store_b64 v[0:1], v[4:5], off
	s_and_b32 exec_lo, exec_lo, s8
	s_cbranch_execz .LBB689_90
; %bb.83:
	v_div_scale_f64 v[4:5], null, v[2:3], v[2:3], v[22:23]
	v_div_scale_f64 v[16:17], vcc_lo, v[22:23], v[2:3], v[22:23]
	s_delay_alu instid0(VALU_DEP_2) | instskip(SKIP_2) | instid1(VALU_DEP_1)
	v_rcp_f64_e32 v[8:9], v[4:5]
	s_waitcnt_depctr 0xfff
	v_fma_f64 v[14:15], -v[4:5], v[8:9], 1.0
	v_fma_f64 v[8:9], v[8:9], v[14:15], v[8:9]
	s_delay_alu instid0(VALU_DEP_1) | instskip(NEXT) | instid1(VALU_DEP_1)
	v_fma_f64 v[14:15], -v[4:5], v[8:9], 1.0
	v_fma_f64 v[8:9], v[8:9], v[14:15], v[8:9]
	s_delay_alu instid0(VALU_DEP_1) | instskip(NEXT) | instid1(VALU_DEP_1)
	v_mul_f64 v[14:15], v[16:17], v[8:9]
	v_fma_f64 v[4:5], -v[4:5], v[14:15], v[16:17]
	s_delay_alu instid0(VALU_DEP_1) | instskip(NEXT) | instid1(VALU_DEP_1)
	v_div_fmas_f64 v[4:5], v[4:5], v[8:9], v[14:15]
	v_div_fixup_f64 v[4:5], v[4:5], v[2:3], v[22:23]
	s_delay_alu instid0(VALU_DEP_1) | instskip(NEXT) | instid1(VALU_DEP_2)
	v_cndmask_b32_e64 v5, v5, 0x7ff80000, s0
	v_cndmask_b32_e64 v4, v4, 0, s0
	global_store_b64 v[0:1], v[4:5], off offset:256
	s_and_b32 exec_lo, exec_lo, s7
	s_cbranch_execz .LBB689_90
; %bb.84:
	v_div_scale_f64 v[4:5], null, v[2:3], v[2:3], v[10:11]
	v_div_scale_f64 v[16:17], vcc_lo, v[10:11], v[2:3], v[10:11]
	s_delay_alu instid0(VALU_DEP_2) | instskip(SKIP_2) | instid1(VALU_DEP_1)
	v_rcp_f64_e32 v[8:9], v[4:5]
	s_waitcnt_depctr 0xfff
	v_fma_f64 v[14:15], -v[4:5], v[8:9], 1.0
	v_fma_f64 v[8:9], v[8:9], v[14:15], v[8:9]
	s_delay_alu instid0(VALU_DEP_1) | instskip(NEXT) | instid1(VALU_DEP_1)
	v_fma_f64 v[14:15], -v[4:5], v[8:9], 1.0
	v_fma_f64 v[8:9], v[8:9], v[14:15], v[8:9]
	s_delay_alu instid0(VALU_DEP_1) | instskip(NEXT) | instid1(VALU_DEP_1)
	v_mul_f64 v[14:15], v[16:17], v[8:9]
	v_fma_f64 v[4:5], -v[4:5], v[14:15], v[16:17]
	s_delay_alu instid0(VALU_DEP_1) | instskip(NEXT) | instid1(VALU_DEP_1)
	v_div_fmas_f64 v[4:5], v[4:5], v[8:9], v[14:15]
	v_div_fixup_f64 v[4:5], v[4:5], v[2:3], v[10:11]
	s_delay_alu instid0(VALU_DEP_1) | instskip(NEXT) | instid1(VALU_DEP_2)
	v_cndmask_b32_e64 v5, v5, 0x7ff80000, s0
	v_cndmask_b32_e64 v4, v4, 0, s0
	global_store_b64 v[0:1], v[4:5], off offset:512
	s_and_b32 exec_lo, exec_lo, s6
	s_cbranch_execz .LBB689_90
; %bb.85:
	v_div_scale_f64 v[4:5], null, v[2:3], v[2:3], v[26:27]
	v_div_scale_f64 v[14:15], vcc_lo, v[26:27], v[2:3], v[26:27]
	s_delay_alu instid0(VALU_DEP_2) | instskip(SKIP_2) | instid1(VALU_DEP_1)
	v_rcp_f64_e32 v[8:9], v[4:5]
	s_waitcnt_depctr 0xfff
	v_fma_f64 v[10:11], -v[4:5], v[8:9], 1.0
	v_fma_f64 v[8:9], v[8:9], v[10:11], v[8:9]
	s_delay_alu instid0(VALU_DEP_1) | instskip(NEXT) | instid1(VALU_DEP_1)
	v_fma_f64 v[10:11], -v[4:5], v[8:9], 1.0
	v_fma_f64 v[8:9], v[8:9], v[10:11], v[8:9]
	s_delay_alu instid0(VALU_DEP_1) | instskip(NEXT) | instid1(VALU_DEP_1)
	v_mul_f64 v[10:11], v[14:15], v[8:9]
	v_fma_f64 v[4:5], -v[4:5], v[10:11], v[14:15]
	s_delay_alu instid0(VALU_DEP_1) | instskip(NEXT) | instid1(VALU_DEP_1)
	v_div_fmas_f64 v[4:5], v[4:5], v[8:9], v[10:11]
	v_div_fixup_f64 v[4:5], v[4:5], v[2:3], v[26:27]
	s_delay_alu instid0(VALU_DEP_1) | instskip(NEXT) | instid1(VALU_DEP_2)
	v_cndmask_b32_e64 v5, v5, 0x7ff80000, s0
	v_cndmask_b32_e64 v4, v4, 0, s0
	global_store_b64 v[0:1], v[4:5], off offset:768
	s_and_b32 exec_lo, exec_lo, s5
	s_cbranch_execz .LBB689_90
; %bb.86:
	v_div_scale_f64 v[4:5], null, v[2:3], v[2:3], v[24:25]
	v_div_scale_f64 v[14:15], vcc_lo, v[24:25], v[2:3], v[24:25]
	s_delay_alu instid0(VALU_DEP_2) | instskip(SKIP_2) | instid1(VALU_DEP_1)
	v_rcp_f64_e32 v[8:9], v[4:5]
	s_waitcnt_depctr 0xfff
	v_fma_f64 v[10:11], -v[4:5], v[8:9], 1.0
	v_fma_f64 v[8:9], v[8:9], v[10:11], v[8:9]
	s_delay_alu instid0(VALU_DEP_1) | instskip(NEXT) | instid1(VALU_DEP_1)
	v_fma_f64 v[10:11], -v[4:5], v[8:9], 1.0
	v_fma_f64 v[8:9], v[8:9], v[10:11], v[8:9]
	s_delay_alu instid0(VALU_DEP_1) | instskip(NEXT) | instid1(VALU_DEP_1)
	v_mul_f64 v[10:11], v[14:15], v[8:9]
	v_fma_f64 v[4:5], -v[4:5], v[10:11], v[14:15]
	s_delay_alu instid0(VALU_DEP_1) | instskip(NEXT) | instid1(VALU_DEP_1)
	v_div_fmas_f64 v[4:5], v[4:5], v[8:9], v[10:11]
	v_div_fixup_f64 v[4:5], v[4:5], v[2:3], v[24:25]
	s_delay_alu instid0(VALU_DEP_1) | instskip(NEXT) | instid1(VALU_DEP_2)
	v_cndmask_b32_e64 v5, v5, 0x7ff80000, s0
	v_cndmask_b32_e64 v4, v4, 0, s0
	global_store_b64 v[0:1], v[4:5], off offset:1024
	s_and_b32 exec_lo, exec_lo, s4
	s_cbranch_execz .LBB689_90
; %bb.87:
	v_div_scale_f64 v[4:5], null, v[2:3], v[2:3], v[20:21]
	v_div_scale_f64 v[14:15], vcc_lo, v[20:21], v[2:3], v[20:21]
	s_delay_alu instid0(VALU_DEP_2) | instskip(SKIP_2) | instid1(VALU_DEP_1)
	v_rcp_f64_e32 v[8:9], v[4:5]
	s_waitcnt_depctr 0xfff
	v_fma_f64 v[10:11], -v[4:5], v[8:9], 1.0
	v_fma_f64 v[8:9], v[8:9], v[10:11], v[8:9]
	s_delay_alu instid0(VALU_DEP_1) | instskip(NEXT) | instid1(VALU_DEP_1)
	v_fma_f64 v[10:11], -v[4:5], v[8:9], 1.0
	v_fma_f64 v[8:9], v[8:9], v[10:11], v[8:9]
	s_delay_alu instid0(VALU_DEP_1) | instskip(NEXT) | instid1(VALU_DEP_1)
	v_mul_f64 v[10:11], v[14:15], v[8:9]
	v_fma_f64 v[4:5], -v[4:5], v[10:11], v[14:15]
	s_delay_alu instid0(VALU_DEP_1) | instskip(NEXT) | instid1(VALU_DEP_1)
	v_div_fmas_f64 v[4:5], v[4:5], v[8:9], v[10:11]
	v_div_fixup_f64 v[4:5], v[4:5], v[2:3], v[20:21]
	s_delay_alu instid0(VALU_DEP_1) | instskip(NEXT) | instid1(VALU_DEP_2)
	v_cndmask_b32_e64 v5, v5, 0x7ff80000, s0
	v_cndmask_b32_e64 v4, v4, 0, s0
	global_store_b64 v[0:1], v[4:5], off offset:1280
	s_and_b32 exec_lo, exec_lo, s3
	s_cbranch_execz .LBB689_90
; %bb.88:
	v_div_scale_f64 v[4:5], null, v[2:3], v[2:3], v[12:13]
	v_div_scale_f64 v[14:15], vcc_lo, v[12:13], v[2:3], v[12:13]
	s_delay_alu instid0(VALU_DEP_2) | instskip(SKIP_2) | instid1(VALU_DEP_1)
	v_rcp_f64_e32 v[8:9], v[4:5]
	s_waitcnt_depctr 0xfff
	v_fma_f64 v[10:11], -v[4:5], v[8:9], 1.0
	v_fma_f64 v[8:9], v[8:9], v[10:11], v[8:9]
	s_delay_alu instid0(VALU_DEP_1) | instskip(NEXT) | instid1(VALU_DEP_1)
	v_fma_f64 v[10:11], -v[4:5], v[8:9], 1.0
	v_fma_f64 v[8:9], v[8:9], v[10:11], v[8:9]
	s_delay_alu instid0(VALU_DEP_1) | instskip(NEXT) | instid1(VALU_DEP_1)
	v_mul_f64 v[10:11], v[14:15], v[8:9]
	v_fma_f64 v[4:5], -v[4:5], v[10:11], v[14:15]
	s_delay_alu instid0(VALU_DEP_1) | instskip(NEXT) | instid1(VALU_DEP_1)
	v_div_fmas_f64 v[4:5], v[4:5], v[8:9], v[10:11]
	v_div_fixup_f64 v[4:5], v[4:5], v[2:3], v[12:13]
	s_delay_alu instid0(VALU_DEP_1) | instskip(NEXT) | instid1(VALU_DEP_2)
	v_cndmask_b32_e64 v5, v5, 0x7ff80000, s0
	v_cndmask_b32_e64 v4, v4, 0, s0
	global_store_b64 v[0:1], v[4:5], off offset:1536
	s_and_b32 exec_lo, exec_lo, s2
	s_cbranch_execz .LBB689_90
; %bb.89:
	v_div_scale_f64 v[4:5], null, v[2:3], v[2:3], v[6:7]
	v_div_scale_f64 v[12:13], vcc_lo, v[6:7], v[2:3], v[6:7]
	s_delay_alu instid0(VALU_DEP_2) | instskip(SKIP_2) | instid1(VALU_DEP_1)
	v_rcp_f64_e32 v[8:9], v[4:5]
	s_waitcnt_depctr 0xfff
	v_fma_f64 v[10:11], -v[4:5], v[8:9], 1.0
	v_fma_f64 v[8:9], v[8:9], v[10:11], v[8:9]
	s_delay_alu instid0(VALU_DEP_1) | instskip(NEXT) | instid1(VALU_DEP_1)
	v_fma_f64 v[10:11], -v[4:5], v[8:9], 1.0
	v_fma_f64 v[8:9], v[8:9], v[10:11], v[8:9]
	s_delay_alu instid0(VALU_DEP_1) | instskip(NEXT) | instid1(VALU_DEP_1)
	v_mul_f64 v[10:11], v[12:13], v[8:9]
	v_fma_f64 v[4:5], -v[4:5], v[10:11], v[12:13]
	s_delay_alu instid0(VALU_DEP_1) | instskip(NEXT) | instid1(VALU_DEP_1)
	v_div_fmas_f64 v[4:5], v[4:5], v[8:9], v[10:11]
	v_div_fixup_f64 v[2:3], v[4:5], v[2:3], v[6:7]
	s_delay_alu instid0(VALU_DEP_1) | instskip(NEXT) | instid1(VALU_DEP_2)
	v_cndmask_b32_e64 v3, v3, 0x7ff80000, s0
	v_cndmask_b32_e64 v2, v2, 0, s0
	global_store_b64 v[0:1], v[2:3], off offset:1792
.LBB689_90:
	s_nop 0
	s_sendmsg sendmsg(MSG_DEALLOC_VGPRS)
	s_endpgm
	.section	.rodata,"a",@progbits
	.p2align	6, 0x0
	.amdhsa_kernel _ZN12_GLOBAL__N_120softmax_warp_forwardIdddLi8ELb0ELb1ELi32EEEvPT0_PKT_iiiPKbib
		.amdhsa_group_segment_fixed_size 0
		.amdhsa_private_segment_fixed_size 0
		.amdhsa_kernarg_size 304
		.amdhsa_user_sgpr_count 15
		.amdhsa_user_sgpr_dispatch_ptr 0
		.amdhsa_user_sgpr_queue_ptr 0
		.amdhsa_user_sgpr_kernarg_segment_ptr 1
		.amdhsa_user_sgpr_dispatch_id 0
		.amdhsa_user_sgpr_private_segment_size 0
		.amdhsa_wavefront_size32 1
		.amdhsa_uses_dynamic_stack 0
		.amdhsa_enable_private_segment 0
		.amdhsa_system_sgpr_workgroup_id_x 1
		.amdhsa_system_sgpr_workgroup_id_y 0
		.amdhsa_system_sgpr_workgroup_id_z 0
		.amdhsa_system_sgpr_workgroup_info 0
		.amdhsa_system_vgpr_workitem_id 1
		.amdhsa_next_free_vgpr 39
		.amdhsa_next_free_sgpr 22
		.amdhsa_reserve_vcc 1
		.amdhsa_float_round_mode_32 0
		.amdhsa_float_round_mode_16_64 0
		.amdhsa_float_denorm_mode_32 3
		.amdhsa_float_denorm_mode_16_64 3
		.amdhsa_dx10_clamp 1
		.amdhsa_ieee_mode 1
		.amdhsa_fp16_overflow 0
		.amdhsa_workgroup_processor_mode 1
		.amdhsa_memory_ordered 1
		.amdhsa_forward_progress 0
		.amdhsa_shared_vgpr_count 0
		.amdhsa_exception_fp_ieee_invalid_op 0
		.amdhsa_exception_fp_denorm_src 0
		.amdhsa_exception_fp_ieee_div_zero 0
		.amdhsa_exception_fp_ieee_overflow 0
		.amdhsa_exception_fp_ieee_underflow 0
		.amdhsa_exception_fp_ieee_inexact 0
		.amdhsa_exception_int_div_zero 0
	.end_amdhsa_kernel
	.section	.text._ZN12_GLOBAL__N_120softmax_warp_forwardIdddLi8ELb0ELb1ELi32EEEvPT0_PKT_iiiPKbib,"axG",@progbits,_ZN12_GLOBAL__N_120softmax_warp_forwardIdddLi8ELb0ELb1ELi32EEEvPT0_PKT_iiiPKbib,comdat
.Lfunc_end689:
	.size	_ZN12_GLOBAL__N_120softmax_warp_forwardIdddLi8ELb0ELb1ELi32EEEvPT0_PKT_iiiPKbib, .Lfunc_end689-_ZN12_GLOBAL__N_120softmax_warp_forwardIdddLi8ELb0ELb1ELi32EEEvPT0_PKT_iiiPKbib
                                        ; -- End function
	.section	.AMDGPU.csdata,"",@progbits
; Kernel info:
; codeLenInByte = 7848
; NumSgprs: 24
; NumVgprs: 39
; ScratchSize: 0
; MemoryBound: 0
; FloatMode: 240
; IeeeMode: 1
; LDSByteSize: 0 bytes/workgroup (compile time only)
; SGPRBlocks: 2
; VGPRBlocks: 4
; NumSGPRsForWavesPerEU: 24
; NumVGPRsForWavesPerEU: 39
; Occupancy: 16
; WaveLimiterHint : 0
; COMPUTE_PGM_RSRC2:SCRATCH_EN: 0
; COMPUTE_PGM_RSRC2:USER_SGPR: 15
; COMPUTE_PGM_RSRC2:TRAP_HANDLER: 0
; COMPUTE_PGM_RSRC2:TGID_X_EN: 1
; COMPUTE_PGM_RSRC2:TGID_Y_EN: 0
; COMPUTE_PGM_RSRC2:TGID_Z_EN: 0
; COMPUTE_PGM_RSRC2:TIDIG_COMP_CNT: 1
	.section	.text._ZN12_GLOBAL__N_120softmax_warp_forwardIdddLi9ELb0ELb1ELi64EEEvPT0_PKT_iiiPKbib,"axG",@progbits,_ZN12_GLOBAL__N_120softmax_warp_forwardIdddLi9ELb0ELb1ELi64EEEvPT0_PKT_iiiPKbib,comdat
	.globl	_ZN12_GLOBAL__N_120softmax_warp_forwardIdddLi9ELb0ELb1ELi64EEEvPT0_PKT_iiiPKbib ; -- Begin function _ZN12_GLOBAL__N_120softmax_warp_forwardIdddLi9ELb0ELb1ELi64EEEvPT0_PKT_iiiPKbib
	.p2align	8
	.type	_ZN12_GLOBAL__N_120softmax_warp_forwardIdddLi9ELb0ELb1ELi64EEEvPT0_PKT_iiiPKbib,@function
_ZN12_GLOBAL__N_120softmax_warp_forwardIdddLi9ELb0ELb1ELi64EEEvPT0_PKT_iiiPKbib: ; @_ZN12_GLOBAL__N_120softmax_warp_forwardIdddLi9ELb0ELb1ELi64EEEvPT0_PKT_iiiPKbib
; %bb.0:
	s_clause 0x1
	s_load_b32 s2, s[0:1], 0x3c
	s_load_b128 s[8:11], s[0:1], 0x10
	v_bfe_u32 v3, v0, 10, 10
	s_waitcnt lgkmcnt(0)
	s_lshr_b32 s2, s2, 16
	s_delay_alu instid0(VALU_DEP_1) | instid1(SALU_CYCLE_1)
	v_mad_u64_u32 v[1:2], null, s15, s2, v[3:4]
	s_load_b64 s[2:3], s[0:1], 0x28
	v_and_b32_e32 v4, 0x3ff, v0
	s_delay_alu instid0(VALU_DEP_2) | instskip(NEXT) | instid1(VALU_DEP_1)
	v_mul_lo_u32 v5, v1, s9
	v_add_nc_u32_e32 v2, v5, v4
	s_delay_alu instid0(VALU_DEP_1) | instskip(SKIP_2) | instid1(VALU_DEP_1)
	v_ashrrev_i32_e32 v3, 31, v2
	s_waitcnt lgkmcnt(0)
	s_bitcmp0_b32 s3, 0
	v_dual_mov_b32 v11, v3 :: v_dual_mov_b32 v10, v2
	s_cbranch_scc1 .LBB690_2
; %bb.1:
	s_abs_i32 s3, s2
	v_sub_nc_u32_e32 v7, 0, v5
	v_cvt_f32_u32_e32 v0, s3
	s_sub_i32 s4, 0, s3
	s_delay_alu instid0(VALU_DEP_2) | instskip(NEXT) | instid1(VALU_DEP_2)
	v_max_i32_e32 v7, v5, v7
	v_rcp_iflag_f32_e32 v0, v0
	v_xor_b32_e32 v5, s2, v5
	s_delay_alu instid0(VALU_DEP_1) | instskip(SKIP_2) | instid1(VALU_DEP_1)
	v_ashrrev_i32_e32 v5, 31, v5
	s_waitcnt_depctr 0xfff
	v_mul_f32_e32 v0, 0x4f7ffffe, v0
	v_cvt_u32_f32_e32 v0, v0
	s_delay_alu instid0(VALU_DEP_1) | instskip(NEXT) | instid1(VALU_DEP_1)
	v_mul_lo_u32 v6, s4, v0
	v_mul_hi_u32 v6, v0, v6
	s_delay_alu instid0(VALU_DEP_1) | instskip(NEXT) | instid1(VALU_DEP_1)
	v_add_nc_u32_e32 v0, v0, v6
	v_mul_hi_u32 v0, v7, v0
	s_delay_alu instid0(VALU_DEP_1) | instskip(NEXT) | instid1(VALU_DEP_1)
	v_mul_lo_u32 v6, v0, s3
	v_sub_nc_u32_e32 v6, v7, v6
	v_add_nc_u32_e32 v7, 1, v0
	s_delay_alu instid0(VALU_DEP_2) | instskip(SKIP_1) | instid1(VALU_DEP_3)
	v_subrev_nc_u32_e32 v8, s3, v6
	v_cmp_le_u32_e32 vcc_lo, s3, v6
	v_cndmask_b32_e32 v0, v0, v7, vcc_lo
	s_delay_alu instid0(VALU_DEP_3) | instskip(NEXT) | instid1(VALU_DEP_2)
	v_cndmask_b32_e32 v6, v6, v8, vcc_lo
	v_add_nc_u32_e32 v7, 1, v0
	s_delay_alu instid0(VALU_DEP_2) | instskip(NEXT) | instid1(VALU_DEP_2)
	v_cmp_le_u32_e32 vcc_lo, s3, v6
	v_cndmask_b32_e32 v0, v0, v7, vcc_lo
	s_delay_alu instid0(VALU_DEP_1) | instskip(NEXT) | instid1(VALU_DEP_1)
	v_xor_b32_e32 v0, v0, v5
	v_sub_nc_u32_e32 v0, v0, v5
	s_delay_alu instid0(VALU_DEP_1) | instskip(NEXT) | instid1(VALU_DEP_1)
	v_mad_u64_u32 v[10:11], null, v0, s9, v[4:5]
	v_ashrrev_i32_e32 v11, 31, v10
.LBB690_2:
	s_load_b128 s[12:15], s[0:1], 0x0
	v_sub_nc_u32_e32 v28, s8, v1
	v_lshlrev_b64 v[0:1], 3, v[2:3]
	v_mov_b32_e32 v26, 0
	v_mov_b32_e32 v27, 0xfff00000
	v_cmp_gt_i32_e32 vcc_lo, s10, v4
	v_cmp_lt_i32_e64 s9, 0, v28
	s_delay_alu instid0(VALU_DEP_3) | instskip(NEXT) | instid1(VALU_DEP_2)
	v_dual_mov_b32 v22, v26 :: v_dual_mov_b32 v23, v27
	s_and_b32 s19, s9, vcc_lo
	s_waitcnt lgkmcnt(0)
	v_add_co_u32 v14, s2, s14, v0
	s_delay_alu instid0(VALU_DEP_1)
	v_add_co_ci_u32_e64 v15, s2, s15, v1, s2
	s_and_saveexec_b32 s2, s19
	s_cbranch_execz .LBB690_4
; %bb.3:
	global_load_b64 v[22:23], v[14:15], off
.LBB690_4:
	s_or_b32 exec_lo, exec_lo, s2
	v_add_nc_u32_e32 v2, 64, v4
	s_delay_alu instid0(VALU_DEP_1) | instskip(NEXT) | instid1(VALU_DEP_1)
	v_cmp_gt_i32_e64 s8, s10, v2
	s_and_b32 s18, s9, s8
	s_delay_alu instid0(SALU_CYCLE_1)
	s_and_saveexec_b32 s2, s18
	s_cbranch_execz .LBB690_6
; %bb.5:
	global_load_b64 v[26:27], v[14:15], off offset:512
.LBB690_6:
	s_or_b32 exec_lo, exec_lo, s2
	v_mov_b32_e32 v18, 0
	v_mov_b32_e32 v19, 0xfff00000
	s_delay_alu instid0(VALU_DEP_1) | instskip(NEXT) | instid1(VALU_DEP_1)
	v_dual_mov_b32 v25, v19 :: v_dual_add_nc_u32 v2, 0x80, v4
	v_cmp_gt_i32_e64 s7, s10, v2
	s_delay_alu instid0(VALU_DEP_4) | instskip(NEXT) | instid1(VALU_DEP_2)
	v_mov_b32_e32 v24, v18
	s_and_b32 s17, s9, s7
	s_delay_alu instid0(SALU_CYCLE_1)
	s_and_saveexec_b32 s2, s17
	s_cbranch_execz .LBB690_8
; %bb.7:
	global_load_b64 v[24:25], v[14:15], off offset:1024
.LBB690_8:
	s_or_b32 exec_lo, exec_lo, s2
	v_add_nc_u32_e32 v2, 0xc0, v4
	s_delay_alu instid0(VALU_DEP_1) | instskip(NEXT) | instid1(VALU_DEP_1)
	v_cmp_gt_i32_e64 s6, s10, v2
	s_and_b32 s16, s9, s6
	s_delay_alu instid0(SALU_CYCLE_1)
	s_and_saveexec_b32 s2, s16
	s_cbranch_execz .LBB690_10
; %bb.9:
	global_load_b64 v[18:19], v[14:15], off offset:1536
.LBB690_10:
	s_or_b32 exec_lo, exec_lo, s2
	v_mov_b32_e32 v8, 0
	v_mov_b32_e32 v9, 0xfff00000
	s_delay_alu instid0(VALU_DEP_1) | instskip(NEXT) | instid1(VALU_DEP_1)
	v_dual_mov_b32 v13, v9 :: v_dual_add_nc_u32 v2, 0x100, v4
	v_cmp_gt_i32_e64 s5, s10, v2
	s_delay_alu instid0(VALU_DEP_4) | instskip(NEXT) | instid1(VALU_DEP_2)
	v_mov_b32_e32 v12, v8
	s_and_b32 s15, s9, s5
	s_delay_alu instid0(SALU_CYCLE_1)
	s_and_saveexec_b32 s2, s15
	s_cbranch_execz .LBB690_12
; %bb.11:
	global_load_b64 v[12:13], v[14:15], off offset:2048
.LBB690_12:
	s_or_b32 exec_lo, exec_lo, s2
	v_add_nc_u32_e32 v2, 0x140, v4
	s_delay_alu instid0(VALU_DEP_1) | instskip(NEXT) | instid1(VALU_DEP_1)
	v_cmp_gt_i32_e64 s4, s10, v2
	s_and_b32 s14, s9, s4
	s_delay_alu instid0(SALU_CYCLE_1)
	s_and_saveexec_b32 s2, s14
	s_cbranch_execz .LBB690_14
; %bb.13:
	global_load_b64 v[8:9], v[14:15], off offset:2560
.LBB690_14:
	s_or_b32 exec_lo, exec_lo, s2
	v_dual_mov_b32 v2, 0 :: v_dual_add_nc_u32 v5, 0x180, v4
	v_mov_b32_e32 v3, 0xfff00000
	s_delay_alu instid0(VALU_DEP_2) | instskip(NEXT) | instid1(VALU_DEP_2)
	v_cmp_gt_i32_e64 s3, s10, v5
	v_dual_mov_b32 v7, v3 :: v_dual_mov_b32 v6, v2
	s_delay_alu instid0(VALU_DEP_2) | instskip(NEXT) | instid1(SALU_CYCLE_1)
	s_and_b32 s11, s9, s3
	s_and_saveexec_b32 s2, s11
	s_cbranch_execz .LBB690_16
; %bb.15:
	global_load_b64 v[6:7], v[14:15], off offset:3072
.LBB690_16:
	s_or_b32 exec_lo, exec_lo, s2
	v_add_nc_u32_e32 v4, 0x1c0, v4
	s_delay_alu instid0(VALU_DEP_1) | instskip(NEXT) | instid1(VALU_DEP_1)
	v_cmp_gt_i32_e64 s2, s10, v4
	s_and_b32 s9, s9, s2
	s_delay_alu instid0(SALU_CYCLE_1)
	s_and_saveexec_b32 s10, s9
	s_cbranch_execz .LBB690_18
; %bb.17:
	global_load_b64 v[2:3], v[14:15], off offset:3584
.LBB690_18:
	s_or_b32 exec_lo, exec_lo, s10
	s_load_b64 s[0:1], s[0:1], 0x20
	s_waitcnt lgkmcnt(0)
	v_add_co_u32 v4, s0, s0, v10
	s_delay_alu instid0(VALU_DEP_1)
	v_add_co_ci_u32_e64 v5, s0, s1, v11, s0
	s_mov_b32 s1, 0
	s_and_saveexec_b32 s10, s19
	s_cbranch_execz .LBB690_20
; %bb.19:
	global_load_u8 v10, v[4:5], off
	s_waitcnt vmcnt(0)
	v_and_b32_e32 v10, 1, v10
	s_delay_alu instid0(VALU_DEP_1) | instskip(NEXT) | instid1(VALU_DEP_1)
	v_cmp_eq_u32_e64 s0, 1, v10
	s_xor_b32 s0, s0, -1
	s_delay_alu instid0(SALU_CYCLE_1)
	s_and_b32 s1, s0, exec_lo
.LBB690_20:
	s_or_b32 exec_lo, exec_lo, s10
	s_waitcnt vmcnt(0)
	v_dual_mov_b32 v10, v22 :: v_dual_mov_b32 v11, v23
	s_and_saveexec_b32 s10, s18
	s_cbranch_execnz .LBB690_27
; %bb.21:
	s_or_b32 exec_lo, exec_lo, s10
	s_and_saveexec_b32 s10, s17
	s_cbranch_execnz .LBB690_30
.LBB690_22:
	s_or_b32 exec_lo, exec_lo, s10
	s_and_saveexec_b32 s10, s16
	s_cbranch_execnz .LBB690_33
.LBB690_23:
	s_or_b32 exec_lo, exec_lo, s10
	s_and_saveexec_b32 s10, s15
	s_cbranch_execnz .LBB690_36
.LBB690_24:
	s_or_b32 exec_lo, exec_lo, s10
	s_and_saveexec_b32 s10, s14
	s_cbranch_execnz .LBB690_39
.LBB690_25:
	s_or_b32 exec_lo, exec_lo, s10
	s_and_saveexec_b32 s10, s11
	s_cbranch_execnz .LBB690_42
.LBB690_26:
	s_or_b32 exec_lo, exec_lo, s10
	s_and_saveexec_b32 s10, s9
	s_cbranch_execnz .LBB690_45
	s_branch .LBB690_48
.LBB690_27:
	global_load_u8 v10, v[4:5], off offset:64
	s_waitcnt vmcnt(0)
	v_and_b32_e32 v10, 1, v10
	s_delay_alu instid0(VALU_DEP_1) | instskip(SKIP_1) | instid1(VALU_DEP_2)
	v_cmp_eq_u32_e64 s0, 1, v10
	v_dual_mov_b32 v10, v22 :: v_dual_mov_b32 v11, v23
	s_xor_b32 s21, s0, -1
	s_mov_b32 s0, s1
	s_and_saveexec_b32 s20, s21
; %bb.28:
	v_cmp_gt_f64_e64 s0, v[22:23], v[26:27]
	s_delay_alu instid0(VALU_DEP_1) | instskip(NEXT) | instid1(SALU_CYCLE_1)
	s_and_b32 s0, s1, s0
	v_cndmask_b32_e64 v11, v27, v23, s0
	v_cndmask_b32_e64 v10, v26, v22, s0
	s_or_b32 s0, s1, exec_lo
; %bb.29:
	s_or_b32 exec_lo, exec_lo, s20
	s_delay_alu instid0(SALU_CYCLE_1) | instskip(SKIP_1) | instid1(SALU_CYCLE_1)
	s_and_not1_b32 s1, s1, exec_lo
	s_and_b32 s0, s0, exec_lo
	s_or_b32 s1, s1, s0
	s_or_b32 exec_lo, exec_lo, s10
	s_and_saveexec_b32 s10, s17
	s_cbranch_execz .LBB690_22
.LBB690_30:
	global_load_u8 v14, v[4:5], off offset:128
	s_waitcnt vmcnt(0)
	v_and_b32_e32 v14, 1, v14
	s_delay_alu instid0(VALU_DEP_1) | instskip(NEXT) | instid1(VALU_DEP_1)
	v_cmp_eq_u32_e64 s0, 1, v14
	s_xor_b32 s21, s0, -1
	s_mov_b32 s0, s1
	s_and_saveexec_b32 s20, s21
; %bb.31:
	v_cmp_gt_f64_e64 s0, v[10:11], v[24:25]
	s_delay_alu instid0(VALU_DEP_1) | instskip(NEXT) | instid1(SALU_CYCLE_1)
	s_and_b32 s0, s1, s0
	v_cndmask_b32_e64 v11, v25, v11, s0
	v_cndmask_b32_e64 v10, v24, v10, s0
	s_or_b32 s0, s1, exec_lo
; %bb.32:
	s_or_b32 exec_lo, exec_lo, s20
	s_delay_alu instid0(SALU_CYCLE_1) | instskip(SKIP_1) | instid1(SALU_CYCLE_1)
	s_and_not1_b32 s1, s1, exec_lo
	s_and_b32 s0, s0, exec_lo
	s_or_b32 s1, s1, s0
	s_or_b32 exec_lo, exec_lo, s10
	s_and_saveexec_b32 s10, s16
	s_cbranch_execz .LBB690_23
.LBB690_33:
	global_load_u8 v14, v[4:5], off offset:192
	s_waitcnt vmcnt(0)
	v_and_b32_e32 v14, 1, v14
	s_delay_alu instid0(VALU_DEP_1) | instskip(NEXT) | instid1(VALU_DEP_1)
	v_cmp_eq_u32_e64 s0, 1, v14
	s_xor_b32 s21, s0, -1
	s_mov_b32 s0, s1
	s_and_saveexec_b32 s20, s21
; %bb.34:
	v_cmp_gt_f64_e64 s0, v[10:11], v[18:19]
	s_delay_alu instid0(VALU_DEP_1) | instskip(NEXT) | instid1(SALU_CYCLE_1)
	s_and_b32 s0, s1, s0
	v_cndmask_b32_e64 v11, v19, v11, s0
	v_cndmask_b32_e64 v10, v18, v10, s0
	s_or_b32 s0, s1, exec_lo
; %bb.35:
	s_or_b32 exec_lo, exec_lo, s20
	s_delay_alu instid0(SALU_CYCLE_1) | instskip(SKIP_1) | instid1(SALU_CYCLE_1)
	s_and_not1_b32 s1, s1, exec_lo
	s_and_b32 s0, s0, exec_lo
	s_or_b32 s1, s1, s0
	s_or_b32 exec_lo, exec_lo, s10
	s_and_saveexec_b32 s10, s15
	s_cbranch_execz .LBB690_24
.LBB690_36:
	global_load_u8 v14, v[4:5], off offset:256
	s_waitcnt vmcnt(0)
	v_and_b32_e32 v14, 1, v14
	s_delay_alu instid0(VALU_DEP_1) | instskip(NEXT) | instid1(VALU_DEP_1)
	v_cmp_eq_u32_e64 s0, 1, v14
	s_xor_b32 s21, s0, -1
	s_mov_b32 s0, s1
	s_and_saveexec_b32 s20, s21
; %bb.37:
	v_cmp_gt_f64_e64 s0, v[10:11], v[12:13]
	s_delay_alu instid0(VALU_DEP_1) | instskip(NEXT) | instid1(SALU_CYCLE_1)
	s_and_b32 s0, s1, s0
	v_cndmask_b32_e64 v11, v13, v11, s0
	v_cndmask_b32_e64 v10, v12, v10, s0
	s_or_b32 s0, s1, exec_lo
; %bb.38:
	s_or_b32 exec_lo, exec_lo, s20
	s_delay_alu instid0(SALU_CYCLE_1) | instskip(SKIP_1) | instid1(SALU_CYCLE_1)
	s_and_not1_b32 s1, s1, exec_lo
	s_and_b32 s0, s0, exec_lo
	s_or_b32 s1, s1, s0
	s_or_b32 exec_lo, exec_lo, s10
	s_and_saveexec_b32 s10, s14
	s_cbranch_execz .LBB690_25
.LBB690_39:
	global_load_u8 v14, v[4:5], off offset:320
	s_waitcnt vmcnt(0)
	v_and_b32_e32 v14, 1, v14
	s_delay_alu instid0(VALU_DEP_1) | instskip(NEXT) | instid1(VALU_DEP_1)
	v_cmp_eq_u32_e64 s0, 1, v14
	s_xor_b32 s21, s0, -1
	s_mov_b32 s0, s1
	s_and_saveexec_b32 s20, s21
; %bb.40:
	v_cmp_gt_f64_e64 s0, v[10:11], v[8:9]
	s_delay_alu instid0(VALU_DEP_1) | instskip(NEXT) | instid1(SALU_CYCLE_1)
	s_and_b32 s0, s1, s0
	v_cndmask_b32_e64 v11, v9, v11, s0
	v_cndmask_b32_e64 v10, v8, v10, s0
	s_or_b32 s0, s1, exec_lo
; %bb.41:
	s_or_b32 exec_lo, exec_lo, s20
	s_delay_alu instid0(SALU_CYCLE_1) | instskip(SKIP_1) | instid1(SALU_CYCLE_1)
	s_and_not1_b32 s1, s1, exec_lo
	s_and_b32 s0, s0, exec_lo
	s_or_b32 s1, s1, s0
	s_or_b32 exec_lo, exec_lo, s10
	s_and_saveexec_b32 s10, s11
	s_cbranch_execz .LBB690_26
.LBB690_42:
	global_load_u8 v14, v[4:5], off offset:384
	s_waitcnt vmcnt(0)
	v_and_b32_e32 v14, 1, v14
	s_delay_alu instid0(VALU_DEP_1) | instskip(NEXT) | instid1(VALU_DEP_1)
	v_cmp_eq_u32_e64 s0, 1, v14
	s_xor_b32 s21, s0, -1
	s_mov_b32 s0, s1
	s_and_saveexec_b32 s20, s21
; %bb.43:
	v_cmp_gt_f64_e64 s0, v[10:11], v[6:7]
	s_delay_alu instid0(VALU_DEP_1) | instskip(NEXT) | instid1(SALU_CYCLE_1)
	s_and_b32 s0, s1, s0
	v_cndmask_b32_e64 v11, v7, v11, s0
	v_cndmask_b32_e64 v10, v6, v10, s0
	s_or_b32 s0, s1, exec_lo
; %bb.44:
	s_or_b32 exec_lo, exec_lo, s20
	s_delay_alu instid0(SALU_CYCLE_1) | instskip(SKIP_1) | instid1(SALU_CYCLE_1)
	s_and_not1_b32 s1, s1, exec_lo
	s_and_b32 s0, s0, exec_lo
	s_or_b32 s1, s1, s0
	s_or_b32 exec_lo, exec_lo, s10
	s_and_saveexec_b32 s10, s9
	s_cbranch_execz .LBB690_48
.LBB690_45:
	global_load_u8 v14, v[4:5], off offset:448
	s_waitcnt vmcnt(0)
	v_and_b32_e32 v14, 1, v14
	s_delay_alu instid0(VALU_DEP_1) | instskip(NEXT) | instid1(VALU_DEP_1)
	v_cmp_eq_u32_e64 s0, 1, v14
	s_xor_b32 s21, s0, -1
	s_mov_b32 s0, s1
	s_and_saveexec_b32 s20, s21
; %bb.46:
	v_cmp_gt_f64_e64 s0, v[10:11], v[2:3]
	s_delay_alu instid0(VALU_DEP_1) | instskip(NEXT) | instid1(SALU_CYCLE_1)
	s_and_b32 s0, s1, s0
	v_cndmask_b32_e64 v11, v3, v11, s0
	v_cndmask_b32_e64 v10, v2, v10, s0
	s_or_b32 s0, s1, exec_lo
; %bb.47:
	s_or_b32 exec_lo, exec_lo, s20
	s_delay_alu instid0(SALU_CYCLE_1) | instskip(SKIP_1) | instid1(SALU_CYCLE_1)
	s_and_not1_b32 s1, s1, exec_lo
	s_and_b32 s0, s0, exec_lo
	s_or_b32 s1, s1, s0
.LBB690_48:
	s_or_b32 exec_lo, exec_lo, s10
	v_mbcnt_lo_u32_b32 v16, -1, 0
	v_cndmask_b32_e64 v10, 0, v10, s1
	v_cndmask_b32_e64 v11, 0xfff00000, v11, s1
	s_delay_alu instid0(VALU_DEP_3) | instskip(SKIP_1) | instid1(VALU_DEP_2)
	v_or_b32_e32 v14, 32, v16
	v_xor_b32_e32 v17, 16, v16
	v_cmp_gt_i32_e64 s0, 64, v14
	s_delay_alu instid0(VALU_DEP_2) | instskip(NEXT) | instid1(VALU_DEP_2)
	v_cmp_gt_i32_e64 s1, 64, v17
	v_cndmask_b32_e64 v14, v16, v14, s0
	s_delay_alu instid0(VALU_DEP_2) | instskip(NEXT) | instid1(VALU_DEP_2)
	v_cndmask_b32_e64 v17, v16, v17, s1
	v_lshlrev_b32_e32 v29, 2, v14
	s_delay_alu instid0(VALU_DEP_2) | instskip(SKIP_4) | instid1(VALU_DEP_1)
	v_lshlrev_b32_e32 v30, 2, v17
	v_xor_b32_e32 v17, 8, v16
	ds_bpermute_b32 v14, v29, v10
	ds_bpermute_b32 v15, v29, v11
	v_cmp_gt_i32_e64 s1, 64, v17
	v_cndmask_b32_e64 v17, v16, v17, s1
	s_delay_alu instid0(VALU_DEP_1) | instskip(SKIP_1) | instid1(VALU_DEP_1)
	v_lshlrev_b32_e32 v31, 2, v17
	v_xor_b32_e32 v17, 4, v16
	v_cmp_gt_i32_e64 s1, 64, v17
	s_waitcnt lgkmcnt(0)
	v_cmp_lt_f64_e64 s0, v[10:11], v[14:15]
	s_delay_alu instid0(VALU_DEP_2) | instskip(NEXT) | instid1(VALU_DEP_1)
	v_cndmask_b32_e64 v17, v16, v17, s1
	v_lshlrev_b32_e32 v32, 2, v17
	v_xor_b32_e32 v17, 2, v16
	s_delay_alu instid0(VALU_DEP_1) | instskip(NEXT) | instid1(VALU_DEP_1)
	v_cmp_gt_i32_e64 s1, 64, v17
	v_cndmask_b32_e64 v17, v16, v17, s1
	s_delay_alu instid0(VALU_DEP_1) | instskip(SKIP_1) | instid1(VALU_DEP_1)
	v_lshlrev_b32_e32 v33, 2, v17
	v_xor_b32_e32 v17, 1, v16
	v_cmp_gt_i32_e64 s1, 64, v17
	s_delay_alu instid0(VALU_DEP_1) | instskip(SKIP_2) | instid1(VALU_DEP_3)
	v_cndmask_b32_e64 v16, v16, v17, s1
	v_cndmask_b32_e64 v11, v11, v15, s0
	v_cndmask_b32_e64 v10, v10, v14, s0
	v_lshlrev_b32_e32 v34, 2, v16
	ds_bpermute_b32 v15, v30, v11
	ds_bpermute_b32 v14, v30, v10
	s_waitcnt lgkmcnt(0)
	v_cmp_lt_f64_e64 s0, v[10:11], v[14:15]
	s_delay_alu instid0(VALU_DEP_1)
	v_cndmask_b32_e64 v11, v11, v15, s0
	v_cndmask_b32_e64 v10, v10, v14, s0
	ds_bpermute_b32 v15, v31, v11
	ds_bpermute_b32 v14, v31, v10
	s_waitcnt lgkmcnt(0)
	v_cmp_lt_f64_e64 s0, v[10:11], v[14:15]
	s_delay_alu instid0(VALU_DEP_1)
	v_cndmask_b32_e64 v11, v11, v15, s0
	v_cndmask_b32_e64 v10, v10, v14, s0
	;; [unrolled: 7-line block ×4, first 2 shown]
	v_mov_b32_e32 v10, 0
	v_mov_b32_e32 v11, 0
	ds_bpermute_b32 v21, v34, v17
	ds_bpermute_b32 v20, v34, v16
	v_dual_mov_b32 v15, v11 :: v_dual_mov_b32 v14, v10
	s_waitcnt lgkmcnt(0)
	v_cmp_lt_f64_e64 s0, v[16:17], v[20:21]
	s_delay_alu instid0(VALU_DEP_1)
	v_cndmask_b32_e64 v21, v17, v21, s0
	v_cndmask_b32_e64 v20, v16, v20, s0
	v_dual_mov_b32 v17, v11 :: v_dual_mov_b32 v16, v10
	s_and_saveexec_b32 s10, s19
	s_cbranch_execz .LBB690_52
; %bb.49:
	global_load_u8 v14, v[4:5], off
	v_mov_b32_e32 v16, 0
	s_waitcnt vmcnt(0)
	v_dual_mov_b32 v17, 0 :: v_dual_and_b32 v14, 1, v14
	s_delay_alu instid0(VALU_DEP_1) | instskip(NEXT) | instid1(VALU_DEP_2)
	v_cmp_eq_u32_e64 s0, 1, v14
	v_dual_mov_b32 v14, v16 :: v_dual_mov_b32 v15, v17
	s_delay_alu instid0(VALU_DEP_2) | instskip(NEXT) | instid1(SALU_CYCLE_1)
	s_xor_b32 s0, s0, -1
	s_and_saveexec_b32 s19, s0
	s_cbranch_execz .LBB690_51
; %bb.50:
	v_add_f64 v[14:15], v[22:23], -v[20:21]
	s_mov_b32 s0, 0x652b82fe
	s_mov_b32 s1, 0x3ff71547
	;; [unrolled: 1-line block ×4, first 2 shown]
	s_delay_alu instid0(VALU_DEP_1) | instskip(SKIP_2) | instid1(VALU_DEP_1)
	v_mul_f64 v[16:17], v[14:15], s[0:1]
	s_mov_b32 s0, 0xfefa39ef
	s_mov_b32 s1, 0xbfe62e42
	v_rndne_f64_e32 v[16:17], v[16:17]
	s_delay_alu instid0(VALU_DEP_1) | instskip(SKIP_3) | instid1(VALU_DEP_2)
	v_fma_f64 v[22:23], v[16:17], s[0:1], v[14:15]
	s_mov_b32 s0, 0x3b39803f
	s_mov_b32 s1, 0xbc7abc9e
	v_cvt_i32_f64_e32 v37, v[16:17]
	v_fma_f64 v[22:23], v[16:17], s[0:1], v[22:23]
	s_mov_b32 s0, 0xfca7ab0c
	s_mov_b32 s1, 0x3e928af3
	s_delay_alu instid0(VALU_DEP_1) | instid1(SALU_CYCLE_1)
	v_fma_f64 v[35:36], v[22:23], s[20:21], s[0:1]
	s_mov_b32 s0, 0x623fde64
	s_mov_b32 s1, 0x3ec71dee
	s_delay_alu instid0(VALU_DEP_1) | instid1(SALU_CYCLE_1)
	;; [unrolled: 4-line block ×9, first 2 shown]
	v_fma_f64 v[35:36], v[22:23], v[35:36], s[0:1]
	v_cmp_nlt_f64_e64 s0, 0x40900000, v[14:15]
	v_cmp_ngt_f64_e64 s1, 0xc090cc00, v[14:15]
	s_delay_alu instid0(VALU_DEP_3) | instskip(NEXT) | instid1(VALU_DEP_1)
	v_fma_f64 v[35:36], v[22:23], v[35:36], 1.0
	v_fma_f64 v[16:17], v[22:23], v[35:36], 1.0
	s_delay_alu instid0(VALU_DEP_1) | instskip(NEXT) | instid1(VALU_DEP_1)
	v_ldexp_f64 v[16:17], v[16:17], v37
	v_cndmask_b32_e64 v17, 0x7ff00000, v17, s0
	s_and_b32 s0, s1, s0
	s_delay_alu instid0(VALU_DEP_2) | instid1(SALU_CYCLE_1)
	v_cndmask_b32_e64 v14, 0, v16, s0
	s_delay_alu instid0(VALU_DEP_2) | instskip(NEXT) | instid1(VALU_DEP_1)
	v_cndmask_b32_e64 v15, 0, v17, s1
	v_add_f64 v[16:17], v[14:15], 0
.LBB690_51:
	s_or_b32 exec_lo, exec_lo, s19
.LBB690_52:
	s_delay_alu instid0(SALU_CYCLE_1)
	s_or_b32 exec_lo, exec_lo, s10
	v_dual_mov_b32 v23, v11 :: v_dual_mov_b32 v22, v10
	s_and_saveexec_b32 s10, s18
	s_cbranch_execz .LBB690_56
; %bb.53:
	global_load_u8 v22, v[4:5], off offset:64
	s_waitcnt vmcnt(0)
	v_and_b32_e32 v22, 1, v22
	s_delay_alu instid0(VALU_DEP_1) | instskip(SKIP_2) | instid1(VALU_DEP_3)
	v_cmp_eq_u32_e64 s0, 1, v22
	v_mov_b32_e32 v22, 0
	v_mov_b32_e32 v23, 0
	s_xor_b32 s0, s0, -1
	s_delay_alu instid0(SALU_CYCLE_1)
	s_and_saveexec_b32 s18, s0
	s_cbranch_execz .LBB690_55
; %bb.54:
	v_add_f64 v[22:23], v[26:27], -v[20:21]
	s_mov_b32 s0, 0x652b82fe
	s_mov_b32 s1, 0x3ff71547
	;; [unrolled: 1-line block ×4, first 2 shown]
	s_delay_alu instid0(VALU_DEP_1) | instskip(SKIP_2) | instid1(VALU_DEP_1)
	v_mul_f64 v[26:27], v[22:23], s[0:1]
	s_mov_b32 s0, 0xfefa39ef
	s_mov_b32 s1, 0xbfe62e42
	v_rndne_f64_e32 v[26:27], v[26:27]
	s_delay_alu instid0(VALU_DEP_1) | instskip(SKIP_3) | instid1(VALU_DEP_2)
	v_fma_f64 v[35:36], v[26:27], s[0:1], v[22:23]
	s_mov_b32 s0, 0x3b39803f
	s_mov_b32 s1, 0xbc7abc9e
	v_cvt_i32_f64_e32 v39, v[26:27]
	v_fma_f64 v[35:36], v[26:27], s[0:1], v[35:36]
	s_mov_b32 s0, 0xfca7ab0c
	s_mov_b32 s1, 0x3e928af3
	s_delay_alu instid0(VALU_DEP_1) | instid1(SALU_CYCLE_1)
	v_fma_f64 v[37:38], v[35:36], s[20:21], s[0:1]
	s_mov_b32 s0, 0x623fde64
	s_mov_b32 s1, 0x3ec71dee
	s_delay_alu instid0(VALU_DEP_1) | instid1(SALU_CYCLE_1)
	;; [unrolled: 4-line block ×9, first 2 shown]
	v_fma_f64 v[37:38], v[35:36], v[37:38], s[0:1]
	v_cmp_nlt_f64_e64 s0, 0x40900000, v[22:23]
	v_cmp_ngt_f64_e64 s1, 0xc090cc00, v[22:23]
	s_delay_alu instid0(VALU_DEP_3) | instskip(NEXT) | instid1(VALU_DEP_1)
	v_fma_f64 v[37:38], v[35:36], v[37:38], 1.0
	v_fma_f64 v[26:27], v[35:36], v[37:38], 1.0
	s_delay_alu instid0(VALU_DEP_1) | instskip(NEXT) | instid1(VALU_DEP_1)
	v_ldexp_f64 v[26:27], v[26:27], v39
	v_cndmask_b32_e64 v27, 0x7ff00000, v27, s0
	s_and_b32 s0, s1, s0
	s_delay_alu instid0(VALU_DEP_2) | instid1(SALU_CYCLE_1)
	v_cndmask_b32_e64 v22, 0, v26, s0
	s_delay_alu instid0(VALU_DEP_2) | instskip(NEXT) | instid1(VALU_DEP_1)
	v_cndmask_b32_e64 v23, 0, v27, s1
	v_add_f64 v[16:17], v[16:17], v[22:23]
.LBB690_55:
	s_or_b32 exec_lo, exec_lo, s18
.LBB690_56:
	s_delay_alu instid0(SALU_CYCLE_1)
	s_or_b32 exec_lo, exec_lo, s10
	s_and_saveexec_b32 s10, s17
	s_cbranch_execz .LBB690_60
; %bb.57:
	global_load_u8 v10, v[4:5], off offset:128
	s_waitcnt vmcnt(0)
	v_and_b32_e32 v10, 1, v10
	s_delay_alu instid0(VALU_DEP_1) | instskip(SKIP_2) | instid1(VALU_DEP_3)
	v_cmp_eq_u32_e64 s0, 1, v10
	v_mov_b32_e32 v10, 0
	v_mov_b32_e32 v11, 0
	s_xor_b32 s0, s0, -1
	s_delay_alu instid0(SALU_CYCLE_1)
	s_and_saveexec_b32 s17, s0
	s_cbranch_execz .LBB690_59
; %bb.58:
	v_add_f64 v[10:11], v[24:25], -v[20:21]
	s_mov_b32 s0, 0x652b82fe
	s_mov_b32 s1, 0x3ff71547
	;; [unrolled: 1-line block ×4, first 2 shown]
	s_delay_alu instid0(VALU_DEP_1) | instskip(SKIP_2) | instid1(VALU_DEP_1)
	v_mul_f64 v[24:25], v[10:11], s[0:1]
	s_mov_b32 s0, 0xfefa39ef
	s_mov_b32 s1, 0xbfe62e42
	v_rndne_f64_e32 v[24:25], v[24:25]
	s_delay_alu instid0(VALU_DEP_1) | instskip(SKIP_3) | instid1(VALU_DEP_2)
	v_fma_f64 v[26:27], v[24:25], s[0:1], v[10:11]
	s_mov_b32 s0, 0x3b39803f
	s_mov_b32 s1, 0xbc7abc9e
	v_cvt_i32_f64_e32 v37, v[24:25]
	v_fma_f64 v[26:27], v[24:25], s[0:1], v[26:27]
	s_mov_b32 s0, 0xfca7ab0c
	s_mov_b32 s1, 0x3e928af3
	s_delay_alu instid0(VALU_DEP_1) | instid1(SALU_CYCLE_1)
	v_fma_f64 v[35:36], v[26:27], s[18:19], s[0:1]
	s_mov_b32 s0, 0x623fde64
	s_mov_b32 s1, 0x3ec71dee
	s_delay_alu instid0(VALU_DEP_1) | instid1(SALU_CYCLE_1)
	;; [unrolled: 4-line block ×9, first 2 shown]
	v_fma_f64 v[35:36], v[26:27], v[35:36], s[0:1]
	v_cmp_nlt_f64_e64 s0, 0x40900000, v[10:11]
	v_cmp_ngt_f64_e64 s1, 0xc090cc00, v[10:11]
	s_delay_alu instid0(VALU_DEP_3) | instskip(NEXT) | instid1(VALU_DEP_1)
	v_fma_f64 v[35:36], v[26:27], v[35:36], 1.0
	v_fma_f64 v[24:25], v[26:27], v[35:36], 1.0
	s_delay_alu instid0(VALU_DEP_1) | instskip(NEXT) | instid1(VALU_DEP_1)
	v_ldexp_f64 v[24:25], v[24:25], v37
	v_cndmask_b32_e64 v25, 0x7ff00000, v25, s0
	s_and_b32 s0, s1, s0
	s_delay_alu instid0(VALU_DEP_2) | instid1(SALU_CYCLE_1)
	v_cndmask_b32_e64 v10, 0, v24, s0
	s_delay_alu instid0(VALU_DEP_2) | instskip(NEXT) | instid1(VALU_DEP_1)
	v_cndmask_b32_e64 v11, 0, v25, s1
	v_add_f64 v[16:17], v[16:17], v[10:11]
.LBB690_59:
	s_or_b32 exec_lo, exec_lo, s17
.LBB690_60:
	s_delay_alu instid0(SALU_CYCLE_1) | instskip(SKIP_2) | instid1(VALU_DEP_1)
	s_or_b32 exec_lo, exec_lo, s10
	v_mov_b32_e32 v24, 0
	v_mov_b32_e32 v25, 0
	v_dual_mov_b32 v27, v25 :: v_dual_mov_b32 v26, v24
	s_and_saveexec_b32 s10, s16
	s_cbranch_execz .LBB690_64
; %bb.61:
	global_load_u8 v26, v[4:5], off offset:192
	s_waitcnt vmcnt(0)
	v_and_b32_e32 v26, 1, v26
	s_delay_alu instid0(VALU_DEP_1) | instskip(SKIP_2) | instid1(VALU_DEP_3)
	v_cmp_eq_u32_e64 s0, 1, v26
	v_mov_b32_e32 v26, 0
	v_mov_b32_e32 v27, 0
	s_xor_b32 s0, s0, -1
	s_delay_alu instid0(SALU_CYCLE_1)
	s_and_saveexec_b32 s16, s0
	s_cbranch_execz .LBB690_63
; %bb.62:
	v_add_f64 v[18:19], v[18:19], -v[20:21]
	s_mov_b32 s0, 0x652b82fe
	s_mov_b32 s1, 0x3ff71547
	;; [unrolled: 1-line block ×4, first 2 shown]
	s_delay_alu instid0(VALU_DEP_1) | instskip(SKIP_2) | instid1(VALU_DEP_1)
	v_mul_f64 v[26:27], v[18:19], s[0:1]
	s_mov_b32 s0, 0xfefa39ef
	s_mov_b32 s1, 0xbfe62e42
	v_rndne_f64_e32 v[26:27], v[26:27]
	s_delay_alu instid0(VALU_DEP_1) | instskip(SKIP_3) | instid1(VALU_DEP_2)
	v_fma_f64 v[35:36], v[26:27], s[0:1], v[18:19]
	s_mov_b32 s0, 0x3b39803f
	s_mov_b32 s1, 0xbc7abc9e
	v_cvt_i32_f64_e32 v39, v[26:27]
	v_fma_f64 v[35:36], v[26:27], s[0:1], v[35:36]
	s_mov_b32 s0, 0xfca7ab0c
	s_mov_b32 s1, 0x3e928af3
	s_delay_alu instid0(VALU_DEP_1) | instid1(SALU_CYCLE_1)
	v_fma_f64 v[37:38], v[35:36], s[18:19], s[0:1]
	s_mov_b32 s0, 0x623fde64
	s_mov_b32 s1, 0x3ec71dee
	s_delay_alu instid0(VALU_DEP_1) | instid1(SALU_CYCLE_1)
	;; [unrolled: 4-line block ×9, first 2 shown]
	v_fma_f64 v[37:38], v[35:36], v[37:38], s[0:1]
	v_cmp_nlt_f64_e64 s0, 0x40900000, v[18:19]
	v_cmp_ngt_f64_e64 s1, 0xc090cc00, v[18:19]
	s_delay_alu instid0(VALU_DEP_3) | instskip(NEXT) | instid1(VALU_DEP_1)
	v_fma_f64 v[37:38], v[35:36], v[37:38], 1.0
	v_fma_f64 v[26:27], v[35:36], v[37:38], 1.0
	s_delay_alu instid0(VALU_DEP_1) | instskip(NEXT) | instid1(VALU_DEP_1)
	v_ldexp_f64 v[26:27], v[26:27], v39
	v_cndmask_b32_e64 v27, 0x7ff00000, v27, s0
	s_and_b32 s0, s1, s0
	s_delay_alu instid0(VALU_DEP_2) | instid1(SALU_CYCLE_1)
	v_cndmask_b32_e64 v26, 0, v26, s0
	s_delay_alu instid0(VALU_DEP_2) | instskip(NEXT) | instid1(VALU_DEP_1)
	v_cndmask_b32_e64 v27, 0, v27, s1
	v_add_f64 v[16:17], v[16:17], v[26:27]
.LBB690_63:
	s_or_b32 exec_lo, exec_lo, s16
.LBB690_64:
	s_delay_alu instid0(SALU_CYCLE_1)
	s_or_b32 exec_lo, exec_lo, s10
	s_and_saveexec_b32 s10, s15
	s_cbranch_execz .LBB690_68
; %bb.65:
	global_load_u8 v18, v[4:5], off offset:256
	v_mov_b32_e32 v24, 0
	s_waitcnt vmcnt(0)
	v_dual_mov_b32 v25, 0 :: v_dual_and_b32 v18, 1, v18
	s_delay_alu instid0(VALU_DEP_1) | instskip(NEXT) | instid1(VALU_DEP_1)
	v_cmp_eq_u32_e64 s0, 1, v18
	s_xor_b32 s0, s0, -1
	s_delay_alu instid0(SALU_CYCLE_1)
	s_and_saveexec_b32 s15, s0
	s_cbranch_execz .LBB690_67
; %bb.66:
	v_add_f64 v[12:13], v[12:13], -v[20:21]
	s_mov_b32 s0, 0x652b82fe
	s_mov_b32 s1, 0x3ff71547
	;; [unrolled: 1-line block ×4, first 2 shown]
	s_delay_alu instid0(VALU_DEP_1) | instskip(SKIP_2) | instid1(VALU_DEP_1)
	v_mul_f64 v[18:19], v[12:13], s[0:1]
	s_mov_b32 s0, 0xfefa39ef
	s_mov_b32 s1, 0xbfe62e42
	v_rndne_f64_e32 v[18:19], v[18:19]
	s_delay_alu instid0(VALU_DEP_1) | instskip(SKIP_3) | instid1(VALU_DEP_2)
	v_fma_f64 v[24:25], v[18:19], s[0:1], v[12:13]
	s_mov_b32 s0, 0x3b39803f
	s_mov_b32 s1, 0xbc7abc9e
	v_cvt_i32_f64_e32 v37, v[18:19]
	v_fma_f64 v[24:25], v[18:19], s[0:1], v[24:25]
	s_mov_b32 s0, 0xfca7ab0c
	s_mov_b32 s1, 0x3e928af3
	s_delay_alu instid0(VALU_DEP_1) | instid1(SALU_CYCLE_1)
	v_fma_f64 v[35:36], v[24:25], s[16:17], s[0:1]
	s_mov_b32 s0, 0x623fde64
	s_mov_b32 s1, 0x3ec71dee
	s_delay_alu instid0(VALU_DEP_1) | instid1(SALU_CYCLE_1)
	;; [unrolled: 4-line block ×9, first 2 shown]
	v_fma_f64 v[35:36], v[24:25], v[35:36], s[0:1]
	v_cmp_nlt_f64_e64 s0, 0x40900000, v[12:13]
	v_cmp_ngt_f64_e64 s1, 0xc090cc00, v[12:13]
	s_delay_alu instid0(VALU_DEP_3) | instskip(NEXT) | instid1(VALU_DEP_1)
	v_fma_f64 v[35:36], v[24:25], v[35:36], 1.0
	v_fma_f64 v[18:19], v[24:25], v[35:36], 1.0
	s_delay_alu instid0(VALU_DEP_1) | instskip(NEXT) | instid1(VALU_DEP_1)
	v_ldexp_f64 v[18:19], v[18:19], v37
	v_cndmask_b32_e64 v19, 0x7ff00000, v19, s0
	s_and_b32 s0, s1, s0
	s_delay_alu instid0(VALU_DEP_2) | instid1(SALU_CYCLE_1)
	v_cndmask_b32_e64 v24, 0, v18, s0
	s_delay_alu instid0(VALU_DEP_2) | instskip(NEXT) | instid1(VALU_DEP_1)
	v_cndmask_b32_e64 v25, 0, v19, s1
	v_add_f64 v[16:17], v[16:17], v[24:25]
.LBB690_67:
	s_or_b32 exec_lo, exec_lo, s15
.LBB690_68:
	s_delay_alu instid0(SALU_CYCLE_1) | instskip(SKIP_2) | instid1(VALU_DEP_1)
	s_or_b32 exec_lo, exec_lo, s10
	v_mov_b32_e32 v12, 0
	v_mov_b32_e32 v13, 0
	v_dual_mov_b32 v19, v13 :: v_dual_mov_b32 v18, v12
	s_and_saveexec_b32 s10, s14
	s_cbranch_execz .LBB690_72
; %bb.69:
	global_load_u8 v18, v[4:5], off offset:320
	s_waitcnt vmcnt(0)
	v_and_b32_e32 v18, 1, v18
	s_delay_alu instid0(VALU_DEP_1) | instskip(SKIP_2) | instid1(VALU_DEP_3)
	v_cmp_eq_u32_e64 s0, 1, v18
	v_mov_b32_e32 v18, 0
	v_mov_b32_e32 v19, 0
	s_xor_b32 s0, s0, -1
	s_delay_alu instid0(SALU_CYCLE_1)
	s_and_saveexec_b32 s14, s0
	s_cbranch_execz .LBB690_71
; %bb.70:
	v_add_f64 v[8:9], v[8:9], -v[20:21]
	s_mov_b32 s0, 0x652b82fe
	s_mov_b32 s1, 0x3ff71547
	;; [unrolled: 1-line block ×4, first 2 shown]
	s_delay_alu instid0(VALU_DEP_1) | instskip(SKIP_2) | instid1(VALU_DEP_1)
	v_mul_f64 v[18:19], v[8:9], s[0:1]
	s_mov_b32 s0, 0xfefa39ef
	s_mov_b32 s1, 0xbfe62e42
	v_rndne_f64_e32 v[18:19], v[18:19]
	s_delay_alu instid0(VALU_DEP_1) | instskip(SKIP_3) | instid1(VALU_DEP_2)
	v_fma_f64 v[35:36], v[18:19], s[0:1], v[8:9]
	s_mov_b32 s0, 0x3b39803f
	s_mov_b32 s1, 0xbc7abc9e
	v_cvt_i32_f64_e32 v39, v[18:19]
	v_fma_f64 v[35:36], v[18:19], s[0:1], v[35:36]
	s_mov_b32 s0, 0xfca7ab0c
	s_mov_b32 s1, 0x3e928af3
	s_delay_alu instid0(VALU_DEP_1) | instid1(SALU_CYCLE_1)
	v_fma_f64 v[37:38], v[35:36], s[16:17], s[0:1]
	s_mov_b32 s0, 0x623fde64
	s_mov_b32 s1, 0x3ec71dee
	s_delay_alu instid0(VALU_DEP_1) | instid1(SALU_CYCLE_1)
	;; [unrolled: 4-line block ×9, first 2 shown]
	v_fma_f64 v[37:38], v[35:36], v[37:38], s[0:1]
	v_cmp_nlt_f64_e64 s0, 0x40900000, v[8:9]
	v_cmp_ngt_f64_e64 s1, 0xc090cc00, v[8:9]
	s_delay_alu instid0(VALU_DEP_3) | instskip(NEXT) | instid1(VALU_DEP_1)
	v_fma_f64 v[37:38], v[35:36], v[37:38], 1.0
	v_fma_f64 v[18:19], v[35:36], v[37:38], 1.0
	s_delay_alu instid0(VALU_DEP_1) | instskip(NEXT) | instid1(VALU_DEP_1)
	v_ldexp_f64 v[18:19], v[18:19], v39
	v_cndmask_b32_e64 v19, 0x7ff00000, v19, s0
	s_and_b32 s0, s1, s0
	s_delay_alu instid0(VALU_DEP_2) | instid1(SALU_CYCLE_1)
	v_cndmask_b32_e64 v18, 0, v18, s0
	s_delay_alu instid0(VALU_DEP_2) | instskip(NEXT) | instid1(VALU_DEP_1)
	v_cndmask_b32_e64 v19, 0, v19, s1
	v_add_f64 v[16:17], v[16:17], v[18:19]
.LBB690_71:
	s_or_b32 exec_lo, exec_lo, s14
.LBB690_72:
	s_delay_alu instid0(SALU_CYCLE_1)
	s_or_b32 exec_lo, exec_lo, s10
	s_and_saveexec_b32 s10, s11
	s_cbranch_execz .LBB690_76
; %bb.73:
	global_load_u8 v8, v[4:5], off offset:384
	v_mov_b32_e32 v12, 0
	s_waitcnt vmcnt(0)
	v_dual_mov_b32 v13, 0 :: v_dual_and_b32 v8, 1, v8
	s_delay_alu instid0(VALU_DEP_1) | instskip(NEXT) | instid1(VALU_DEP_1)
	v_cmp_eq_u32_e64 s0, 1, v8
	s_xor_b32 s0, s0, -1
	s_delay_alu instid0(SALU_CYCLE_1)
	s_and_saveexec_b32 s11, s0
	s_cbranch_execz .LBB690_75
; %bb.74:
	v_add_f64 v[6:7], v[6:7], -v[20:21]
	s_mov_b32 s0, 0x652b82fe
	s_mov_b32 s1, 0x3ff71547
	;; [unrolled: 1-line block ×4, first 2 shown]
	s_delay_alu instid0(VALU_DEP_1) | instskip(SKIP_2) | instid1(VALU_DEP_1)
	v_mul_f64 v[8:9], v[6:7], s[0:1]
	s_mov_b32 s0, 0xfefa39ef
	s_mov_b32 s1, 0xbfe62e42
	v_rndne_f64_e32 v[8:9], v[8:9]
	s_delay_alu instid0(VALU_DEP_1) | instskip(SKIP_3) | instid1(VALU_DEP_2)
	v_fma_f64 v[12:13], v[8:9], s[0:1], v[6:7]
	s_mov_b32 s0, 0x3b39803f
	s_mov_b32 s1, 0xbc7abc9e
	v_cvt_i32_f64_e32 v37, v[8:9]
	v_fma_f64 v[12:13], v[8:9], s[0:1], v[12:13]
	s_mov_b32 s0, 0xfca7ab0c
	s_mov_b32 s1, 0x3e928af3
	s_delay_alu instid0(VALU_DEP_1) | instid1(SALU_CYCLE_1)
	v_fma_f64 v[35:36], v[12:13], s[14:15], s[0:1]
	s_mov_b32 s0, 0x623fde64
	s_mov_b32 s1, 0x3ec71dee
	s_delay_alu instid0(VALU_DEP_1) | instid1(SALU_CYCLE_1)
	;; [unrolled: 4-line block ×9, first 2 shown]
	v_fma_f64 v[35:36], v[12:13], v[35:36], s[0:1]
	v_cmp_nlt_f64_e64 s0, 0x40900000, v[6:7]
	v_cmp_ngt_f64_e64 s1, 0xc090cc00, v[6:7]
	s_delay_alu instid0(VALU_DEP_3) | instskip(NEXT) | instid1(VALU_DEP_1)
	v_fma_f64 v[35:36], v[12:13], v[35:36], 1.0
	v_fma_f64 v[8:9], v[12:13], v[35:36], 1.0
	s_delay_alu instid0(VALU_DEP_1) | instskip(NEXT) | instid1(VALU_DEP_1)
	v_ldexp_f64 v[8:9], v[8:9], v37
	v_cndmask_b32_e64 v9, 0x7ff00000, v9, s0
	s_and_b32 s0, s1, s0
	s_delay_alu instid0(VALU_DEP_2) | instid1(SALU_CYCLE_1)
	v_cndmask_b32_e64 v12, 0, v8, s0
	s_delay_alu instid0(VALU_DEP_2) | instskip(NEXT) | instid1(VALU_DEP_1)
	v_cndmask_b32_e64 v13, 0, v9, s1
	v_add_f64 v[16:17], v[16:17], v[12:13]
.LBB690_75:
	s_or_b32 exec_lo, exec_lo, s11
.LBB690_76:
	s_delay_alu instid0(SALU_CYCLE_1)
	s_or_b32 exec_lo, exec_lo, s10
	v_mov_b32_e32 v6, 0
	v_mov_b32_e32 v7, 0
	s_and_saveexec_b32 s10, s9
	s_cbranch_execz .LBB690_80
; %bb.77:
	global_load_u8 v4, v[4:5], off offset:448
	v_mov_b32_e32 v6, 0
	s_waitcnt vmcnt(0)
	v_dual_mov_b32 v7, 0 :: v_dual_and_b32 v4, 1, v4
	s_delay_alu instid0(VALU_DEP_1) | instskip(NEXT) | instid1(VALU_DEP_1)
	v_cmp_eq_u32_e64 s0, 1, v4
	s_xor_b32 s0, s0, -1
	s_delay_alu instid0(SALU_CYCLE_1)
	s_and_saveexec_b32 s9, s0
	s_cbranch_execz .LBB690_79
; %bb.78:
	v_add_f64 v[2:3], v[2:3], -v[20:21]
	s_mov_b32 s0, 0x652b82fe
	s_mov_b32 s1, 0x3ff71547
	;; [unrolled: 1-line block ×4, first 2 shown]
	s_delay_alu instid0(VALU_DEP_1) | instskip(SKIP_2) | instid1(VALU_DEP_1)
	v_mul_f64 v[4:5], v[2:3], s[0:1]
	s_mov_b32 s0, 0xfefa39ef
	s_mov_b32 s1, 0xbfe62e42
	v_rndne_f64_e32 v[4:5], v[4:5]
	s_delay_alu instid0(VALU_DEP_1) | instskip(SKIP_3) | instid1(VALU_DEP_2)
	v_fma_f64 v[6:7], v[4:5], s[0:1], v[2:3]
	s_mov_b32 s0, 0x3b39803f
	s_mov_b32 s1, 0xbc7abc9e
	v_cvt_i32_f64_e32 v20, v[4:5]
	v_fma_f64 v[6:7], v[4:5], s[0:1], v[6:7]
	s_mov_b32 s0, 0xfca7ab0c
	s_mov_b32 s1, 0x3e928af3
	s_delay_alu instid0(VALU_DEP_1) | instid1(SALU_CYCLE_1)
	v_fma_f64 v[8:9], v[6:7], s[14:15], s[0:1]
	s_mov_b32 s0, 0x623fde64
	s_mov_b32 s1, 0x3ec71dee
	s_delay_alu instid0(VALU_DEP_1) | instid1(SALU_CYCLE_1)
	;; [unrolled: 4-line block ×9, first 2 shown]
	v_fma_f64 v[8:9], v[6:7], v[8:9], s[0:1]
	v_cmp_nlt_f64_e64 s0, 0x40900000, v[2:3]
	v_cmp_ngt_f64_e64 s1, 0xc090cc00, v[2:3]
	s_delay_alu instid0(VALU_DEP_3) | instskip(NEXT) | instid1(VALU_DEP_1)
	v_fma_f64 v[8:9], v[6:7], v[8:9], 1.0
	v_fma_f64 v[4:5], v[6:7], v[8:9], 1.0
	s_delay_alu instid0(VALU_DEP_1) | instskip(NEXT) | instid1(VALU_DEP_1)
	v_ldexp_f64 v[4:5], v[4:5], v20
	v_cndmask_b32_e64 v5, 0x7ff00000, v5, s0
	s_and_b32 s0, s1, s0
	s_delay_alu instid0(VALU_DEP_2) | instid1(SALU_CYCLE_1)
	v_cndmask_b32_e64 v6, 0, v4, s0
	s_delay_alu instid0(VALU_DEP_2) | instskip(NEXT) | instid1(VALU_DEP_1)
	v_cndmask_b32_e64 v7, 0, v5, s1
	v_add_f64 v[16:17], v[16:17], v[6:7]
.LBB690_79:
	s_or_b32 exec_lo, exec_lo, s9
.LBB690_80:
	s_delay_alu instid0(SALU_CYCLE_1)
	s_or_b32 exec_lo, exec_lo, s10
	ds_bpermute_b32 v2, v29, v16
	ds_bpermute_b32 v3, v29, v17
	s_mov_b32 s1, exec_lo
	s_waitcnt lgkmcnt(0)
	v_add_f64 v[2:3], v[16:17], v[2:3]
	ds_bpermute_b32 v4, v30, v2
	ds_bpermute_b32 v5, v30, v3
	s_waitcnt lgkmcnt(0)
	v_add_f64 v[2:3], v[2:3], v[4:5]
	ds_bpermute_b32 v4, v31, v2
	ds_bpermute_b32 v5, v31, v3
	;; [unrolled: 4-line block ×5, first 2 shown]
	v_cmpx_lt_i32_e32 0, v28
	s_cbranch_execz .LBB690_90
; %bb.81:
	s_and_b32 exec_lo, exec_lo, vcc_lo
	s_cbranch_execz .LBB690_90
; %bb.82:
	s_waitcnt lgkmcnt(0)
	v_add_f64 v[2:3], v[2:3], v[4:5]
	s_delay_alu instid0(VALU_DEP_1) | instskip(SKIP_2) | instid1(VALU_DEP_3)
	v_div_scale_f64 v[4:5], null, v[2:3], v[2:3], v[14:15]
	v_div_scale_f64 v[20:21], vcc_lo, v[14:15], v[2:3], v[14:15]
	v_cmp_eq_f64_e64 s0, 0, v[2:3]
	v_rcp_f64_e32 v[8:9], v[4:5]
	s_waitcnt_depctr 0xfff
	v_fma_f64 v[16:17], -v[4:5], v[8:9], 1.0
	s_delay_alu instid0(VALU_DEP_1) | instskip(NEXT) | instid1(VALU_DEP_1)
	v_fma_f64 v[8:9], v[8:9], v[16:17], v[8:9]
	v_fma_f64 v[16:17], -v[4:5], v[8:9], 1.0
	s_delay_alu instid0(VALU_DEP_1) | instskip(NEXT) | instid1(VALU_DEP_1)
	v_fma_f64 v[8:9], v[8:9], v[16:17], v[8:9]
	v_mul_f64 v[16:17], v[20:21], v[8:9]
	s_delay_alu instid0(VALU_DEP_1) | instskip(NEXT) | instid1(VALU_DEP_1)
	v_fma_f64 v[4:5], -v[4:5], v[16:17], v[20:21]
	v_div_fmas_f64 v[4:5], v[4:5], v[8:9], v[16:17]
	v_add_co_u32 v0, vcc_lo, s12, v0
	v_add_co_ci_u32_e32 v1, vcc_lo, s13, v1, vcc_lo
	s_delay_alu instid0(VALU_DEP_3) | instskip(NEXT) | instid1(VALU_DEP_1)
	v_div_fixup_f64 v[4:5], v[4:5], v[2:3], v[14:15]
	v_cndmask_b32_e64 v5, v5, 0x7ff80000, s0
	s_delay_alu instid0(VALU_DEP_2)
	v_cndmask_b32_e64 v4, v4, 0, s0
	global_store_b64 v[0:1], v[4:5], off
	s_and_b32 exec_lo, exec_lo, s8
	s_cbranch_execz .LBB690_90
; %bb.83:
	v_div_scale_f64 v[4:5], null, v[2:3], v[2:3], v[22:23]
	v_div_scale_f64 v[16:17], vcc_lo, v[22:23], v[2:3], v[22:23]
	s_delay_alu instid0(VALU_DEP_2) | instskip(SKIP_2) | instid1(VALU_DEP_1)
	v_rcp_f64_e32 v[8:9], v[4:5]
	s_waitcnt_depctr 0xfff
	v_fma_f64 v[14:15], -v[4:5], v[8:9], 1.0
	v_fma_f64 v[8:9], v[8:9], v[14:15], v[8:9]
	s_delay_alu instid0(VALU_DEP_1) | instskip(NEXT) | instid1(VALU_DEP_1)
	v_fma_f64 v[14:15], -v[4:5], v[8:9], 1.0
	v_fma_f64 v[8:9], v[8:9], v[14:15], v[8:9]
	s_delay_alu instid0(VALU_DEP_1) | instskip(NEXT) | instid1(VALU_DEP_1)
	v_mul_f64 v[14:15], v[16:17], v[8:9]
	v_fma_f64 v[4:5], -v[4:5], v[14:15], v[16:17]
	s_delay_alu instid0(VALU_DEP_1) | instskip(NEXT) | instid1(VALU_DEP_1)
	v_div_fmas_f64 v[4:5], v[4:5], v[8:9], v[14:15]
	v_div_fixup_f64 v[4:5], v[4:5], v[2:3], v[22:23]
	s_delay_alu instid0(VALU_DEP_1) | instskip(NEXT) | instid1(VALU_DEP_2)
	v_cndmask_b32_e64 v5, v5, 0x7ff80000, s0
	v_cndmask_b32_e64 v4, v4, 0, s0
	global_store_b64 v[0:1], v[4:5], off offset:512
	s_and_b32 exec_lo, exec_lo, s7
	s_cbranch_execz .LBB690_90
; %bb.84:
	v_div_scale_f64 v[4:5], null, v[2:3], v[2:3], v[10:11]
	v_div_scale_f64 v[16:17], vcc_lo, v[10:11], v[2:3], v[10:11]
	s_delay_alu instid0(VALU_DEP_2) | instskip(SKIP_2) | instid1(VALU_DEP_1)
	v_rcp_f64_e32 v[8:9], v[4:5]
	s_waitcnt_depctr 0xfff
	v_fma_f64 v[14:15], -v[4:5], v[8:9], 1.0
	v_fma_f64 v[8:9], v[8:9], v[14:15], v[8:9]
	s_delay_alu instid0(VALU_DEP_1) | instskip(NEXT) | instid1(VALU_DEP_1)
	v_fma_f64 v[14:15], -v[4:5], v[8:9], 1.0
	v_fma_f64 v[8:9], v[8:9], v[14:15], v[8:9]
	s_delay_alu instid0(VALU_DEP_1) | instskip(NEXT) | instid1(VALU_DEP_1)
	v_mul_f64 v[14:15], v[16:17], v[8:9]
	v_fma_f64 v[4:5], -v[4:5], v[14:15], v[16:17]
	s_delay_alu instid0(VALU_DEP_1) | instskip(NEXT) | instid1(VALU_DEP_1)
	v_div_fmas_f64 v[4:5], v[4:5], v[8:9], v[14:15]
	v_div_fixup_f64 v[4:5], v[4:5], v[2:3], v[10:11]
	s_delay_alu instid0(VALU_DEP_1) | instskip(NEXT) | instid1(VALU_DEP_2)
	v_cndmask_b32_e64 v5, v5, 0x7ff80000, s0
	v_cndmask_b32_e64 v4, v4, 0, s0
	global_store_b64 v[0:1], v[4:5], off offset:1024
	;; [unrolled: 23-line block ×7, first 2 shown]
.LBB690_90:
	s_nop 0
	s_sendmsg sendmsg(MSG_DEALLOC_VGPRS)
	s_endpgm
	.section	.rodata,"a",@progbits
	.p2align	6, 0x0
	.amdhsa_kernel _ZN12_GLOBAL__N_120softmax_warp_forwardIdddLi9ELb0ELb1ELi64EEEvPT0_PKT_iiiPKbib
		.amdhsa_group_segment_fixed_size 0
		.amdhsa_private_segment_fixed_size 0
		.amdhsa_kernarg_size 304
		.amdhsa_user_sgpr_count 15
		.amdhsa_user_sgpr_dispatch_ptr 0
		.amdhsa_user_sgpr_queue_ptr 0
		.amdhsa_user_sgpr_kernarg_segment_ptr 1
		.amdhsa_user_sgpr_dispatch_id 0
		.amdhsa_user_sgpr_private_segment_size 0
		.amdhsa_wavefront_size32 1
		.amdhsa_uses_dynamic_stack 0
		.amdhsa_enable_private_segment 0
		.amdhsa_system_sgpr_workgroup_id_x 1
		.amdhsa_system_sgpr_workgroup_id_y 0
		.amdhsa_system_sgpr_workgroup_id_z 0
		.amdhsa_system_sgpr_workgroup_info 0
		.amdhsa_system_vgpr_workitem_id 1
		.amdhsa_next_free_vgpr 40
		.amdhsa_next_free_sgpr 22
		.amdhsa_reserve_vcc 1
		.amdhsa_float_round_mode_32 0
		.amdhsa_float_round_mode_16_64 0
		.amdhsa_float_denorm_mode_32 3
		.amdhsa_float_denorm_mode_16_64 3
		.amdhsa_dx10_clamp 1
		.amdhsa_ieee_mode 1
		.amdhsa_fp16_overflow 0
		.amdhsa_workgroup_processor_mode 1
		.amdhsa_memory_ordered 1
		.amdhsa_forward_progress 0
		.amdhsa_shared_vgpr_count 0
		.amdhsa_exception_fp_ieee_invalid_op 0
		.amdhsa_exception_fp_denorm_src 0
		.amdhsa_exception_fp_ieee_div_zero 0
		.amdhsa_exception_fp_ieee_overflow 0
		.amdhsa_exception_fp_ieee_underflow 0
		.amdhsa_exception_fp_ieee_inexact 0
		.amdhsa_exception_int_div_zero 0
	.end_amdhsa_kernel
	.section	.text._ZN12_GLOBAL__N_120softmax_warp_forwardIdddLi9ELb0ELb1ELi64EEEvPT0_PKT_iiiPKbib,"axG",@progbits,_ZN12_GLOBAL__N_120softmax_warp_forwardIdddLi9ELb0ELb1ELi64EEEvPT0_PKT_iiiPKbib,comdat
.Lfunc_end690:
	.size	_ZN12_GLOBAL__N_120softmax_warp_forwardIdddLi9ELb0ELb1ELi64EEEvPT0_PKT_iiiPKbib, .Lfunc_end690-_ZN12_GLOBAL__N_120softmax_warp_forwardIdddLi9ELb0ELb1ELi64EEEvPT0_PKT_iiiPKbib
                                        ; -- End function
	.section	.AMDGPU.csdata,"",@progbits
; Kernel info:
; codeLenInByte = 7960
; NumSgprs: 24
; NumVgprs: 40
; ScratchSize: 0
; MemoryBound: 0
; FloatMode: 240
; IeeeMode: 1
; LDSByteSize: 0 bytes/workgroup (compile time only)
; SGPRBlocks: 2
; VGPRBlocks: 4
; NumSGPRsForWavesPerEU: 24
; NumVGPRsForWavesPerEU: 40
; Occupancy: 16
; WaveLimiterHint : 0
; COMPUTE_PGM_RSRC2:SCRATCH_EN: 0
; COMPUTE_PGM_RSRC2:USER_SGPR: 15
; COMPUTE_PGM_RSRC2:TRAP_HANDLER: 0
; COMPUTE_PGM_RSRC2:TGID_X_EN: 1
; COMPUTE_PGM_RSRC2:TGID_Y_EN: 0
; COMPUTE_PGM_RSRC2:TGID_Z_EN: 0
; COMPUTE_PGM_RSRC2:TIDIG_COMP_CNT: 1
	.section	.text._ZN12_GLOBAL__N_120softmax_warp_forwardIdddLi9ELb0ELb1ELi32EEEvPT0_PKT_iiiPKbib,"axG",@progbits,_ZN12_GLOBAL__N_120softmax_warp_forwardIdddLi9ELb0ELb1ELi32EEEvPT0_PKT_iiiPKbib,comdat
	.globl	_ZN12_GLOBAL__N_120softmax_warp_forwardIdddLi9ELb0ELb1ELi32EEEvPT0_PKT_iiiPKbib ; -- Begin function _ZN12_GLOBAL__N_120softmax_warp_forwardIdddLi9ELb0ELb1ELi32EEEvPT0_PKT_iiiPKbib
	.p2align	8
	.type	_ZN12_GLOBAL__N_120softmax_warp_forwardIdddLi9ELb0ELb1ELi32EEEvPT0_PKT_iiiPKbib,@function
_ZN12_GLOBAL__N_120softmax_warp_forwardIdddLi9ELb0ELb1ELi32EEEvPT0_PKT_iiiPKbib: ; @_ZN12_GLOBAL__N_120softmax_warp_forwardIdddLi9ELb0ELb1ELi32EEEvPT0_PKT_iiiPKbib
; %bb.0:
	s_clause 0x1
	s_load_b32 s2, s[0:1], 0x3c
	s_load_b128 s[16:19], s[0:1], 0x10
	v_bfe_u32 v3, v0, 10, 10
	s_waitcnt lgkmcnt(0)
	s_lshr_b32 s2, s2, 16
	s_delay_alu instid0(VALU_DEP_1) | instid1(SALU_CYCLE_1)
	v_mad_u64_u32 v[1:2], null, s15, s2, v[3:4]
	s_load_b64 s[2:3], s[0:1], 0x28
	v_and_b32_e32 v4, 0x3ff, v0
	s_delay_alu instid0(VALU_DEP_2) | instskip(NEXT) | instid1(VALU_DEP_1)
	v_mul_lo_u32 v5, v1, s17
	v_add_nc_u32_e32 v2, v5, v4
	s_delay_alu instid0(VALU_DEP_1) | instskip(SKIP_2) | instid1(VALU_DEP_1)
	v_ashrrev_i32_e32 v3, 31, v2
	s_waitcnt lgkmcnt(0)
	s_bitcmp0_b32 s3, 0
	v_dual_mov_b32 v17, v3 :: v_dual_mov_b32 v16, v2
	s_cbranch_scc1 .LBB691_2
; %bb.1:
	s_abs_i32 s3, s2
	v_sub_nc_u32_e32 v7, 0, v5
	v_cvt_f32_u32_e32 v0, s3
	s_sub_i32 s4, 0, s3
	s_delay_alu instid0(VALU_DEP_2) | instskip(NEXT) | instid1(VALU_DEP_2)
	v_max_i32_e32 v7, v5, v7
	v_rcp_iflag_f32_e32 v0, v0
	v_xor_b32_e32 v5, s2, v5
	s_delay_alu instid0(VALU_DEP_1) | instskip(SKIP_2) | instid1(VALU_DEP_1)
	v_ashrrev_i32_e32 v5, 31, v5
	s_waitcnt_depctr 0xfff
	v_mul_f32_e32 v0, 0x4f7ffffe, v0
	v_cvt_u32_f32_e32 v0, v0
	s_delay_alu instid0(VALU_DEP_1) | instskip(NEXT) | instid1(VALU_DEP_1)
	v_mul_lo_u32 v6, s4, v0
	v_mul_hi_u32 v6, v0, v6
	s_delay_alu instid0(VALU_DEP_1) | instskip(NEXT) | instid1(VALU_DEP_1)
	v_add_nc_u32_e32 v0, v0, v6
	v_mul_hi_u32 v0, v7, v0
	s_delay_alu instid0(VALU_DEP_1) | instskip(NEXT) | instid1(VALU_DEP_1)
	v_mul_lo_u32 v6, v0, s3
	v_sub_nc_u32_e32 v6, v7, v6
	v_add_nc_u32_e32 v7, 1, v0
	s_delay_alu instid0(VALU_DEP_2) | instskip(SKIP_1) | instid1(VALU_DEP_3)
	v_subrev_nc_u32_e32 v8, s3, v6
	v_cmp_le_u32_e32 vcc_lo, s3, v6
	v_cndmask_b32_e32 v0, v0, v7, vcc_lo
	s_delay_alu instid0(VALU_DEP_3) | instskip(NEXT) | instid1(VALU_DEP_2)
	v_cndmask_b32_e32 v6, v6, v8, vcc_lo
	v_add_nc_u32_e32 v7, 1, v0
	s_delay_alu instid0(VALU_DEP_2) | instskip(NEXT) | instid1(VALU_DEP_2)
	v_cmp_le_u32_e32 vcc_lo, s3, v6
	v_cndmask_b32_e32 v0, v0, v7, vcc_lo
	s_delay_alu instid0(VALU_DEP_1) | instskip(NEXT) | instid1(VALU_DEP_1)
	v_xor_b32_e32 v0, v0, v5
	v_sub_nc_u32_e32 v0, v0, v5
	s_delay_alu instid0(VALU_DEP_1) | instskip(NEXT) | instid1(VALU_DEP_1)
	v_mad_u64_u32 v[16:17], null, v0, s17, v[4:5]
	v_ashrrev_i32_e32 v17, 31, v16
.LBB691_2:
	s_load_b128 s[20:23], s[0:1], 0x0
	v_sub_nc_u32_e32 v44, s16, v1
	v_lshlrev_b64 v[0:1], 3, v[2:3]
	v_mov_b32_e32 v34, 0
	v_mov_b32_e32 v35, 0xfff00000
	v_cmp_gt_i32_e32 vcc_lo, s18, v4
	v_cmp_lt_i32_e64 s17, 0, v44
	s_delay_alu instid0(VALU_DEP_3) | instskip(NEXT) | instid1(VALU_DEP_2)
	v_dual_mov_b32 v28, v34 :: v_dual_mov_b32 v29, v35
	s_and_b32 s36, s17, vcc_lo
	s_waitcnt lgkmcnt(0)
	v_add_co_u32 v20, s2, s22, v0
	s_delay_alu instid0(VALU_DEP_1)
	v_add_co_ci_u32_e64 v21, s2, s23, v1, s2
	s_and_saveexec_b32 s2, s36
	s_cbranch_execz .LBB691_4
; %bb.3:
	global_load_b64 v[28:29], v[20:21], off
.LBB691_4:
	s_or_b32 exec_lo, exec_lo, s2
	v_add_nc_u32_e32 v2, 32, v4
	s_delay_alu instid0(VALU_DEP_1) | instskip(NEXT) | instid1(VALU_DEP_1)
	v_cmp_gt_i32_e64 s16, s18, v2
	s_and_b32 s35, s17, s16
	s_delay_alu instid0(SALU_CYCLE_1)
	s_and_saveexec_b32 s2, s35
	s_cbranch_execz .LBB691_6
; %bb.5:
	global_load_b64 v[34:35], v[20:21], off offset:256
.LBB691_6:
	s_or_b32 exec_lo, exec_lo, s2
	v_add_nc_u32_e32 v2, 64, v4
	v_mov_b32_e32 v42, 0
	v_mov_b32_e32 v43, 0xfff00000
	s_delay_alu instid0(VALU_DEP_2) | instskip(NEXT) | instid1(VALU_DEP_4)
	v_mov_b32_e32 v32, v42
	v_cmp_gt_i32_e64 s15, s18, v2
	s_delay_alu instid0(VALU_DEP_3) | instskip(NEXT) | instid1(VALU_DEP_2)
	v_mov_b32_e32 v33, v43
	s_and_b32 s34, s17, s15
	s_delay_alu instid0(SALU_CYCLE_1)
	s_and_saveexec_b32 s2, s34
	s_cbranch_execz .LBB691_8
; %bb.7:
	global_load_b64 v[32:33], v[20:21], off offset:512
.LBB691_8:
	s_or_b32 exec_lo, exec_lo, s2
	v_add_nc_u32_e32 v2, 0x60, v4
	s_delay_alu instid0(VALU_DEP_1) | instskip(NEXT) | instid1(VALU_DEP_1)
	v_cmp_gt_i32_e64 s14, s18, v2
	s_and_b32 s33, s17, s14
	s_delay_alu instid0(SALU_CYCLE_1)
	s_and_saveexec_b32 s2, s33
	s_cbranch_execz .LBB691_10
; %bb.9:
	global_load_b64 v[42:43], v[20:21], off offset:768
.LBB691_10:
	s_or_b32 exec_lo, exec_lo, s2
	v_mov_b32_e32 v38, 0
	v_mov_b32_e32 v39, 0xfff00000
	s_delay_alu instid0(VALU_DEP_1) | instskip(NEXT) | instid1(VALU_DEP_1)
	v_dual_mov_b32 v41, v39 :: v_dual_add_nc_u32 v2, 0x80, v4
	v_cmp_gt_i32_e64 s13, s18, v2
	s_delay_alu instid0(VALU_DEP_4) | instskip(NEXT) | instid1(VALU_DEP_2)
	v_mov_b32_e32 v40, v38
	s_and_b32 s31, s17, s13
	s_delay_alu instid0(SALU_CYCLE_1)
	s_and_saveexec_b32 s2, s31
	s_cbranch_execz .LBB691_12
; %bb.11:
	global_load_b64 v[40:41], v[20:21], off offset:1024
.LBB691_12:
	s_or_b32 exec_lo, exec_lo, s2
	v_add_nc_u32_e32 v2, 0xa0, v4
	s_delay_alu instid0(VALU_DEP_1) | instskip(NEXT) | instid1(VALU_DEP_1)
	v_cmp_gt_i32_e64 s12, s18, v2
	s_and_b32 s30, s17, s12
	s_delay_alu instid0(SALU_CYCLE_1)
	s_and_saveexec_b32 s2, s30
	s_cbranch_execz .LBB691_14
; %bb.13:
	global_load_b64 v[38:39], v[20:21], off offset:1280
.LBB691_14:
	s_or_b32 exec_lo, exec_lo, s2
	v_mov_b32_e32 v30, 0
	v_mov_b32_e32 v31, 0xfff00000
	s_delay_alu instid0(VALU_DEP_1) | instskip(NEXT) | instid1(VALU_DEP_1)
	v_dual_mov_b32 v37, v31 :: v_dual_add_nc_u32 v2, 0xc0, v4
	v_cmp_gt_i32_e64 s11, s18, v2
	s_delay_alu instid0(VALU_DEP_4) | instskip(NEXT) | instid1(VALU_DEP_2)
	v_mov_b32_e32 v36, v30
	s_and_b32 s29, s17, s11
	s_delay_alu instid0(SALU_CYCLE_1)
	s_and_saveexec_b32 s2, s29
	s_cbranch_execz .LBB691_16
; %bb.15:
	global_load_b64 v[36:37], v[20:21], off offset:1536
.LBB691_16:
	s_or_b32 exec_lo, exec_lo, s2
	v_add_nc_u32_e32 v2, 0xe0, v4
	s_delay_alu instid0(VALU_DEP_1) | instskip(NEXT) | instid1(VALU_DEP_1)
	v_cmp_gt_i32_e64 s10, s18, v2
	s_and_b32 s28, s17, s10
	s_delay_alu instid0(SALU_CYCLE_1)
	s_and_saveexec_b32 s2, s28
	s_cbranch_execz .LBB691_18
; %bb.17:
	global_load_b64 v[30:31], v[20:21], off offset:1792
.LBB691_18:
	s_or_b32 exec_lo, exec_lo, s2
	v_mov_b32_e32 v18, 0
	v_mov_b32_e32 v19, 0xfff00000
	s_delay_alu instid0(VALU_DEP_1) | instskip(NEXT) | instid1(VALU_DEP_1)
	v_dual_mov_b32 v27, v19 :: v_dual_add_nc_u32 v2, 0x100, v4
	v_cmp_gt_i32_e64 s9, s18, v2
	s_delay_alu instid0(VALU_DEP_4) | instskip(NEXT) | instid1(VALU_DEP_2)
	v_mov_b32_e32 v26, v18
	s_and_b32 s27, s17, s9
	s_delay_alu instid0(SALU_CYCLE_1)
	s_and_saveexec_b32 s2, s27
	s_cbranch_execz .LBB691_20
; %bb.19:
	global_load_b64 v[26:27], v[20:21], off offset:2048
.LBB691_20:
	s_or_b32 exec_lo, exec_lo, s2
	v_add_nc_u32_e32 v2, 0x120, v4
	s_delay_alu instid0(VALU_DEP_1) | instskip(NEXT) | instid1(VALU_DEP_1)
	v_cmp_gt_i32_e64 s8, s18, v2
	s_and_b32 s26, s17, s8
	s_delay_alu instid0(SALU_CYCLE_1)
	s_and_saveexec_b32 s2, s26
	s_cbranch_execz .LBB691_22
; %bb.21:
	global_load_b64 v[18:19], v[20:21], off offset:2304
.LBB691_22:
	s_or_b32 exec_lo, exec_lo, s2
	v_mov_b32_e32 v12, 0
	v_mov_b32_e32 v13, 0xfff00000
	s_delay_alu instid0(VALU_DEP_1) | instskip(NEXT) | instid1(VALU_DEP_1)
	v_dual_mov_b32 v15, v13 :: v_dual_add_nc_u32 v2, 0x140, v4
	v_cmp_gt_i32_e64 s7, s18, v2
	s_delay_alu instid0(VALU_DEP_4) | instskip(NEXT) | instid1(VALU_DEP_2)
	v_mov_b32_e32 v14, v12
	s_and_b32 s25, s17, s7
	s_delay_alu instid0(SALU_CYCLE_1)
	s_and_saveexec_b32 s2, s25
	s_cbranch_execz .LBB691_24
; %bb.23:
	global_load_b64 v[14:15], v[20:21], off offset:2560
.LBB691_24:
	s_or_b32 exec_lo, exec_lo, s2
	v_add_nc_u32_e32 v2, 0x160, v4
	s_delay_alu instid0(VALU_DEP_1) | instskip(NEXT) | instid1(VALU_DEP_1)
	v_cmp_gt_i32_e64 s6, s18, v2
	s_and_b32 s24, s17, s6
	s_delay_alu instid0(SALU_CYCLE_1)
	s_and_saveexec_b32 s2, s24
	s_cbranch_execz .LBB691_26
; %bb.25:
	global_load_b64 v[12:13], v[20:21], off offset:2816
.LBB691_26:
	s_or_b32 exec_lo, exec_lo, s2
	v_mov_b32_e32 v8, 0
	v_mov_b32_e32 v9, 0xfff00000
	s_delay_alu instid0(VALU_DEP_1) | instskip(NEXT) | instid1(VALU_DEP_1)
	v_dual_mov_b32 v11, v9 :: v_dual_add_nc_u32 v2, 0x180, v4
	v_cmp_gt_i32_e64 s5, s18, v2
	s_delay_alu instid0(VALU_DEP_4) | instskip(NEXT) | instid1(VALU_DEP_2)
	v_mov_b32_e32 v10, v8
	s_and_b32 s23, s17, s5
	s_delay_alu instid0(SALU_CYCLE_1)
	s_and_saveexec_b32 s2, s23
	s_cbranch_execz .LBB691_28
; %bb.27:
	global_load_b64 v[10:11], v[20:21], off offset:3072
.LBB691_28:
	s_or_b32 exec_lo, exec_lo, s2
	v_add_nc_u32_e32 v2, 0x1a0, v4
	s_delay_alu instid0(VALU_DEP_1) | instskip(NEXT) | instid1(VALU_DEP_1)
	v_cmp_gt_i32_e64 s4, s18, v2
	s_and_b32 s22, s17, s4
	s_delay_alu instid0(SALU_CYCLE_1)
	s_and_saveexec_b32 s2, s22
	s_cbranch_execz .LBB691_30
; %bb.29:
	global_load_b64 v[8:9], v[20:21], off offset:3328
.LBB691_30:
	s_or_b32 exec_lo, exec_lo, s2
	v_dual_mov_b32 v2, 0 :: v_dual_add_nc_u32 v5, 0x1c0, v4
	v_mov_b32_e32 v3, 0xfff00000
	s_delay_alu instid0(VALU_DEP_2) | instskip(NEXT) | instid1(VALU_DEP_2)
	v_cmp_gt_i32_e64 s3, s18, v5
	v_dual_mov_b32 v7, v3 :: v_dual_mov_b32 v6, v2
	s_delay_alu instid0(VALU_DEP_2) | instskip(NEXT) | instid1(SALU_CYCLE_1)
	s_and_b32 s19, s17, s3
	s_and_saveexec_b32 s2, s19
	s_cbranch_execz .LBB691_32
; %bb.31:
	global_load_b64 v[6:7], v[20:21], off offset:3584
.LBB691_32:
	s_or_b32 exec_lo, exec_lo, s2
	v_add_nc_u32_e32 v4, 0x1e0, v4
	s_delay_alu instid0(VALU_DEP_1) | instskip(NEXT) | instid1(VALU_DEP_1)
	v_cmp_gt_i32_e64 s2, s18, v4
	s_and_b32 s17, s17, s2
	s_delay_alu instid0(SALU_CYCLE_1)
	s_and_saveexec_b32 s18, s17
	s_cbranch_execz .LBB691_34
; %bb.33:
	global_load_b64 v[2:3], v[20:21], off offset:3840
.LBB691_34:
	s_or_b32 exec_lo, exec_lo, s18
	s_load_b64 s[0:1], s[0:1], 0x20
	s_waitcnt lgkmcnt(0)
	v_add_co_u32 v4, s0, s0, v16
	s_delay_alu instid0(VALU_DEP_1)
	v_add_co_ci_u32_e64 v5, s0, s1, v17, s0
	s_mov_b32 s1, 0
	s_and_saveexec_b32 s18, s36
	s_cbranch_execz .LBB691_36
; %bb.35:
	global_load_u8 v16, v[4:5], off
	s_waitcnt vmcnt(0)
	v_and_b32_e32 v16, 1, v16
	s_delay_alu instid0(VALU_DEP_1) | instskip(NEXT) | instid1(VALU_DEP_1)
	v_cmp_eq_u32_e64 s0, 1, v16
	s_xor_b32 s0, s0, -1
	s_delay_alu instid0(SALU_CYCLE_1)
	s_and_b32 s1, s0, exec_lo
.LBB691_36:
	s_or_b32 exec_lo, exec_lo, s18
	s_waitcnt vmcnt(0)
	v_dual_mov_b32 v16, v28 :: v_dual_mov_b32 v17, v29
	s_and_saveexec_b32 s18, s35
	s_cbranch_execnz .LBB691_51
; %bb.37:
	s_or_b32 exec_lo, exec_lo, s18
	s_and_saveexec_b32 s18, s34
	s_cbranch_execnz .LBB691_54
.LBB691_38:
	s_or_b32 exec_lo, exec_lo, s18
	s_and_saveexec_b32 s18, s33
	s_cbranch_execnz .LBB691_57
.LBB691_39:
	s_or_b32 exec_lo, exec_lo, s18
	s_and_saveexec_b32 s18, s31
	s_cbranch_execnz .LBB691_60
.LBB691_40:
	s_or_b32 exec_lo, exec_lo, s18
	s_and_saveexec_b32 s18, s30
	s_cbranch_execnz .LBB691_63
.LBB691_41:
	s_or_b32 exec_lo, exec_lo, s18
	s_and_saveexec_b32 s18, s29
	s_cbranch_execnz .LBB691_66
.LBB691_42:
	s_or_b32 exec_lo, exec_lo, s18
	s_and_saveexec_b32 s18, s28
	s_cbranch_execnz .LBB691_69
.LBB691_43:
	s_or_b32 exec_lo, exec_lo, s18
	s_and_saveexec_b32 s18, s27
	s_cbranch_execnz .LBB691_72
.LBB691_44:
	s_or_b32 exec_lo, exec_lo, s18
	s_and_saveexec_b32 s18, s26
	s_cbranch_execnz .LBB691_75
.LBB691_45:
	s_or_b32 exec_lo, exec_lo, s18
	s_and_saveexec_b32 s18, s25
	s_cbranch_execnz .LBB691_78
.LBB691_46:
	s_or_b32 exec_lo, exec_lo, s18
	s_and_saveexec_b32 s18, s24
	s_cbranch_execnz .LBB691_81
.LBB691_47:
	s_or_b32 exec_lo, exec_lo, s18
	s_and_saveexec_b32 s18, s23
	s_cbranch_execnz .LBB691_84
.LBB691_48:
	s_or_b32 exec_lo, exec_lo, s18
	s_and_saveexec_b32 s18, s22
	s_cbranch_execnz .LBB691_87
.LBB691_49:
	s_or_b32 exec_lo, exec_lo, s18
	s_and_saveexec_b32 s18, s19
	s_cbranch_execnz .LBB691_90
.LBB691_50:
	s_or_b32 exec_lo, exec_lo, s18
	s_and_saveexec_b32 s18, s17
	s_cbranch_execnz .LBB691_93
	s_branch .LBB691_96
.LBB691_51:
	global_load_u8 v16, v[4:5], off offset:32
	s_waitcnt vmcnt(0)
	v_and_b32_e32 v16, 1, v16
	s_delay_alu instid0(VALU_DEP_1) | instskip(SKIP_1) | instid1(VALU_DEP_2)
	v_cmp_eq_u32_e64 s0, 1, v16
	v_dual_mov_b32 v16, v28 :: v_dual_mov_b32 v17, v29
	s_xor_b32 s38, s0, -1
	s_mov_b32 s0, s1
	s_and_saveexec_b32 s37, s38
; %bb.52:
	v_cmp_gt_f64_e64 s0, v[28:29], v[34:35]
	s_delay_alu instid0(VALU_DEP_1) | instskip(NEXT) | instid1(SALU_CYCLE_1)
	s_and_b32 s0, s1, s0
	v_cndmask_b32_e64 v17, v35, v29, s0
	v_cndmask_b32_e64 v16, v34, v28, s0
	s_or_b32 s0, s1, exec_lo
; %bb.53:
	s_or_b32 exec_lo, exec_lo, s37
	s_delay_alu instid0(SALU_CYCLE_1) | instskip(SKIP_1) | instid1(SALU_CYCLE_1)
	s_and_not1_b32 s1, s1, exec_lo
	s_and_b32 s0, s0, exec_lo
	s_or_b32 s1, s1, s0
	s_or_b32 exec_lo, exec_lo, s18
	s_and_saveexec_b32 s18, s34
	s_cbranch_execz .LBB691_38
.LBB691_54:
	global_load_u8 v20, v[4:5], off offset:64
	s_waitcnt vmcnt(0)
	v_and_b32_e32 v20, 1, v20
	s_delay_alu instid0(VALU_DEP_1) | instskip(NEXT) | instid1(VALU_DEP_1)
	v_cmp_eq_u32_e64 s0, 1, v20
	s_xor_b32 s38, s0, -1
	s_mov_b32 s0, s1
	s_and_saveexec_b32 s37, s38
; %bb.55:
	v_cmp_gt_f64_e64 s0, v[16:17], v[32:33]
	s_delay_alu instid0(VALU_DEP_1) | instskip(NEXT) | instid1(SALU_CYCLE_1)
	s_and_b32 s0, s1, s0
	v_cndmask_b32_e64 v17, v33, v17, s0
	v_cndmask_b32_e64 v16, v32, v16, s0
	s_or_b32 s0, s1, exec_lo
; %bb.56:
	s_or_b32 exec_lo, exec_lo, s37
	s_delay_alu instid0(SALU_CYCLE_1) | instskip(SKIP_1) | instid1(SALU_CYCLE_1)
	s_and_not1_b32 s1, s1, exec_lo
	s_and_b32 s0, s0, exec_lo
	s_or_b32 s1, s1, s0
	s_or_b32 exec_lo, exec_lo, s18
	s_and_saveexec_b32 s18, s33
	s_cbranch_execz .LBB691_39
.LBB691_57:
	global_load_u8 v20, v[4:5], off offset:96
	s_waitcnt vmcnt(0)
	v_and_b32_e32 v20, 1, v20
	s_delay_alu instid0(VALU_DEP_1) | instskip(NEXT) | instid1(VALU_DEP_1)
	v_cmp_eq_u32_e64 s0, 1, v20
	s_xor_b32 s38, s0, -1
	s_mov_b32 s0, s1
	s_and_saveexec_b32 s37, s38
; %bb.58:
	v_cmp_gt_f64_e64 s0, v[16:17], v[42:43]
	s_delay_alu instid0(VALU_DEP_1) | instskip(NEXT) | instid1(SALU_CYCLE_1)
	s_and_b32 s0, s1, s0
	v_cndmask_b32_e64 v17, v43, v17, s0
	v_cndmask_b32_e64 v16, v42, v16, s0
	s_or_b32 s0, s1, exec_lo
; %bb.59:
	s_or_b32 exec_lo, exec_lo, s37
	s_delay_alu instid0(SALU_CYCLE_1) | instskip(SKIP_1) | instid1(SALU_CYCLE_1)
	s_and_not1_b32 s1, s1, exec_lo
	s_and_b32 s0, s0, exec_lo
	s_or_b32 s1, s1, s0
	s_or_b32 exec_lo, exec_lo, s18
	s_and_saveexec_b32 s18, s31
	s_cbranch_execz .LBB691_40
.LBB691_60:
	global_load_u8 v20, v[4:5], off offset:128
	s_waitcnt vmcnt(0)
	v_and_b32_e32 v20, 1, v20
	s_delay_alu instid0(VALU_DEP_1) | instskip(NEXT) | instid1(VALU_DEP_1)
	v_cmp_eq_u32_e64 s0, 1, v20
	s_xor_b32 s38, s0, -1
	s_mov_b32 s0, s1
	s_and_saveexec_b32 s37, s38
; %bb.61:
	v_cmp_gt_f64_e64 s0, v[16:17], v[40:41]
	s_delay_alu instid0(VALU_DEP_1) | instskip(NEXT) | instid1(SALU_CYCLE_1)
	s_and_b32 s0, s1, s0
	v_cndmask_b32_e64 v17, v41, v17, s0
	v_cndmask_b32_e64 v16, v40, v16, s0
	s_or_b32 s0, s1, exec_lo
; %bb.62:
	s_or_b32 exec_lo, exec_lo, s37
	s_delay_alu instid0(SALU_CYCLE_1) | instskip(SKIP_1) | instid1(SALU_CYCLE_1)
	s_and_not1_b32 s1, s1, exec_lo
	s_and_b32 s0, s0, exec_lo
	s_or_b32 s1, s1, s0
	s_or_b32 exec_lo, exec_lo, s18
	s_and_saveexec_b32 s18, s30
	s_cbranch_execz .LBB691_41
.LBB691_63:
	global_load_u8 v20, v[4:5], off offset:160
	s_waitcnt vmcnt(0)
	v_and_b32_e32 v20, 1, v20
	s_delay_alu instid0(VALU_DEP_1) | instskip(NEXT) | instid1(VALU_DEP_1)
	v_cmp_eq_u32_e64 s0, 1, v20
	s_xor_b32 s38, s0, -1
	s_mov_b32 s0, s1
	s_and_saveexec_b32 s37, s38
; %bb.64:
	v_cmp_gt_f64_e64 s0, v[16:17], v[38:39]
	s_delay_alu instid0(VALU_DEP_1) | instskip(NEXT) | instid1(SALU_CYCLE_1)
	s_and_b32 s0, s1, s0
	v_cndmask_b32_e64 v17, v39, v17, s0
	v_cndmask_b32_e64 v16, v38, v16, s0
	s_or_b32 s0, s1, exec_lo
; %bb.65:
	s_or_b32 exec_lo, exec_lo, s37
	s_delay_alu instid0(SALU_CYCLE_1) | instskip(SKIP_1) | instid1(SALU_CYCLE_1)
	s_and_not1_b32 s1, s1, exec_lo
	s_and_b32 s0, s0, exec_lo
	s_or_b32 s1, s1, s0
	s_or_b32 exec_lo, exec_lo, s18
	s_and_saveexec_b32 s18, s29
	s_cbranch_execz .LBB691_42
.LBB691_66:
	global_load_u8 v20, v[4:5], off offset:192
	s_waitcnt vmcnt(0)
	v_and_b32_e32 v20, 1, v20
	s_delay_alu instid0(VALU_DEP_1) | instskip(NEXT) | instid1(VALU_DEP_1)
	v_cmp_eq_u32_e64 s0, 1, v20
	s_xor_b32 s38, s0, -1
	s_mov_b32 s0, s1
	s_and_saveexec_b32 s37, s38
; %bb.67:
	v_cmp_gt_f64_e64 s0, v[16:17], v[36:37]
	s_delay_alu instid0(VALU_DEP_1) | instskip(NEXT) | instid1(SALU_CYCLE_1)
	s_and_b32 s0, s1, s0
	v_cndmask_b32_e64 v17, v37, v17, s0
	v_cndmask_b32_e64 v16, v36, v16, s0
	s_or_b32 s0, s1, exec_lo
; %bb.68:
	s_or_b32 exec_lo, exec_lo, s37
	s_delay_alu instid0(SALU_CYCLE_1) | instskip(SKIP_1) | instid1(SALU_CYCLE_1)
	s_and_not1_b32 s1, s1, exec_lo
	s_and_b32 s0, s0, exec_lo
	s_or_b32 s1, s1, s0
	s_or_b32 exec_lo, exec_lo, s18
	s_and_saveexec_b32 s18, s28
	s_cbranch_execz .LBB691_43
.LBB691_69:
	global_load_u8 v20, v[4:5], off offset:224
	s_waitcnt vmcnt(0)
	v_and_b32_e32 v20, 1, v20
	s_delay_alu instid0(VALU_DEP_1) | instskip(NEXT) | instid1(VALU_DEP_1)
	v_cmp_eq_u32_e64 s0, 1, v20
	s_xor_b32 s38, s0, -1
	s_mov_b32 s0, s1
	s_and_saveexec_b32 s37, s38
; %bb.70:
	v_cmp_gt_f64_e64 s0, v[16:17], v[30:31]
	s_delay_alu instid0(VALU_DEP_1) | instskip(NEXT) | instid1(SALU_CYCLE_1)
	s_and_b32 s0, s1, s0
	v_cndmask_b32_e64 v17, v31, v17, s0
	v_cndmask_b32_e64 v16, v30, v16, s0
	s_or_b32 s0, s1, exec_lo
; %bb.71:
	s_or_b32 exec_lo, exec_lo, s37
	s_delay_alu instid0(SALU_CYCLE_1) | instskip(SKIP_1) | instid1(SALU_CYCLE_1)
	s_and_not1_b32 s1, s1, exec_lo
	s_and_b32 s0, s0, exec_lo
	s_or_b32 s1, s1, s0
	s_or_b32 exec_lo, exec_lo, s18
	s_and_saveexec_b32 s18, s27
	s_cbranch_execz .LBB691_44
.LBB691_72:
	global_load_u8 v20, v[4:5], off offset:256
	s_waitcnt vmcnt(0)
	v_and_b32_e32 v20, 1, v20
	s_delay_alu instid0(VALU_DEP_1) | instskip(NEXT) | instid1(VALU_DEP_1)
	v_cmp_eq_u32_e64 s0, 1, v20
	s_xor_b32 s38, s0, -1
	s_mov_b32 s0, s1
	s_and_saveexec_b32 s37, s38
; %bb.73:
	v_cmp_gt_f64_e64 s0, v[16:17], v[26:27]
	s_delay_alu instid0(VALU_DEP_1) | instskip(NEXT) | instid1(SALU_CYCLE_1)
	s_and_b32 s0, s1, s0
	v_cndmask_b32_e64 v17, v27, v17, s0
	v_cndmask_b32_e64 v16, v26, v16, s0
	s_or_b32 s0, s1, exec_lo
; %bb.74:
	s_or_b32 exec_lo, exec_lo, s37
	s_delay_alu instid0(SALU_CYCLE_1) | instskip(SKIP_1) | instid1(SALU_CYCLE_1)
	s_and_not1_b32 s1, s1, exec_lo
	s_and_b32 s0, s0, exec_lo
	s_or_b32 s1, s1, s0
	s_or_b32 exec_lo, exec_lo, s18
	s_and_saveexec_b32 s18, s26
	s_cbranch_execz .LBB691_45
.LBB691_75:
	global_load_u8 v20, v[4:5], off offset:288
	s_waitcnt vmcnt(0)
	v_and_b32_e32 v20, 1, v20
	s_delay_alu instid0(VALU_DEP_1) | instskip(NEXT) | instid1(VALU_DEP_1)
	v_cmp_eq_u32_e64 s0, 1, v20
	s_xor_b32 s38, s0, -1
	s_mov_b32 s0, s1
	s_and_saveexec_b32 s37, s38
; %bb.76:
	v_cmp_gt_f64_e64 s0, v[16:17], v[18:19]
	s_delay_alu instid0(VALU_DEP_1) | instskip(NEXT) | instid1(SALU_CYCLE_1)
	s_and_b32 s0, s1, s0
	v_cndmask_b32_e64 v17, v19, v17, s0
	v_cndmask_b32_e64 v16, v18, v16, s0
	s_or_b32 s0, s1, exec_lo
; %bb.77:
	s_or_b32 exec_lo, exec_lo, s37
	s_delay_alu instid0(SALU_CYCLE_1) | instskip(SKIP_1) | instid1(SALU_CYCLE_1)
	s_and_not1_b32 s1, s1, exec_lo
	s_and_b32 s0, s0, exec_lo
	s_or_b32 s1, s1, s0
	s_or_b32 exec_lo, exec_lo, s18
	s_and_saveexec_b32 s18, s25
	s_cbranch_execz .LBB691_46
.LBB691_78:
	global_load_u8 v20, v[4:5], off offset:320
	s_waitcnt vmcnt(0)
	v_and_b32_e32 v20, 1, v20
	s_delay_alu instid0(VALU_DEP_1) | instskip(NEXT) | instid1(VALU_DEP_1)
	v_cmp_eq_u32_e64 s0, 1, v20
	s_xor_b32 s38, s0, -1
	s_mov_b32 s0, s1
	s_and_saveexec_b32 s37, s38
; %bb.79:
	v_cmp_gt_f64_e64 s0, v[16:17], v[14:15]
	s_delay_alu instid0(VALU_DEP_1) | instskip(NEXT) | instid1(SALU_CYCLE_1)
	s_and_b32 s0, s1, s0
	v_cndmask_b32_e64 v17, v15, v17, s0
	v_cndmask_b32_e64 v16, v14, v16, s0
	s_or_b32 s0, s1, exec_lo
; %bb.80:
	s_or_b32 exec_lo, exec_lo, s37
	s_delay_alu instid0(SALU_CYCLE_1) | instskip(SKIP_1) | instid1(SALU_CYCLE_1)
	s_and_not1_b32 s1, s1, exec_lo
	s_and_b32 s0, s0, exec_lo
	s_or_b32 s1, s1, s0
	s_or_b32 exec_lo, exec_lo, s18
	s_and_saveexec_b32 s18, s24
	s_cbranch_execz .LBB691_47
.LBB691_81:
	global_load_u8 v20, v[4:5], off offset:352
	s_waitcnt vmcnt(0)
	v_and_b32_e32 v20, 1, v20
	s_delay_alu instid0(VALU_DEP_1) | instskip(NEXT) | instid1(VALU_DEP_1)
	v_cmp_eq_u32_e64 s0, 1, v20
	s_xor_b32 s38, s0, -1
	s_mov_b32 s0, s1
	s_and_saveexec_b32 s37, s38
; %bb.82:
	v_cmp_gt_f64_e64 s0, v[16:17], v[12:13]
	s_delay_alu instid0(VALU_DEP_1) | instskip(NEXT) | instid1(SALU_CYCLE_1)
	s_and_b32 s0, s1, s0
	v_cndmask_b32_e64 v17, v13, v17, s0
	v_cndmask_b32_e64 v16, v12, v16, s0
	s_or_b32 s0, s1, exec_lo
; %bb.83:
	s_or_b32 exec_lo, exec_lo, s37
	s_delay_alu instid0(SALU_CYCLE_1) | instskip(SKIP_1) | instid1(SALU_CYCLE_1)
	s_and_not1_b32 s1, s1, exec_lo
	s_and_b32 s0, s0, exec_lo
	s_or_b32 s1, s1, s0
	s_or_b32 exec_lo, exec_lo, s18
	s_and_saveexec_b32 s18, s23
	s_cbranch_execz .LBB691_48
.LBB691_84:
	global_load_u8 v20, v[4:5], off offset:384
	s_waitcnt vmcnt(0)
	v_and_b32_e32 v20, 1, v20
	s_delay_alu instid0(VALU_DEP_1) | instskip(NEXT) | instid1(VALU_DEP_1)
	v_cmp_eq_u32_e64 s0, 1, v20
	s_xor_b32 s38, s0, -1
	s_mov_b32 s0, s1
	s_and_saveexec_b32 s37, s38
; %bb.85:
	v_cmp_gt_f64_e64 s0, v[16:17], v[10:11]
	s_delay_alu instid0(VALU_DEP_1) | instskip(NEXT) | instid1(SALU_CYCLE_1)
	s_and_b32 s0, s1, s0
	v_cndmask_b32_e64 v17, v11, v17, s0
	v_cndmask_b32_e64 v16, v10, v16, s0
	s_or_b32 s0, s1, exec_lo
; %bb.86:
	s_or_b32 exec_lo, exec_lo, s37
	s_delay_alu instid0(SALU_CYCLE_1) | instskip(SKIP_1) | instid1(SALU_CYCLE_1)
	s_and_not1_b32 s1, s1, exec_lo
	s_and_b32 s0, s0, exec_lo
	s_or_b32 s1, s1, s0
	s_or_b32 exec_lo, exec_lo, s18
	s_and_saveexec_b32 s18, s22
	s_cbranch_execz .LBB691_49
.LBB691_87:
	global_load_u8 v20, v[4:5], off offset:416
	s_waitcnt vmcnt(0)
	v_and_b32_e32 v20, 1, v20
	s_delay_alu instid0(VALU_DEP_1) | instskip(NEXT) | instid1(VALU_DEP_1)
	v_cmp_eq_u32_e64 s0, 1, v20
	s_xor_b32 s38, s0, -1
	s_mov_b32 s0, s1
	s_and_saveexec_b32 s37, s38
; %bb.88:
	v_cmp_gt_f64_e64 s0, v[16:17], v[8:9]
	s_delay_alu instid0(VALU_DEP_1) | instskip(NEXT) | instid1(SALU_CYCLE_1)
	s_and_b32 s0, s1, s0
	v_cndmask_b32_e64 v17, v9, v17, s0
	v_cndmask_b32_e64 v16, v8, v16, s0
	s_or_b32 s0, s1, exec_lo
; %bb.89:
	s_or_b32 exec_lo, exec_lo, s37
	s_delay_alu instid0(SALU_CYCLE_1) | instskip(SKIP_1) | instid1(SALU_CYCLE_1)
	s_and_not1_b32 s1, s1, exec_lo
	s_and_b32 s0, s0, exec_lo
	s_or_b32 s1, s1, s0
	s_or_b32 exec_lo, exec_lo, s18
	s_and_saveexec_b32 s18, s19
	s_cbranch_execz .LBB691_50
.LBB691_90:
	global_load_u8 v20, v[4:5], off offset:448
	s_waitcnt vmcnt(0)
	v_and_b32_e32 v20, 1, v20
	s_delay_alu instid0(VALU_DEP_1) | instskip(NEXT) | instid1(VALU_DEP_1)
	v_cmp_eq_u32_e64 s0, 1, v20
	s_xor_b32 s38, s0, -1
	s_mov_b32 s0, s1
	s_and_saveexec_b32 s37, s38
; %bb.91:
	v_cmp_gt_f64_e64 s0, v[16:17], v[6:7]
	s_delay_alu instid0(VALU_DEP_1) | instskip(NEXT) | instid1(SALU_CYCLE_1)
	s_and_b32 s0, s1, s0
	v_cndmask_b32_e64 v17, v7, v17, s0
	v_cndmask_b32_e64 v16, v6, v16, s0
	s_or_b32 s0, s1, exec_lo
; %bb.92:
	s_or_b32 exec_lo, exec_lo, s37
	s_delay_alu instid0(SALU_CYCLE_1) | instskip(SKIP_1) | instid1(SALU_CYCLE_1)
	s_and_not1_b32 s1, s1, exec_lo
	s_and_b32 s0, s0, exec_lo
	s_or_b32 s1, s1, s0
	s_or_b32 exec_lo, exec_lo, s18
	s_and_saveexec_b32 s18, s17
	s_cbranch_execz .LBB691_96
.LBB691_93:
	global_load_u8 v20, v[4:5], off offset:480
	s_waitcnt vmcnt(0)
	v_and_b32_e32 v20, 1, v20
	s_delay_alu instid0(VALU_DEP_1) | instskip(NEXT) | instid1(VALU_DEP_1)
	v_cmp_eq_u32_e64 s0, 1, v20
	s_xor_b32 s38, s0, -1
	s_mov_b32 s0, s1
	s_and_saveexec_b32 s37, s38
; %bb.94:
	v_cmp_gt_f64_e64 s0, v[16:17], v[2:3]
	s_delay_alu instid0(VALU_DEP_1) | instskip(NEXT) | instid1(SALU_CYCLE_1)
	s_and_b32 s0, s1, s0
	v_cndmask_b32_e64 v17, v3, v17, s0
	v_cndmask_b32_e64 v16, v2, v16, s0
	s_or_b32 s0, s1, exec_lo
; %bb.95:
	s_or_b32 exec_lo, exec_lo, s37
	s_delay_alu instid0(SALU_CYCLE_1) | instskip(SKIP_1) | instid1(SALU_CYCLE_1)
	s_and_not1_b32 s1, s1, exec_lo
	s_and_b32 s0, s0, exec_lo
	s_or_b32 s1, s1, s0
.LBB691_96:
	s_or_b32 exec_lo, exec_lo, s18
	v_mbcnt_lo_u32_b32 v22, -1, 0
	v_cndmask_b32_e64 v16, 0, v16, s1
	v_cndmask_b32_e64 v17, 0xfff00000, v17, s1
	s_delay_alu instid0(VALU_DEP_3) | instskip(SKIP_1) | instid1(VALU_DEP_2)
	v_xor_b32_e32 v20, 16, v22
	v_xor_b32_e32 v23, 8, v22
	v_cmp_gt_i32_e64 s0, 32, v20
	s_delay_alu instid0(VALU_DEP_2) | instskip(NEXT) | instid1(VALU_DEP_2)
	v_cmp_gt_i32_e64 s1, 32, v23
	v_cndmask_b32_e64 v20, v22, v20, s0
	s_delay_alu instid0(VALU_DEP_2) | instskip(NEXT) | instid1(VALU_DEP_2)
	v_cndmask_b32_e64 v23, v22, v23, s1
	v_lshlrev_b32_e32 v45, 2, v20
	s_delay_alu instid0(VALU_DEP_2) | instskip(SKIP_4) | instid1(VALU_DEP_1)
	v_lshlrev_b32_e32 v46, 2, v23
	v_xor_b32_e32 v23, 4, v22
	ds_bpermute_b32 v20, v45, v16
	ds_bpermute_b32 v21, v45, v17
	v_cmp_gt_i32_e64 s1, 32, v23
	v_cndmask_b32_e64 v23, v22, v23, s1
	s_delay_alu instid0(VALU_DEP_1) | instskip(SKIP_1) | instid1(VALU_DEP_1)
	v_lshlrev_b32_e32 v47, 2, v23
	v_xor_b32_e32 v23, 2, v22
	v_cmp_gt_i32_e64 s1, 32, v23
	s_waitcnt lgkmcnt(0)
	v_cmp_lt_f64_e64 s0, v[16:17], v[20:21]
	s_delay_alu instid0(VALU_DEP_2) | instskip(NEXT) | instid1(VALU_DEP_1)
	v_cndmask_b32_e64 v23, v22, v23, s1
	v_lshlrev_b32_e32 v48, 2, v23
	v_xor_b32_e32 v23, 1, v22
	s_delay_alu instid0(VALU_DEP_1) | instskip(NEXT) | instid1(VALU_DEP_1)
	v_cmp_gt_i32_e64 s1, 32, v23
	v_cndmask_b32_e64 v22, v22, v23, s1
	s_delay_alu instid0(VALU_DEP_1)
	v_lshlrev_b32_e32 v49, 2, v22
	v_cndmask_b32_e64 v17, v17, v21, s0
	v_cndmask_b32_e64 v16, v16, v20, s0
	ds_bpermute_b32 v21, v46, v17
	ds_bpermute_b32 v20, v46, v16
	s_waitcnt lgkmcnt(0)
	v_cmp_lt_f64_e64 s0, v[16:17], v[20:21]
	s_delay_alu instid0(VALU_DEP_1)
	v_cndmask_b32_e64 v17, v17, v21, s0
	v_cndmask_b32_e64 v16, v16, v20, s0
	ds_bpermute_b32 v21, v47, v17
	ds_bpermute_b32 v20, v47, v16
	s_waitcnt lgkmcnt(0)
	v_cmp_lt_f64_e64 s0, v[16:17], v[20:21]
	s_delay_alu instid0(VALU_DEP_1)
	;; [unrolled: 7-line block ×3, first 2 shown]
	v_cndmask_b32_e64 v23, v17, v21, s0
	v_cndmask_b32_e64 v22, v16, v20, s0
	v_mov_b32_e32 v16, 0
	v_mov_b32_e32 v17, 0
	ds_bpermute_b32 v25, v49, v23
	ds_bpermute_b32 v24, v49, v22
	v_dual_mov_b32 v21, v17 :: v_dual_mov_b32 v20, v16
	s_waitcnt lgkmcnt(0)
	v_cmp_lt_f64_e64 s0, v[22:23], v[24:25]
	s_delay_alu instid0(VALU_DEP_1)
	v_cndmask_b32_e64 v25, v23, v25, s0
	v_cndmask_b32_e64 v24, v22, v24, s0
	v_dual_mov_b32 v23, v17 :: v_dual_mov_b32 v22, v16
	s_and_saveexec_b32 s18, s36
	s_cbranch_execz .LBB691_100
; %bb.97:
	global_load_u8 v20, v[4:5], off
	v_mov_b32_e32 v22, 0
	s_waitcnt vmcnt(0)
	v_dual_mov_b32 v23, 0 :: v_dual_and_b32 v20, 1, v20
	s_delay_alu instid0(VALU_DEP_1) | instskip(NEXT) | instid1(VALU_DEP_2)
	v_cmp_eq_u32_e64 s0, 1, v20
	v_dual_mov_b32 v20, v22 :: v_dual_mov_b32 v21, v23
	s_delay_alu instid0(VALU_DEP_2) | instskip(NEXT) | instid1(SALU_CYCLE_1)
	s_xor_b32 s0, s0, -1
	s_and_saveexec_b32 s36, s0
	s_cbranch_execz .LBB691_99
; %bb.98:
	v_add_f64 v[20:21], v[28:29], -v[24:25]
	s_mov_b32 s0, 0x652b82fe
	s_mov_b32 s1, 0x3ff71547
	s_mov_b32 s38, 0x6a5dcb37
	s_mov_b32 s39, 0x3e5ade15
	s_delay_alu instid0(VALU_DEP_1) | instskip(SKIP_2) | instid1(VALU_DEP_1)
	v_mul_f64 v[22:23], v[20:21], s[0:1]
	s_mov_b32 s0, 0xfefa39ef
	s_mov_b32 s1, 0xbfe62e42
	v_rndne_f64_e32 v[22:23], v[22:23]
	s_delay_alu instid0(VALU_DEP_1) | instskip(SKIP_3) | instid1(VALU_DEP_2)
	v_fma_f64 v[28:29], v[22:23], s[0:1], v[20:21]
	s_mov_b32 s0, 0x3b39803f
	s_mov_b32 s1, 0xbc7abc9e
	v_cvt_i32_f64_e32 v52, v[22:23]
	v_fma_f64 v[28:29], v[22:23], s[0:1], v[28:29]
	s_mov_b32 s0, 0xfca7ab0c
	s_mov_b32 s1, 0x3e928af3
	s_delay_alu instid0(VALU_DEP_1) | instid1(SALU_CYCLE_1)
	v_fma_f64 v[50:51], v[28:29], s[38:39], s[0:1]
	s_mov_b32 s0, 0x623fde64
	s_mov_b32 s1, 0x3ec71dee
	s_delay_alu instid0(VALU_DEP_1) | instid1(SALU_CYCLE_1)
	v_fma_f64 v[50:51], v[28:29], v[50:51], s[0:1]
	s_mov_b32 s0, 0x7c89e6b0
	s_mov_b32 s1, 0x3efa0199
	s_delay_alu instid0(VALU_DEP_1) | instid1(SALU_CYCLE_1)
	v_fma_f64 v[50:51], v[28:29], v[50:51], s[0:1]
	s_mov_b32 s0, 0x14761f6e
	s_mov_b32 s1, 0x3f2a01a0
	s_delay_alu instid0(VALU_DEP_1) | instid1(SALU_CYCLE_1)
	v_fma_f64 v[50:51], v[28:29], v[50:51], s[0:1]
	s_mov_b32 s0, 0x1852b7b0
	s_mov_b32 s1, 0x3f56c16c
	s_delay_alu instid0(VALU_DEP_1) | instid1(SALU_CYCLE_1)
	v_fma_f64 v[50:51], v[28:29], v[50:51], s[0:1]
	s_mov_b32 s0, 0x11122322
	s_mov_b32 s1, 0x3f811111
	s_delay_alu instid0(VALU_DEP_1) | instid1(SALU_CYCLE_1)
	v_fma_f64 v[50:51], v[28:29], v[50:51], s[0:1]
	s_mov_b32 s0, 0x555502a1
	s_mov_b32 s1, 0x3fa55555
	s_delay_alu instid0(VALU_DEP_1) | instid1(SALU_CYCLE_1)
	v_fma_f64 v[50:51], v[28:29], v[50:51], s[0:1]
	s_mov_b32 s0, 0x55555511
	s_mov_b32 s1, 0x3fc55555
	s_delay_alu instid0(VALU_DEP_1) | instid1(SALU_CYCLE_1)
	v_fma_f64 v[50:51], v[28:29], v[50:51], s[0:1]
	s_mov_b32 s0, 11
	s_mov_b32 s1, 0x3fe00000
	s_delay_alu instid0(VALU_DEP_1) | instid1(SALU_CYCLE_1)
	v_fma_f64 v[50:51], v[28:29], v[50:51], s[0:1]
	v_cmp_nlt_f64_e64 s0, 0x40900000, v[20:21]
	v_cmp_ngt_f64_e64 s1, 0xc090cc00, v[20:21]
	s_delay_alu instid0(VALU_DEP_3) | instskip(NEXT) | instid1(VALU_DEP_1)
	v_fma_f64 v[50:51], v[28:29], v[50:51], 1.0
	v_fma_f64 v[22:23], v[28:29], v[50:51], 1.0
	s_delay_alu instid0(VALU_DEP_1) | instskip(NEXT) | instid1(VALU_DEP_1)
	v_ldexp_f64 v[22:23], v[22:23], v52
	v_cndmask_b32_e64 v23, 0x7ff00000, v23, s0
	s_and_b32 s0, s1, s0
	s_delay_alu instid0(VALU_DEP_2) | instid1(SALU_CYCLE_1)
	v_cndmask_b32_e64 v20, 0, v22, s0
	s_delay_alu instid0(VALU_DEP_2) | instskip(NEXT) | instid1(VALU_DEP_1)
	v_cndmask_b32_e64 v21, 0, v23, s1
	v_add_f64 v[22:23], v[20:21], 0
.LBB691_99:
	s_or_b32 exec_lo, exec_lo, s36
.LBB691_100:
	s_delay_alu instid0(SALU_CYCLE_1)
	s_or_b32 exec_lo, exec_lo, s18
	v_dual_mov_b32 v29, v17 :: v_dual_mov_b32 v28, v16
	s_and_saveexec_b32 s18, s35
	s_cbranch_execz .LBB691_104
; %bb.101:
	global_load_u8 v28, v[4:5], off offset:32
	s_waitcnt vmcnt(0)
	v_and_b32_e32 v28, 1, v28
	s_delay_alu instid0(VALU_DEP_1) | instskip(SKIP_2) | instid1(VALU_DEP_3)
	v_cmp_eq_u32_e64 s0, 1, v28
	v_mov_b32_e32 v28, 0
	v_mov_b32_e32 v29, 0
	s_xor_b32 s0, s0, -1
	s_delay_alu instid0(SALU_CYCLE_1)
	s_and_saveexec_b32 s35, s0
	s_cbranch_execz .LBB691_103
; %bb.102:
	v_add_f64 v[28:29], v[34:35], -v[24:25]
	s_mov_b32 s0, 0x652b82fe
	s_mov_b32 s1, 0x3ff71547
	;; [unrolled: 1-line block ×4, first 2 shown]
	s_delay_alu instid0(VALU_DEP_1) | instskip(SKIP_2) | instid1(VALU_DEP_1)
	v_mul_f64 v[34:35], v[28:29], s[0:1]
	s_mov_b32 s0, 0xfefa39ef
	s_mov_b32 s1, 0xbfe62e42
	v_rndne_f64_e32 v[34:35], v[34:35]
	s_delay_alu instid0(VALU_DEP_1) | instskip(SKIP_3) | instid1(VALU_DEP_2)
	v_fma_f64 v[50:51], v[34:35], s[0:1], v[28:29]
	s_mov_b32 s0, 0x3b39803f
	s_mov_b32 s1, 0xbc7abc9e
	v_cvt_i32_f64_e32 v54, v[34:35]
	v_fma_f64 v[50:51], v[34:35], s[0:1], v[50:51]
	s_mov_b32 s0, 0xfca7ab0c
	s_mov_b32 s1, 0x3e928af3
	s_delay_alu instid0(VALU_DEP_1) | instid1(SALU_CYCLE_1)
	v_fma_f64 v[52:53], v[50:51], s[36:37], s[0:1]
	s_mov_b32 s0, 0x623fde64
	s_mov_b32 s1, 0x3ec71dee
	s_delay_alu instid0(VALU_DEP_1) | instid1(SALU_CYCLE_1)
	;; [unrolled: 4-line block ×9, first 2 shown]
	v_fma_f64 v[52:53], v[50:51], v[52:53], s[0:1]
	v_cmp_nlt_f64_e64 s0, 0x40900000, v[28:29]
	v_cmp_ngt_f64_e64 s1, 0xc090cc00, v[28:29]
	s_delay_alu instid0(VALU_DEP_3) | instskip(NEXT) | instid1(VALU_DEP_1)
	v_fma_f64 v[52:53], v[50:51], v[52:53], 1.0
	v_fma_f64 v[34:35], v[50:51], v[52:53], 1.0
	s_delay_alu instid0(VALU_DEP_1) | instskip(NEXT) | instid1(VALU_DEP_1)
	v_ldexp_f64 v[34:35], v[34:35], v54
	v_cndmask_b32_e64 v35, 0x7ff00000, v35, s0
	s_and_b32 s0, s1, s0
	s_delay_alu instid0(VALU_DEP_2) | instid1(SALU_CYCLE_1)
	v_cndmask_b32_e64 v28, 0, v34, s0
	s_delay_alu instid0(VALU_DEP_2) | instskip(NEXT) | instid1(VALU_DEP_1)
	v_cndmask_b32_e64 v29, 0, v35, s1
	v_add_f64 v[22:23], v[22:23], v[28:29]
.LBB691_103:
	s_or_b32 exec_lo, exec_lo, s35
.LBB691_104:
	s_delay_alu instid0(SALU_CYCLE_1)
	s_or_b32 exec_lo, exec_lo, s18
	s_and_saveexec_b32 s18, s34
	s_cbranch_execz .LBB691_108
; %bb.105:
	global_load_u8 v16, v[4:5], off offset:64
	s_waitcnt vmcnt(0)
	v_and_b32_e32 v16, 1, v16
	s_delay_alu instid0(VALU_DEP_1) | instskip(SKIP_2) | instid1(VALU_DEP_3)
	v_cmp_eq_u32_e64 s0, 1, v16
	v_mov_b32_e32 v16, 0
	v_mov_b32_e32 v17, 0
	s_xor_b32 s0, s0, -1
	s_delay_alu instid0(SALU_CYCLE_1)
	s_and_saveexec_b32 s34, s0
	s_cbranch_execz .LBB691_107
; %bb.106:
	v_add_f64 v[16:17], v[32:33], -v[24:25]
	s_mov_b32 s0, 0x652b82fe
	s_mov_b32 s1, 0x3ff71547
	;; [unrolled: 1-line block ×4, first 2 shown]
	s_delay_alu instid0(VALU_DEP_1) | instskip(SKIP_2) | instid1(VALU_DEP_1)
	v_mul_f64 v[32:33], v[16:17], s[0:1]
	s_mov_b32 s0, 0xfefa39ef
	s_mov_b32 s1, 0xbfe62e42
	v_rndne_f64_e32 v[32:33], v[32:33]
	s_delay_alu instid0(VALU_DEP_1) | instskip(SKIP_3) | instid1(VALU_DEP_2)
	v_fma_f64 v[34:35], v[32:33], s[0:1], v[16:17]
	s_mov_b32 s0, 0x3b39803f
	s_mov_b32 s1, 0xbc7abc9e
	v_cvt_i32_f64_e32 v52, v[32:33]
	v_fma_f64 v[34:35], v[32:33], s[0:1], v[34:35]
	s_mov_b32 s0, 0xfca7ab0c
	s_mov_b32 s1, 0x3e928af3
	s_delay_alu instid0(VALU_DEP_1) | instid1(SALU_CYCLE_1)
	v_fma_f64 v[50:51], v[34:35], s[36:37], s[0:1]
	s_mov_b32 s0, 0x623fde64
	s_mov_b32 s1, 0x3ec71dee
	s_delay_alu instid0(VALU_DEP_1) | instid1(SALU_CYCLE_1)
	;; [unrolled: 4-line block ×9, first 2 shown]
	v_fma_f64 v[50:51], v[34:35], v[50:51], s[0:1]
	v_cmp_nlt_f64_e64 s0, 0x40900000, v[16:17]
	v_cmp_ngt_f64_e64 s1, 0xc090cc00, v[16:17]
	s_delay_alu instid0(VALU_DEP_3) | instskip(NEXT) | instid1(VALU_DEP_1)
	v_fma_f64 v[50:51], v[34:35], v[50:51], 1.0
	v_fma_f64 v[32:33], v[34:35], v[50:51], 1.0
	s_delay_alu instid0(VALU_DEP_1) | instskip(NEXT) | instid1(VALU_DEP_1)
	v_ldexp_f64 v[32:33], v[32:33], v52
	v_cndmask_b32_e64 v33, 0x7ff00000, v33, s0
	s_and_b32 s0, s1, s0
	s_delay_alu instid0(VALU_DEP_2) | instid1(SALU_CYCLE_1)
	v_cndmask_b32_e64 v16, 0, v32, s0
	s_delay_alu instid0(VALU_DEP_2) | instskip(NEXT) | instid1(VALU_DEP_1)
	v_cndmask_b32_e64 v17, 0, v33, s1
	v_add_f64 v[22:23], v[22:23], v[16:17]
.LBB691_107:
	s_or_b32 exec_lo, exec_lo, s34
.LBB691_108:
	s_delay_alu instid0(SALU_CYCLE_1) | instskip(SKIP_2) | instid1(VALU_DEP_1)
	s_or_b32 exec_lo, exec_lo, s18
	v_mov_b32_e32 v32, 0
	v_mov_b32_e32 v33, 0
	v_dual_mov_b32 v35, v33 :: v_dual_mov_b32 v34, v32
	s_and_saveexec_b32 s18, s33
	s_cbranch_execz .LBB691_112
; %bb.109:
	global_load_u8 v34, v[4:5], off offset:96
	s_waitcnt vmcnt(0)
	v_and_b32_e32 v34, 1, v34
	s_delay_alu instid0(VALU_DEP_1) | instskip(SKIP_2) | instid1(VALU_DEP_3)
	v_cmp_eq_u32_e64 s0, 1, v34
	v_mov_b32_e32 v34, 0
	v_mov_b32_e32 v35, 0
	s_xor_b32 s0, s0, -1
	s_delay_alu instid0(SALU_CYCLE_1)
	s_and_saveexec_b32 s33, s0
	s_cbranch_execz .LBB691_111
; %bb.110:
	v_add_f64 v[34:35], v[42:43], -v[24:25]
	s_mov_b32 s0, 0x652b82fe
	s_mov_b32 s1, 0x3ff71547
	;; [unrolled: 1-line block ×4, first 2 shown]
	s_delay_alu instid0(VALU_DEP_1) | instskip(SKIP_2) | instid1(VALU_DEP_1)
	v_mul_f64 v[42:43], v[34:35], s[0:1]
	s_mov_b32 s0, 0xfefa39ef
	s_mov_b32 s1, 0xbfe62e42
	v_rndne_f64_e32 v[42:43], v[42:43]
	s_delay_alu instid0(VALU_DEP_1) | instskip(SKIP_3) | instid1(VALU_DEP_2)
	v_fma_f64 v[50:51], v[42:43], s[0:1], v[34:35]
	s_mov_b32 s0, 0x3b39803f
	s_mov_b32 s1, 0xbc7abc9e
	v_cvt_i32_f64_e32 v54, v[42:43]
	v_fma_f64 v[50:51], v[42:43], s[0:1], v[50:51]
	s_mov_b32 s0, 0xfca7ab0c
	s_mov_b32 s1, 0x3e928af3
	s_delay_alu instid0(VALU_DEP_1) | instid1(SALU_CYCLE_1)
	v_fma_f64 v[52:53], v[50:51], s[34:35], s[0:1]
	s_mov_b32 s0, 0x623fde64
	s_mov_b32 s1, 0x3ec71dee
	s_delay_alu instid0(VALU_DEP_1) | instid1(SALU_CYCLE_1)
	;; [unrolled: 4-line block ×9, first 2 shown]
	v_fma_f64 v[52:53], v[50:51], v[52:53], s[0:1]
	v_cmp_nlt_f64_e64 s0, 0x40900000, v[34:35]
	v_cmp_ngt_f64_e64 s1, 0xc090cc00, v[34:35]
	s_delay_alu instid0(VALU_DEP_3) | instskip(NEXT) | instid1(VALU_DEP_1)
	v_fma_f64 v[52:53], v[50:51], v[52:53], 1.0
	v_fma_f64 v[42:43], v[50:51], v[52:53], 1.0
	s_delay_alu instid0(VALU_DEP_1) | instskip(NEXT) | instid1(VALU_DEP_1)
	v_ldexp_f64 v[42:43], v[42:43], v54
	v_cndmask_b32_e64 v43, 0x7ff00000, v43, s0
	s_and_b32 s0, s1, s0
	s_delay_alu instid0(VALU_DEP_2) | instid1(SALU_CYCLE_1)
	v_cndmask_b32_e64 v34, 0, v42, s0
	s_delay_alu instid0(VALU_DEP_2) | instskip(NEXT) | instid1(VALU_DEP_1)
	v_cndmask_b32_e64 v35, 0, v43, s1
	v_add_f64 v[22:23], v[22:23], v[34:35]
.LBB691_111:
	s_or_b32 exec_lo, exec_lo, s33
.LBB691_112:
	s_delay_alu instid0(SALU_CYCLE_1)
	s_or_b32 exec_lo, exec_lo, s18
	s_and_saveexec_b32 s18, s31
	s_cbranch_execz .LBB691_116
; %bb.113:
	global_load_u8 v32, v[4:5], off offset:128
	s_waitcnt vmcnt(0)
	v_and_b32_e32 v32, 1, v32
	s_delay_alu instid0(VALU_DEP_1) | instskip(SKIP_2) | instid1(VALU_DEP_3)
	v_cmp_eq_u32_e64 s0, 1, v32
	v_mov_b32_e32 v32, 0
	v_mov_b32_e32 v33, 0
	s_xor_b32 s0, s0, -1
	s_delay_alu instid0(SALU_CYCLE_1)
	s_and_saveexec_b32 s31, s0
	s_cbranch_execz .LBB691_115
; %bb.114:
	v_add_f64 v[32:33], v[40:41], -v[24:25]
	s_mov_b32 s0, 0x652b82fe
	s_mov_b32 s1, 0x3ff71547
	;; [unrolled: 1-line block ×4, first 2 shown]
	s_delay_alu instid0(VALU_DEP_1) | instskip(SKIP_2) | instid1(VALU_DEP_1)
	v_mul_f64 v[40:41], v[32:33], s[0:1]
	s_mov_b32 s0, 0xfefa39ef
	s_mov_b32 s1, 0xbfe62e42
	v_rndne_f64_e32 v[40:41], v[40:41]
	s_delay_alu instid0(VALU_DEP_1) | instskip(SKIP_3) | instid1(VALU_DEP_2)
	v_fma_f64 v[42:43], v[40:41], s[0:1], v[32:33]
	s_mov_b32 s0, 0x3b39803f
	s_mov_b32 s1, 0xbc7abc9e
	v_cvt_i32_f64_e32 v52, v[40:41]
	v_fma_f64 v[42:43], v[40:41], s[0:1], v[42:43]
	s_mov_b32 s0, 0xfca7ab0c
	s_mov_b32 s1, 0x3e928af3
	s_delay_alu instid0(VALU_DEP_1) | instid1(SALU_CYCLE_1)
	v_fma_f64 v[50:51], v[42:43], s[34:35], s[0:1]
	s_mov_b32 s0, 0x623fde64
	s_mov_b32 s1, 0x3ec71dee
	s_delay_alu instid0(VALU_DEP_1) | instid1(SALU_CYCLE_1)
	;; [unrolled: 4-line block ×9, first 2 shown]
	v_fma_f64 v[50:51], v[42:43], v[50:51], s[0:1]
	v_cmp_nlt_f64_e64 s0, 0x40900000, v[32:33]
	v_cmp_ngt_f64_e64 s1, 0xc090cc00, v[32:33]
	s_delay_alu instid0(VALU_DEP_3) | instskip(NEXT) | instid1(VALU_DEP_1)
	v_fma_f64 v[50:51], v[42:43], v[50:51], 1.0
	v_fma_f64 v[40:41], v[42:43], v[50:51], 1.0
	s_delay_alu instid0(VALU_DEP_1) | instskip(NEXT) | instid1(VALU_DEP_1)
	v_ldexp_f64 v[40:41], v[40:41], v52
	v_cndmask_b32_e64 v41, 0x7ff00000, v41, s0
	s_and_b32 s0, s1, s0
	s_delay_alu instid0(VALU_DEP_2) | instid1(SALU_CYCLE_1)
	v_cndmask_b32_e64 v32, 0, v40, s0
	s_delay_alu instid0(VALU_DEP_2) | instskip(NEXT) | instid1(VALU_DEP_1)
	v_cndmask_b32_e64 v33, 0, v41, s1
	v_add_f64 v[22:23], v[22:23], v[32:33]
.LBB691_115:
	s_or_b32 exec_lo, exec_lo, s31
.LBB691_116:
	s_delay_alu instid0(SALU_CYCLE_1) | instskip(SKIP_2) | instid1(VALU_DEP_1)
	s_or_b32 exec_lo, exec_lo, s18
	v_mov_b32_e32 v40, 0
	v_mov_b32_e32 v41, 0
	v_dual_mov_b32 v43, v41 :: v_dual_mov_b32 v42, v40
	s_and_saveexec_b32 s18, s30
	s_cbranch_execz .LBB691_120
; %bb.117:
	global_load_u8 v42, v[4:5], off offset:160
	s_waitcnt vmcnt(0)
	v_and_b32_e32 v42, 1, v42
	s_delay_alu instid0(VALU_DEP_1) | instskip(SKIP_2) | instid1(VALU_DEP_3)
	v_cmp_eq_u32_e64 s0, 1, v42
	v_mov_b32_e32 v42, 0
	v_mov_b32_e32 v43, 0
	s_xor_b32 s0, s0, -1
	s_delay_alu instid0(SALU_CYCLE_1)
	s_and_saveexec_b32 s30, s0
	s_cbranch_execz .LBB691_119
; %bb.118:
	v_add_f64 v[38:39], v[38:39], -v[24:25]
	s_mov_b32 s0, 0x652b82fe
	s_mov_b32 s1, 0x3ff71547
	;; [unrolled: 1-line block ×4, first 2 shown]
	s_delay_alu instid0(VALU_DEP_1) | instskip(SKIP_2) | instid1(VALU_DEP_1)
	v_mul_f64 v[42:43], v[38:39], s[0:1]
	s_mov_b32 s0, 0xfefa39ef
	s_mov_b32 s1, 0xbfe62e42
	v_rndne_f64_e32 v[42:43], v[42:43]
	s_delay_alu instid0(VALU_DEP_1) | instskip(SKIP_3) | instid1(VALU_DEP_2)
	v_fma_f64 v[50:51], v[42:43], s[0:1], v[38:39]
	s_mov_b32 s0, 0x3b39803f
	s_mov_b32 s1, 0xbc7abc9e
	v_cvt_i32_f64_e32 v54, v[42:43]
	v_fma_f64 v[50:51], v[42:43], s[0:1], v[50:51]
	s_mov_b32 s0, 0xfca7ab0c
	s_mov_b32 s1, 0x3e928af3
	s_delay_alu instid0(VALU_DEP_1) | instid1(SALU_CYCLE_1)
	v_fma_f64 v[52:53], v[50:51], s[34:35], s[0:1]
	s_mov_b32 s0, 0x623fde64
	s_mov_b32 s1, 0x3ec71dee
	s_delay_alu instid0(VALU_DEP_1) | instid1(SALU_CYCLE_1)
	;; [unrolled: 4-line block ×9, first 2 shown]
	v_fma_f64 v[52:53], v[50:51], v[52:53], s[0:1]
	v_cmp_nlt_f64_e64 s0, 0x40900000, v[38:39]
	v_cmp_ngt_f64_e64 s1, 0xc090cc00, v[38:39]
	s_delay_alu instid0(VALU_DEP_3) | instskip(NEXT) | instid1(VALU_DEP_1)
	v_fma_f64 v[52:53], v[50:51], v[52:53], 1.0
	v_fma_f64 v[42:43], v[50:51], v[52:53], 1.0
	s_delay_alu instid0(VALU_DEP_1) | instskip(NEXT) | instid1(VALU_DEP_1)
	v_ldexp_f64 v[42:43], v[42:43], v54
	v_cndmask_b32_e64 v43, 0x7ff00000, v43, s0
	s_and_b32 s0, s1, s0
	s_delay_alu instid0(VALU_DEP_2) | instid1(SALU_CYCLE_1)
	v_cndmask_b32_e64 v42, 0, v42, s0
	s_delay_alu instid0(VALU_DEP_2) | instskip(NEXT) | instid1(VALU_DEP_1)
	v_cndmask_b32_e64 v43, 0, v43, s1
	v_add_f64 v[22:23], v[22:23], v[42:43]
.LBB691_119:
	s_or_b32 exec_lo, exec_lo, s30
.LBB691_120:
	s_delay_alu instid0(SALU_CYCLE_1)
	s_or_b32 exec_lo, exec_lo, s18
	s_and_saveexec_b32 s18, s29
	s_cbranch_execz .LBB691_124
; %bb.121:
	global_load_u8 v38, v[4:5], off offset:192
	v_mov_b32_e32 v40, 0
	s_waitcnt vmcnt(0)
	v_dual_mov_b32 v41, 0 :: v_dual_and_b32 v38, 1, v38
	s_delay_alu instid0(VALU_DEP_1) | instskip(NEXT) | instid1(VALU_DEP_1)
	v_cmp_eq_u32_e64 s0, 1, v38
	s_xor_b32 s0, s0, -1
	s_delay_alu instid0(SALU_CYCLE_1)
	s_and_saveexec_b32 s29, s0
	s_cbranch_execz .LBB691_123
; %bb.122:
	v_add_f64 v[36:37], v[36:37], -v[24:25]
	s_mov_b32 s0, 0x652b82fe
	s_mov_b32 s1, 0x3ff71547
	;; [unrolled: 1-line block ×4, first 2 shown]
	s_delay_alu instid0(VALU_DEP_1) | instskip(SKIP_2) | instid1(VALU_DEP_1)
	v_mul_f64 v[38:39], v[36:37], s[0:1]
	s_mov_b32 s0, 0xfefa39ef
	s_mov_b32 s1, 0xbfe62e42
	v_rndne_f64_e32 v[38:39], v[38:39]
	s_delay_alu instid0(VALU_DEP_1) | instskip(SKIP_3) | instid1(VALU_DEP_2)
	v_fma_f64 v[40:41], v[38:39], s[0:1], v[36:37]
	s_mov_b32 s0, 0x3b39803f
	s_mov_b32 s1, 0xbc7abc9e
	v_cvt_i32_f64_e32 v52, v[38:39]
	v_fma_f64 v[40:41], v[38:39], s[0:1], v[40:41]
	s_mov_b32 s0, 0xfca7ab0c
	s_mov_b32 s1, 0x3e928af3
	s_delay_alu instid0(VALU_DEP_1) | instid1(SALU_CYCLE_1)
	v_fma_f64 v[50:51], v[40:41], s[30:31], s[0:1]
	s_mov_b32 s0, 0x623fde64
	s_mov_b32 s1, 0x3ec71dee
	s_delay_alu instid0(VALU_DEP_1) | instid1(SALU_CYCLE_1)
	;; [unrolled: 4-line block ×9, first 2 shown]
	v_fma_f64 v[50:51], v[40:41], v[50:51], s[0:1]
	v_cmp_nlt_f64_e64 s0, 0x40900000, v[36:37]
	v_cmp_ngt_f64_e64 s1, 0xc090cc00, v[36:37]
	s_delay_alu instid0(VALU_DEP_3) | instskip(NEXT) | instid1(VALU_DEP_1)
	v_fma_f64 v[50:51], v[40:41], v[50:51], 1.0
	v_fma_f64 v[38:39], v[40:41], v[50:51], 1.0
	s_delay_alu instid0(VALU_DEP_1) | instskip(NEXT) | instid1(VALU_DEP_1)
	v_ldexp_f64 v[38:39], v[38:39], v52
	v_cndmask_b32_e64 v39, 0x7ff00000, v39, s0
	s_and_b32 s0, s1, s0
	s_delay_alu instid0(VALU_DEP_2) | instid1(SALU_CYCLE_1)
	v_cndmask_b32_e64 v40, 0, v38, s0
	s_delay_alu instid0(VALU_DEP_2) | instskip(NEXT) | instid1(VALU_DEP_1)
	v_cndmask_b32_e64 v41, 0, v39, s1
	v_add_f64 v[22:23], v[22:23], v[40:41]
.LBB691_123:
	s_or_b32 exec_lo, exec_lo, s29
.LBB691_124:
	s_delay_alu instid0(SALU_CYCLE_1) | instskip(SKIP_2) | instid1(VALU_DEP_1)
	s_or_b32 exec_lo, exec_lo, s18
	v_mov_b32_e32 v36, 0
	v_mov_b32_e32 v37, 0
	v_dual_mov_b32 v39, v37 :: v_dual_mov_b32 v38, v36
	s_and_saveexec_b32 s18, s28
	s_cbranch_execz .LBB691_128
; %bb.125:
	global_load_u8 v38, v[4:5], off offset:224
	s_waitcnt vmcnt(0)
	v_and_b32_e32 v38, 1, v38
	s_delay_alu instid0(VALU_DEP_1) | instskip(SKIP_2) | instid1(VALU_DEP_3)
	v_cmp_eq_u32_e64 s0, 1, v38
	v_mov_b32_e32 v38, 0
	v_mov_b32_e32 v39, 0
	s_xor_b32 s0, s0, -1
	s_delay_alu instid0(SALU_CYCLE_1)
	s_and_saveexec_b32 s28, s0
	s_cbranch_execz .LBB691_127
; %bb.126:
	v_add_f64 v[30:31], v[30:31], -v[24:25]
	s_mov_b32 s0, 0x652b82fe
	s_mov_b32 s1, 0x3ff71547
	;; [unrolled: 1-line block ×4, first 2 shown]
	s_delay_alu instid0(VALU_DEP_1) | instskip(SKIP_2) | instid1(VALU_DEP_1)
	v_mul_f64 v[38:39], v[30:31], s[0:1]
	s_mov_b32 s0, 0xfefa39ef
	s_mov_b32 s1, 0xbfe62e42
	v_rndne_f64_e32 v[38:39], v[38:39]
	s_delay_alu instid0(VALU_DEP_1) | instskip(SKIP_3) | instid1(VALU_DEP_2)
	v_fma_f64 v[50:51], v[38:39], s[0:1], v[30:31]
	s_mov_b32 s0, 0x3b39803f
	s_mov_b32 s1, 0xbc7abc9e
	v_cvt_i32_f64_e32 v54, v[38:39]
	v_fma_f64 v[50:51], v[38:39], s[0:1], v[50:51]
	s_mov_b32 s0, 0xfca7ab0c
	s_mov_b32 s1, 0x3e928af3
	s_delay_alu instid0(VALU_DEP_1) | instid1(SALU_CYCLE_1)
	v_fma_f64 v[52:53], v[50:51], s[30:31], s[0:1]
	s_mov_b32 s0, 0x623fde64
	s_mov_b32 s1, 0x3ec71dee
	s_delay_alu instid0(VALU_DEP_1) | instid1(SALU_CYCLE_1)
	;; [unrolled: 4-line block ×9, first 2 shown]
	v_fma_f64 v[52:53], v[50:51], v[52:53], s[0:1]
	v_cmp_nlt_f64_e64 s0, 0x40900000, v[30:31]
	v_cmp_ngt_f64_e64 s1, 0xc090cc00, v[30:31]
	s_delay_alu instid0(VALU_DEP_3) | instskip(NEXT) | instid1(VALU_DEP_1)
	v_fma_f64 v[52:53], v[50:51], v[52:53], 1.0
	v_fma_f64 v[38:39], v[50:51], v[52:53], 1.0
	s_delay_alu instid0(VALU_DEP_1) | instskip(NEXT) | instid1(VALU_DEP_1)
	v_ldexp_f64 v[38:39], v[38:39], v54
	v_cndmask_b32_e64 v39, 0x7ff00000, v39, s0
	s_and_b32 s0, s1, s0
	s_delay_alu instid0(VALU_DEP_2) | instid1(SALU_CYCLE_1)
	v_cndmask_b32_e64 v38, 0, v38, s0
	s_delay_alu instid0(VALU_DEP_2) | instskip(NEXT) | instid1(VALU_DEP_1)
	v_cndmask_b32_e64 v39, 0, v39, s1
	v_add_f64 v[22:23], v[22:23], v[38:39]
.LBB691_127:
	s_or_b32 exec_lo, exec_lo, s28
.LBB691_128:
	s_delay_alu instid0(SALU_CYCLE_1)
	s_or_b32 exec_lo, exec_lo, s18
	s_and_saveexec_b32 s18, s27
	s_cbranch_execz .LBB691_132
; %bb.129:
	global_load_u8 v30, v[4:5], off offset:256
	v_mov_b32_e32 v36, 0
	s_waitcnt vmcnt(0)
	v_dual_mov_b32 v37, 0 :: v_dual_and_b32 v30, 1, v30
	s_delay_alu instid0(VALU_DEP_1) | instskip(NEXT) | instid1(VALU_DEP_1)
	v_cmp_eq_u32_e64 s0, 1, v30
	s_xor_b32 s0, s0, -1
	s_delay_alu instid0(SALU_CYCLE_1)
	s_and_saveexec_b32 s27, s0
	s_cbranch_execz .LBB691_131
; %bb.130:
	v_add_f64 v[26:27], v[26:27], -v[24:25]
	s_mov_b32 s0, 0x652b82fe
	s_mov_b32 s1, 0x3ff71547
	;; [unrolled: 1-line block ×4, first 2 shown]
	s_delay_alu instid0(VALU_DEP_1) | instskip(SKIP_2) | instid1(VALU_DEP_1)
	v_mul_f64 v[30:31], v[26:27], s[0:1]
	s_mov_b32 s0, 0xfefa39ef
	s_mov_b32 s1, 0xbfe62e42
	v_rndne_f64_e32 v[30:31], v[30:31]
	s_delay_alu instid0(VALU_DEP_1) | instskip(SKIP_3) | instid1(VALU_DEP_2)
	v_fma_f64 v[36:37], v[30:31], s[0:1], v[26:27]
	s_mov_b32 s0, 0x3b39803f
	s_mov_b32 s1, 0xbc7abc9e
	v_cvt_i32_f64_e32 v52, v[30:31]
	v_fma_f64 v[36:37], v[30:31], s[0:1], v[36:37]
	s_mov_b32 s0, 0xfca7ab0c
	s_mov_b32 s1, 0x3e928af3
	s_delay_alu instid0(VALU_DEP_1) | instid1(SALU_CYCLE_1)
	v_fma_f64 v[50:51], v[36:37], s[28:29], s[0:1]
	s_mov_b32 s0, 0x623fde64
	s_mov_b32 s1, 0x3ec71dee
	s_delay_alu instid0(VALU_DEP_1) | instid1(SALU_CYCLE_1)
	;; [unrolled: 4-line block ×9, first 2 shown]
	v_fma_f64 v[50:51], v[36:37], v[50:51], s[0:1]
	v_cmp_nlt_f64_e64 s0, 0x40900000, v[26:27]
	v_cmp_ngt_f64_e64 s1, 0xc090cc00, v[26:27]
	s_delay_alu instid0(VALU_DEP_3) | instskip(NEXT) | instid1(VALU_DEP_1)
	v_fma_f64 v[50:51], v[36:37], v[50:51], 1.0
	v_fma_f64 v[30:31], v[36:37], v[50:51], 1.0
	s_delay_alu instid0(VALU_DEP_1) | instskip(NEXT) | instid1(VALU_DEP_1)
	v_ldexp_f64 v[30:31], v[30:31], v52
	v_cndmask_b32_e64 v31, 0x7ff00000, v31, s0
	s_and_b32 s0, s1, s0
	s_delay_alu instid0(VALU_DEP_2) | instid1(SALU_CYCLE_1)
	v_cndmask_b32_e64 v36, 0, v30, s0
	s_delay_alu instid0(VALU_DEP_2) | instskip(NEXT) | instid1(VALU_DEP_1)
	v_cndmask_b32_e64 v37, 0, v31, s1
	v_add_f64 v[22:23], v[22:23], v[36:37]
.LBB691_131:
	s_or_b32 exec_lo, exec_lo, s27
.LBB691_132:
	s_delay_alu instid0(SALU_CYCLE_1) | instskip(SKIP_2) | instid1(VALU_DEP_1)
	s_or_b32 exec_lo, exec_lo, s18
	v_mov_b32_e32 v26, 0
	v_mov_b32_e32 v27, 0
	v_dual_mov_b32 v31, v27 :: v_dual_mov_b32 v30, v26
	s_and_saveexec_b32 s18, s26
	s_cbranch_execz .LBB691_136
; %bb.133:
	global_load_u8 v30, v[4:5], off offset:288
	s_waitcnt vmcnt(0)
	v_and_b32_e32 v30, 1, v30
	s_delay_alu instid0(VALU_DEP_1) | instskip(SKIP_2) | instid1(VALU_DEP_3)
	v_cmp_eq_u32_e64 s0, 1, v30
	v_mov_b32_e32 v30, 0
	v_mov_b32_e32 v31, 0
	s_xor_b32 s0, s0, -1
	s_delay_alu instid0(SALU_CYCLE_1)
	s_and_saveexec_b32 s26, s0
	s_cbranch_execz .LBB691_135
; %bb.134:
	v_add_f64 v[18:19], v[18:19], -v[24:25]
	s_mov_b32 s0, 0x652b82fe
	s_mov_b32 s1, 0x3ff71547
	;; [unrolled: 1-line block ×4, first 2 shown]
	s_delay_alu instid0(VALU_DEP_1) | instskip(SKIP_2) | instid1(VALU_DEP_1)
	v_mul_f64 v[30:31], v[18:19], s[0:1]
	s_mov_b32 s0, 0xfefa39ef
	s_mov_b32 s1, 0xbfe62e42
	v_rndne_f64_e32 v[30:31], v[30:31]
	s_delay_alu instid0(VALU_DEP_1) | instskip(SKIP_3) | instid1(VALU_DEP_2)
	v_fma_f64 v[50:51], v[30:31], s[0:1], v[18:19]
	s_mov_b32 s0, 0x3b39803f
	s_mov_b32 s1, 0xbc7abc9e
	v_cvt_i32_f64_e32 v54, v[30:31]
	v_fma_f64 v[50:51], v[30:31], s[0:1], v[50:51]
	s_mov_b32 s0, 0xfca7ab0c
	s_mov_b32 s1, 0x3e928af3
	s_delay_alu instid0(VALU_DEP_1) | instid1(SALU_CYCLE_1)
	v_fma_f64 v[52:53], v[50:51], s[28:29], s[0:1]
	s_mov_b32 s0, 0x623fde64
	s_mov_b32 s1, 0x3ec71dee
	s_delay_alu instid0(VALU_DEP_1) | instid1(SALU_CYCLE_1)
	;; [unrolled: 4-line block ×9, first 2 shown]
	v_fma_f64 v[52:53], v[50:51], v[52:53], s[0:1]
	v_cmp_nlt_f64_e64 s0, 0x40900000, v[18:19]
	v_cmp_ngt_f64_e64 s1, 0xc090cc00, v[18:19]
	s_delay_alu instid0(VALU_DEP_3) | instskip(NEXT) | instid1(VALU_DEP_1)
	v_fma_f64 v[52:53], v[50:51], v[52:53], 1.0
	v_fma_f64 v[30:31], v[50:51], v[52:53], 1.0
	s_delay_alu instid0(VALU_DEP_1) | instskip(NEXT) | instid1(VALU_DEP_1)
	v_ldexp_f64 v[30:31], v[30:31], v54
	v_cndmask_b32_e64 v31, 0x7ff00000, v31, s0
	s_and_b32 s0, s1, s0
	s_delay_alu instid0(VALU_DEP_2) | instid1(SALU_CYCLE_1)
	v_cndmask_b32_e64 v30, 0, v30, s0
	s_delay_alu instid0(VALU_DEP_2) | instskip(NEXT) | instid1(VALU_DEP_1)
	v_cndmask_b32_e64 v31, 0, v31, s1
	v_add_f64 v[22:23], v[22:23], v[30:31]
.LBB691_135:
	s_or_b32 exec_lo, exec_lo, s26
.LBB691_136:
	s_delay_alu instid0(SALU_CYCLE_1)
	s_or_b32 exec_lo, exec_lo, s18
	s_and_saveexec_b32 s18, s25
	s_cbranch_execz .LBB691_140
; %bb.137:
	global_load_u8 v18, v[4:5], off offset:320
	v_mov_b32_e32 v26, 0
	s_waitcnt vmcnt(0)
	v_dual_mov_b32 v27, 0 :: v_dual_and_b32 v18, 1, v18
	s_delay_alu instid0(VALU_DEP_1) | instskip(NEXT) | instid1(VALU_DEP_1)
	v_cmp_eq_u32_e64 s0, 1, v18
	s_xor_b32 s0, s0, -1
	s_delay_alu instid0(SALU_CYCLE_1)
	s_and_saveexec_b32 s25, s0
	s_cbranch_execz .LBB691_139
; %bb.138:
	v_add_f64 v[14:15], v[14:15], -v[24:25]
	s_mov_b32 s0, 0x652b82fe
	s_mov_b32 s1, 0x3ff71547
	;; [unrolled: 1-line block ×4, first 2 shown]
	s_delay_alu instid0(VALU_DEP_1) | instskip(SKIP_2) | instid1(VALU_DEP_1)
	v_mul_f64 v[18:19], v[14:15], s[0:1]
	s_mov_b32 s0, 0xfefa39ef
	s_mov_b32 s1, 0xbfe62e42
	v_rndne_f64_e32 v[18:19], v[18:19]
	s_delay_alu instid0(VALU_DEP_1) | instskip(SKIP_3) | instid1(VALU_DEP_2)
	v_fma_f64 v[26:27], v[18:19], s[0:1], v[14:15]
	s_mov_b32 s0, 0x3b39803f
	s_mov_b32 s1, 0xbc7abc9e
	v_cvt_i32_f64_e32 v52, v[18:19]
	v_fma_f64 v[26:27], v[18:19], s[0:1], v[26:27]
	s_mov_b32 s0, 0xfca7ab0c
	s_mov_b32 s1, 0x3e928af3
	s_delay_alu instid0(VALU_DEP_1) | instid1(SALU_CYCLE_1)
	v_fma_f64 v[50:51], v[26:27], s[26:27], s[0:1]
	s_mov_b32 s0, 0x623fde64
	s_mov_b32 s1, 0x3ec71dee
	s_delay_alu instid0(VALU_DEP_1) | instid1(SALU_CYCLE_1)
	;; [unrolled: 4-line block ×9, first 2 shown]
	v_fma_f64 v[50:51], v[26:27], v[50:51], s[0:1]
	v_cmp_nlt_f64_e64 s0, 0x40900000, v[14:15]
	v_cmp_ngt_f64_e64 s1, 0xc090cc00, v[14:15]
	s_delay_alu instid0(VALU_DEP_3) | instskip(NEXT) | instid1(VALU_DEP_1)
	v_fma_f64 v[50:51], v[26:27], v[50:51], 1.0
	v_fma_f64 v[18:19], v[26:27], v[50:51], 1.0
	s_delay_alu instid0(VALU_DEP_1) | instskip(NEXT) | instid1(VALU_DEP_1)
	v_ldexp_f64 v[18:19], v[18:19], v52
	v_cndmask_b32_e64 v19, 0x7ff00000, v19, s0
	s_and_b32 s0, s1, s0
	s_delay_alu instid0(VALU_DEP_2) | instid1(SALU_CYCLE_1)
	v_cndmask_b32_e64 v26, 0, v18, s0
	s_delay_alu instid0(VALU_DEP_2) | instskip(NEXT) | instid1(VALU_DEP_1)
	v_cndmask_b32_e64 v27, 0, v19, s1
	v_add_f64 v[22:23], v[22:23], v[26:27]
.LBB691_139:
	s_or_b32 exec_lo, exec_lo, s25
.LBB691_140:
	s_delay_alu instid0(SALU_CYCLE_1) | instskip(SKIP_2) | instid1(VALU_DEP_1)
	s_or_b32 exec_lo, exec_lo, s18
	v_mov_b32_e32 v14, 0
	v_mov_b32_e32 v15, 0
	v_dual_mov_b32 v19, v15 :: v_dual_mov_b32 v18, v14
	s_and_saveexec_b32 s18, s24
	s_cbranch_execz .LBB691_144
; %bb.141:
	global_load_u8 v18, v[4:5], off offset:352
	s_waitcnt vmcnt(0)
	v_and_b32_e32 v18, 1, v18
	s_delay_alu instid0(VALU_DEP_1) | instskip(SKIP_2) | instid1(VALU_DEP_3)
	v_cmp_eq_u32_e64 s0, 1, v18
	v_mov_b32_e32 v18, 0
	v_mov_b32_e32 v19, 0
	s_xor_b32 s0, s0, -1
	s_delay_alu instid0(SALU_CYCLE_1)
	s_and_saveexec_b32 s24, s0
	s_cbranch_execz .LBB691_143
; %bb.142:
	v_add_f64 v[12:13], v[12:13], -v[24:25]
	s_mov_b32 s0, 0x652b82fe
	s_mov_b32 s1, 0x3ff71547
	;; [unrolled: 1-line block ×4, first 2 shown]
	s_delay_alu instid0(VALU_DEP_1) | instskip(SKIP_2) | instid1(VALU_DEP_1)
	v_mul_f64 v[18:19], v[12:13], s[0:1]
	s_mov_b32 s0, 0xfefa39ef
	s_mov_b32 s1, 0xbfe62e42
	v_rndne_f64_e32 v[18:19], v[18:19]
	s_delay_alu instid0(VALU_DEP_1) | instskip(SKIP_3) | instid1(VALU_DEP_2)
	v_fma_f64 v[50:51], v[18:19], s[0:1], v[12:13]
	s_mov_b32 s0, 0x3b39803f
	s_mov_b32 s1, 0xbc7abc9e
	v_cvt_i32_f64_e32 v54, v[18:19]
	v_fma_f64 v[50:51], v[18:19], s[0:1], v[50:51]
	s_mov_b32 s0, 0xfca7ab0c
	s_mov_b32 s1, 0x3e928af3
	s_delay_alu instid0(VALU_DEP_1) | instid1(SALU_CYCLE_1)
	v_fma_f64 v[52:53], v[50:51], s[26:27], s[0:1]
	s_mov_b32 s0, 0x623fde64
	s_mov_b32 s1, 0x3ec71dee
	s_delay_alu instid0(VALU_DEP_1) | instid1(SALU_CYCLE_1)
	v_fma_f64 v[52:53], v[50:51], v[52:53], s[0:1]
	s_mov_b32 s0, 0x7c89e6b0
	s_mov_b32 s1, 0x3efa0199
	s_delay_alu instid0(VALU_DEP_1) | instid1(SALU_CYCLE_1)
	v_fma_f64 v[52:53], v[50:51], v[52:53], s[0:1]
	s_mov_b32 s0, 0x14761f6e
	s_mov_b32 s1, 0x3f2a01a0
	s_delay_alu instid0(VALU_DEP_1) | instid1(SALU_CYCLE_1)
	v_fma_f64 v[52:53], v[50:51], v[52:53], s[0:1]
	s_mov_b32 s0, 0x1852b7b0
	s_mov_b32 s1, 0x3f56c16c
	s_delay_alu instid0(VALU_DEP_1) | instid1(SALU_CYCLE_1)
	v_fma_f64 v[52:53], v[50:51], v[52:53], s[0:1]
	s_mov_b32 s0, 0x11122322
	s_mov_b32 s1, 0x3f811111
	s_delay_alu instid0(VALU_DEP_1) | instid1(SALU_CYCLE_1)
	v_fma_f64 v[52:53], v[50:51], v[52:53], s[0:1]
	s_mov_b32 s0, 0x555502a1
	s_mov_b32 s1, 0x3fa55555
	s_delay_alu instid0(VALU_DEP_1) | instid1(SALU_CYCLE_1)
	v_fma_f64 v[52:53], v[50:51], v[52:53], s[0:1]
	s_mov_b32 s0, 0x55555511
	s_mov_b32 s1, 0x3fc55555
	s_delay_alu instid0(VALU_DEP_1) | instid1(SALU_CYCLE_1)
	v_fma_f64 v[52:53], v[50:51], v[52:53], s[0:1]
	s_mov_b32 s0, 11
	s_mov_b32 s1, 0x3fe00000
	s_delay_alu instid0(VALU_DEP_1) | instid1(SALU_CYCLE_1)
	v_fma_f64 v[52:53], v[50:51], v[52:53], s[0:1]
	v_cmp_nlt_f64_e64 s0, 0x40900000, v[12:13]
	v_cmp_ngt_f64_e64 s1, 0xc090cc00, v[12:13]
	s_delay_alu instid0(VALU_DEP_3) | instskip(NEXT) | instid1(VALU_DEP_1)
	v_fma_f64 v[52:53], v[50:51], v[52:53], 1.0
	v_fma_f64 v[18:19], v[50:51], v[52:53], 1.0
	s_delay_alu instid0(VALU_DEP_1) | instskip(NEXT) | instid1(VALU_DEP_1)
	v_ldexp_f64 v[18:19], v[18:19], v54
	v_cndmask_b32_e64 v19, 0x7ff00000, v19, s0
	s_and_b32 s0, s1, s0
	s_delay_alu instid0(VALU_DEP_2) | instid1(SALU_CYCLE_1)
	v_cndmask_b32_e64 v18, 0, v18, s0
	s_delay_alu instid0(VALU_DEP_2) | instskip(NEXT) | instid1(VALU_DEP_1)
	v_cndmask_b32_e64 v19, 0, v19, s1
	v_add_f64 v[22:23], v[22:23], v[18:19]
.LBB691_143:
	s_or_b32 exec_lo, exec_lo, s24
.LBB691_144:
	s_delay_alu instid0(SALU_CYCLE_1)
	s_or_b32 exec_lo, exec_lo, s18
	s_and_saveexec_b32 s18, s23
	s_cbranch_execz .LBB691_148
; %bb.145:
	global_load_u8 v12, v[4:5], off offset:384
	v_mov_b32_e32 v14, 0
	s_waitcnt vmcnt(0)
	v_dual_mov_b32 v15, 0 :: v_dual_and_b32 v12, 1, v12
	s_delay_alu instid0(VALU_DEP_1) | instskip(NEXT) | instid1(VALU_DEP_1)
	v_cmp_eq_u32_e64 s0, 1, v12
	s_xor_b32 s0, s0, -1
	s_delay_alu instid0(SALU_CYCLE_1)
	s_and_saveexec_b32 s23, s0
	s_cbranch_execz .LBB691_147
; %bb.146:
	v_add_f64 v[10:11], v[10:11], -v[24:25]
	s_mov_b32 s0, 0x652b82fe
	s_mov_b32 s1, 0x3ff71547
	;; [unrolled: 1-line block ×4, first 2 shown]
	s_delay_alu instid0(VALU_DEP_1) | instskip(SKIP_2) | instid1(VALU_DEP_1)
	v_mul_f64 v[12:13], v[10:11], s[0:1]
	s_mov_b32 s0, 0xfefa39ef
	s_mov_b32 s1, 0xbfe62e42
	v_rndne_f64_e32 v[12:13], v[12:13]
	s_delay_alu instid0(VALU_DEP_1) | instskip(SKIP_3) | instid1(VALU_DEP_2)
	v_fma_f64 v[14:15], v[12:13], s[0:1], v[10:11]
	s_mov_b32 s0, 0x3b39803f
	s_mov_b32 s1, 0xbc7abc9e
	v_cvt_i32_f64_e32 v52, v[12:13]
	v_fma_f64 v[14:15], v[12:13], s[0:1], v[14:15]
	s_mov_b32 s0, 0xfca7ab0c
	s_mov_b32 s1, 0x3e928af3
	s_delay_alu instid0(VALU_DEP_1) | instid1(SALU_CYCLE_1)
	v_fma_f64 v[50:51], v[14:15], s[24:25], s[0:1]
	s_mov_b32 s0, 0x623fde64
	s_mov_b32 s1, 0x3ec71dee
	s_delay_alu instid0(VALU_DEP_1) | instid1(SALU_CYCLE_1)
	;; [unrolled: 4-line block ×9, first 2 shown]
	v_fma_f64 v[50:51], v[14:15], v[50:51], s[0:1]
	v_cmp_nlt_f64_e64 s0, 0x40900000, v[10:11]
	v_cmp_ngt_f64_e64 s1, 0xc090cc00, v[10:11]
	s_delay_alu instid0(VALU_DEP_3) | instskip(NEXT) | instid1(VALU_DEP_1)
	v_fma_f64 v[50:51], v[14:15], v[50:51], 1.0
	v_fma_f64 v[12:13], v[14:15], v[50:51], 1.0
	s_delay_alu instid0(VALU_DEP_1) | instskip(NEXT) | instid1(VALU_DEP_1)
	v_ldexp_f64 v[12:13], v[12:13], v52
	v_cndmask_b32_e64 v13, 0x7ff00000, v13, s0
	s_and_b32 s0, s1, s0
	s_delay_alu instid0(VALU_DEP_2) | instid1(SALU_CYCLE_1)
	v_cndmask_b32_e64 v14, 0, v12, s0
	s_delay_alu instid0(VALU_DEP_2) | instskip(NEXT) | instid1(VALU_DEP_1)
	v_cndmask_b32_e64 v15, 0, v13, s1
	v_add_f64 v[22:23], v[22:23], v[14:15]
.LBB691_147:
	s_or_b32 exec_lo, exec_lo, s23
.LBB691_148:
	s_delay_alu instid0(SALU_CYCLE_1) | instskip(SKIP_2) | instid1(VALU_DEP_1)
	s_or_b32 exec_lo, exec_lo, s18
	v_mov_b32_e32 v10, 0
	v_mov_b32_e32 v11, 0
	v_dual_mov_b32 v13, v11 :: v_dual_mov_b32 v12, v10
	s_and_saveexec_b32 s18, s22
	s_cbranch_execz .LBB691_152
; %bb.149:
	global_load_u8 v12, v[4:5], off offset:416
	s_waitcnt vmcnt(0)
	v_and_b32_e32 v12, 1, v12
	s_delay_alu instid0(VALU_DEP_1) | instskip(SKIP_2) | instid1(VALU_DEP_3)
	v_cmp_eq_u32_e64 s0, 1, v12
	v_mov_b32_e32 v12, 0
	v_mov_b32_e32 v13, 0
	s_xor_b32 s0, s0, -1
	s_delay_alu instid0(SALU_CYCLE_1)
	s_and_saveexec_b32 s22, s0
	s_cbranch_execz .LBB691_151
; %bb.150:
	v_add_f64 v[8:9], v[8:9], -v[24:25]
	s_mov_b32 s0, 0x652b82fe
	s_mov_b32 s1, 0x3ff71547
	;; [unrolled: 1-line block ×4, first 2 shown]
	s_delay_alu instid0(VALU_DEP_1) | instskip(SKIP_2) | instid1(VALU_DEP_1)
	v_mul_f64 v[12:13], v[8:9], s[0:1]
	s_mov_b32 s0, 0xfefa39ef
	s_mov_b32 s1, 0xbfe62e42
	v_rndne_f64_e32 v[12:13], v[12:13]
	s_delay_alu instid0(VALU_DEP_1) | instskip(SKIP_3) | instid1(VALU_DEP_2)
	v_fma_f64 v[50:51], v[12:13], s[0:1], v[8:9]
	s_mov_b32 s0, 0x3b39803f
	s_mov_b32 s1, 0xbc7abc9e
	v_cvt_i32_f64_e32 v54, v[12:13]
	v_fma_f64 v[50:51], v[12:13], s[0:1], v[50:51]
	s_mov_b32 s0, 0xfca7ab0c
	s_mov_b32 s1, 0x3e928af3
	s_delay_alu instid0(VALU_DEP_1) | instid1(SALU_CYCLE_1)
	v_fma_f64 v[52:53], v[50:51], s[24:25], s[0:1]
	s_mov_b32 s0, 0x623fde64
	s_mov_b32 s1, 0x3ec71dee
	s_delay_alu instid0(VALU_DEP_1) | instid1(SALU_CYCLE_1)
	;; [unrolled: 4-line block ×9, first 2 shown]
	v_fma_f64 v[52:53], v[50:51], v[52:53], s[0:1]
	v_cmp_nlt_f64_e64 s0, 0x40900000, v[8:9]
	v_cmp_ngt_f64_e64 s1, 0xc090cc00, v[8:9]
	s_delay_alu instid0(VALU_DEP_3) | instskip(NEXT) | instid1(VALU_DEP_1)
	v_fma_f64 v[52:53], v[50:51], v[52:53], 1.0
	v_fma_f64 v[12:13], v[50:51], v[52:53], 1.0
	s_delay_alu instid0(VALU_DEP_1) | instskip(NEXT) | instid1(VALU_DEP_1)
	v_ldexp_f64 v[12:13], v[12:13], v54
	v_cndmask_b32_e64 v13, 0x7ff00000, v13, s0
	s_and_b32 s0, s1, s0
	s_delay_alu instid0(VALU_DEP_2) | instid1(SALU_CYCLE_1)
	v_cndmask_b32_e64 v12, 0, v12, s0
	s_delay_alu instid0(VALU_DEP_2) | instskip(NEXT) | instid1(VALU_DEP_1)
	v_cndmask_b32_e64 v13, 0, v13, s1
	v_add_f64 v[22:23], v[22:23], v[12:13]
.LBB691_151:
	s_or_b32 exec_lo, exec_lo, s22
.LBB691_152:
	s_delay_alu instid0(SALU_CYCLE_1)
	s_or_b32 exec_lo, exec_lo, s18
	s_and_saveexec_b32 s18, s19
	s_cbranch_execz .LBB691_156
; %bb.153:
	global_load_u8 v8, v[4:5], off offset:448
	v_mov_b32_e32 v10, 0
	s_waitcnt vmcnt(0)
	v_dual_mov_b32 v11, 0 :: v_dual_and_b32 v8, 1, v8
	s_delay_alu instid0(VALU_DEP_1) | instskip(NEXT) | instid1(VALU_DEP_1)
	v_cmp_eq_u32_e64 s0, 1, v8
	s_xor_b32 s0, s0, -1
	s_delay_alu instid0(SALU_CYCLE_1)
	s_and_saveexec_b32 s19, s0
	s_cbranch_execz .LBB691_155
; %bb.154:
	v_add_f64 v[6:7], v[6:7], -v[24:25]
	s_mov_b32 s0, 0x652b82fe
	s_mov_b32 s1, 0x3ff71547
	s_mov_b32 s22, 0x6a5dcb37
	s_mov_b32 s23, 0x3e5ade15
	s_delay_alu instid0(VALU_DEP_1) | instskip(SKIP_2) | instid1(VALU_DEP_1)
	v_mul_f64 v[8:9], v[6:7], s[0:1]
	s_mov_b32 s0, 0xfefa39ef
	s_mov_b32 s1, 0xbfe62e42
	v_rndne_f64_e32 v[8:9], v[8:9]
	s_delay_alu instid0(VALU_DEP_1) | instskip(SKIP_3) | instid1(VALU_DEP_2)
	v_fma_f64 v[10:11], v[8:9], s[0:1], v[6:7]
	s_mov_b32 s0, 0x3b39803f
	s_mov_b32 s1, 0xbc7abc9e
	v_cvt_i32_f64_e32 v52, v[8:9]
	v_fma_f64 v[10:11], v[8:9], s[0:1], v[10:11]
	s_mov_b32 s0, 0xfca7ab0c
	s_mov_b32 s1, 0x3e928af3
	s_delay_alu instid0(VALU_DEP_1) | instid1(SALU_CYCLE_1)
	v_fma_f64 v[50:51], v[10:11], s[22:23], s[0:1]
	s_mov_b32 s0, 0x623fde64
	s_mov_b32 s1, 0x3ec71dee
	s_delay_alu instid0(VALU_DEP_1) | instid1(SALU_CYCLE_1)
	;; [unrolled: 4-line block ×9, first 2 shown]
	v_fma_f64 v[50:51], v[10:11], v[50:51], s[0:1]
	v_cmp_nlt_f64_e64 s0, 0x40900000, v[6:7]
	v_cmp_ngt_f64_e64 s1, 0xc090cc00, v[6:7]
	s_delay_alu instid0(VALU_DEP_3) | instskip(NEXT) | instid1(VALU_DEP_1)
	v_fma_f64 v[50:51], v[10:11], v[50:51], 1.0
	v_fma_f64 v[8:9], v[10:11], v[50:51], 1.0
	s_delay_alu instid0(VALU_DEP_1) | instskip(NEXT) | instid1(VALU_DEP_1)
	v_ldexp_f64 v[8:9], v[8:9], v52
	v_cndmask_b32_e64 v9, 0x7ff00000, v9, s0
	s_and_b32 s0, s1, s0
	s_delay_alu instid0(VALU_DEP_2) | instid1(SALU_CYCLE_1)
	v_cndmask_b32_e64 v10, 0, v8, s0
	s_delay_alu instid0(VALU_DEP_2) | instskip(NEXT) | instid1(VALU_DEP_1)
	v_cndmask_b32_e64 v11, 0, v9, s1
	v_add_f64 v[22:23], v[22:23], v[10:11]
.LBB691_155:
	s_or_b32 exec_lo, exec_lo, s19
.LBB691_156:
	s_delay_alu instid0(SALU_CYCLE_1)
	s_or_b32 exec_lo, exec_lo, s18
	v_mov_b32_e32 v6, 0
	v_mov_b32_e32 v7, 0
	s_and_saveexec_b32 s18, s17
	s_cbranch_execz .LBB691_160
; %bb.157:
	global_load_u8 v4, v[4:5], off offset:480
	v_mov_b32_e32 v6, 0
	s_waitcnt vmcnt(0)
	v_dual_mov_b32 v7, 0 :: v_dual_and_b32 v4, 1, v4
	s_delay_alu instid0(VALU_DEP_1) | instskip(NEXT) | instid1(VALU_DEP_1)
	v_cmp_eq_u32_e64 s0, 1, v4
	s_xor_b32 s0, s0, -1
	s_delay_alu instid0(SALU_CYCLE_1)
	s_and_saveexec_b32 s17, s0
	s_cbranch_execz .LBB691_159
; %bb.158:
	v_add_f64 v[2:3], v[2:3], -v[24:25]
	s_mov_b32 s0, 0x652b82fe
	s_mov_b32 s1, 0x3ff71547
	;; [unrolled: 1-line block ×4, first 2 shown]
	s_delay_alu instid0(VALU_DEP_1) | instskip(SKIP_2) | instid1(VALU_DEP_1)
	v_mul_f64 v[4:5], v[2:3], s[0:1]
	s_mov_b32 s0, 0xfefa39ef
	s_mov_b32 s1, 0xbfe62e42
	v_rndne_f64_e32 v[4:5], v[4:5]
	s_delay_alu instid0(VALU_DEP_1) | instskip(SKIP_3) | instid1(VALU_DEP_2)
	v_fma_f64 v[6:7], v[4:5], s[0:1], v[2:3]
	s_mov_b32 s0, 0x3b39803f
	s_mov_b32 s1, 0xbc7abc9e
	v_cvt_i32_f64_e32 v24, v[4:5]
	v_fma_f64 v[6:7], v[4:5], s[0:1], v[6:7]
	s_mov_b32 s0, 0xfca7ab0c
	s_mov_b32 s1, 0x3e928af3
	s_delay_alu instid0(VALU_DEP_1) | instid1(SALU_CYCLE_1)
	v_fma_f64 v[8:9], v[6:7], s[22:23], s[0:1]
	s_mov_b32 s0, 0x623fde64
	s_mov_b32 s1, 0x3ec71dee
	s_delay_alu instid0(VALU_DEP_1) | instid1(SALU_CYCLE_1)
	;; [unrolled: 4-line block ×9, first 2 shown]
	v_fma_f64 v[8:9], v[6:7], v[8:9], s[0:1]
	v_cmp_nlt_f64_e64 s0, 0x40900000, v[2:3]
	v_cmp_ngt_f64_e64 s1, 0xc090cc00, v[2:3]
	s_delay_alu instid0(VALU_DEP_3) | instskip(NEXT) | instid1(VALU_DEP_1)
	v_fma_f64 v[8:9], v[6:7], v[8:9], 1.0
	v_fma_f64 v[4:5], v[6:7], v[8:9], 1.0
	s_delay_alu instid0(VALU_DEP_1) | instskip(NEXT) | instid1(VALU_DEP_1)
	v_ldexp_f64 v[4:5], v[4:5], v24
	v_cndmask_b32_e64 v5, 0x7ff00000, v5, s0
	s_and_b32 s0, s1, s0
	s_delay_alu instid0(VALU_DEP_2) | instid1(SALU_CYCLE_1)
	v_cndmask_b32_e64 v6, 0, v4, s0
	s_delay_alu instid0(VALU_DEP_2) | instskip(NEXT) | instid1(VALU_DEP_1)
	v_cndmask_b32_e64 v7, 0, v5, s1
	v_add_f64 v[22:23], v[22:23], v[6:7]
.LBB691_159:
	s_or_b32 exec_lo, exec_lo, s17
.LBB691_160:
	s_delay_alu instid0(SALU_CYCLE_1)
	s_or_b32 exec_lo, exec_lo, s18
	ds_bpermute_b32 v2, v45, v22
	ds_bpermute_b32 v3, v45, v23
	s_mov_b32 s1, exec_lo
	s_waitcnt lgkmcnt(0)
	v_add_f64 v[2:3], v[22:23], v[2:3]
	ds_bpermute_b32 v4, v46, v2
	ds_bpermute_b32 v5, v46, v3
	s_waitcnt lgkmcnt(0)
	v_add_f64 v[2:3], v[2:3], v[4:5]
	ds_bpermute_b32 v4, v47, v2
	ds_bpermute_b32 v5, v47, v3
	;; [unrolled: 4-line block ×4, first 2 shown]
	v_cmpx_lt_i32_e32 0, v44
	s_cbranch_execz .LBB691_178
; %bb.161:
	s_and_b32 exec_lo, exec_lo, vcc_lo
	s_cbranch_execz .LBB691_178
; %bb.162:
	s_waitcnt lgkmcnt(0)
	v_add_f64 v[2:3], v[2:3], v[4:5]
	s_delay_alu instid0(VALU_DEP_1) | instskip(SKIP_2) | instid1(VALU_DEP_3)
	v_div_scale_f64 v[4:5], null, v[2:3], v[2:3], v[20:21]
	v_div_scale_f64 v[24:25], vcc_lo, v[20:21], v[2:3], v[20:21]
	v_cmp_eq_f64_e64 s0, 0, v[2:3]
	v_rcp_f64_e32 v[8:9], v[4:5]
	s_waitcnt_depctr 0xfff
	v_fma_f64 v[22:23], -v[4:5], v[8:9], 1.0
	s_delay_alu instid0(VALU_DEP_1) | instskip(NEXT) | instid1(VALU_DEP_1)
	v_fma_f64 v[8:9], v[8:9], v[22:23], v[8:9]
	v_fma_f64 v[22:23], -v[4:5], v[8:9], 1.0
	s_delay_alu instid0(VALU_DEP_1) | instskip(NEXT) | instid1(VALU_DEP_1)
	v_fma_f64 v[8:9], v[8:9], v[22:23], v[8:9]
	v_mul_f64 v[22:23], v[24:25], v[8:9]
	s_delay_alu instid0(VALU_DEP_1) | instskip(NEXT) | instid1(VALU_DEP_1)
	v_fma_f64 v[4:5], -v[4:5], v[22:23], v[24:25]
	v_div_fmas_f64 v[4:5], v[4:5], v[8:9], v[22:23]
	v_add_co_u32 v0, vcc_lo, s20, v0
	v_add_co_ci_u32_e32 v1, vcc_lo, s21, v1, vcc_lo
	s_delay_alu instid0(VALU_DEP_3) | instskip(NEXT) | instid1(VALU_DEP_1)
	v_div_fixup_f64 v[4:5], v[4:5], v[2:3], v[20:21]
	v_cndmask_b32_e64 v5, v5, 0x7ff80000, s0
	s_delay_alu instid0(VALU_DEP_2)
	v_cndmask_b32_e64 v4, v4, 0, s0
	global_store_b64 v[0:1], v[4:5], off
	s_and_b32 exec_lo, exec_lo, s16
	s_cbranch_execz .LBB691_178
; %bb.163:
	v_div_scale_f64 v[4:5], null, v[2:3], v[2:3], v[28:29]
	v_div_scale_f64 v[22:23], vcc_lo, v[28:29], v[2:3], v[28:29]
	s_delay_alu instid0(VALU_DEP_2) | instskip(SKIP_2) | instid1(VALU_DEP_1)
	v_rcp_f64_e32 v[8:9], v[4:5]
	s_waitcnt_depctr 0xfff
	v_fma_f64 v[20:21], -v[4:5], v[8:9], 1.0
	v_fma_f64 v[8:9], v[8:9], v[20:21], v[8:9]
	s_delay_alu instid0(VALU_DEP_1) | instskip(NEXT) | instid1(VALU_DEP_1)
	v_fma_f64 v[20:21], -v[4:5], v[8:9], 1.0
	v_fma_f64 v[8:9], v[8:9], v[20:21], v[8:9]
	s_delay_alu instid0(VALU_DEP_1) | instskip(NEXT) | instid1(VALU_DEP_1)
	v_mul_f64 v[20:21], v[22:23], v[8:9]
	v_fma_f64 v[4:5], -v[4:5], v[20:21], v[22:23]
	s_delay_alu instid0(VALU_DEP_1) | instskip(NEXT) | instid1(VALU_DEP_1)
	v_div_fmas_f64 v[4:5], v[4:5], v[8:9], v[20:21]
	v_div_fixup_f64 v[4:5], v[4:5], v[2:3], v[28:29]
	s_delay_alu instid0(VALU_DEP_1) | instskip(NEXT) | instid1(VALU_DEP_2)
	v_cndmask_b32_e64 v5, v5, 0x7ff80000, s0
	v_cndmask_b32_e64 v4, v4, 0, s0
	global_store_b64 v[0:1], v[4:5], off offset:256
	s_and_b32 exec_lo, exec_lo, s15
	s_cbranch_execz .LBB691_178
; %bb.164:
	v_div_scale_f64 v[4:5], null, v[2:3], v[2:3], v[16:17]
	v_div_scale_f64 v[22:23], vcc_lo, v[16:17], v[2:3], v[16:17]
	s_delay_alu instid0(VALU_DEP_2) | instskip(SKIP_2) | instid1(VALU_DEP_1)
	v_rcp_f64_e32 v[8:9], v[4:5]
	s_waitcnt_depctr 0xfff
	v_fma_f64 v[20:21], -v[4:5], v[8:9], 1.0
	v_fma_f64 v[8:9], v[8:9], v[20:21], v[8:9]
	s_delay_alu instid0(VALU_DEP_1) | instskip(NEXT) | instid1(VALU_DEP_1)
	v_fma_f64 v[20:21], -v[4:5], v[8:9], 1.0
	v_fma_f64 v[8:9], v[8:9], v[20:21], v[8:9]
	s_delay_alu instid0(VALU_DEP_1) | instskip(NEXT) | instid1(VALU_DEP_1)
	v_mul_f64 v[20:21], v[22:23], v[8:9]
	v_fma_f64 v[4:5], -v[4:5], v[20:21], v[22:23]
	s_delay_alu instid0(VALU_DEP_1) | instskip(NEXT) | instid1(VALU_DEP_1)
	v_div_fmas_f64 v[4:5], v[4:5], v[8:9], v[20:21]
	v_div_fixup_f64 v[4:5], v[4:5], v[2:3], v[16:17]
	s_delay_alu instid0(VALU_DEP_1) | instskip(NEXT) | instid1(VALU_DEP_2)
	v_cndmask_b32_e64 v5, v5, 0x7ff80000, s0
	v_cndmask_b32_e64 v4, v4, 0, s0
	global_store_b64 v[0:1], v[4:5], off offset:512
	;; [unrolled: 23-line block ×15, first 2 shown]
.LBB691_178:
	s_nop 0
	s_sendmsg sendmsg(MSG_DEALLOC_VGPRS)
	s_endpgm
	.section	.rodata,"a",@progbits
	.p2align	6, 0x0
	.amdhsa_kernel _ZN12_GLOBAL__N_120softmax_warp_forwardIdddLi9ELb0ELb1ELi32EEEvPT0_PKT_iiiPKbib
		.amdhsa_group_segment_fixed_size 0
		.amdhsa_private_segment_fixed_size 0
		.amdhsa_kernarg_size 304
		.amdhsa_user_sgpr_count 15
		.amdhsa_user_sgpr_dispatch_ptr 0
		.amdhsa_user_sgpr_queue_ptr 0
		.amdhsa_user_sgpr_kernarg_segment_ptr 1
		.amdhsa_user_sgpr_dispatch_id 0
		.amdhsa_user_sgpr_private_segment_size 0
		.amdhsa_wavefront_size32 1
		.amdhsa_uses_dynamic_stack 0
		.amdhsa_enable_private_segment 0
		.amdhsa_system_sgpr_workgroup_id_x 1
		.amdhsa_system_sgpr_workgroup_id_y 0
		.amdhsa_system_sgpr_workgroup_id_z 0
		.amdhsa_system_sgpr_workgroup_info 0
		.amdhsa_system_vgpr_workitem_id 1
		.amdhsa_next_free_vgpr 55
		.amdhsa_next_free_sgpr 40
		.amdhsa_reserve_vcc 1
		.amdhsa_float_round_mode_32 0
		.amdhsa_float_round_mode_16_64 0
		.amdhsa_float_denorm_mode_32 3
		.amdhsa_float_denorm_mode_16_64 3
		.amdhsa_dx10_clamp 1
		.amdhsa_ieee_mode 1
		.amdhsa_fp16_overflow 0
		.amdhsa_workgroup_processor_mode 1
		.amdhsa_memory_ordered 1
		.amdhsa_forward_progress 0
		.amdhsa_shared_vgpr_count 0
		.amdhsa_exception_fp_ieee_invalid_op 0
		.amdhsa_exception_fp_denorm_src 0
		.amdhsa_exception_fp_ieee_div_zero 0
		.amdhsa_exception_fp_ieee_overflow 0
		.amdhsa_exception_fp_ieee_underflow 0
		.amdhsa_exception_fp_ieee_inexact 0
		.amdhsa_exception_int_div_zero 0
	.end_amdhsa_kernel
	.section	.text._ZN12_GLOBAL__N_120softmax_warp_forwardIdddLi9ELb0ELb1ELi32EEEvPT0_PKT_iiiPKbib,"axG",@progbits,_ZN12_GLOBAL__N_120softmax_warp_forwardIdddLi9ELb0ELb1ELi32EEEvPT0_PKT_iiiPKbib,comdat
.Lfunc_end691:
	.size	_ZN12_GLOBAL__N_120softmax_warp_forwardIdddLi9ELb0ELb1ELi32EEEvPT0_PKT_iiiPKbib, .Lfunc_end691-_ZN12_GLOBAL__N_120softmax_warp_forwardIdddLi9ELb0ELb1ELi32EEEvPT0_PKT_iiiPKbib
                                        ; -- End function
	.section	.AMDGPU.csdata,"",@progbits
; Kernel info:
; codeLenInByte = 14796
; NumSgprs: 42
; NumVgprs: 55
; ScratchSize: 0
; MemoryBound: 0
; FloatMode: 240
; IeeeMode: 1
; LDSByteSize: 0 bytes/workgroup (compile time only)
; SGPRBlocks: 5
; VGPRBlocks: 6
; NumSGPRsForWavesPerEU: 42
; NumVGPRsForWavesPerEU: 55
; Occupancy: 16
; WaveLimiterHint : 0
; COMPUTE_PGM_RSRC2:SCRATCH_EN: 0
; COMPUTE_PGM_RSRC2:USER_SGPR: 15
; COMPUTE_PGM_RSRC2:TRAP_HANDLER: 0
; COMPUTE_PGM_RSRC2:TGID_X_EN: 1
; COMPUTE_PGM_RSRC2:TGID_Y_EN: 0
; COMPUTE_PGM_RSRC2:TGID_Z_EN: 0
; COMPUTE_PGM_RSRC2:TIDIG_COMP_CNT: 1
	.section	.text._ZN12_GLOBAL__N_120softmax_warp_forwardIdddLi10ELb0ELb1ELi64EEEvPT0_PKT_iiiPKbib,"axG",@progbits,_ZN12_GLOBAL__N_120softmax_warp_forwardIdddLi10ELb0ELb1ELi64EEEvPT0_PKT_iiiPKbib,comdat
	.globl	_ZN12_GLOBAL__N_120softmax_warp_forwardIdddLi10ELb0ELb1ELi64EEEvPT0_PKT_iiiPKbib ; -- Begin function _ZN12_GLOBAL__N_120softmax_warp_forwardIdddLi10ELb0ELb1ELi64EEEvPT0_PKT_iiiPKbib
	.p2align	8
	.type	_ZN12_GLOBAL__N_120softmax_warp_forwardIdddLi10ELb0ELb1ELi64EEEvPT0_PKT_iiiPKbib,@function
_ZN12_GLOBAL__N_120softmax_warp_forwardIdddLi10ELb0ELb1ELi64EEEvPT0_PKT_iiiPKbib: ; @_ZN12_GLOBAL__N_120softmax_warp_forwardIdddLi10ELb0ELb1ELi64EEEvPT0_PKT_iiiPKbib
; %bb.0:
	s_clause 0x1
	s_load_b32 s2, s[0:1], 0x3c
	s_load_b128 s[16:19], s[0:1], 0x10
	v_bfe_u32 v3, v0, 10, 10
	s_waitcnt lgkmcnt(0)
	s_lshr_b32 s2, s2, 16
	s_delay_alu instid0(VALU_DEP_1) | instid1(SALU_CYCLE_1)
	v_mad_u64_u32 v[1:2], null, s15, s2, v[3:4]
	s_load_b64 s[2:3], s[0:1], 0x28
	v_and_b32_e32 v4, 0x3ff, v0
	s_delay_alu instid0(VALU_DEP_2) | instskip(NEXT) | instid1(VALU_DEP_1)
	v_mul_lo_u32 v5, v1, s17
	v_add_nc_u32_e32 v2, v5, v4
	s_delay_alu instid0(VALU_DEP_1) | instskip(SKIP_2) | instid1(VALU_DEP_1)
	v_ashrrev_i32_e32 v3, 31, v2
	s_waitcnt lgkmcnt(0)
	s_bitcmp0_b32 s3, 0
	v_dual_mov_b32 v19, v3 :: v_dual_mov_b32 v18, v2
	s_cbranch_scc1 .LBB692_2
; %bb.1:
	s_abs_i32 s3, s2
	v_sub_nc_u32_e32 v7, 0, v5
	v_cvt_f32_u32_e32 v0, s3
	s_sub_i32 s4, 0, s3
	s_delay_alu instid0(VALU_DEP_2) | instskip(NEXT) | instid1(VALU_DEP_2)
	v_max_i32_e32 v7, v5, v7
	v_rcp_iflag_f32_e32 v0, v0
	v_xor_b32_e32 v5, s2, v5
	s_delay_alu instid0(VALU_DEP_1) | instskip(SKIP_2) | instid1(VALU_DEP_1)
	v_ashrrev_i32_e32 v5, 31, v5
	s_waitcnt_depctr 0xfff
	v_mul_f32_e32 v0, 0x4f7ffffe, v0
	v_cvt_u32_f32_e32 v0, v0
	s_delay_alu instid0(VALU_DEP_1) | instskip(NEXT) | instid1(VALU_DEP_1)
	v_mul_lo_u32 v6, s4, v0
	v_mul_hi_u32 v6, v0, v6
	s_delay_alu instid0(VALU_DEP_1) | instskip(NEXT) | instid1(VALU_DEP_1)
	v_add_nc_u32_e32 v0, v0, v6
	v_mul_hi_u32 v0, v7, v0
	s_delay_alu instid0(VALU_DEP_1) | instskip(NEXT) | instid1(VALU_DEP_1)
	v_mul_lo_u32 v6, v0, s3
	v_sub_nc_u32_e32 v6, v7, v6
	v_add_nc_u32_e32 v7, 1, v0
	s_delay_alu instid0(VALU_DEP_2) | instskip(SKIP_1) | instid1(VALU_DEP_3)
	v_subrev_nc_u32_e32 v8, s3, v6
	v_cmp_le_u32_e32 vcc_lo, s3, v6
	v_cndmask_b32_e32 v0, v0, v7, vcc_lo
	s_delay_alu instid0(VALU_DEP_3) | instskip(NEXT) | instid1(VALU_DEP_2)
	v_cndmask_b32_e32 v6, v6, v8, vcc_lo
	v_add_nc_u32_e32 v7, 1, v0
	s_delay_alu instid0(VALU_DEP_2) | instskip(NEXT) | instid1(VALU_DEP_2)
	v_cmp_le_u32_e32 vcc_lo, s3, v6
	v_cndmask_b32_e32 v0, v0, v7, vcc_lo
	s_delay_alu instid0(VALU_DEP_1) | instskip(NEXT) | instid1(VALU_DEP_1)
	v_xor_b32_e32 v0, v0, v5
	v_sub_nc_u32_e32 v0, v0, v5
	s_delay_alu instid0(VALU_DEP_1) | instskip(NEXT) | instid1(VALU_DEP_1)
	v_mad_u64_u32 v[18:19], null, v0, s17, v[4:5]
	v_ashrrev_i32_e32 v19, 31, v18
.LBB692_2:
	s_load_b128 s[20:23], s[0:1], 0x0
	v_sub_nc_u32_e32 v44, s16, v1
	v_lshlrev_b64 v[0:1], 3, v[2:3]
	v_mov_b32_e32 v36, 0
	v_mov_b32_e32 v37, 0xfff00000
	v_cmp_gt_i32_e32 vcc_lo, s18, v4
	v_cmp_lt_i32_e64 s17, 0, v44
	s_delay_alu instid0(VALU_DEP_3) | instskip(NEXT) | instid1(VALU_DEP_2)
	v_dual_mov_b32 v28, v36 :: v_dual_mov_b32 v29, v37
	s_and_b32 s36, s17, vcc_lo
	s_waitcnt lgkmcnt(0)
	v_add_co_u32 v20, s2, s22, v0
	s_delay_alu instid0(VALU_DEP_1)
	v_add_co_ci_u32_e64 v21, s2, s23, v1, s2
	s_and_saveexec_b32 s2, s36
	s_cbranch_execz .LBB692_4
; %bb.3:
	global_load_b64 v[28:29], v[20:21], off
.LBB692_4:
	s_or_b32 exec_lo, exec_lo, s2
	v_add_nc_u32_e32 v2, 64, v4
	s_delay_alu instid0(VALU_DEP_1) | instskip(NEXT) | instid1(VALU_DEP_1)
	v_cmp_gt_i32_e64 s16, s18, v2
	s_and_b32 s35, s17, s16
	s_delay_alu instid0(SALU_CYCLE_1)
	s_and_saveexec_b32 s2, s35
	s_cbranch_execz .LBB692_6
; %bb.5:
	global_load_b64 v[36:37], v[20:21], off offset:512
.LBB692_6:
	s_or_b32 exec_lo, exec_lo, s2
	v_mov_b32_e32 v42, 0
	v_mov_b32_e32 v43, 0xfff00000
	v_add_nc_u32_e32 v2, 0x80, v4
	s_delay_alu instid0(VALU_DEP_2) | instskip(NEXT) | instid1(VALU_DEP_2)
	v_dual_mov_b32 v34, v42 :: v_dual_mov_b32 v35, v43
	v_cmp_gt_i32_e64 s15, s18, v2
	s_delay_alu instid0(VALU_DEP_1) | instskip(NEXT) | instid1(SALU_CYCLE_1)
	s_and_b32 s34, s17, s15
	s_and_saveexec_b32 s2, s34
	s_cbranch_execz .LBB692_8
; %bb.7:
	global_load_b64 v[34:35], v[20:21], off offset:1024
.LBB692_8:
	s_or_b32 exec_lo, exec_lo, s2
	v_add_nc_u32_e32 v2, 0xc0, v4
	s_delay_alu instid0(VALU_DEP_1) | instskip(NEXT) | instid1(VALU_DEP_1)
	v_cmp_gt_i32_e64 s14, s18, v2
	s_and_b32 s33, s17, s14
	s_delay_alu instid0(SALU_CYCLE_1)
	s_and_saveexec_b32 s2, s33
	s_cbranch_execz .LBB692_10
; %bb.9:
	global_load_b64 v[42:43], v[20:21], off offset:1536
.LBB692_10:
	s_or_b32 exec_lo, exec_lo, s2
	v_mov_b32_e32 v38, 0
	v_mov_b32_e32 v39, 0xfff00000
	s_delay_alu instid0(VALU_DEP_1) | instskip(NEXT) | instid1(VALU_DEP_1)
	v_dual_mov_b32 v41, v39 :: v_dual_add_nc_u32 v2, 0x100, v4
	v_cmp_gt_i32_e64 s13, s18, v2
	s_delay_alu instid0(VALU_DEP_4) | instskip(NEXT) | instid1(VALU_DEP_2)
	v_mov_b32_e32 v40, v38
	s_and_b32 s31, s17, s13
	s_delay_alu instid0(SALU_CYCLE_1)
	s_and_saveexec_b32 s2, s31
	s_cbranch_execz .LBB692_12
; %bb.11:
	global_load_b64 v[40:41], v[20:21], off offset:2048
.LBB692_12:
	s_or_b32 exec_lo, exec_lo, s2
	v_add_nc_u32_e32 v2, 0x140, v4
	s_delay_alu instid0(VALU_DEP_1) | instskip(NEXT) | instid1(VALU_DEP_1)
	v_cmp_gt_i32_e64 s12, s18, v2
	s_and_b32 s30, s17, s12
	s_delay_alu instid0(SALU_CYCLE_1)
	s_and_saveexec_b32 s2, s30
	s_cbranch_execz .LBB692_14
; %bb.13:
	global_load_b64 v[38:39], v[20:21], off offset:2560
.LBB692_14:
	s_or_b32 exec_lo, exec_lo, s2
	v_mov_b32_e32 v30, 0
	v_mov_b32_e32 v31, 0xfff00000
	s_delay_alu instid0(VALU_DEP_1) | instskip(NEXT) | instid1(VALU_DEP_1)
	v_dual_mov_b32 v33, v31 :: v_dual_add_nc_u32 v2, 0x180, v4
	v_cmp_gt_i32_e64 s11, s18, v2
	s_delay_alu instid0(VALU_DEP_4) | instskip(NEXT) | instid1(VALU_DEP_2)
	v_mov_b32_e32 v32, v30
	s_and_b32 s29, s17, s11
	s_delay_alu instid0(SALU_CYCLE_1)
	;; [unrolled: 26-line block ×3, first 2 shown]
	s_and_saveexec_b32 s3, s27
	s_cbranch_execz .LBB692_20
; %bb.19:
	v_add_co_u32 v2, s2, 0x1000, v20
	s_delay_alu instid0(VALU_DEP_1)
	v_add_co_ci_u32_e64 v3, s2, 0, v21, s2
	global_load_b64 v[22:23], v[2:3], off
.LBB692_20:
	s_or_b32 exec_lo, exec_lo, s3
	v_add_nc_u32_e32 v2, 0x240, v4
	s_delay_alu instid0(VALU_DEP_1) | instskip(NEXT) | instid1(VALU_DEP_1)
	v_cmp_gt_i32_e64 s8, s18, v2
	s_and_b32 s26, s17, s8
	s_delay_alu instid0(SALU_CYCLE_1)
	s_and_saveexec_b32 s3, s26
	s_cbranch_execz .LBB692_22
; %bb.21:
	v_add_co_u32 v2, s2, 0x1000, v20
	s_delay_alu instid0(VALU_DEP_1)
	v_add_co_ci_u32_e64 v3, s2, 0, v21, s2
	global_load_b64 v[16:17], v[2:3], off offset:512
.LBB692_22:
	s_or_b32 exec_lo, exec_lo, s3
	v_mov_b32_e32 v12, 0
	v_mov_b32_e32 v13, 0xfff00000
	s_delay_alu instid0(VALU_DEP_1) | instskip(NEXT) | instid1(VALU_DEP_1)
	v_dual_mov_b32 v15, v13 :: v_dual_add_nc_u32 v2, 0x280, v4
	v_cmp_gt_i32_e64 s7, s18, v2
	s_delay_alu instid0(VALU_DEP_4) | instskip(NEXT) | instid1(VALU_DEP_2)
	v_mov_b32_e32 v14, v12
	s_and_b32 s25, s17, s7
	s_delay_alu instid0(SALU_CYCLE_1)
	s_and_saveexec_b32 s3, s25
	s_cbranch_execz .LBB692_24
; %bb.23:
	v_add_co_u32 v2, s2, 0x1000, v20
	s_delay_alu instid0(VALU_DEP_1)
	v_add_co_ci_u32_e64 v3, s2, 0, v21, s2
	global_load_b64 v[14:15], v[2:3], off offset:1024
.LBB692_24:
	s_or_b32 exec_lo, exec_lo, s3
	v_add_nc_u32_e32 v2, 0x2c0, v4
	s_delay_alu instid0(VALU_DEP_1) | instskip(NEXT) | instid1(VALU_DEP_1)
	v_cmp_gt_i32_e64 s6, s18, v2
	s_and_b32 s24, s17, s6
	s_delay_alu instid0(SALU_CYCLE_1)
	s_and_saveexec_b32 s3, s24
	s_cbranch_execz .LBB692_26
; %bb.25:
	v_add_co_u32 v2, s2, 0x1000, v20
	s_delay_alu instid0(VALU_DEP_1)
	v_add_co_ci_u32_e64 v3, s2, 0, v21, s2
	global_load_b64 v[12:13], v[2:3], off offset:1536
.LBB692_26:
	s_or_b32 exec_lo, exec_lo, s3
	v_mov_b32_e32 v8, 0
	v_mov_b32_e32 v9, 0xfff00000
	s_delay_alu instid0(VALU_DEP_1) | instskip(NEXT) | instid1(VALU_DEP_1)
	v_dual_mov_b32 v11, v9 :: v_dual_add_nc_u32 v2, 0x300, v4
	v_cmp_gt_i32_e64 s5, s18, v2
	s_delay_alu instid0(VALU_DEP_4) | instskip(NEXT) | instid1(VALU_DEP_2)
	v_mov_b32_e32 v10, v8
	s_and_b32 s23, s17, s5
	s_delay_alu instid0(SALU_CYCLE_1)
	s_and_saveexec_b32 s3, s23
	s_cbranch_execz .LBB692_28
; %bb.27:
	v_add_co_u32 v2, s2, 0x1000, v20
	s_delay_alu instid0(VALU_DEP_1)
	v_add_co_ci_u32_e64 v3, s2, 0, v21, s2
	global_load_b64 v[10:11], v[2:3], off offset:2048
.LBB692_28:
	s_or_b32 exec_lo, exec_lo, s3
	v_add_nc_u32_e32 v2, 0x340, v4
	s_delay_alu instid0(VALU_DEP_1) | instskip(NEXT) | instid1(VALU_DEP_1)
	v_cmp_gt_i32_e64 s4, s18, v2
	s_and_b32 s22, s17, s4
	s_delay_alu instid0(SALU_CYCLE_1)
	s_and_saveexec_b32 s3, s22
	s_cbranch_execz .LBB692_30
; %bb.29:
	v_add_co_u32 v2, s2, 0x1000, v20
	s_delay_alu instid0(VALU_DEP_1)
	v_add_co_ci_u32_e64 v3, s2, 0, v21, s2
	global_load_b64 v[8:9], v[2:3], off offset:2560
.LBB692_30:
	s_or_b32 exec_lo, exec_lo, s3
	v_dual_mov_b32 v2, 0 :: v_dual_add_nc_u32 v5, 0x380, v4
	v_mov_b32_e32 v3, 0xfff00000
	s_delay_alu instid0(VALU_DEP_2) | instskip(NEXT) | instid1(VALU_DEP_2)
	v_cmp_gt_i32_e64 s3, s18, v5
	v_dual_mov_b32 v7, v3 :: v_dual_mov_b32 v6, v2
	s_delay_alu instid0(VALU_DEP_2) | instskip(NEXT) | instid1(SALU_CYCLE_1)
	s_and_b32 s19, s17, s3
	s_and_saveexec_b32 s37, s19
	s_cbranch_execz .LBB692_32
; %bb.31:
	v_add_co_u32 v5, s2, 0x1000, v20
	s_delay_alu instid0(VALU_DEP_1)
	v_add_co_ci_u32_e64 v6, s2, 0, v21, s2
	global_load_b64 v[6:7], v[5:6], off offset:3072
.LBB692_32:
	s_or_b32 exec_lo, exec_lo, s37
	v_add_nc_u32_e32 v4, 0x3c0, v4
	s_delay_alu instid0(VALU_DEP_1) | instskip(NEXT) | instid1(VALU_DEP_1)
	v_cmp_gt_i32_e64 s2, s18, v4
	s_and_b32 s18, s17, s2
	s_delay_alu instid0(SALU_CYCLE_1)
	s_and_saveexec_b32 s37, s18
	s_cbranch_execz .LBB692_34
; %bb.33:
	v_add_co_u32 v2, s17, 0x1000, v20
	s_delay_alu instid0(VALU_DEP_1)
	v_add_co_ci_u32_e64 v3, s17, 0, v21, s17
	global_load_b64 v[2:3], v[2:3], off offset:3584
.LBB692_34:
	s_or_b32 exec_lo, exec_lo, s37
	s_load_b64 s[0:1], s[0:1], 0x20
	s_waitcnt lgkmcnt(0)
	v_add_co_u32 v4, s0, s0, v18
	s_delay_alu instid0(VALU_DEP_1)
	v_add_co_ci_u32_e64 v5, s0, s1, v19, s0
	s_mov_b32 s1, 0
	s_and_saveexec_b32 s17, s36
	s_cbranch_execz .LBB692_36
; %bb.35:
	global_load_u8 v18, v[4:5], off
	s_waitcnt vmcnt(0)
	v_and_b32_e32 v18, 1, v18
	s_delay_alu instid0(VALU_DEP_1) | instskip(NEXT) | instid1(VALU_DEP_1)
	v_cmp_eq_u32_e64 s0, 1, v18
	s_xor_b32 s0, s0, -1
	s_delay_alu instid0(SALU_CYCLE_1)
	s_and_b32 s1, s0, exec_lo
.LBB692_36:
	s_or_b32 exec_lo, exec_lo, s17
	s_waitcnt vmcnt(0)
	v_dual_mov_b32 v18, v28 :: v_dual_mov_b32 v19, v29
	s_and_saveexec_b32 s17, s35
	s_cbranch_execnz .LBB692_51
; %bb.37:
	s_or_b32 exec_lo, exec_lo, s17
	s_and_saveexec_b32 s17, s34
	s_cbranch_execnz .LBB692_54
.LBB692_38:
	s_or_b32 exec_lo, exec_lo, s17
	s_and_saveexec_b32 s17, s33
	s_cbranch_execnz .LBB692_57
.LBB692_39:
	s_or_b32 exec_lo, exec_lo, s17
	s_and_saveexec_b32 s17, s31
	s_cbranch_execnz .LBB692_60
.LBB692_40:
	s_or_b32 exec_lo, exec_lo, s17
	s_and_saveexec_b32 s17, s30
	s_cbranch_execnz .LBB692_63
.LBB692_41:
	s_or_b32 exec_lo, exec_lo, s17
	s_and_saveexec_b32 s17, s29
	s_cbranch_execnz .LBB692_66
.LBB692_42:
	s_or_b32 exec_lo, exec_lo, s17
	s_and_saveexec_b32 s17, s28
	s_cbranch_execnz .LBB692_69
.LBB692_43:
	s_or_b32 exec_lo, exec_lo, s17
	s_and_saveexec_b32 s17, s27
	s_cbranch_execnz .LBB692_72
.LBB692_44:
	s_or_b32 exec_lo, exec_lo, s17
	s_and_saveexec_b32 s17, s26
	s_cbranch_execnz .LBB692_75
.LBB692_45:
	s_or_b32 exec_lo, exec_lo, s17
	s_and_saveexec_b32 s17, s25
	s_cbranch_execnz .LBB692_78
.LBB692_46:
	s_or_b32 exec_lo, exec_lo, s17
	s_and_saveexec_b32 s17, s24
	s_cbranch_execnz .LBB692_81
.LBB692_47:
	s_or_b32 exec_lo, exec_lo, s17
	s_and_saveexec_b32 s17, s23
	s_cbranch_execnz .LBB692_84
.LBB692_48:
	s_or_b32 exec_lo, exec_lo, s17
	s_and_saveexec_b32 s17, s22
	s_cbranch_execnz .LBB692_87
.LBB692_49:
	s_or_b32 exec_lo, exec_lo, s17
	s_and_saveexec_b32 s17, s19
	s_cbranch_execnz .LBB692_90
.LBB692_50:
	s_or_b32 exec_lo, exec_lo, s17
	s_and_saveexec_b32 s17, s18
	s_cbranch_execnz .LBB692_93
	s_branch .LBB692_96
.LBB692_51:
	global_load_u8 v18, v[4:5], off offset:64
	s_waitcnt vmcnt(0)
	v_and_b32_e32 v18, 1, v18
	s_delay_alu instid0(VALU_DEP_1) | instskip(SKIP_1) | instid1(VALU_DEP_2)
	v_cmp_eq_u32_e64 s0, 1, v18
	v_dual_mov_b32 v18, v28 :: v_dual_mov_b32 v19, v29
	s_xor_b32 s38, s0, -1
	s_mov_b32 s0, s1
	s_and_saveexec_b32 s37, s38
; %bb.52:
	v_cmp_gt_f64_e64 s0, v[28:29], v[36:37]
	s_delay_alu instid0(VALU_DEP_1) | instskip(NEXT) | instid1(SALU_CYCLE_1)
	s_and_b32 s0, s1, s0
	v_cndmask_b32_e64 v19, v37, v29, s0
	v_cndmask_b32_e64 v18, v36, v28, s0
	s_or_b32 s0, s1, exec_lo
; %bb.53:
	s_or_b32 exec_lo, exec_lo, s37
	s_delay_alu instid0(SALU_CYCLE_1) | instskip(SKIP_1) | instid1(SALU_CYCLE_1)
	s_and_not1_b32 s1, s1, exec_lo
	s_and_b32 s0, s0, exec_lo
	s_or_b32 s1, s1, s0
	s_or_b32 exec_lo, exec_lo, s17
	s_and_saveexec_b32 s17, s34
	s_cbranch_execz .LBB692_38
.LBB692_54:
	global_load_u8 v20, v[4:5], off offset:128
	s_waitcnt vmcnt(0)
	v_and_b32_e32 v20, 1, v20
	s_delay_alu instid0(VALU_DEP_1) | instskip(NEXT) | instid1(VALU_DEP_1)
	v_cmp_eq_u32_e64 s0, 1, v20
	s_xor_b32 s38, s0, -1
	s_mov_b32 s0, s1
	s_and_saveexec_b32 s37, s38
; %bb.55:
	v_cmp_gt_f64_e64 s0, v[18:19], v[34:35]
	s_delay_alu instid0(VALU_DEP_1) | instskip(NEXT) | instid1(SALU_CYCLE_1)
	s_and_b32 s0, s1, s0
	v_cndmask_b32_e64 v19, v35, v19, s0
	v_cndmask_b32_e64 v18, v34, v18, s0
	s_or_b32 s0, s1, exec_lo
; %bb.56:
	s_or_b32 exec_lo, exec_lo, s37
	s_delay_alu instid0(SALU_CYCLE_1) | instskip(SKIP_1) | instid1(SALU_CYCLE_1)
	s_and_not1_b32 s1, s1, exec_lo
	s_and_b32 s0, s0, exec_lo
	s_or_b32 s1, s1, s0
	s_or_b32 exec_lo, exec_lo, s17
	s_and_saveexec_b32 s17, s33
	s_cbranch_execz .LBB692_39
.LBB692_57:
	global_load_u8 v20, v[4:5], off offset:192
	s_waitcnt vmcnt(0)
	v_and_b32_e32 v20, 1, v20
	s_delay_alu instid0(VALU_DEP_1) | instskip(NEXT) | instid1(VALU_DEP_1)
	v_cmp_eq_u32_e64 s0, 1, v20
	s_xor_b32 s38, s0, -1
	s_mov_b32 s0, s1
	s_and_saveexec_b32 s37, s38
; %bb.58:
	v_cmp_gt_f64_e64 s0, v[18:19], v[42:43]
	s_delay_alu instid0(VALU_DEP_1) | instskip(NEXT) | instid1(SALU_CYCLE_1)
	s_and_b32 s0, s1, s0
	v_cndmask_b32_e64 v19, v43, v19, s0
	v_cndmask_b32_e64 v18, v42, v18, s0
	s_or_b32 s0, s1, exec_lo
; %bb.59:
	s_or_b32 exec_lo, exec_lo, s37
	s_delay_alu instid0(SALU_CYCLE_1) | instskip(SKIP_1) | instid1(SALU_CYCLE_1)
	s_and_not1_b32 s1, s1, exec_lo
	s_and_b32 s0, s0, exec_lo
	s_or_b32 s1, s1, s0
	s_or_b32 exec_lo, exec_lo, s17
	s_and_saveexec_b32 s17, s31
	s_cbranch_execz .LBB692_40
.LBB692_60:
	global_load_u8 v20, v[4:5], off offset:256
	s_waitcnt vmcnt(0)
	v_and_b32_e32 v20, 1, v20
	s_delay_alu instid0(VALU_DEP_1) | instskip(NEXT) | instid1(VALU_DEP_1)
	v_cmp_eq_u32_e64 s0, 1, v20
	s_xor_b32 s38, s0, -1
	s_mov_b32 s0, s1
	s_and_saveexec_b32 s37, s38
; %bb.61:
	v_cmp_gt_f64_e64 s0, v[18:19], v[40:41]
	s_delay_alu instid0(VALU_DEP_1) | instskip(NEXT) | instid1(SALU_CYCLE_1)
	s_and_b32 s0, s1, s0
	v_cndmask_b32_e64 v19, v41, v19, s0
	v_cndmask_b32_e64 v18, v40, v18, s0
	s_or_b32 s0, s1, exec_lo
; %bb.62:
	s_or_b32 exec_lo, exec_lo, s37
	s_delay_alu instid0(SALU_CYCLE_1) | instskip(SKIP_1) | instid1(SALU_CYCLE_1)
	s_and_not1_b32 s1, s1, exec_lo
	s_and_b32 s0, s0, exec_lo
	s_or_b32 s1, s1, s0
	s_or_b32 exec_lo, exec_lo, s17
	s_and_saveexec_b32 s17, s30
	s_cbranch_execz .LBB692_41
.LBB692_63:
	global_load_u8 v20, v[4:5], off offset:320
	s_waitcnt vmcnt(0)
	v_and_b32_e32 v20, 1, v20
	s_delay_alu instid0(VALU_DEP_1) | instskip(NEXT) | instid1(VALU_DEP_1)
	v_cmp_eq_u32_e64 s0, 1, v20
	s_xor_b32 s38, s0, -1
	s_mov_b32 s0, s1
	s_and_saveexec_b32 s37, s38
; %bb.64:
	v_cmp_gt_f64_e64 s0, v[18:19], v[38:39]
	s_delay_alu instid0(VALU_DEP_1) | instskip(NEXT) | instid1(SALU_CYCLE_1)
	s_and_b32 s0, s1, s0
	v_cndmask_b32_e64 v19, v39, v19, s0
	v_cndmask_b32_e64 v18, v38, v18, s0
	s_or_b32 s0, s1, exec_lo
; %bb.65:
	s_or_b32 exec_lo, exec_lo, s37
	s_delay_alu instid0(SALU_CYCLE_1) | instskip(SKIP_1) | instid1(SALU_CYCLE_1)
	s_and_not1_b32 s1, s1, exec_lo
	s_and_b32 s0, s0, exec_lo
	s_or_b32 s1, s1, s0
	s_or_b32 exec_lo, exec_lo, s17
	s_and_saveexec_b32 s17, s29
	s_cbranch_execz .LBB692_42
.LBB692_66:
	global_load_u8 v20, v[4:5], off offset:384
	s_waitcnt vmcnt(0)
	v_and_b32_e32 v20, 1, v20
	s_delay_alu instid0(VALU_DEP_1) | instskip(NEXT) | instid1(VALU_DEP_1)
	v_cmp_eq_u32_e64 s0, 1, v20
	s_xor_b32 s38, s0, -1
	s_mov_b32 s0, s1
	s_and_saveexec_b32 s37, s38
; %bb.67:
	v_cmp_gt_f64_e64 s0, v[18:19], v[32:33]
	s_delay_alu instid0(VALU_DEP_1) | instskip(NEXT) | instid1(SALU_CYCLE_1)
	s_and_b32 s0, s1, s0
	v_cndmask_b32_e64 v19, v33, v19, s0
	v_cndmask_b32_e64 v18, v32, v18, s0
	s_or_b32 s0, s1, exec_lo
; %bb.68:
	s_or_b32 exec_lo, exec_lo, s37
	s_delay_alu instid0(SALU_CYCLE_1) | instskip(SKIP_1) | instid1(SALU_CYCLE_1)
	s_and_not1_b32 s1, s1, exec_lo
	s_and_b32 s0, s0, exec_lo
	s_or_b32 s1, s1, s0
	s_or_b32 exec_lo, exec_lo, s17
	s_and_saveexec_b32 s17, s28
	s_cbranch_execz .LBB692_43
.LBB692_69:
	global_load_u8 v20, v[4:5], off offset:448
	s_waitcnt vmcnt(0)
	v_and_b32_e32 v20, 1, v20
	s_delay_alu instid0(VALU_DEP_1) | instskip(NEXT) | instid1(VALU_DEP_1)
	v_cmp_eq_u32_e64 s0, 1, v20
	s_xor_b32 s38, s0, -1
	s_mov_b32 s0, s1
	s_and_saveexec_b32 s37, s38
; %bb.70:
	v_cmp_gt_f64_e64 s0, v[18:19], v[30:31]
	s_delay_alu instid0(VALU_DEP_1) | instskip(NEXT) | instid1(SALU_CYCLE_1)
	s_and_b32 s0, s1, s0
	v_cndmask_b32_e64 v19, v31, v19, s0
	v_cndmask_b32_e64 v18, v30, v18, s0
	s_or_b32 s0, s1, exec_lo
; %bb.71:
	s_or_b32 exec_lo, exec_lo, s37
	s_delay_alu instid0(SALU_CYCLE_1) | instskip(SKIP_1) | instid1(SALU_CYCLE_1)
	s_and_not1_b32 s1, s1, exec_lo
	s_and_b32 s0, s0, exec_lo
	s_or_b32 s1, s1, s0
	s_or_b32 exec_lo, exec_lo, s17
	s_and_saveexec_b32 s17, s27
	s_cbranch_execz .LBB692_44
.LBB692_72:
	global_load_u8 v20, v[4:5], off offset:512
	s_waitcnt vmcnt(0)
	v_and_b32_e32 v20, 1, v20
	s_delay_alu instid0(VALU_DEP_1) | instskip(NEXT) | instid1(VALU_DEP_1)
	v_cmp_eq_u32_e64 s0, 1, v20
	s_xor_b32 s38, s0, -1
	s_mov_b32 s0, s1
	s_and_saveexec_b32 s37, s38
; %bb.73:
	v_cmp_gt_f64_e64 s0, v[18:19], v[22:23]
	s_delay_alu instid0(VALU_DEP_1) | instskip(NEXT) | instid1(SALU_CYCLE_1)
	s_and_b32 s0, s1, s0
	v_cndmask_b32_e64 v19, v23, v19, s0
	v_cndmask_b32_e64 v18, v22, v18, s0
	s_or_b32 s0, s1, exec_lo
; %bb.74:
	s_or_b32 exec_lo, exec_lo, s37
	s_delay_alu instid0(SALU_CYCLE_1) | instskip(SKIP_1) | instid1(SALU_CYCLE_1)
	s_and_not1_b32 s1, s1, exec_lo
	s_and_b32 s0, s0, exec_lo
	s_or_b32 s1, s1, s0
	s_or_b32 exec_lo, exec_lo, s17
	s_and_saveexec_b32 s17, s26
	s_cbranch_execz .LBB692_45
.LBB692_75:
	global_load_u8 v20, v[4:5], off offset:576
	s_waitcnt vmcnt(0)
	v_and_b32_e32 v20, 1, v20
	s_delay_alu instid0(VALU_DEP_1) | instskip(NEXT) | instid1(VALU_DEP_1)
	v_cmp_eq_u32_e64 s0, 1, v20
	s_xor_b32 s38, s0, -1
	s_mov_b32 s0, s1
	s_and_saveexec_b32 s37, s38
; %bb.76:
	v_cmp_gt_f64_e64 s0, v[18:19], v[16:17]
	s_delay_alu instid0(VALU_DEP_1) | instskip(NEXT) | instid1(SALU_CYCLE_1)
	s_and_b32 s0, s1, s0
	v_cndmask_b32_e64 v19, v17, v19, s0
	v_cndmask_b32_e64 v18, v16, v18, s0
	s_or_b32 s0, s1, exec_lo
; %bb.77:
	s_or_b32 exec_lo, exec_lo, s37
	s_delay_alu instid0(SALU_CYCLE_1) | instskip(SKIP_1) | instid1(SALU_CYCLE_1)
	s_and_not1_b32 s1, s1, exec_lo
	s_and_b32 s0, s0, exec_lo
	s_or_b32 s1, s1, s0
	s_or_b32 exec_lo, exec_lo, s17
	s_and_saveexec_b32 s17, s25
	s_cbranch_execz .LBB692_46
.LBB692_78:
	global_load_u8 v20, v[4:5], off offset:640
	s_waitcnt vmcnt(0)
	v_and_b32_e32 v20, 1, v20
	s_delay_alu instid0(VALU_DEP_1) | instskip(NEXT) | instid1(VALU_DEP_1)
	v_cmp_eq_u32_e64 s0, 1, v20
	s_xor_b32 s38, s0, -1
	s_mov_b32 s0, s1
	s_and_saveexec_b32 s37, s38
; %bb.79:
	v_cmp_gt_f64_e64 s0, v[18:19], v[14:15]
	s_delay_alu instid0(VALU_DEP_1) | instskip(NEXT) | instid1(SALU_CYCLE_1)
	s_and_b32 s0, s1, s0
	v_cndmask_b32_e64 v19, v15, v19, s0
	v_cndmask_b32_e64 v18, v14, v18, s0
	s_or_b32 s0, s1, exec_lo
; %bb.80:
	s_or_b32 exec_lo, exec_lo, s37
	s_delay_alu instid0(SALU_CYCLE_1) | instskip(SKIP_1) | instid1(SALU_CYCLE_1)
	s_and_not1_b32 s1, s1, exec_lo
	s_and_b32 s0, s0, exec_lo
	s_or_b32 s1, s1, s0
	s_or_b32 exec_lo, exec_lo, s17
	s_and_saveexec_b32 s17, s24
	s_cbranch_execz .LBB692_47
.LBB692_81:
	global_load_u8 v20, v[4:5], off offset:704
	s_waitcnt vmcnt(0)
	v_and_b32_e32 v20, 1, v20
	s_delay_alu instid0(VALU_DEP_1) | instskip(NEXT) | instid1(VALU_DEP_1)
	v_cmp_eq_u32_e64 s0, 1, v20
	s_xor_b32 s38, s0, -1
	s_mov_b32 s0, s1
	s_and_saveexec_b32 s37, s38
; %bb.82:
	v_cmp_gt_f64_e64 s0, v[18:19], v[12:13]
	s_delay_alu instid0(VALU_DEP_1) | instskip(NEXT) | instid1(SALU_CYCLE_1)
	s_and_b32 s0, s1, s0
	v_cndmask_b32_e64 v19, v13, v19, s0
	v_cndmask_b32_e64 v18, v12, v18, s0
	s_or_b32 s0, s1, exec_lo
; %bb.83:
	s_or_b32 exec_lo, exec_lo, s37
	s_delay_alu instid0(SALU_CYCLE_1) | instskip(SKIP_1) | instid1(SALU_CYCLE_1)
	s_and_not1_b32 s1, s1, exec_lo
	s_and_b32 s0, s0, exec_lo
	s_or_b32 s1, s1, s0
	s_or_b32 exec_lo, exec_lo, s17
	s_and_saveexec_b32 s17, s23
	s_cbranch_execz .LBB692_48
.LBB692_84:
	global_load_u8 v20, v[4:5], off offset:768
	s_waitcnt vmcnt(0)
	v_and_b32_e32 v20, 1, v20
	s_delay_alu instid0(VALU_DEP_1) | instskip(NEXT) | instid1(VALU_DEP_1)
	v_cmp_eq_u32_e64 s0, 1, v20
	s_xor_b32 s38, s0, -1
	s_mov_b32 s0, s1
	s_and_saveexec_b32 s37, s38
; %bb.85:
	v_cmp_gt_f64_e64 s0, v[18:19], v[10:11]
	s_delay_alu instid0(VALU_DEP_1) | instskip(NEXT) | instid1(SALU_CYCLE_1)
	s_and_b32 s0, s1, s0
	v_cndmask_b32_e64 v19, v11, v19, s0
	v_cndmask_b32_e64 v18, v10, v18, s0
	s_or_b32 s0, s1, exec_lo
; %bb.86:
	s_or_b32 exec_lo, exec_lo, s37
	s_delay_alu instid0(SALU_CYCLE_1) | instskip(SKIP_1) | instid1(SALU_CYCLE_1)
	s_and_not1_b32 s1, s1, exec_lo
	s_and_b32 s0, s0, exec_lo
	s_or_b32 s1, s1, s0
	s_or_b32 exec_lo, exec_lo, s17
	s_and_saveexec_b32 s17, s22
	s_cbranch_execz .LBB692_49
.LBB692_87:
	global_load_u8 v20, v[4:5], off offset:832
	s_waitcnt vmcnt(0)
	v_and_b32_e32 v20, 1, v20
	s_delay_alu instid0(VALU_DEP_1) | instskip(NEXT) | instid1(VALU_DEP_1)
	v_cmp_eq_u32_e64 s0, 1, v20
	s_xor_b32 s38, s0, -1
	s_mov_b32 s0, s1
	s_and_saveexec_b32 s37, s38
; %bb.88:
	v_cmp_gt_f64_e64 s0, v[18:19], v[8:9]
	s_delay_alu instid0(VALU_DEP_1) | instskip(NEXT) | instid1(SALU_CYCLE_1)
	s_and_b32 s0, s1, s0
	v_cndmask_b32_e64 v19, v9, v19, s0
	v_cndmask_b32_e64 v18, v8, v18, s0
	s_or_b32 s0, s1, exec_lo
; %bb.89:
	s_or_b32 exec_lo, exec_lo, s37
	s_delay_alu instid0(SALU_CYCLE_1) | instskip(SKIP_1) | instid1(SALU_CYCLE_1)
	s_and_not1_b32 s1, s1, exec_lo
	s_and_b32 s0, s0, exec_lo
	s_or_b32 s1, s1, s0
	s_or_b32 exec_lo, exec_lo, s17
	s_and_saveexec_b32 s17, s19
	s_cbranch_execz .LBB692_50
.LBB692_90:
	global_load_u8 v20, v[4:5], off offset:896
	s_waitcnt vmcnt(0)
	v_and_b32_e32 v20, 1, v20
	s_delay_alu instid0(VALU_DEP_1) | instskip(NEXT) | instid1(VALU_DEP_1)
	v_cmp_eq_u32_e64 s0, 1, v20
	s_xor_b32 s38, s0, -1
	s_mov_b32 s0, s1
	s_and_saveexec_b32 s37, s38
; %bb.91:
	v_cmp_gt_f64_e64 s0, v[18:19], v[6:7]
	s_delay_alu instid0(VALU_DEP_1) | instskip(NEXT) | instid1(SALU_CYCLE_1)
	s_and_b32 s0, s1, s0
	v_cndmask_b32_e64 v19, v7, v19, s0
	v_cndmask_b32_e64 v18, v6, v18, s0
	s_or_b32 s0, s1, exec_lo
; %bb.92:
	s_or_b32 exec_lo, exec_lo, s37
	s_delay_alu instid0(SALU_CYCLE_1) | instskip(SKIP_1) | instid1(SALU_CYCLE_1)
	s_and_not1_b32 s1, s1, exec_lo
	s_and_b32 s0, s0, exec_lo
	s_or_b32 s1, s1, s0
	s_or_b32 exec_lo, exec_lo, s17
	s_and_saveexec_b32 s17, s18
	s_cbranch_execz .LBB692_96
.LBB692_93:
	global_load_u8 v20, v[4:5], off offset:960
	s_waitcnt vmcnt(0)
	v_and_b32_e32 v20, 1, v20
	s_delay_alu instid0(VALU_DEP_1) | instskip(NEXT) | instid1(VALU_DEP_1)
	v_cmp_eq_u32_e64 s0, 1, v20
	s_xor_b32 s38, s0, -1
	s_mov_b32 s0, s1
	s_and_saveexec_b32 s37, s38
; %bb.94:
	v_cmp_gt_f64_e64 s0, v[18:19], v[2:3]
	s_delay_alu instid0(VALU_DEP_1) | instskip(NEXT) | instid1(SALU_CYCLE_1)
	s_and_b32 s0, s1, s0
	v_cndmask_b32_e64 v19, v3, v19, s0
	v_cndmask_b32_e64 v18, v2, v18, s0
	s_or_b32 s0, s1, exec_lo
; %bb.95:
	s_or_b32 exec_lo, exec_lo, s37
	s_delay_alu instid0(SALU_CYCLE_1) | instskip(SKIP_1) | instid1(SALU_CYCLE_1)
	s_and_not1_b32 s1, s1, exec_lo
	s_and_b32 s0, s0, exec_lo
	s_or_b32 s1, s1, s0
.LBB692_96:
	s_or_b32 exec_lo, exec_lo, s17
	v_mbcnt_lo_u32_b32 v24, -1, 0
	v_cndmask_b32_e64 v18, 0, v18, s1
	v_cndmask_b32_e64 v19, 0xfff00000, v19, s1
	s_delay_alu instid0(VALU_DEP_3) | instskip(SKIP_1) | instid1(VALU_DEP_2)
	v_or_b32_e32 v20, 32, v24
	v_xor_b32_e32 v25, 16, v24
	v_cmp_gt_i32_e64 s0, 64, v20
	s_delay_alu instid0(VALU_DEP_2) | instskip(NEXT) | instid1(VALU_DEP_2)
	v_cmp_gt_i32_e64 s1, 64, v25
	v_cndmask_b32_e64 v20, v24, v20, s0
	s_delay_alu instid0(VALU_DEP_2) | instskip(NEXT) | instid1(VALU_DEP_2)
	v_cndmask_b32_e64 v25, v24, v25, s1
	v_lshlrev_b32_e32 v45, 2, v20
	s_delay_alu instid0(VALU_DEP_2) | instskip(SKIP_4) | instid1(VALU_DEP_1)
	v_lshlrev_b32_e32 v46, 2, v25
	v_xor_b32_e32 v25, 8, v24
	ds_bpermute_b32 v20, v45, v18
	ds_bpermute_b32 v21, v45, v19
	v_cmp_gt_i32_e64 s1, 64, v25
	v_cndmask_b32_e64 v25, v24, v25, s1
	s_delay_alu instid0(VALU_DEP_1) | instskip(SKIP_1) | instid1(VALU_DEP_1)
	v_lshlrev_b32_e32 v47, 2, v25
	v_xor_b32_e32 v25, 4, v24
	v_cmp_gt_i32_e64 s1, 64, v25
	s_waitcnt lgkmcnt(0)
	v_cmp_lt_f64_e64 s0, v[18:19], v[20:21]
	s_delay_alu instid0(VALU_DEP_2) | instskip(NEXT) | instid1(VALU_DEP_1)
	v_cndmask_b32_e64 v25, v24, v25, s1
	v_lshlrev_b32_e32 v48, 2, v25
	v_xor_b32_e32 v25, 2, v24
	s_delay_alu instid0(VALU_DEP_1) | instskip(NEXT) | instid1(VALU_DEP_1)
	v_cmp_gt_i32_e64 s1, 64, v25
	v_cndmask_b32_e64 v25, v24, v25, s1
	s_delay_alu instid0(VALU_DEP_1) | instskip(SKIP_1) | instid1(VALU_DEP_1)
	v_lshlrev_b32_e32 v49, 2, v25
	v_xor_b32_e32 v25, 1, v24
	v_cmp_gt_i32_e64 s1, 64, v25
	s_delay_alu instid0(VALU_DEP_1) | instskip(SKIP_2) | instid1(VALU_DEP_3)
	v_cndmask_b32_e64 v24, v24, v25, s1
	v_cndmask_b32_e64 v19, v19, v21, s0
	v_cndmask_b32_e64 v18, v18, v20, s0
	v_lshlrev_b32_e32 v50, 2, v24
	ds_bpermute_b32 v21, v46, v19
	ds_bpermute_b32 v20, v46, v18
	s_waitcnt lgkmcnt(0)
	v_cmp_lt_f64_e64 s0, v[18:19], v[20:21]
	s_delay_alu instid0(VALU_DEP_1)
	v_cndmask_b32_e64 v19, v19, v21, s0
	v_cndmask_b32_e64 v18, v18, v20, s0
	ds_bpermute_b32 v21, v47, v19
	ds_bpermute_b32 v20, v47, v18
	s_waitcnt lgkmcnt(0)
	v_cmp_lt_f64_e64 s0, v[18:19], v[20:21]
	s_delay_alu instid0(VALU_DEP_1)
	v_cndmask_b32_e64 v19, v19, v21, s0
	v_cndmask_b32_e64 v18, v18, v20, s0
	;; [unrolled: 7-line block ×4, first 2 shown]
	v_mov_b32_e32 v18, 0
	v_mov_b32_e32 v19, 0
	ds_bpermute_b32 v27, v50, v25
	ds_bpermute_b32 v26, v50, v24
	v_dual_mov_b32 v21, v19 :: v_dual_mov_b32 v20, v18
	s_waitcnt lgkmcnt(0)
	v_cmp_lt_f64_e64 s0, v[24:25], v[26:27]
	s_delay_alu instid0(VALU_DEP_1)
	v_cndmask_b32_e64 v27, v25, v27, s0
	v_cndmask_b32_e64 v26, v24, v26, s0
	v_dual_mov_b32 v25, v19 :: v_dual_mov_b32 v24, v18
	s_and_saveexec_b32 s17, s36
	s_cbranch_execz .LBB692_100
; %bb.97:
	global_load_u8 v20, v[4:5], off
	v_mov_b32_e32 v24, 0
	s_waitcnt vmcnt(0)
	v_dual_mov_b32 v25, 0 :: v_dual_and_b32 v20, 1, v20
	s_delay_alu instid0(VALU_DEP_1) | instskip(NEXT) | instid1(VALU_DEP_2)
	v_cmp_eq_u32_e64 s0, 1, v20
	v_dual_mov_b32 v20, v24 :: v_dual_mov_b32 v21, v25
	s_delay_alu instid0(VALU_DEP_2) | instskip(NEXT) | instid1(SALU_CYCLE_1)
	s_xor_b32 s0, s0, -1
	s_and_saveexec_b32 s36, s0
	s_cbranch_execz .LBB692_99
; %bb.98:
	v_add_f64 v[20:21], v[28:29], -v[26:27]
	s_mov_b32 s0, 0x652b82fe
	s_mov_b32 s1, 0x3ff71547
	;; [unrolled: 1-line block ×4, first 2 shown]
	s_delay_alu instid0(VALU_DEP_1) | instskip(SKIP_2) | instid1(VALU_DEP_1)
	v_mul_f64 v[24:25], v[20:21], s[0:1]
	s_mov_b32 s0, 0xfefa39ef
	s_mov_b32 s1, 0xbfe62e42
	v_rndne_f64_e32 v[24:25], v[24:25]
	s_delay_alu instid0(VALU_DEP_1) | instskip(SKIP_3) | instid1(VALU_DEP_2)
	v_fma_f64 v[28:29], v[24:25], s[0:1], v[20:21]
	s_mov_b32 s0, 0x3b39803f
	s_mov_b32 s1, 0xbc7abc9e
	v_cvt_i32_f64_e32 v53, v[24:25]
	v_fma_f64 v[28:29], v[24:25], s[0:1], v[28:29]
	s_mov_b32 s0, 0xfca7ab0c
	s_mov_b32 s1, 0x3e928af3
	s_delay_alu instid0(VALU_DEP_1) | instid1(SALU_CYCLE_1)
	v_fma_f64 v[51:52], v[28:29], s[38:39], s[0:1]
	s_mov_b32 s0, 0x623fde64
	s_mov_b32 s1, 0x3ec71dee
	s_delay_alu instid0(VALU_DEP_1) | instid1(SALU_CYCLE_1)
	;; [unrolled: 4-line block ×9, first 2 shown]
	v_fma_f64 v[51:52], v[28:29], v[51:52], s[0:1]
	v_cmp_nlt_f64_e64 s0, 0x40900000, v[20:21]
	v_cmp_ngt_f64_e64 s1, 0xc090cc00, v[20:21]
	s_delay_alu instid0(VALU_DEP_3) | instskip(NEXT) | instid1(VALU_DEP_1)
	v_fma_f64 v[51:52], v[28:29], v[51:52], 1.0
	v_fma_f64 v[24:25], v[28:29], v[51:52], 1.0
	s_delay_alu instid0(VALU_DEP_1) | instskip(NEXT) | instid1(VALU_DEP_1)
	v_ldexp_f64 v[24:25], v[24:25], v53
	v_cndmask_b32_e64 v25, 0x7ff00000, v25, s0
	s_and_b32 s0, s1, s0
	s_delay_alu instid0(VALU_DEP_2) | instid1(SALU_CYCLE_1)
	v_cndmask_b32_e64 v20, 0, v24, s0
	s_delay_alu instid0(VALU_DEP_2) | instskip(NEXT) | instid1(VALU_DEP_1)
	v_cndmask_b32_e64 v21, 0, v25, s1
	v_add_f64 v[24:25], v[20:21], 0
.LBB692_99:
	s_or_b32 exec_lo, exec_lo, s36
.LBB692_100:
	s_delay_alu instid0(SALU_CYCLE_1)
	s_or_b32 exec_lo, exec_lo, s17
	v_dual_mov_b32 v29, v19 :: v_dual_mov_b32 v28, v18
	s_and_saveexec_b32 s17, s35
	s_cbranch_execz .LBB692_104
; %bb.101:
	global_load_u8 v28, v[4:5], off offset:64
	s_waitcnt vmcnt(0)
	v_and_b32_e32 v28, 1, v28
	s_delay_alu instid0(VALU_DEP_1) | instskip(SKIP_2) | instid1(VALU_DEP_3)
	v_cmp_eq_u32_e64 s0, 1, v28
	v_mov_b32_e32 v28, 0
	v_mov_b32_e32 v29, 0
	s_xor_b32 s0, s0, -1
	s_delay_alu instid0(SALU_CYCLE_1)
	s_and_saveexec_b32 s35, s0
	s_cbranch_execz .LBB692_103
; %bb.102:
	v_add_f64 v[28:29], v[36:37], -v[26:27]
	s_mov_b32 s0, 0x652b82fe
	s_mov_b32 s1, 0x3ff71547
	;; [unrolled: 1-line block ×4, first 2 shown]
	s_delay_alu instid0(VALU_DEP_1) | instskip(SKIP_2) | instid1(VALU_DEP_1)
	v_mul_f64 v[36:37], v[28:29], s[0:1]
	s_mov_b32 s0, 0xfefa39ef
	s_mov_b32 s1, 0xbfe62e42
	v_rndne_f64_e32 v[36:37], v[36:37]
	s_delay_alu instid0(VALU_DEP_1) | instskip(SKIP_3) | instid1(VALU_DEP_2)
	v_fma_f64 v[51:52], v[36:37], s[0:1], v[28:29]
	s_mov_b32 s0, 0x3b39803f
	s_mov_b32 s1, 0xbc7abc9e
	v_cvt_i32_f64_e32 v55, v[36:37]
	v_fma_f64 v[51:52], v[36:37], s[0:1], v[51:52]
	s_mov_b32 s0, 0xfca7ab0c
	s_mov_b32 s1, 0x3e928af3
	s_delay_alu instid0(VALU_DEP_1) | instid1(SALU_CYCLE_1)
	v_fma_f64 v[53:54], v[51:52], s[36:37], s[0:1]
	s_mov_b32 s0, 0x623fde64
	s_mov_b32 s1, 0x3ec71dee
	s_delay_alu instid0(VALU_DEP_1) | instid1(SALU_CYCLE_1)
	;; [unrolled: 4-line block ×9, first 2 shown]
	v_fma_f64 v[53:54], v[51:52], v[53:54], s[0:1]
	v_cmp_nlt_f64_e64 s0, 0x40900000, v[28:29]
	v_cmp_ngt_f64_e64 s1, 0xc090cc00, v[28:29]
	s_delay_alu instid0(VALU_DEP_3) | instskip(NEXT) | instid1(VALU_DEP_1)
	v_fma_f64 v[53:54], v[51:52], v[53:54], 1.0
	v_fma_f64 v[36:37], v[51:52], v[53:54], 1.0
	s_delay_alu instid0(VALU_DEP_1) | instskip(NEXT) | instid1(VALU_DEP_1)
	v_ldexp_f64 v[36:37], v[36:37], v55
	v_cndmask_b32_e64 v37, 0x7ff00000, v37, s0
	s_and_b32 s0, s1, s0
	s_delay_alu instid0(VALU_DEP_2) | instid1(SALU_CYCLE_1)
	v_cndmask_b32_e64 v28, 0, v36, s0
	s_delay_alu instid0(VALU_DEP_2) | instskip(NEXT) | instid1(VALU_DEP_1)
	v_cndmask_b32_e64 v29, 0, v37, s1
	v_add_f64 v[24:25], v[24:25], v[28:29]
.LBB692_103:
	s_or_b32 exec_lo, exec_lo, s35
.LBB692_104:
	s_delay_alu instid0(SALU_CYCLE_1)
	s_or_b32 exec_lo, exec_lo, s17
	s_and_saveexec_b32 s17, s34
	s_cbranch_execz .LBB692_108
; %bb.105:
	global_load_u8 v18, v[4:5], off offset:128
	s_waitcnt vmcnt(0)
	v_and_b32_e32 v18, 1, v18
	s_delay_alu instid0(VALU_DEP_1) | instskip(SKIP_2) | instid1(VALU_DEP_3)
	v_cmp_eq_u32_e64 s0, 1, v18
	v_mov_b32_e32 v18, 0
	v_mov_b32_e32 v19, 0
	s_xor_b32 s0, s0, -1
	s_delay_alu instid0(SALU_CYCLE_1)
	s_and_saveexec_b32 s34, s0
	s_cbranch_execz .LBB692_107
; %bb.106:
	v_add_f64 v[18:19], v[34:35], -v[26:27]
	s_mov_b32 s0, 0x652b82fe
	s_mov_b32 s1, 0x3ff71547
	;; [unrolled: 1-line block ×4, first 2 shown]
	s_delay_alu instid0(VALU_DEP_1) | instskip(SKIP_2) | instid1(VALU_DEP_1)
	v_mul_f64 v[34:35], v[18:19], s[0:1]
	s_mov_b32 s0, 0xfefa39ef
	s_mov_b32 s1, 0xbfe62e42
	v_rndne_f64_e32 v[34:35], v[34:35]
	s_delay_alu instid0(VALU_DEP_1) | instskip(SKIP_3) | instid1(VALU_DEP_2)
	v_fma_f64 v[36:37], v[34:35], s[0:1], v[18:19]
	s_mov_b32 s0, 0x3b39803f
	s_mov_b32 s1, 0xbc7abc9e
	v_cvt_i32_f64_e32 v53, v[34:35]
	v_fma_f64 v[36:37], v[34:35], s[0:1], v[36:37]
	s_mov_b32 s0, 0xfca7ab0c
	s_mov_b32 s1, 0x3e928af3
	s_delay_alu instid0(VALU_DEP_1) | instid1(SALU_CYCLE_1)
	v_fma_f64 v[51:52], v[36:37], s[36:37], s[0:1]
	s_mov_b32 s0, 0x623fde64
	s_mov_b32 s1, 0x3ec71dee
	s_delay_alu instid0(VALU_DEP_1) | instid1(SALU_CYCLE_1)
	v_fma_f64 v[51:52], v[36:37], v[51:52], s[0:1]
	s_mov_b32 s0, 0x7c89e6b0
	s_mov_b32 s1, 0x3efa0199
	s_delay_alu instid0(VALU_DEP_1) | instid1(SALU_CYCLE_1)
	v_fma_f64 v[51:52], v[36:37], v[51:52], s[0:1]
	s_mov_b32 s0, 0x14761f6e
	s_mov_b32 s1, 0x3f2a01a0
	s_delay_alu instid0(VALU_DEP_1) | instid1(SALU_CYCLE_1)
	v_fma_f64 v[51:52], v[36:37], v[51:52], s[0:1]
	s_mov_b32 s0, 0x1852b7b0
	s_mov_b32 s1, 0x3f56c16c
	s_delay_alu instid0(VALU_DEP_1) | instid1(SALU_CYCLE_1)
	v_fma_f64 v[51:52], v[36:37], v[51:52], s[0:1]
	s_mov_b32 s0, 0x11122322
	s_mov_b32 s1, 0x3f811111
	s_delay_alu instid0(VALU_DEP_1) | instid1(SALU_CYCLE_1)
	v_fma_f64 v[51:52], v[36:37], v[51:52], s[0:1]
	s_mov_b32 s0, 0x555502a1
	s_mov_b32 s1, 0x3fa55555
	s_delay_alu instid0(VALU_DEP_1) | instid1(SALU_CYCLE_1)
	v_fma_f64 v[51:52], v[36:37], v[51:52], s[0:1]
	s_mov_b32 s0, 0x55555511
	s_mov_b32 s1, 0x3fc55555
	s_delay_alu instid0(VALU_DEP_1) | instid1(SALU_CYCLE_1)
	v_fma_f64 v[51:52], v[36:37], v[51:52], s[0:1]
	s_mov_b32 s0, 11
	s_mov_b32 s1, 0x3fe00000
	s_delay_alu instid0(VALU_DEP_1) | instid1(SALU_CYCLE_1)
	v_fma_f64 v[51:52], v[36:37], v[51:52], s[0:1]
	v_cmp_nlt_f64_e64 s0, 0x40900000, v[18:19]
	v_cmp_ngt_f64_e64 s1, 0xc090cc00, v[18:19]
	s_delay_alu instid0(VALU_DEP_3) | instskip(NEXT) | instid1(VALU_DEP_1)
	v_fma_f64 v[51:52], v[36:37], v[51:52], 1.0
	v_fma_f64 v[34:35], v[36:37], v[51:52], 1.0
	s_delay_alu instid0(VALU_DEP_1) | instskip(NEXT) | instid1(VALU_DEP_1)
	v_ldexp_f64 v[34:35], v[34:35], v53
	v_cndmask_b32_e64 v35, 0x7ff00000, v35, s0
	s_and_b32 s0, s1, s0
	s_delay_alu instid0(VALU_DEP_2) | instid1(SALU_CYCLE_1)
	v_cndmask_b32_e64 v18, 0, v34, s0
	s_delay_alu instid0(VALU_DEP_2) | instskip(NEXT) | instid1(VALU_DEP_1)
	v_cndmask_b32_e64 v19, 0, v35, s1
	v_add_f64 v[24:25], v[24:25], v[18:19]
.LBB692_107:
	s_or_b32 exec_lo, exec_lo, s34
.LBB692_108:
	s_delay_alu instid0(SALU_CYCLE_1) | instskip(SKIP_2) | instid1(VALU_DEP_1)
	s_or_b32 exec_lo, exec_lo, s17
	v_mov_b32_e32 v34, 0
	v_mov_b32_e32 v35, 0
	v_dual_mov_b32 v37, v35 :: v_dual_mov_b32 v36, v34
	s_and_saveexec_b32 s17, s33
	s_cbranch_execz .LBB692_112
; %bb.109:
	global_load_u8 v36, v[4:5], off offset:192
	s_waitcnt vmcnt(0)
	v_and_b32_e32 v36, 1, v36
	s_delay_alu instid0(VALU_DEP_1) | instskip(SKIP_2) | instid1(VALU_DEP_3)
	v_cmp_eq_u32_e64 s0, 1, v36
	v_mov_b32_e32 v36, 0
	v_mov_b32_e32 v37, 0
	s_xor_b32 s0, s0, -1
	s_delay_alu instid0(SALU_CYCLE_1)
	s_and_saveexec_b32 s33, s0
	s_cbranch_execz .LBB692_111
; %bb.110:
	v_add_f64 v[36:37], v[42:43], -v[26:27]
	s_mov_b32 s0, 0x652b82fe
	s_mov_b32 s1, 0x3ff71547
	;; [unrolled: 1-line block ×4, first 2 shown]
	s_delay_alu instid0(VALU_DEP_1) | instskip(SKIP_2) | instid1(VALU_DEP_1)
	v_mul_f64 v[42:43], v[36:37], s[0:1]
	s_mov_b32 s0, 0xfefa39ef
	s_mov_b32 s1, 0xbfe62e42
	v_rndne_f64_e32 v[42:43], v[42:43]
	s_delay_alu instid0(VALU_DEP_1) | instskip(SKIP_3) | instid1(VALU_DEP_2)
	v_fma_f64 v[51:52], v[42:43], s[0:1], v[36:37]
	s_mov_b32 s0, 0x3b39803f
	s_mov_b32 s1, 0xbc7abc9e
	v_cvt_i32_f64_e32 v55, v[42:43]
	v_fma_f64 v[51:52], v[42:43], s[0:1], v[51:52]
	s_mov_b32 s0, 0xfca7ab0c
	s_mov_b32 s1, 0x3e928af3
	s_delay_alu instid0(VALU_DEP_1) | instid1(SALU_CYCLE_1)
	v_fma_f64 v[53:54], v[51:52], s[34:35], s[0:1]
	s_mov_b32 s0, 0x623fde64
	s_mov_b32 s1, 0x3ec71dee
	s_delay_alu instid0(VALU_DEP_1) | instid1(SALU_CYCLE_1)
	;; [unrolled: 4-line block ×9, first 2 shown]
	v_fma_f64 v[53:54], v[51:52], v[53:54], s[0:1]
	v_cmp_nlt_f64_e64 s0, 0x40900000, v[36:37]
	v_cmp_ngt_f64_e64 s1, 0xc090cc00, v[36:37]
	s_delay_alu instid0(VALU_DEP_3) | instskip(NEXT) | instid1(VALU_DEP_1)
	v_fma_f64 v[53:54], v[51:52], v[53:54], 1.0
	v_fma_f64 v[42:43], v[51:52], v[53:54], 1.0
	s_delay_alu instid0(VALU_DEP_1) | instskip(NEXT) | instid1(VALU_DEP_1)
	v_ldexp_f64 v[42:43], v[42:43], v55
	v_cndmask_b32_e64 v43, 0x7ff00000, v43, s0
	s_and_b32 s0, s1, s0
	s_delay_alu instid0(VALU_DEP_2) | instid1(SALU_CYCLE_1)
	v_cndmask_b32_e64 v36, 0, v42, s0
	s_delay_alu instid0(VALU_DEP_2) | instskip(NEXT) | instid1(VALU_DEP_1)
	v_cndmask_b32_e64 v37, 0, v43, s1
	v_add_f64 v[24:25], v[24:25], v[36:37]
.LBB692_111:
	s_or_b32 exec_lo, exec_lo, s33
.LBB692_112:
	s_delay_alu instid0(SALU_CYCLE_1)
	s_or_b32 exec_lo, exec_lo, s17
	s_and_saveexec_b32 s17, s31
	s_cbranch_execz .LBB692_116
; %bb.113:
	global_load_u8 v34, v[4:5], off offset:256
	s_waitcnt vmcnt(0)
	v_and_b32_e32 v34, 1, v34
	s_delay_alu instid0(VALU_DEP_1) | instskip(SKIP_2) | instid1(VALU_DEP_3)
	v_cmp_eq_u32_e64 s0, 1, v34
	v_mov_b32_e32 v34, 0
	v_mov_b32_e32 v35, 0
	s_xor_b32 s0, s0, -1
	s_delay_alu instid0(SALU_CYCLE_1)
	s_and_saveexec_b32 s31, s0
	s_cbranch_execz .LBB692_115
; %bb.114:
	v_add_f64 v[34:35], v[40:41], -v[26:27]
	s_mov_b32 s0, 0x652b82fe
	s_mov_b32 s1, 0x3ff71547
	;; [unrolled: 1-line block ×4, first 2 shown]
	s_delay_alu instid0(VALU_DEP_1) | instskip(SKIP_2) | instid1(VALU_DEP_1)
	v_mul_f64 v[40:41], v[34:35], s[0:1]
	s_mov_b32 s0, 0xfefa39ef
	s_mov_b32 s1, 0xbfe62e42
	v_rndne_f64_e32 v[40:41], v[40:41]
	s_delay_alu instid0(VALU_DEP_1) | instskip(SKIP_3) | instid1(VALU_DEP_2)
	v_fma_f64 v[42:43], v[40:41], s[0:1], v[34:35]
	s_mov_b32 s0, 0x3b39803f
	s_mov_b32 s1, 0xbc7abc9e
	v_cvt_i32_f64_e32 v53, v[40:41]
	v_fma_f64 v[42:43], v[40:41], s[0:1], v[42:43]
	s_mov_b32 s0, 0xfca7ab0c
	s_mov_b32 s1, 0x3e928af3
	s_delay_alu instid0(VALU_DEP_1) | instid1(SALU_CYCLE_1)
	v_fma_f64 v[51:52], v[42:43], s[34:35], s[0:1]
	s_mov_b32 s0, 0x623fde64
	s_mov_b32 s1, 0x3ec71dee
	s_delay_alu instid0(VALU_DEP_1) | instid1(SALU_CYCLE_1)
	;; [unrolled: 4-line block ×9, first 2 shown]
	v_fma_f64 v[51:52], v[42:43], v[51:52], s[0:1]
	v_cmp_nlt_f64_e64 s0, 0x40900000, v[34:35]
	v_cmp_ngt_f64_e64 s1, 0xc090cc00, v[34:35]
	s_delay_alu instid0(VALU_DEP_3) | instskip(NEXT) | instid1(VALU_DEP_1)
	v_fma_f64 v[51:52], v[42:43], v[51:52], 1.0
	v_fma_f64 v[40:41], v[42:43], v[51:52], 1.0
	s_delay_alu instid0(VALU_DEP_1) | instskip(NEXT) | instid1(VALU_DEP_1)
	v_ldexp_f64 v[40:41], v[40:41], v53
	v_cndmask_b32_e64 v41, 0x7ff00000, v41, s0
	s_and_b32 s0, s1, s0
	s_delay_alu instid0(VALU_DEP_2) | instid1(SALU_CYCLE_1)
	v_cndmask_b32_e64 v34, 0, v40, s0
	s_delay_alu instid0(VALU_DEP_2) | instskip(NEXT) | instid1(VALU_DEP_1)
	v_cndmask_b32_e64 v35, 0, v41, s1
	v_add_f64 v[24:25], v[24:25], v[34:35]
.LBB692_115:
	s_or_b32 exec_lo, exec_lo, s31
.LBB692_116:
	s_delay_alu instid0(SALU_CYCLE_1) | instskip(SKIP_2) | instid1(VALU_DEP_1)
	s_or_b32 exec_lo, exec_lo, s17
	v_mov_b32_e32 v40, 0
	v_mov_b32_e32 v41, 0
	v_dual_mov_b32 v43, v41 :: v_dual_mov_b32 v42, v40
	s_and_saveexec_b32 s17, s30
	s_cbranch_execz .LBB692_120
; %bb.117:
	global_load_u8 v42, v[4:5], off offset:320
	s_waitcnt vmcnt(0)
	v_and_b32_e32 v42, 1, v42
	s_delay_alu instid0(VALU_DEP_1) | instskip(SKIP_2) | instid1(VALU_DEP_3)
	v_cmp_eq_u32_e64 s0, 1, v42
	v_mov_b32_e32 v42, 0
	v_mov_b32_e32 v43, 0
	s_xor_b32 s0, s0, -1
	s_delay_alu instid0(SALU_CYCLE_1)
	s_and_saveexec_b32 s30, s0
	s_cbranch_execz .LBB692_119
; %bb.118:
	v_add_f64 v[38:39], v[38:39], -v[26:27]
	s_mov_b32 s0, 0x652b82fe
	s_mov_b32 s1, 0x3ff71547
	;; [unrolled: 1-line block ×4, first 2 shown]
	s_delay_alu instid0(VALU_DEP_1) | instskip(SKIP_2) | instid1(VALU_DEP_1)
	v_mul_f64 v[42:43], v[38:39], s[0:1]
	s_mov_b32 s0, 0xfefa39ef
	s_mov_b32 s1, 0xbfe62e42
	v_rndne_f64_e32 v[42:43], v[42:43]
	s_delay_alu instid0(VALU_DEP_1) | instskip(SKIP_3) | instid1(VALU_DEP_2)
	v_fma_f64 v[51:52], v[42:43], s[0:1], v[38:39]
	s_mov_b32 s0, 0x3b39803f
	s_mov_b32 s1, 0xbc7abc9e
	v_cvt_i32_f64_e32 v55, v[42:43]
	v_fma_f64 v[51:52], v[42:43], s[0:1], v[51:52]
	s_mov_b32 s0, 0xfca7ab0c
	s_mov_b32 s1, 0x3e928af3
	s_delay_alu instid0(VALU_DEP_1) | instid1(SALU_CYCLE_1)
	v_fma_f64 v[53:54], v[51:52], s[34:35], s[0:1]
	s_mov_b32 s0, 0x623fde64
	s_mov_b32 s1, 0x3ec71dee
	s_delay_alu instid0(VALU_DEP_1) | instid1(SALU_CYCLE_1)
	;; [unrolled: 4-line block ×9, first 2 shown]
	v_fma_f64 v[53:54], v[51:52], v[53:54], s[0:1]
	v_cmp_nlt_f64_e64 s0, 0x40900000, v[38:39]
	v_cmp_ngt_f64_e64 s1, 0xc090cc00, v[38:39]
	s_delay_alu instid0(VALU_DEP_3) | instskip(NEXT) | instid1(VALU_DEP_1)
	v_fma_f64 v[53:54], v[51:52], v[53:54], 1.0
	v_fma_f64 v[42:43], v[51:52], v[53:54], 1.0
	s_delay_alu instid0(VALU_DEP_1) | instskip(NEXT) | instid1(VALU_DEP_1)
	v_ldexp_f64 v[42:43], v[42:43], v55
	v_cndmask_b32_e64 v43, 0x7ff00000, v43, s0
	s_and_b32 s0, s1, s0
	s_delay_alu instid0(VALU_DEP_2) | instid1(SALU_CYCLE_1)
	v_cndmask_b32_e64 v42, 0, v42, s0
	s_delay_alu instid0(VALU_DEP_2) | instskip(NEXT) | instid1(VALU_DEP_1)
	v_cndmask_b32_e64 v43, 0, v43, s1
	v_add_f64 v[24:25], v[24:25], v[42:43]
.LBB692_119:
	s_or_b32 exec_lo, exec_lo, s30
.LBB692_120:
	s_delay_alu instid0(SALU_CYCLE_1)
	s_or_b32 exec_lo, exec_lo, s17
	s_and_saveexec_b32 s17, s29
	s_cbranch_execz .LBB692_124
; %bb.121:
	global_load_u8 v38, v[4:5], off offset:384
	v_mov_b32_e32 v40, 0
	s_waitcnt vmcnt(0)
	v_dual_mov_b32 v41, 0 :: v_dual_and_b32 v38, 1, v38
	s_delay_alu instid0(VALU_DEP_1) | instskip(NEXT) | instid1(VALU_DEP_1)
	v_cmp_eq_u32_e64 s0, 1, v38
	s_xor_b32 s0, s0, -1
	s_delay_alu instid0(SALU_CYCLE_1)
	s_and_saveexec_b32 s29, s0
	s_cbranch_execz .LBB692_123
; %bb.122:
	v_add_f64 v[32:33], v[32:33], -v[26:27]
	s_mov_b32 s0, 0x652b82fe
	s_mov_b32 s1, 0x3ff71547
	;; [unrolled: 1-line block ×4, first 2 shown]
	s_delay_alu instid0(VALU_DEP_1) | instskip(SKIP_2) | instid1(VALU_DEP_1)
	v_mul_f64 v[38:39], v[32:33], s[0:1]
	s_mov_b32 s0, 0xfefa39ef
	s_mov_b32 s1, 0xbfe62e42
	v_rndne_f64_e32 v[38:39], v[38:39]
	s_delay_alu instid0(VALU_DEP_1) | instskip(SKIP_3) | instid1(VALU_DEP_2)
	v_fma_f64 v[40:41], v[38:39], s[0:1], v[32:33]
	s_mov_b32 s0, 0x3b39803f
	s_mov_b32 s1, 0xbc7abc9e
	v_cvt_i32_f64_e32 v53, v[38:39]
	v_fma_f64 v[40:41], v[38:39], s[0:1], v[40:41]
	s_mov_b32 s0, 0xfca7ab0c
	s_mov_b32 s1, 0x3e928af3
	s_delay_alu instid0(VALU_DEP_1) | instid1(SALU_CYCLE_1)
	v_fma_f64 v[51:52], v[40:41], s[30:31], s[0:1]
	s_mov_b32 s0, 0x623fde64
	s_mov_b32 s1, 0x3ec71dee
	s_delay_alu instid0(VALU_DEP_1) | instid1(SALU_CYCLE_1)
	;; [unrolled: 4-line block ×9, first 2 shown]
	v_fma_f64 v[51:52], v[40:41], v[51:52], s[0:1]
	v_cmp_nlt_f64_e64 s0, 0x40900000, v[32:33]
	v_cmp_ngt_f64_e64 s1, 0xc090cc00, v[32:33]
	s_delay_alu instid0(VALU_DEP_3) | instskip(NEXT) | instid1(VALU_DEP_1)
	v_fma_f64 v[51:52], v[40:41], v[51:52], 1.0
	v_fma_f64 v[38:39], v[40:41], v[51:52], 1.0
	s_delay_alu instid0(VALU_DEP_1) | instskip(NEXT) | instid1(VALU_DEP_1)
	v_ldexp_f64 v[38:39], v[38:39], v53
	v_cndmask_b32_e64 v39, 0x7ff00000, v39, s0
	s_and_b32 s0, s1, s0
	s_delay_alu instid0(VALU_DEP_2) | instid1(SALU_CYCLE_1)
	v_cndmask_b32_e64 v40, 0, v38, s0
	s_delay_alu instid0(VALU_DEP_2) | instskip(NEXT) | instid1(VALU_DEP_1)
	v_cndmask_b32_e64 v41, 0, v39, s1
	v_add_f64 v[24:25], v[24:25], v[40:41]
.LBB692_123:
	s_or_b32 exec_lo, exec_lo, s29
.LBB692_124:
	s_delay_alu instid0(SALU_CYCLE_1) | instskip(SKIP_2) | instid1(VALU_DEP_1)
	s_or_b32 exec_lo, exec_lo, s17
	v_mov_b32_e32 v32, 0
	v_mov_b32_e32 v33, 0
	v_dual_mov_b32 v39, v33 :: v_dual_mov_b32 v38, v32
	s_and_saveexec_b32 s17, s28
	s_cbranch_execz .LBB692_128
; %bb.125:
	global_load_u8 v38, v[4:5], off offset:448
	s_waitcnt vmcnt(0)
	v_and_b32_e32 v38, 1, v38
	s_delay_alu instid0(VALU_DEP_1) | instskip(SKIP_2) | instid1(VALU_DEP_3)
	v_cmp_eq_u32_e64 s0, 1, v38
	v_mov_b32_e32 v38, 0
	v_mov_b32_e32 v39, 0
	s_xor_b32 s0, s0, -1
	s_delay_alu instid0(SALU_CYCLE_1)
	s_and_saveexec_b32 s28, s0
	s_cbranch_execz .LBB692_127
; %bb.126:
	v_add_f64 v[30:31], v[30:31], -v[26:27]
	s_mov_b32 s0, 0x652b82fe
	s_mov_b32 s1, 0x3ff71547
	;; [unrolled: 1-line block ×4, first 2 shown]
	s_delay_alu instid0(VALU_DEP_1) | instskip(SKIP_2) | instid1(VALU_DEP_1)
	v_mul_f64 v[38:39], v[30:31], s[0:1]
	s_mov_b32 s0, 0xfefa39ef
	s_mov_b32 s1, 0xbfe62e42
	v_rndne_f64_e32 v[38:39], v[38:39]
	s_delay_alu instid0(VALU_DEP_1) | instskip(SKIP_3) | instid1(VALU_DEP_2)
	v_fma_f64 v[51:52], v[38:39], s[0:1], v[30:31]
	s_mov_b32 s0, 0x3b39803f
	s_mov_b32 s1, 0xbc7abc9e
	v_cvt_i32_f64_e32 v55, v[38:39]
	v_fma_f64 v[51:52], v[38:39], s[0:1], v[51:52]
	s_mov_b32 s0, 0xfca7ab0c
	s_mov_b32 s1, 0x3e928af3
	s_delay_alu instid0(VALU_DEP_1) | instid1(SALU_CYCLE_1)
	v_fma_f64 v[53:54], v[51:52], s[30:31], s[0:1]
	s_mov_b32 s0, 0x623fde64
	s_mov_b32 s1, 0x3ec71dee
	s_delay_alu instid0(VALU_DEP_1) | instid1(SALU_CYCLE_1)
	;; [unrolled: 4-line block ×9, first 2 shown]
	v_fma_f64 v[53:54], v[51:52], v[53:54], s[0:1]
	v_cmp_nlt_f64_e64 s0, 0x40900000, v[30:31]
	v_cmp_ngt_f64_e64 s1, 0xc090cc00, v[30:31]
	s_delay_alu instid0(VALU_DEP_3) | instskip(NEXT) | instid1(VALU_DEP_1)
	v_fma_f64 v[53:54], v[51:52], v[53:54], 1.0
	v_fma_f64 v[38:39], v[51:52], v[53:54], 1.0
	s_delay_alu instid0(VALU_DEP_1) | instskip(NEXT) | instid1(VALU_DEP_1)
	v_ldexp_f64 v[38:39], v[38:39], v55
	v_cndmask_b32_e64 v39, 0x7ff00000, v39, s0
	s_and_b32 s0, s1, s0
	s_delay_alu instid0(VALU_DEP_2) | instid1(SALU_CYCLE_1)
	v_cndmask_b32_e64 v38, 0, v38, s0
	s_delay_alu instid0(VALU_DEP_2) | instskip(NEXT) | instid1(VALU_DEP_1)
	v_cndmask_b32_e64 v39, 0, v39, s1
	v_add_f64 v[24:25], v[24:25], v[38:39]
.LBB692_127:
	s_or_b32 exec_lo, exec_lo, s28
.LBB692_128:
	s_delay_alu instid0(SALU_CYCLE_1)
	s_or_b32 exec_lo, exec_lo, s17
	s_and_saveexec_b32 s17, s27
	s_cbranch_execz .LBB692_132
; %bb.129:
	global_load_u8 v30, v[4:5], off offset:512
	v_mov_b32_e32 v32, 0
	s_waitcnt vmcnt(0)
	v_dual_mov_b32 v33, 0 :: v_dual_and_b32 v30, 1, v30
	s_delay_alu instid0(VALU_DEP_1) | instskip(NEXT) | instid1(VALU_DEP_1)
	v_cmp_eq_u32_e64 s0, 1, v30
	s_xor_b32 s0, s0, -1
	s_delay_alu instid0(SALU_CYCLE_1)
	s_and_saveexec_b32 s27, s0
	s_cbranch_execz .LBB692_131
; %bb.130:
	v_add_f64 v[22:23], v[22:23], -v[26:27]
	s_mov_b32 s0, 0x652b82fe
	s_mov_b32 s1, 0x3ff71547
	;; [unrolled: 1-line block ×4, first 2 shown]
	s_delay_alu instid0(VALU_DEP_1) | instskip(SKIP_2) | instid1(VALU_DEP_1)
	v_mul_f64 v[30:31], v[22:23], s[0:1]
	s_mov_b32 s0, 0xfefa39ef
	s_mov_b32 s1, 0xbfe62e42
	v_rndne_f64_e32 v[30:31], v[30:31]
	s_delay_alu instid0(VALU_DEP_1) | instskip(SKIP_3) | instid1(VALU_DEP_2)
	v_fma_f64 v[32:33], v[30:31], s[0:1], v[22:23]
	s_mov_b32 s0, 0x3b39803f
	s_mov_b32 s1, 0xbc7abc9e
	v_cvt_i32_f64_e32 v53, v[30:31]
	v_fma_f64 v[32:33], v[30:31], s[0:1], v[32:33]
	s_mov_b32 s0, 0xfca7ab0c
	s_mov_b32 s1, 0x3e928af3
	s_delay_alu instid0(VALU_DEP_1) | instid1(SALU_CYCLE_1)
	v_fma_f64 v[51:52], v[32:33], s[28:29], s[0:1]
	s_mov_b32 s0, 0x623fde64
	s_mov_b32 s1, 0x3ec71dee
	s_delay_alu instid0(VALU_DEP_1) | instid1(SALU_CYCLE_1)
	;; [unrolled: 4-line block ×9, first 2 shown]
	v_fma_f64 v[51:52], v[32:33], v[51:52], s[0:1]
	v_cmp_nlt_f64_e64 s0, 0x40900000, v[22:23]
	v_cmp_ngt_f64_e64 s1, 0xc090cc00, v[22:23]
	s_delay_alu instid0(VALU_DEP_3) | instskip(NEXT) | instid1(VALU_DEP_1)
	v_fma_f64 v[51:52], v[32:33], v[51:52], 1.0
	v_fma_f64 v[30:31], v[32:33], v[51:52], 1.0
	s_delay_alu instid0(VALU_DEP_1) | instskip(NEXT) | instid1(VALU_DEP_1)
	v_ldexp_f64 v[30:31], v[30:31], v53
	v_cndmask_b32_e64 v31, 0x7ff00000, v31, s0
	s_and_b32 s0, s1, s0
	s_delay_alu instid0(VALU_DEP_2) | instid1(SALU_CYCLE_1)
	v_cndmask_b32_e64 v32, 0, v30, s0
	s_delay_alu instid0(VALU_DEP_2) | instskip(NEXT) | instid1(VALU_DEP_1)
	v_cndmask_b32_e64 v33, 0, v31, s1
	v_add_f64 v[24:25], v[24:25], v[32:33]
.LBB692_131:
	s_or_b32 exec_lo, exec_lo, s27
.LBB692_132:
	s_delay_alu instid0(SALU_CYCLE_1) | instskip(SKIP_2) | instid1(VALU_DEP_1)
	s_or_b32 exec_lo, exec_lo, s17
	v_mov_b32_e32 v22, 0
	v_mov_b32_e32 v23, 0
	v_dual_mov_b32 v31, v23 :: v_dual_mov_b32 v30, v22
	s_and_saveexec_b32 s17, s26
	s_cbranch_execz .LBB692_136
; %bb.133:
	global_load_u8 v30, v[4:5], off offset:576
	s_waitcnt vmcnt(0)
	v_and_b32_e32 v30, 1, v30
	s_delay_alu instid0(VALU_DEP_1) | instskip(SKIP_2) | instid1(VALU_DEP_3)
	v_cmp_eq_u32_e64 s0, 1, v30
	v_mov_b32_e32 v30, 0
	v_mov_b32_e32 v31, 0
	s_xor_b32 s0, s0, -1
	s_delay_alu instid0(SALU_CYCLE_1)
	s_and_saveexec_b32 s26, s0
	s_cbranch_execz .LBB692_135
; %bb.134:
	v_add_f64 v[16:17], v[16:17], -v[26:27]
	s_mov_b32 s0, 0x652b82fe
	s_mov_b32 s1, 0x3ff71547
	;; [unrolled: 1-line block ×4, first 2 shown]
	s_delay_alu instid0(VALU_DEP_1) | instskip(SKIP_2) | instid1(VALU_DEP_1)
	v_mul_f64 v[30:31], v[16:17], s[0:1]
	s_mov_b32 s0, 0xfefa39ef
	s_mov_b32 s1, 0xbfe62e42
	v_rndne_f64_e32 v[30:31], v[30:31]
	s_delay_alu instid0(VALU_DEP_1) | instskip(SKIP_3) | instid1(VALU_DEP_2)
	v_fma_f64 v[51:52], v[30:31], s[0:1], v[16:17]
	s_mov_b32 s0, 0x3b39803f
	s_mov_b32 s1, 0xbc7abc9e
	v_cvt_i32_f64_e32 v55, v[30:31]
	v_fma_f64 v[51:52], v[30:31], s[0:1], v[51:52]
	s_mov_b32 s0, 0xfca7ab0c
	s_mov_b32 s1, 0x3e928af3
	s_delay_alu instid0(VALU_DEP_1) | instid1(SALU_CYCLE_1)
	v_fma_f64 v[53:54], v[51:52], s[28:29], s[0:1]
	s_mov_b32 s0, 0x623fde64
	s_mov_b32 s1, 0x3ec71dee
	s_delay_alu instid0(VALU_DEP_1) | instid1(SALU_CYCLE_1)
	;; [unrolled: 4-line block ×9, first 2 shown]
	v_fma_f64 v[53:54], v[51:52], v[53:54], s[0:1]
	v_cmp_nlt_f64_e64 s0, 0x40900000, v[16:17]
	v_cmp_ngt_f64_e64 s1, 0xc090cc00, v[16:17]
	s_delay_alu instid0(VALU_DEP_3) | instskip(NEXT) | instid1(VALU_DEP_1)
	v_fma_f64 v[53:54], v[51:52], v[53:54], 1.0
	v_fma_f64 v[30:31], v[51:52], v[53:54], 1.0
	s_delay_alu instid0(VALU_DEP_1) | instskip(NEXT) | instid1(VALU_DEP_1)
	v_ldexp_f64 v[30:31], v[30:31], v55
	v_cndmask_b32_e64 v31, 0x7ff00000, v31, s0
	s_and_b32 s0, s1, s0
	s_delay_alu instid0(VALU_DEP_2) | instid1(SALU_CYCLE_1)
	v_cndmask_b32_e64 v30, 0, v30, s0
	s_delay_alu instid0(VALU_DEP_2) | instskip(NEXT) | instid1(VALU_DEP_1)
	v_cndmask_b32_e64 v31, 0, v31, s1
	v_add_f64 v[24:25], v[24:25], v[30:31]
.LBB692_135:
	s_or_b32 exec_lo, exec_lo, s26
.LBB692_136:
	s_delay_alu instid0(SALU_CYCLE_1)
	s_or_b32 exec_lo, exec_lo, s17
	s_and_saveexec_b32 s17, s25
	s_cbranch_execz .LBB692_140
; %bb.137:
	global_load_u8 v16, v[4:5], off offset:640
	v_mov_b32_e32 v22, 0
	s_waitcnt vmcnt(0)
	v_dual_mov_b32 v23, 0 :: v_dual_and_b32 v16, 1, v16
	s_delay_alu instid0(VALU_DEP_1) | instskip(NEXT) | instid1(VALU_DEP_1)
	v_cmp_eq_u32_e64 s0, 1, v16
	s_xor_b32 s0, s0, -1
	s_delay_alu instid0(SALU_CYCLE_1)
	s_and_saveexec_b32 s25, s0
	s_cbranch_execz .LBB692_139
; %bb.138:
	v_add_f64 v[14:15], v[14:15], -v[26:27]
	s_mov_b32 s0, 0x652b82fe
	s_mov_b32 s1, 0x3ff71547
	;; [unrolled: 1-line block ×4, first 2 shown]
	s_delay_alu instid0(VALU_DEP_1) | instskip(SKIP_2) | instid1(VALU_DEP_1)
	v_mul_f64 v[16:17], v[14:15], s[0:1]
	s_mov_b32 s0, 0xfefa39ef
	s_mov_b32 s1, 0xbfe62e42
	v_rndne_f64_e32 v[16:17], v[16:17]
	s_delay_alu instid0(VALU_DEP_1) | instskip(SKIP_3) | instid1(VALU_DEP_2)
	v_fma_f64 v[22:23], v[16:17], s[0:1], v[14:15]
	s_mov_b32 s0, 0x3b39803f
	s_mov_b32 s1, 0xbc7abc9e
	v_cvt_i32_f64_e32 v53, v[16:17]
	v_fma_f64 v[22:23], v[16:17], s[0:1], v[22:23]
	s_mov_b32 s0, 0xfca7ab0c
	s_mov_b32 s1, 0x3e928af3
	s_delay_alu instid0(VALU_DEP_1) | instid1(SALU_CYCLE_1)
	v_fma_f64 v[51:52], v[22:23], s[26:27], s[0:1]
	s_mov_b32 s0, 0x623fde64
	s_mov_b32 s1, 0x3ec71dee
	s_delay_alu instid0(VALU_DEP_1) | instid1(SALU_CYCLE_1)
	;; [unrolled: 4-line block ×9, first 2 shown]
	v_fma_f64 v[51:52], v[22:23], v[51:52], s[0:1]
	v_cmp_nlt_f64_e64 s0, 0x40900000, v[14:15]
	v_cmp_ngt_f64_e64 s1, 0xc090cc00, v[14:15]
	s_delay_alu instid0(VALU_DEP_3) | instskip(NEXT) | instid1(VALU_DEP_1)
	v_fma_f64 v[51:52], v[22:23], v[51:52], 1.0
	v_fma_f64 v[16:17], v[22:23], v[51:52], 1.0
	s_delay_alu instid0(VALU_DEP_1) | instskip(NEXT) | instid1(VALU_DEP_1)
	v_ldexp_f64 v[16:17], v[16:17], v53
	v_cndmask_b32_e64 v17, 0x7ff00000, v17, s0
	s_and_b32 s0, s1, s0
	s_delay_alu instid0(VALU_DEP_2) | instid1(SALU_CYCLE_1)
	v_cndmask_b32_e64 v22, 0, v16, s0
	s_delay_alu instid0(VALU_DEP_2) | instskip(NEXT) | instid1(VALU_DEP_1)
	v_cndmask_b32_e64 v23, 0, v17, s1
	v_add_f64 v[24:25], v[24:25], v[22:23]
.LBB692_139:
	s_or_b32 exec_lo, exec_lo, s25
.LBB692_140:
	s_delay_alu instid0(SALU_CYCLE_1) | instskip(SKIP_2) | instid1(VALU_DEP_1)
	s_or_b32 exec_lo, exec_lo, s17
	v_mov_b32_e32 v14, 0
	v_mov_b32_e32 v15, 0
	v_dual_mov_b32 v17, v15 :: v_dual_mov_b32 v16, v14
	s_and_saveexec_b32 s17, s24
	s_cbranch_execz .LBB692_144
; %bb.141:
	global_load_u8 v16, v[4:5], off offset:704
	s_waitcnt vmcnt(0)
	v_and_b32_e32 v16, 1, v16
	s_delay_alu instid0(VALU_DEP_1) | instskip(SKIP_2) | instid1(VALU_DEP_3)
	v_cmp_eq_u32_e64 s0, 1, v16
	v_mov_b32_e32 v16, 0
	v_mov_b32_e32 v17, 0
	s_xor_b32 s0, s0, -1
	s_delay_alu instid0(SALU_CYCLE_1)
	s_and_saveexec_b32 s24, s0
	s_cbranch_execz .LBB692_143
; %bb.142:
	v_add_f64 v[12:13], v[12:13], -v[26:27]
	s_mov_b32 s0, 0x652b82fe
	s_mov_b32 s1, 0x3ff71547
	;; [unrolled: 1-line block ×4, first 2 shown]
	s_delay_alu instid0(VALU_DEP_1) | instskip(SKIP_2) | instid1(VALU_DEP_1)
	v_mul_f64 v[16:17], v[12:13], s[0:1]
	s_mov_b32 s0, 0xfefa39ef
	s_mov_b32 s1, 0xbfe62e42
	v_rndne_f64_e32 v[16:17], v[16:17]
	s_delay_alu instid0(VALU_DEP_1) | instskip(SKIP_3) | instid1(VALU_DEP_2)
	v_fma_f64 v[51:52], v[16:17], s[0:1], v[12:13]
	s_mov_b32 s0, 0x3b39803f
	s_mov_b32 s1, 0xbc7abc9e
	v_cvt_i32_f64_e32 v55, v[16:17]
	v_fma_f64 v[51:52], v[16:17], s[0:1], v[51:52]
	s_mov_b32 s0, 0xfca7ab0c
	s_mov_b32 s1, 0x3e928af3
	s_delay_alu instid0(VALU_DEP_1) | instid1(SALU_CYCLE_1)
	v_fma_f64 v[53:54], v[51:52], s[26:27], s[0:1]
	s_mov_b32 s0, 0x623fde64
	s_mov_b32 s1, 0x3ec71dee
	s_delay_alu instid0(VALU_DEP_1) | instid1(SALU_CYCLE_1)
	;; [unrolled: 4-line block ×9, first 2 shown]
	v_fma_f64 v[53:54], v[51:52], v[53:54], s[0:1]
	v_cmp_nlt_f64_e64 s0, 0x40900000, v[12:13]
	v_cmp_ngt_f64_e64 s1, 0xc090cc00, v[12:13]
	s_delay_alu instid0(VALU_DEP_3) | instskip(NEXT) | instid1(VALU_DEP_1)
	v_fma_f64 v[53:54], v[51:52], v[53:54], 1.0
	v_fma_f64 v[16:17], v[51:52], v[53:54], 1.0
	s_delay_alu instid0(VALU_DEP_1) | instskip(NEXT) | instid1(VALU_DEP_1)
	v_ldexp_f64 v[16:17], v[16:17], v55
	v_cndmask_b32_e64 v17, 0x7ff00000, v17, s0
	s_and_b32 s0, s1, s0
	s_delay_alu instid0(VALU_DEP_2) | instid1(SALU_CYCLE_1)
	v_cndmask_b32_e64 v16, 0, v16, s0
	s_delay_alu instid0(VALU_DEP_2) | instskip(NEXT) | instid1(VALU_DEP_1)
	v_cndmask_b32_e64 v17, 0, v17, s1
	v_add_f64 v[24:25], v[24:25], v[16:17]
.LBB692_143:
	s_or_b32 exec_lo, exec_lo, s24
.LBB692_144:
	s_delay_alu instid0(SALU_CYCLE_1)
	s_or_b32 exec_lo, exec_lo, s17
	s_and_saveexec_b32 s17, s23
	s_cbranch_execz .LBB692_148
; %bb.145:
	global_load_u8 v12, v[4:5], off offset:768
	v_mov_b32_e32 v14, 0
	s_waitcnt vmcnt(0)
	v_dual_mov_b32 v15, 0 :: v_dual_and_b32 v12, 1, v12
	s_delay_alu instid0(VALU_DEP_1) | instskip(NEXT) | instid1(VALU_DEP_1)
	v_cmp_eq_u32_e64 s0, 1, v12
	s_xor_b32 s0, s0, -1
	s_delay_alu instid0(SALU_CYCLE_1)
	s_and_saveexec_b32 s23, s0
	s_cbranch_execz .LBB692_147
; %bb.146:
	v_add_f64 v[10:11], v[10:11], -v[26:27]
	s_mov_b32 s0, 0x652b82fe
	s_mov_b32 s1, 0x3ff71547
	;; [unrolled: 1-line block ×4, first 2 shown]
	s_delay_alu instid0(VALU_DEP_1) | instskip(SKIP_2) | instid1(VALU_DEP_1)
	v_mul_f64 v[12:13], v[10:11], s[0:1]
	s_mov_b32 s0, 0xfefa39ef
	s_mov_b32 s1, 0xbfe62e42
	v_rndne_f64_e32 v[12:13], v[12:13]
	s_delay_alu instid0(VALU_DEP_1) | instskip(SKIP_3) | instid1(VALU_DEP_2)
	v_fma_f64 v[14:15], v[12:13], s[0:1], v[10:11]
	s_mov_b32 s0, 0x3b39803f
	s_mov_b32 s1, 0xbc7abc9e
	v_cvt_i32_f64_e32 v53, v[12:13]
	v_fma_f64 v[14:15], v[12:13], s[0:1], v[14:15]
	s_mov_b32 s0, 0xfca7ab0c
	s_mov_b32 s1, 0x3e928af3
	s_delay_alu instid0(VALU_DEP_1) | instid1(SALU_CYCLE_1)
	v_fma_f64 v[51:52], v[14:15], s[24:25], s[0:1]
	s_mov_b32 s0, 0x623fde64
	s_mov_b32 s1, 0x3ec71dee
	s_delay_alu instid0(VALU_DEP_1) | instid1(SALU_CYCLE_1)
	;; [unrolled: 4-line block ×9, first 2 shown]
	v_fma_f64 v[51:52], v[14:15], v[51:52], s[0:1]
	v_cmp_nlt_f64_e64 s0, 0x40900000, v[10:11]
	v_cmp_ngt_f64_e64 s1, 0xc090cc00, v[10:11]
	s_delay_alu instid0(VALU_DEP_3) | instskip(NEXT) | instid1(VALU_DEP_1)
	v_fma_f64 v[51:52], v[14:15], v[51:52], 1.0
	v_fma_f64 v[12:13], v[14:15], v[51:52], 1.0
	s_delay_alu instid0(VALU_DEP_1) | instskip(NEXT) | instid1(VALU_DEP_1)
	v_ldexp_f64 v[12:13], v[12:13], v53
	v_cndmask_b32_e64 v13, 0x7ff00000, v13, s0
	s_and_b32 s0, s1, s0
	s_delay_alu instid0(VALU_DEP_2) | instid1(SALU_CYCLE_1)
	v_cndmask_b32_e64 v14, 0, v12, s0
	s_delay_alu instid0(VALU_DEP_2) | instskip(NEXT) | instid1(VALU_DEP_1)
	v_cndmask_b32_e64 v15, 0, v13, s1
	v_add_f64 v[24:25], v[24:25], v[14:15]
.LBB692_147:
	s_or_b32 exec_lo, exec_lo, s23
.LBB692_148:
	s_delay_alu instid0(SALU_CYCLE_1) | instskip(SKIP_2) | instid1(VALU_DEP_1)
	s_or_b32 exec_lo, exec_lo, s17
	v_mov_b32_e32 v10, 0
	v_mov_b32_e32 v11, 0
	v_dual_mov_b32 v13, v11 :: v_dual_mov_b32 v12, v10
	s_and_saveexec_b32 s17, s22
	s_cbranch_execz .LBB692_152
; %bb.149:
	global_load_u8 v12, v[4:5], off offset:832
	s_waitcnt vmcnt(0)
	v_and_b32_e32 v12, 1, v12
	s_delay_alu instid0(VALU_DEP_1) | instskip(SKIP_2) | instid1(VALU_DEP_3)
	v_cmp_eq_u32_e64 s0, 1, v12
	v_mov_b32_e32 v12, 0
	v_mov_b32_e32 v13, 0
	s_xor_b32 s0, s0, -1
	s_delay_alu instid0(SALU_CYCLE_1)
	s_and_saveexec_b32 s22, s0
	s_cbranch_execz .LBB692_151
; %bb.150:
	v_add_f64 v[8:9], v[8:9], -v[26:27]
	s_mov_b32 s0, 0x652b82fe
	s_mov_b32 s1, 0x3ff71547
	;; [unrolled: 1-line block ×4, first 2 shown]
	s_delay_alu instid0(VALU_DEP_1) | instskip(SKIP_2) | instid1(VALU_DEP_1)
	v_mul_f64 v[12:13], v[8:9], s[0:1]
	s_mov_b32 s0, 0xfefa39ef
	s_mov_b32 s1, 0xbfe62e42
	v_rndne_f64_e32 v[12:13], v[12:13]
	s_delay_alu instid0(VALU_DEP_1) | instskip(SKIP_3) | instid1(VALU_DEP_2)
	v_fma_f64 v[51:52], v[12:13], s[0:1], v[8:9]
	s_mov_b32 s0, 0x3b39803f
	s_mov_b32 s1, 0xbc7abc9e
	v_cvt_i32_f64_e32 v55, v[12:13]
	v_fma_f64 v[51:52], v[12:13], s[0:1], v[51:52]
	s_mov_b32 s0, 0xfca7ab0c
	s_mov_b32 s1, 0x3e928af3
	s_delay_alu instid0(VALU_DEP_1) | instid1(SALU_CYCLE_1)
	v_fma_f64 v[53:54], v[51:52], s[24:25], s[0:1]
	s_mov_b32 s0, 0x623fde64
	s_mov_b32 s1, 0x3ec71dee
	s_delay_alu instid0(VALU_DEP_1) | instid1(SALU_CYCLE_1)
	;; [unrolled: 4-line block ×9, first 2 shown]
	v_fma_f64 v[53:54], v[51:52], v[53:54], s[0:1]
	v_cmp_nlt_f64_e64 s0, 0x40900000, v[8:9]
	v_cmp_ngt_f64_e64 s1, 0xc090cc00, v[8:9]
	s_delay_alu instid0(VALU_DEP_3) | instskip(NEXT) | instid1(VALU_DEP_1)
	v_fma_f64 v[53:54], v[51:52], v[53:54], 1.0
	v_fma_f64 v[12:13], v[51:52], v[53:54], 1.0
	s_delay_alu instid0(VALU_DEP_1) | instskip(NEXT) | instid1(VALU_DEP_1)
	v_ldexp_f64 v[12:13], v[12:13], v55
	v_cndmask_b32_e64 v13, 0x7ff00000, v13, s0
	s_and_b32 s0, s1, s0
	s_delay_alu instid0(VALU_DEP_2) | instid1(SALU_CYCLE_1)
	v_cndmask_b32_e64 v12, 0, v12, s0
	s_delay_alu instid0(VALU_DEP_2) | instskip(NEXT) | instid1(VALU_DEP_1)
	v_cndmask_b32_e64 v13, 0, v13, s1
	v_add_f64 v[24:25], v[24:25], v[12:13]
.LBB692_151:
	s_or_b32 exec_lo, exec_lo, s22
.LBB692_152:
	s_delay_alu instid0(SALU_CYCLE_1)
	s_or_b32 exec_lo, exec_lo, s17
	s_and_saveexec_b32 s17, s19
	s_cbranch_execz .LBB692_156
; %bb.153:
	global_load_u8 v8, v[4:5], off offset:896
	v_mov_b32_e32 v10, 0
	s_waitcnt vmcnt(0)
	v_dual_mov_b32 v11, 0 :: v_dual_and_b32 v8, 1, v8
	s_delay_alu instid0(VALU_DEP_1) | instskip(NEXT) | instid1(VALU_DEP_1)
	v_cmp_eq_u32_e64 s0, 1, v8
	s_xor_b32 s0, s0, -1
	s_delay_alu instid0(SALU_CYCLE_1)
	s_and_saveexec_b32 s19, s0
	s_cbranch_execz .LBB692_155
; %bb.154:
	v_add_f64 v[6:7], v[6:7], -v[26:27]
	s_mov_b32 s0, 0x652b82fe
	s_mov_b32 s1, 0x3ff71547
	;; [unrolled: 1-line block ×4, first 2 shown]
	s_delay_alu instid0(VALU_DEP_1) | instskip(SKIP_2) | instid1(VALU_DEP_1)
	v_mul_f64 v[8:9], v[6:7], s[0:1]
	s_mov_b32 s0, 0xfefa39ef
	s_mov_b32 s1, 0xbfe62e42
	v_rndne_f64_e32 v[8:9], v[8:9]
	s_delay_alu instid0(VALU_DEP_1) | instskip(SKIP_3) | instid1(VALU_DEP_2)
	v_fma_f64 v[10:11], v[8:9], s[0:1], v[6:7]
	s_mov_b32 s0, 0x3b39803f
	s_mov_b32 s1, 0xbc7abc9e
	v_cvt_i32_f64_e32 v53, v[8:9]
	v_fma_f64 v[10:11], v[8:9], s[0:1], v[10:11]
	s_mov_b32 s0, 0xfca7ab0c
	s_mov_b32 s1, 0x3e928af3
	s_delay_alu instid0(VALU_DEP_1) | instid1(SALU_CYCLE_1)
	v_fma_f64 v[51:52], v[10:11], s[22:23], s[0:1]
	s_mov_b32 s0, 0x623fde64
	s_mov_b32 s1, 0x3ec71dee
	s_delay_alu instid0(VALU_DEP_1) | instid1(SALU_CYCLE_1)
	;; [unrolled: 4-line block ×9, first 2 shown]
	v_fma_f64 v[51:52], v[10:11], v[51:52], s[0:1]
	v_cmp_nlt_f64_e64 s0, 0x40900000, v[6:7]
	v_cmp_ngt_f64_e64 s1, 0xc090cc00, v[6:7]
	s_delay_alu instid0(VALU_DEP_3) | instskip(NEXT) | instid1(VALU_DEP_1)
	v_fma_f64 v[51:52], v[10:11], v[51:52], 1.0
	v_fma_f64 v[8:9], v[10:11], v[51:52], 1.0
	s_delay_alu instid0(VALU_DEP_1) | instskip(NEXT) | instid1(VALU_DEP_1)
	v_ldexp_f64 v[8:9], v[8:9], v53
	v_cndmask_b32_e64 v9, 0x7ff00000, v9, s0
	s_and_b32 s0, s1, s0
	s_delay_alu instid0(VALU_DEP_2) | instid1(SALU_CYCLE_1)
	v_cndmask_b32_e64 v10, 0, v8, s0
	s_delay_alu instid0(VALU_DEP_2) | instskip(NEXT) | instid1(VALU_DEP_1)
	v_cndmask_b32_e64 v11, 0, v9, s1
	v_add_f64 v[24:25], v[24:25], v[10:11]
.LBB692_155:
	s_or_b32 exec_lo, exec_lo, s19
.LBB692_156:
	s_delay_alu instid0(SALU_CYCLE_1)
	s_or_b32 exec_lo, exec_lo, s17
	v_mov_b32_e32 v6, 0
	v_mov_b32_e32 v7, 0
	s_and_saveexec_b32 s17, s18
	s_cbranch_execz .LBB692_160
; %bb.157:
	global_load_u8 v4, v[4:5], off offset:960
	v_mov_b32_e32 v6, 0
	s_waitcnt vmcnt(0)
	v_dual_mov_b32 v7, 0 :: v_dual_and_b32 v4, 1, v4
	s_delay_alu instid0(VALU_DEP_1) | instskip(NEXT) | instid1(VALU_DEP_1)
	v_cmp_eq_u32_e64 s0, 1, v4
	s_xor_b32 s0, s0, -1
	s_delay_alu instid0(SALU_CYCLE_1)
	s_and_saveexec_b32 s18, s0
	s_cbranch_execz .LBB692_159
; %bb.158:
	v_add_f64 v[2:3], v[2:3], -v[26:27]
	s_mov_b32 s0, 0x652b82fe
	s_mov_b32 s1, 0x3ff71547
	;; [unrolled: 1-line block ×4, first 2 shown]
	s_delay_alu instid0(VALU_DEP_1) | instskip(SKIP_2) | instid1(VALU_DEP_1)
	v_mul_f64 v[4:5], v[2:3], s[0:1]
	s_mov_b32 s0, 0xfefa39ef
	s_mov_b32 s1, 0xbfe62e42
	v_rndne_f64_e32 v[4:5], v[4:5]
	s_delay_alu instid0(VALU_DEP_1) | instskip(SKIP_3) | instid1(VALU_DEP_2)
	v_fma_f64 v[6:7], v[4:5], s[0:1], v[2:3]
	s_mov_b32 s0, 0x3b39803f
	s_mov_b32 s1, 0xbc7abc9e
	v_cvt_i32_f64_e32 v26, v[4:5]
	v_fma_f64 v[6:7], v[4:5], s[0:1], v[6:7]
	s_mov_b32 s0, 0xfca7ab0c
	s_mov_b32 s1, 0x3e928af3
	s_delay_alu instid0(VALU_DEP_1) | instid1(SALU_CYCLE_1)
	v_fma_f64 v[8:9], v[6:7], s[22:23], s[0:1]
	s_mov_b32 s0, 0x623fde64
	s_mov_b32 s1, 0x3ec71dee
	s_delay_alu instid0(VALU_DEP_1) | instid1(SALU_CYCLE_1)
	;; [unrolled: 4-line block ×9, first 2 shown]
	v_fma_f64 v[8:9], v[6:7], v[8:9], s[0:1]
	v_cmp_nlt_f64_e64 s0, 0x40900000, v[2:3]
	v_cmp_ngt_f64_e64 s1, 0xc090cc00, v[2:3]
	s_delay_alu instid0(VALU_DEP_3) | instskip(NEXT) | instid1(VALU_DEP_1)
	v_fma_f64 v[8:9], v[6:7], v[8:9], 1.0
	v_fma_f64 v[4:5], v[6:7], v[8:9], 1.0
	s_delay_alu instid0(VALU_DEP_1) | instskip(NEXT) | instid1(VALU_DEP_1)
	v_ldexp_f64 v[4:5], v[4:5], v26
	v_cndmask_b32_e64 v5, 0x7ff00000, v5, s0
	s_and_b32 s0, s1, s0
	s_delay_alu instid0(VALU_DEP_2) | instid1(SALU_CYCLE_1)
	v_cndmask_b32_e64 v6, 0, v4, s0
	s_delay_alu instid0(VALU_DEP_2) | instskip(NEXT) | instid1(VALU_DEP_1)
	v_cndmask_b32_e64 v7, 0, v5, s1
	v_add_f64 v[24:25], v[24:25], v[6:7]
.LBB692_159:
	s_or_b32 exec_lo, exec_lo, s18
.LBB692_160:
	s_delay_alu instid0(SALU_CYCLE_1)
	s_or_b32 exec_lo, exec_lo, s17
	ds_bpermute_b32 v2, v45, v24
	ds_bpermute_b32 v3, v45, v25
	s_mov_b32 s1, exec_lo
	s_waitcnt lgkmcnt(0)
	v_add_f64 v[2:3], v[24:25], v[2:3]
	ds_bpermute_b32 v4, v46, v2
	ds_bpermute_b32 v5, v46, v3
	s_waitcnt lgkmcnt(0)
	v_add_f64 v[2:3], v[2:3], v[4:5]
	ds_bpermute_b32 v4, v47, v2
	ds_bpermute_b32 v5, v47, v3
	;; [unrolled: 4-line block ×5, first 2 shown]
	v_cmpx_lt_i32_e32 0, v44
	s_cbranch_execz .LBB692_178
; %bb.161:
	s_and_b32 exec_lo, exec_lo, vcc_lo
	s_cbranch_execz .LBB692_178
; %bb.162:
	s_waitcnt lgkmcnt(0)
	v_add_f64 v[2:3], v[2:3], v[4:5]
	s_delay_alu instid0(VALU_DEP_1) | instskip(SKIP_2) | instid1(VALU_DEP_3)
	v_div_scale_f64 v[4:5], null, v[2:3], v[2:3], v[20:21]
	v_div_scale_f64 v[26:27], vcc_lo, v[20:21], v[2:3], v[20:21]
	v_cmp_eq_f64_e64 s0, 0, v[2:3]
	v_rcp_f64_e32 v[8:9], v[4:5]
	s_waitcnt_depctr 0xfff
	v_fma_f64 v[24:25], -v[4:5], v[8:9], 1.0
	s_delay_alu instid0(VALU_DEP_1) | instskip(NEXT) | instid1(VALU_DEP_1)
	v_fma_f64 v[8:9], v[8:9], v[24:25], v[8:9]
	v_fma_f64 v[24:25], -v[4:5], v[8:9], 1.0
	s_delay_alu instid0(VALU_DEP_1) | instskip(NEXT) | instid1(VALU_DEP_1)
	v_fma_f64 v[8:9], v[8:9], v[24:25], v[8:9]
	v_mul_f64 v[24:25], v[26:27], v[8:9]
	s_delay_alu instid0(VALU_DEP_1) | instskip(NEXT) | instid1(VALU_DEP_1)
	v_fma_f64 v[4:5], -v[4:5], v[24:25], v[26:27]
	v_div_fmas_f64 v[4:5], v[4:5], v[8:9], v[24:25]
	v_add_co_u32 v0, vcc_lo, s20, v0
	v_add_co_ci_u32_e32 v1, vcc_lo, s21, v1, vcc_lo
	s_delay_alu instid0(VALU_DEP_3) | instskip(NEXT) | instid1(VALU_DEP_1)
	v_div_fixup_f64 v[4:5], v[4:5], v[2:3], v[20:21]
	v_cndmask_b32_e64 v5, v5, 0x7ff80000, s0
	s_delay_alu instid0(VALU_DEP_2)
	v_cndmask_b32_e64 v4, v4, 0, s0
	global_store_b64 v[0:1], v[4:5], off
	s_and_b32 exec_lo, exec_lo, s16
	s_cbranch_execz .LBB692_178
; %bb.163:
	v_div_scale_f64 v[4:5], null, v[2:3], v[2:3], v[28:29]
	v_div_scale_f64 v[24:25], vcc_lo, v[28:29], v[2:3], v[28:29]
	s_delay_alu instid0(VALU_DEP_2) | instskip(SKIP_2) | instid1(VALU_DEP_1)
	v_rcp_f64_e32 v[8:9], v[4:5]
	s_waitcnt_depctr 0xfff
	v_fma_f64 v[20:21], -v[4:5], v[8:9], 1.0
	v_fma_f64 v[8:9], v[8:9], v[20:21], v[8:9]
	s_delay_alu instid0(VALU_DEP_1) | instskip(NEXT) | instid1(VALU_DEP_1)
	v_fma_f64 v[20:21], -v[4:5], v[8:9], 1.0
	v_fma_f64 v[8:9], v[8:9], v[20:21], v[8:9]
	s_delay_alu instid0(VALU_DEP_1) | instskip(NEXT) | instid1(VALU_DEP_1)
	v_mul_f64 v[20:21], v[24:25], v[8:9]
	v_fma_f64 v[4:5], -v[4:5], v[20:21], v[24:25]
	s_delay_alu instid0(VALU_DEP_1) | instskip(NEXT) | instid1(VALU_DEP_1)
	v_div_fmas_f64 v[4:5], v[4:5], v[8:9], v[20:21]
	v_div_fixup_f64 v[4:5], v[4:5], v[2:3], v[28:29]
	s_delay_alu instid0(VALU_DEP_1) | instskip(NEXT) | instid1(VALU_DEP_2)
	v_cndmask_b32_e64 v5, v5, 0x7ff80000, s0
	v_cndmask_b32_e64 v4, v4, 0, s0
	global_store_b64 v[0:1], v[4:5], off offset:512
	s_and_b32 exec_lo, exec_lo, s15
	s_cbranch_execz .LBB692_178
; %bb.164:
	v_div_scale_f64 v[4:5], null, v[2:3], v[2:3], v[18:19]
	v_div_scale_f64 v[24:25], vcc_lo, v[18:19], v[2:3], v[18:19]
	s_delay_alu instid0(VALU_DEP_2) | instskip(SKIP_2) | instid1(VALU_DEP_1)
	v_rcp_f64_e32 v[8:9], v[4:5]
	s_waitcnt_depctr 0xfff
	v_fma_f64 v[20:21], -v[4:5], v[8:9], 1.0
	v_fma_f64 v[8:9], v[8:9], v[20:21], v[8:9]
	s_delay_alu instid0(VALU_DEP_1) | instskip(NEXT) | instid1(VALU_DEP_1)
	v_fma_f64 v[20:21], -v[4:5], v[8:9], 1.0
	v_fma_f64 v[8:9], v[8:9], v[20:21], v[8:9]
	s_delay_alu instid0(VALU_DEP_1) | instskip(NEXT) | instid1(VALU_DEP_1)
	v_mul_f64 v[20:21], v[24:25], v[8:9]
	v_fma_f64 v[4:5], -v[4:5], v[20:21], v[24:25]
	s_delay_alu instid0(VALU_DEP_1) | instskip(NEXT) | instid1(VALU_DEP_1)
	v_div_fmas_f64 v[4:5], v[4:5], v[8:9], v[20:21]
	v_div_fixup_f64 v[4:5], v[4:5], v[2:3], v[18:19]
	s_delay_alu instid0(VALU_DEP_1) | instskip(NEXT) | instid1(VALU_DEP_2)
	v_cndmask_b32_e64 v5, v5, 0x7ff80000, s0
	v_cndmask_b32_e64 v4, v4, 0, s0
	global_store_b64 v[0:1], v[4:5], off offset:1024
	;; [unrolled: 23-line block ×7, first 2 shown]
	s_and_b32 exec_lo, exec_lo, s9
	s_cbranch_execz .LBB692_178
; %bb.170:
	v_div_scale_f64 v[4:5], null, v[2:3], v[2:3], v[32:33]
	v_div_scale_f64 v[20:21], vcc_lo, v[32:33], v[2:3], v[32:33]
	s_delay_alu instid0(VALU_DEP_2) | instskip(SKIP_2) | instid1(VALU_DEP_1)
	v_rcp_f64_e32 v[8:9], v[4:5]
	s_waitcnt_depctr 0xfff
	v_fma_f64 v[18:19], -v[4:5], v[8:9], 1.0
	v_fma_f64 v[8:9], v[8:9], v[18:19], v[8:9]
	s_delay_alu instid0(VALU_DEP_1) | instskip(NEXT) | instid1(VALU_DEP_1)
	v_fma_f64 v[18:19], -v[4:5], v[8:9], 1.0
	v_fma_f64 v[8:9], v[8:9], v[18:19], v[8:9]
	s_delay_alu instid0(VALU_DEP_1) | instskip(NEXT) | instid1(VALU_DEP_1)
	v_mul_f64 v[18:19], v[20:21], v[8:9]
	v_fma_f64 v[4:5], -v[4:5], v[18:19], v[20:21]
	s_delay_alu instid0(VALU_DEP_1) | instskip(SKIP_2) | instid1(VALU_DEP_3)
	v_div_fmas_f64 v[4:5], v[4:5], v[8:9], v[18:19]
	v_add_co_u32 v0, vcc_lo, 0x1000, v0
	v_add_co_ci_u32_e32 v1, vcc_lo, 0, v1, vcc_lo
	v_div_fixup_f64 v[4:5], v[4:5], v[2:3], v[32:33]
	s_delay_alu instid0(VALU_DEP_1) | instskip(NEXT) | instid1(VALU_DEP_2)
	v_cndmask_b32_e64 v5, v5, 0x7ff80000, s0
	v_cndmask_b32_e64 v4, v4, 0, s0
	global_store_b64 v[0:1], v[4:5], off
	s_and_b32 exec_lo, exec_lo, s8
	s_cbranch_execz .LBB692_178
; %bb.171:
	v_div_scale_f64 v[4:5], null, v[2:3], v[2:3], v[30:31]
	v_div_scale_f64 v[20:21], vcc_lo, v[30:31], v[2:3], v[30:31]
	s_delay_alu instid0(VALU_DEP_2) | instskip(SKIP_2) | instid1(VALU_DEP_1)
	v_rcp_f64_e32 v[8:9], v[4:5]
	s_waitcnt_depctr 0xfff
	v_fma_f64 v[18:19], -v[4:5], v[8:9], 1.0
	v_fma_f64 v[8:9], v[8:9], v[18:19], v[8:9]
	s_delay_alu instid0(VALU_DEP_1) | instskip(NEXT) | instid1(VALU_DEP_1)
	v_fma_f64 v[18:19], -v[4:5], v[8:9], 1.0
	v_fma_f64 v[8:9], v[8:9], v[18:19], v[8:9]
	s_delay_alu instid0(VALU_DEP_1) | instskip(NEXT) | instid1(VALU_DEP_1)
	v_mul_f64 v[18:19], v[20:21], v[8:9]
	v_fma_f64 v[4:5], -v[4:5], v[18:19], v[20:21]
	s_delay_alu instid0(VALU_DEP_1) | instskip(NEXT) | instid1(VALU_DEP_1)
	v_div_fmas_f64 v[4:5], v[4:5], v[8:9], v[18:19]
	v_div_fixup_f64 v[4:5], v[4:5], v[2:3], v[30:31]
	s_delay_alu instid0(VALU_DEP_1) | instskip(NEXT) | instid1(VALU_DEP_2)
	v_cndmask_b32_e64 v5, v5, 0x7ff80000, s0
	v_cndmask_b32_e64 v4, v4, 0, s0
	global_store_b64 v[0:1], v[4:5], off offset:512
	s_and_b32 exec_lo, exec_lo, s7
	s_cbranch_execz .LBB692_178
; %bb.172:
	v_div_scale_f64 v[4:5], null, v[2:3], v[2:3], v[22:23]
	v_div_scale_f64 v[20:21], vcc_lo, v[22:23], v[2:3], v[22:23]
	s_delay_alu instid0(VALU_DEP_2) | instskip(SKIP_2) | instid1(VALU_DEP_1)
	v_rcp_f64_e32 v[8:9], v[4:5]
	s_waitcnt_depctr 0xfff
	v_fma_f64 v[18:19], -v[4:5], v[8:9], 1.0
	v_fma_f64 v[8:9], v[8:9], v[18:19], v[8:9]
	s_delay_alu instid0(VALU_DEP_1) | instskip(NEXT) | instid1(VALU_DEP_1)
	v_fma_f64 v[18:19], -v[4:5], v[8:9], 1.0
	v_fma_f64 v[8:9], v[8:9], v[18:19], v[8:9]
	s_delay_alu instid0(VALU_DEP_1) | instskip(NEXT) | instid1(VALU_DEP_1)
	v_mul_f64 v[18:19], v[20:21], v[8:9]
	v_fma_f64 v[4:5], -v[4:5], v[18:19], v[20:21]
	s_delay_alu instid0(VALU_DEP_1) | instskip(NEXT) | instid1(VALU_DEP_1)
	v_div_fmas_f64 v[4:5], v[4:5], v[8:9], v[18:19]
	v_div_fixup_f64 v[4:5], v[4:5], v[2:3], v[22:23]
	s_delay_alu instid0(VALU_DEP_1) | instskip(NEXT) | instid1(VALU_DEP_2)
	v_cndmask_b32_e64 v5, v5, 0x7ff80000, s0
	v_cndmask_b32_e64 v4, v4, 0, s0
	global_store_b64 v[0:1], v[4:5], off offset:1024
	;; [unrolled: 23-line block ×7, first 2 shown]
.LBB692_178:
	s_nop 0
	s_sendmsg sendmsg(MSG_DEALLOC_VGPRS)
	s_endpgm
	.section	.rodata,"a",@progbits
	.p2align	6, 0x0
	.amdhsa_kernel _ZN12_GLOBAL__N_120softmax_warp_forwardIdddLi10ELb0ELb1ELi64EEEvPT0_PKT_iiiPKbib
		.amdhsa_group_segment_fixed_size 0
		.amdhsa_private_segment_fixed_size 0
		.amdhsa_kernarg_size 304
		.amdhsa_user_sgpr_count 15
		.amdhsa_user_sgpr_dispatch_ptr 0
		.amdhsa_user_sgpr_queue_ptr 0
		.amdhsa_user_sgpr_kernarg_segment_ptr 1
		.amdhsa_user_sgpr_dispatch_id 0
		.amdhsa_user_sgpr_private_segment_size 0
		.amdhsa_wavefront_size32 1
		.amdhsa_uses_dynamic_stack 0
		.amdhsa_enable_private_segment 0
		.amdhsa_system_sgpr_workgroup_id_x 1
		.amdhsa_system_sgpr_workgroup_id_y 0
		.amdhsa_system_sgpr_workgroup_id_z 0
		.amdhsa_system_sgpr_workgroup_info 0
		.amdhsa_system_vgpr_workitem_id 1
		.amdhsa_next_free_vgpr 56
		.amdhsa_next_free_sgpr 40
		.amdhsa_reserve_vcc 1
		.amdhsa_float_round_mode_32 0
		.amdhsa_float_round_mode_16_64 0
		.amdhsa_float_denorm_mode_32 3
		.amdhsa_float_denorm_mode_16_64 3
		.amdhsa_dx10_clamp 1
		.amdhsa_ieee_mode 1
		.amdhsa_fp16_overflow 0
		.amdhsa_workgroup_processor_mode 1
		.amdhsa_memory_ordered 1
		.amdhsa_forward_progress 0
		.amdhsa_shared_vgpr_count 0
		.amdhsa_exception_fp_ieee_invalid_op 0
		.amdhsa_exception_fp_denorm_src 0
		.amdhsa_exception_fp_ieee_div_zero 0
		.amdhsa_exception_fp_ieee_overflow 0
		.amdhsa_exception_fp_ieee_underflow 0
		.amdhsa_exception_fp_ieee_inexact 0
		.amdhsa_exception_int_div_zero 0
	.end_amdhsa_kernel
	.section	.text._ZN12_GLOBAL__N_120softmax_warp_forwardIdddLi10ELb0ELb1ELi64EEEvPT0_PKT_iiiPKbib,"axG",@progbits,_ZN12_GLOBAL__N_120softmax_warp_forwardIdddLi10ELb0ELb1ELi64EEEvPT0_PKT_iiiPKbib,comdat
.Lfunc_end692:
	.size	_ZN12_GLOBAL__N_120softmax_warp_forwardIdddLi10ELb0ELb1ELi64EEEvPT0_PKT_iiiPKbib, .Lfunc_end692-_ZN12_GLOBAL__N_120softmax_warp_forwardIdddLi10ELb0ELb1ELi64EEEvPT0_PKT_iiiPKbib
                                        ; -- End function
	.section	.AMDGPU.csdata,"",@progbits
; Kernel info:
; codeLenInByte = 15108
; NumSgprs: 42
; NumVgprs: 56
; ScratchSize: 0
; MemoryBound: 0
; FloatMode: 240
; IeeeMode: 1
; LDSByteSize: 0 bytes/workgroup (compile time only)
; SGPRBlocks: 5
; VGPRBlocks: 6
; NumSGPRsForWavesPerEU: 42
; NumVGPRsForWavesPerEU: 56
; Occupancy: 16
; WaveLimiterHint : 0
; COMPUTE_PGM_RSRC2:SCRATCH_EN: 0
; COMPUTE_PGM_RSRC2:USER_SGPR: 15
; COMPUTE_PGM_RSRC2:TRAP_HANDLER: 0
; COMPUTE_PGM_RSRC2:TGID_X_EN: 1
; COMPUTE_PGM_RSRC2:TGID_Y_EN: 0
; COMPUTE_PGM_RSRC2:TGID_Z_EN: 0
; COMPUTE_PGM_RSRC2:TIDIG_COMP_CNT: 1
	.section	.text._ZN12_GLOBAL__N_120softmax_warp_forwardIdddLi10ELb0ELb1ELi32EEEvPT0_PKT_iiiPKbib,"axG",@progbits,_ZN12_GLOBAL__N_120softmax_warp_forwardIdddLi10ELb0ELb1ELi32EEEvPT0_PKT_iiiPKbib,comdat
	.globl	_ZN12_GLOBAL__N_120softmax_warp_forwardIdddLi10ELb0ELb1ELi32EEEvPT0_PKT_iiiPKbib ; -- Begin function _ZN12_GLOBAL__N_120softmax_warp_forwardIdddLi10ELb0ELb1ELi32EEEvPT0_PKT_iiiPKbib
	.p2align	8
	.type	_ZN12_GLOBAL__N_120softmax_warp_forwardIdddLi10ELb0ELb1ELi32EEEvPT0_PKT_iiiPKbib,@function
_ZN12_GLOBAL__N_120softmax_warp_forwardIdddLi10ELb0ELb1ELi32EEEvPT0_PKT_iiiPKbib: ; @_ZN12_GLOBAL__N_120softmax_warp_forwardIdddLi10ELb0ELb1ELi32EEEvPT0_PKT_iiiPKbib
; %bb.0:
	s_clause 0x1
	s_load_b32 s2, s[0:1], 0x3c
	s_load_b128 s[40:43], s[0:1], 0x10
	v_bfe_u32 v3, v0, 10, 10
	s_waitcnt lgkmcnt(0)
	s_lshr_b32 s2, s2, 16
	s_delay_alu instid0(VALU_DEP_1) | instid1(SALU_CYCLE_1)
	v_mad_u64_u32 v[1:2], null, s15, s2, v[3:4]
	s_load_b64 s[2:3], s[0:1], 0x28
	v_and_b32_e32 v4, 0x3ff, v0
	s_delay_alu instid0(VALU_DEP_2) | instskip(NEXT) | instid1(VALU_DEP_1)
	v_mul_lo_u32 v5, v1, s41
	v_add_nc_u32_e32 v2, v5, v4
	s_delay_alu instid0(VALU_DEP_1) | instskip(SKIP_2) | instid1(VALU_DEP_1)
	v_ashrrev_i32_e32 v3, 31, v2
	s_waitcnt lgkmcnt(0)
	s_bitcmp0_b32 s3, 0
	v_dual_mov_b32 v31, v3 :: v_dual_mov_b32 v30, v2
	s_cbranch_scc1 .LBB693_2
; %bb.1:
	s_abs_i32 s3, s2
	v_sub_nc_u32_e32 v7, 0, v5
	v_cvt_f32_u32_e32 v0, s3
	s_sub_i32 s4, 0, s3
	s_delay_alu instid0(VALU_DEP_2) | instskip(NEXT) | instid1(VALU_DEP_2)
	v_max_i32_e32 v7, v5, v7
	v_rcp_iflag_f32_e32 v0, v0
	v_xor_b32_e32 v5, s2, v5
	s_delay_alu instid0(VALU_DEP_1) | instskip(SKIP_2) | instid1(VALU_DEP_1)
	v_ashrrev_i32_e32 v5, 31, v5
	s_waitcnt_depctr 0xfff
	v_mul_f32_e32 v0, 0x4f7ffffe, v0
	v_cvt_u32_f32_e32 v0, v0
	s_delay_alu instid0(VALU_DEP_1) | instskip(NEXT) | instid1(VALU_DEP_1)
	v_mul_lo_u32 v6, s4, v0
	v_mul_hi_u32 v6, v0, v6
	s_delay_alu instid0(VALU_DEP_1) | instskip(NEXT) | instid1(VALU_DEP_1)
	v_add_nc_u32_e32 v0, v0, v6
	v_mul_hi_u32 v0, v7, v0
	s_delay_alu instid0(VALU_DEP_1) | instskip(NEXT) | instid1(VALU_DEP_1)
	v_mul_lo_u32 v6, v0, s3
	v_sub_nc_u32_e32 v6, v7, v6
	v_add_nc_u32_e32 v7, 1, v0
	s_delay_alu instid0(VALU_DEP_2) | instskip(SKIP_1) | instid1(VALU_DEP_3)
	v_subrev_nc_u32_e32 v8, s3, v6
	v_cmp_le_u32_e32 vcc_lo, s3, v6
	v_cndmask_b32_e32 v0, v0, v7, vcc_lo
	s_delay_alu instid0(VALU_DEP_3) | instskip(NEXT) | instid1(VALU_DEP_2)
	v_cndmask_b32_e32 v6, v6, v8, vcc_lo
	v_add_nc_u32_e32 v7, 1, v0
	s_delay_alu instid0(VALU_DEP_2) | instskip(NEXT) | instid1(VALU_DEP_2)
	v_cmp_le_u32_e32 vcc_lo, s3, v6
	v_cndmask_b32_e32 v0, v0, v7, vcc_lo
	s_delay_alu instid0(VALU_DEP_1) | instskip(NEXT) | instid1(VALU_DEP_1)
	v_xor_b32_e32 v0, v0, v5
	v_sub_nc_u32_e32 v0, v0, v5
	s_delay_alu instid0(VALU_DEP_1) | instskip(NEXT) | instid1(VALU_DEP_1)
	v_mad_u64_u32 v[30:31], null, v0, s41, v[4:5]
	v_ashrrev_i32_e32 v31, 31, v30
.LBB693_2:
	s_load_b128 s[36:39], s[0:1], 0x0
	v_sub_nc_u32_e32 v76, s40, v1
	v_lshlrev_b64 v[0:1], 3, v[2:3]
	v_mov_b32_e32 v48, 0
	v_mov_b32_e32 v49, 0xfff00000
	v_cmp_gt_i32_e32 vcc_lo, s42, v4
	v_cmp_lt_i32_e64 s34, 0, v76
	s_delay_alu instid0(VALU_DEP_3) | instskip(NEXT) | instid1(VALU_DEP_2)
	v_dual_mov_b32 v40, v48 :: v_dual_mov_b32 v41, v49
	s_and_b32 s69, s34, vcc_lo
	s_waitcnt lgkmcnt(0)
	v_add_co_u32 v32, s2, s38, v0
	s_delay_alu instid0(VALU_DEP_1)
	v_add_co_ci_u32_e64 v33, s2, s39, v1, s2
	s_and_saveexec_b32 s2, s69
	s_cbranch_execz .LBB693_4
; %bb.3:
	global_load_b64 v[40:41], v[32:33], off
.LBB693_4:
	s_or_b32 exec_lo, exec_lo, s2
	v_add_nc_u32_e32 v2, 32, v4
	s_delay_alu instid0(VALU_DEP_1) | instskip(NEXT) | instid1(VALU_DEP_1)
	v_cmp_gt_i32_e64 s33, s42, v2
	s_and_b32 s68, s34, s33
	s_delay_alu instid0(SALU_CYCLE_1)
	s_and_saveexec_b32 s2, s68
	s_cbranch_execz .LBB693_6
; %bb.5:
	global_load_b64 v[48:49], v[32:33], off offset:256
.LBB693_6:
	s_or_b32 exec_lo, exec_lo, s2
	v_add_nc_u32_e32 v2, 64, v4
	v_mov_b32_e32 v56, 0
	v_mov_b32_e32 v57, 0xfff00000
	s_delay_alu instid0(VALU_DEP_2) | instskip(NEXT) | instid1(VALU_DEP_4)
	v_mov_b32_e32 v46, v56
	v_cmp_gt_i32_e64 s31, s42, v2
	s_delay_alu instid0(VALU_DEP_3) | instskip(NEXT) | instid1(VALU_DEP_2)
	v_mov_b32_e32 v47, v57
	s_and_b32 s67, s34, s31
	s_delay_alu instid0(SALU_CYCLE_1)
	s_and_saveexec_b32 s2, s67
	s_cbranch_execz .LBB693_8
; %bb.7:
	global_load_b64 v[46:47], v[32:33], off offset:512
.LBB693_8:
	s_or_b32 exec_lo, exec_lo, s2
	v_add_nc_u32_e32 v2, 0x60, v4
	s_delay_alu instid0(VALU_DEP_1) | instskip(NEXT) | instid1(VALU_DEP_1)
	v_cmp_gt_i32_e64 s30, s42, v2
	s_and_b32 s66, s34, s30
	s_delay_alu instid0(SALU_CYCLE_1)
	s_and_saveexec_b32 s2, s66
	s_cbranch_execz .LBB693_10
; %bb.9:
	global_load_b64 v[56:57], v[32:33], off offset:768
.LBB693_10:
	s_or_b32 exec_lo, exec_lo, s2
	v_mov_b32_e32 v64, 0
	v_mov_b32_e32 v65, 0xfff00000
	v_add_nc_u32_e32 v2, 0x80, v4
	s_delay_alu instid0(VALU_DEP_2) | instskip(NEXT) | instid1(VALU_DEP_2)
	v_dual_mov_b32 v54, v64 :: v_dual_mov_b32 v55, v65
	v_cmp_gt_i32_e64 s29, s42, v2
	s_delay_alu instid0(VALU_DEP_1) | instskip(NEXT) | instid1(SALU_CYCLE_1)
	s_and_b32 s65, s34, s29
	s_and_saveexec_b32 s2, s65
	s_cbranch_execz .LBB693_12
; %bb.11:
	global_load_b64 v[54:55], v[32:33], off offset:1024
.LBB693_12:
	s_or_b32 exec_lo, exec_lo, s2
	v_add_nc_u32_e32 v2, 0xa0, v4
	s_delay_alu instid0(VALU_DEP_1) | instskip(NEXT) | instid1(VALU_DEP_1)
	v_cmp_gt_i32_e64 s28, s42, v2
	s_and_b32 s64, s34, s28
	s_delay_alu instid0(SALU_CYCLE_1)
	s_and_saveexec_b32 s2, s64
	s_cbranch_execz .LBB693_14
; %bb.13:
	global_load_b64 v[64:65], v[32:33], off offset:1280
.LBB693_14:
	s_or_b32 exec_lo, exec_lo, s2
	v_mov_b32_e32 v72, 0
	v_mov_b32_e32 v73, 0xfff00000
	v_add_nc_u32_e32 v2, 0xc0, v4
	s_delay_alu instid0(VALU_DEP_2) | instskip(NEXT) | instid1(VALU_DEP_2)
	v_dual_mov_b32 v62, v72 :: v_dual_mov_b32 v63, v73
	v_cmp_gt_i32_e64 s27, s42, v2
	s_delay_alu instid0(VALU_DEP_1) | instskip(NEXT) | instid1(SALU_CYCLE_1)
	s_and_b32 s63, s34, s27
	;; [unrolled: 25-line block ×3, first 2 shown]
	s_and_saveexec_b32 s2, s61
	s_cbranch_execz .LBB693_20
; %bb.19:
	global_load_b64 v[68:69], v[32:33], off offset:2048
.LBB693_20:
	s_or_b32 exec_lo, exec_lo, s2
	v_add_nc_u32_e32 v2, 0x120, v4
	s_delay_alu instid0(VALU_DEP_1) | instskip(NEXT) | instid1(VALU_DEP_1)
	v_cmp_gt_i32_e64 s24, s42, v2
	s_and_b32 s60, s34, s24
	s_delay_alu instid0(SALU_CYCLE_1)
	s_and_saveexec_b32 s2, s60
	s_cbranch_execz .LBB693_22
; %bb.21:
	global_load_b64 v[74:75], v[32:33], off offset:2304
.LBB693_22:
	s_or_b32 exec_lo, exec_lo, s2
	v_mov_b32_e32 v66, 0
	v_mov_b32_e32 v67, 0xfff00000
	s_delay_alu instid0(VALU_DEP_1) | instskip(NEXT) | instid1(VALU_DEP_1)
	v_dual_mov_b32 v71, v67 :: v_dual_add_nc_u32 v2, 0x140, v4
	v_cmp_gt_i32_e64 s23, s42, v2
	s_delay_alu instid0(VALU_DEP_4) | instskip(NEXT) | instid1(VALU_DEP_2)
	v_mov_b32_e32 v70, v66
	s_and_b32 s59, s34, s23
	s_delay_alu instid0(SALU_CYCLE_1)
	s_and_saveexec_b32 s2, s59
	s_cbranch_execz .LBB693_24
; %bb.23:
	global_load_b64 v[70:71], v[32:33], off offset:2560
.LBB693_24:
	s_or_b32 exec_lo, exec_lo, s2
	v_add_nc_u32_e32 v2, 0x160, v4
	s_delay_alu instid0(VALU_DEP_1) | instskip(NEXT) | instid1(VALU_DEP_1)
	v_cmp_gt_i32_e64 s22, s42, v2
	s_and_b32 s58, s34, s22
	s_delay_alu instid0(SALU_CYCLE_1)
	s_and_saveexec_b32 s2, s58
	s_cbranch_execz .LBB693_26
; %bb.25:
	global_load_b64 v[66:67], v[32:33], off offset:2816
.LBB693_26:
	s_or_b32 exec_lo, exec_lo, s2
	v_mov_b32_e32 v58, 0
	v_mov_b32_e32 v59, 0xfff00000
	s_delay_alu instid0(VALU_DEP_1) | instskip(NEXT) | instid1(VALU_DEP_1)
	v_dual_mov_b32 v61, v59 :: v_dual_add_nc_u32 v2, 0x180, v4
	v_cmp_gt_i32_e64 s21, s42, v2
	s_delay_alu instid0(VALU_DEP_4) | instskip(NEXT) | instid1(VALU_DEP_2)
	v_mov_b32_e32 v60, v58
	s_and_b32 s57, s34, s21
	s_delay_alu instid0(SALU_CYCLE_1)
	;; [unrolled: 26-line block ×4, first 2 shown]
	s_and_saveexec_b32 s3, s53
	s_cbranch_execz .LBB693_36
; %bb.35:
	v_add_co_u32 v2, s2, 0x1000, v32
	s_delay_alu instid0(VALU_DEP_1)
	v_add_co_ci_u32_e64 v3, s2, 0, v33, s2
	global_load_b64 v[44:45], v[2:3], off
.LBB693_36:
	s_or_b32 exec_lo, exec_lo, s3
	v_add_nc_u32_e32 v2, 0x220, v4
	s_delay_alu instid0(VALU_DEP_1) | instskip(NEXT) | instid1(VALU_DEP_1)
	v_cmp_gt_i32_e64 s16, s42, v2
	s_and_b32 s52, s34, s16
	s_delay_alu instid0(SALU_CYCLE_1)
	s_and_saveexec_b32 s3, s52
	s_cbranch_execz .LBB693_38
; %bb.37:
	v_add_co_u32 v2, s2, 0x1000, v32
	s_delay_alu instid0(VALU_DEP_1)
	v_add_co_ci_u32_e64 v3, s2, 0, v33, s2
	global_load_b64 v[42:43], v[2:3], off offset:256
.LBB693_38:
	s_or_b32 exec_lo, exec_lo, s3
	v_mov_b32_e32 v28, 0
	v_mov_b32_e32 v29, 0xfff00000
	s_delay_alu instid0(VALU_DEP_1) | instskip(NEXT) | instid1(VALU_DEP_1)
	v_dual_mov_b32 v35, v29 :: v_dual_add_nc_u32 v2, 0x240, v4
	v_cmp_gt_i32_e64 s15, s42, v2
	s_delay_alu instid0(VALU_DEP_4) | instskip(NEXT) | instid1(VALU_DEP_2)
	v_mov_b32_e32 v34, v28
	s_and_b32 s51, s34, s15
	s_delay_alu instid0(SALU_CYCLE_1)
	s_and_saveexec_b32 s3, s51
	s_cbranch_execz .LBB693_40
; %bb.39:
	v_add_co_u32 v2, s2, 0x1000, v32
	s_delay_alu instid0(VALU_DEP_1)
	v_add_co_ci_u32_e64 v3, s2, 0, v33, s2
	global_load_b64 v[34:35], v[2:3], off offset:512
.LBB693_40:
	s_or_b32 exec_lo, exec_lo, s3
	v_add_nc_u32_e32 v2, 0x260, v4
	s_delay_alu instid0(VALU_DEP_1) | instskip(NEXT) | instid1(VALU_DEP_1)
	v_cmp_gt_i32_e64 s14, s42, v2
	s_and_b32 s50, s34, s14
	s_delay_alu instid0(SALU_CYCLE_1)
	s_and_saveexec_b32 s3, s50
	s_cbranch_execz .LBB693_42
; %bb.41:
	v_add_co_u32 v2, s2, 0x1000, v32
	s_delay_alu instid0(VALU_DEP_1)
	v_add_co_ci_u32_e64 v3, s2, 0, v33, s2
	global_load_b64 v[28:29], v[2:3], off offset:768
.LBB693_42:
	s_or_b32 exec_lo, exec_lo, s3
	v_mov_b32_e32 v24, 0
	v_mov_b32_e32 v25, 0xfff00000
	s_delay_alu instid0(VALU_DEP_1) | instskip(NEXT) | instid1(VALU_DEP_1)
	v_dual_mov_b32 v27, v25 :: v_dual_add_nc_u32 v2, 0x280, v4
	v_cmp_gt_i32_e64 s13, s42, v2
	s_delay_alu instid0(VALU_DEP_4) | instskip(NEXT) | instid1(VALU_DEP_2)
	v_mov_b32_e32 v26, v24
	s_and_b32 s49, s34, s13
	s_delay_alu instid0(SALU_CYCLE_1)
	s_and_saveexec_b32 s3, s49
	s_cbranch_execz .LBB693_44
; %bb.43:
	v_add_co_u32 v2, s2, 0x1000, v32
	s_delay_alu instid0(VALU_DEP_1)
	v_add_co_ci_u32_e64 v3, s2, 0, v33, s2
	global_load_b64 v[26:27], v[2:3], off offset:1024
.LBB693_44:
	;; [unrolled: 32-line block ×6, first 2 shown]
	s_or_b32 exec_lo, exec_lo, s3
	v_add_nc_u32_e32 v2, 0x3a0, v4
	s_delay_alu instid0(VALU_DEP_1) | instskip(NEXT) | instid1(VALU_DEP_1)
	v_cmp_gt_i32_e64 s4, s42, v2
	s_and_b32 s39, s34, s4
	s_delay_alu instid0(SALU_CYCLE_1)
	s_and_saveexec_b32 s3, s39
	s_cbranch_execz .LBB693_62
; %bb.61:
	v_add_co_u32 v2, s2, 0x1000, v32
	s_delay_alu instid0(VALU_DEP_1)
	v_add_co_ci_u32_e64 v3, s2, 0, v33, s2
	global_load_b64 v[8:9], v[2:3], off offset:3328
.LBB693_62:
	s_or_b32 exec_lo, exec_lo, s3
	v_dual_mov_b32 v2, 0 :: v_dual_add_nc_u32 v5, 0x3c0, v4
	v_mov_b32_e32 v3, 0xfff00000
	s_delay_alu instid0(VALU_DEP_2) | instskip(NEXT) | instid1(VALU_DEP_2)
	v_cmp_gt_i32_e64 s3, s42, v5
	v_dual_mov_b32 v7, v3 :: v_dual_mov_b32 v6, v2
	s_delay_alu instid0(VALU_DEP_2) | instskip(NEXT) | instid1(SALU_CYCLE_1)
	s_and_b32 s38, s34, s3
	s_and_saveexec_b32 s35, s38
	s_cbranch_execz .LBB693_64
; %bb.63:
	v_add_co_u32 v5, s2, 0x1000, v32
	s_delay_alu instid0(VALU_DEP_1)
	v_add_co_ci_u32_e64 v6, s2, 0, v33, s2
	global_load_b64 v[6:7], v[5:6], off offset:3584
.LBB693_64:
	s_or_b32 exec_lo, exec_lo, s35
	v_add_nc_u32_e32 v4, 0x3e0, v4
	s_delay_alu instid0(VALU_DEP_1) | instskip(NEXT) | instid1(VALU_DEP_1)
	v_cmp_gt_i32_e64 s2, s42, v4
	s_and_b32 s35, s34, s2
	s_delay_alu instid0(SALU_CYCLE_1)
	s_and_saveexec_b32 s42, s35
	s_cbranch_execz .LBB693_66
; %bb.65:
	v_add_co_u32 v2, s34, 0x1000, v32
	s_delay_alu instid0(VALU_DEP_1)
	v_add_co_ci_u32_e64 v3, s34, 0, v33, s34
	global_load_b64 v[2:3], v[2:3], off offset:3840
.LBB693_66:
	s_or_b32 exec_lo, exec_lo, s42
	s_load_b64 s[0:1], s[0:1], 0x20
	s_waitcnt lgkmcnt(0)
	v_add_co_u32 v4, s0, s0, v30
	s_delay_alu instid0(VALU_DEP_1)
	v_add_co_ci_u32_e64 v5, s0, s1, v31, s0
	s_mov_b32 s1, 0
	s_and_saveexec_b32 s34, s69
	s_cbranch_execz .LBB693_68
; %bb.67:
	global_load_u8 v30, v[4:5], off
	s_waitcnt vmcnt(0)
	v_and_b32_e32 v30, 1, v30
	s_delay_alu instid0(VALU_DEP_1) | instskip(NEXT) | instid1(VALU_DEP_1)
	v_cmp_eq_u32_e64 s0, 1, v30
	s_xor_b32 s0, s0, -1
	s_delay_alu instid0(SALU_CYCLE_1)
	s_and_b32 s1, s0, exec_lo
.LBB693_68:
	s_or_b32 exec_lo, exec_lo, s34
	s_waitcnt vmcnt(0)
	v_dual_mov_b32 v30, v40 :: v_dual_mov_b32 v31, v41
	s_and_saveexec_b32 s34, s68
	s_cbranch_execnz .LBB693_99
; %bb.69:
	s_or_b32 exec_lo, exec_lo, s34
	s_and_saveexec_b32 s34, s67
	s_cbranch_execnz .LBB693_102
.LBB693_70:
	s_or_b32 exec_lo, exec_lo, s34
	s_and_saveexec_b32 s34, s66
	s_cbranch_execnz .LBB693_105
.LBB693_71:
	s_or_b32 exec_lo, exec_lo, s34
	s_and_saveexec_b32 s34, s65
	s_cbranch_execnz .LBB693_108
.LBB693_72:
	s_or_b32 exec_lo, exec_lo, s34
	s_and_saveexec_b32 s34, s64
	s_cbranch_execnz .LBB693_111
.LBB693_73:
	s_or_b32 exec_lo, exec_lo, s34
	s_and_saveexec_b32 s34, s63
	s_cbranch_execnz .LBB693_114
.LBB693_74:
	s_or_b32 exec_lo, exec_lo, s34
	s_and_saveexec_b32 s34, s62
	s_cbranch_execnz .LBB693_117
.LBB693_75:
	s_or_b32 exec_lo, exec_lo, s34
	s_and_saveexec_b32 s34, s61
	s_cbranch_execnz .LBB693_120
.LBB693_76:
	s_or_b32 exec_lo, exec_lo, s34
	s_and_saveexec_b32 s34, s60
	s_cbranch_execnz .LBB693_123
.LBB693_77:
	s_or_b32 exec_lo, exec_lo, s34
	s_and_saveexec_b32 s34, s59
	s_cbranch_execnz .LBB693_126
.LBB693_78:
	s_or_b32 exec_lo, exec_lo, s34
	s_and_saveexec_b32 s34, s58
	s_cbranch_execnz .LBB693_129
.LBB693_79:
	s_or_b32 exec_lo, exec_lo, s34
	s_and_saveexec_b32 s34, s57
	s_cbranch_execnz .LBB693_132
.LBB693_80:
	s_or_b32 exec_lo, exec_lo, s34
	s_and_saveexec_b32 s34, s56
	s_cbranch_execnz .LBB693_135
.LBB693_81:
	s_or_b32 exec_lo, exec_lo, s34
	s_and_saveexec_b32 s34, s55
	s_cbranch_execnz .LBB693_138
.LBB693_82:
	s_or_b32 exec_lo, exec_lo, s34
	s_and_saveexec_b32 s34, s54
	s_cbranch_execnz .LBB693_141
.LBB693_83:
	s_or_b32 exec_lo, exec_lo, s34
	s_and_saveexec_b32 s34, s53
	s_cbranch_execnz .LBB693_144
.LBB693_84:
	s_or_b32 exec_lo, exec_lo, s34
	s_and_saveexec_b32 s34, s52
	s_cbranch_execnz .LBB693_147
.LBB693_85:
	s_or_b32 exec_lo, exec_lo, s34
	s_and_saveexec_b32 s34, s51
	s_cbranch_execnz .LBB693_150
.LBB693_86:
	s_or_b32 exec_lo, exec_lo, s34
	s_and_saveexec_b32 s34, s50
	s_cbranch_execnz .LBB693_153
.LBB693_87:
	s_or_b32 exec_lo, exec_lo, s34
	s_and_saveexec_b32 s34, s49
	s_cbranch_execnz .LBB693_156
.LBB693_88:
	s_or_b32 exec_lo, exec_lo, s34
	s_and_saveexec_b32 s34, s48
	s_cbranch_execnz .LBB693_159
.LBB693_89:
	s_or_b32 exec_lo, exec_lo, s34
	s_and_saveexec_b32 s34, s47
	s_cbranch_execnz .LBB693_162
.LBB693_90:
	s_or_b32 exec_lo, exec_lo, s34
	s_and_saveexec_b32 s34, s46
	s_cbranch_execnz .LBB693_165
.LBB693_91:
	s_or_b32 exec_lo, exec_lo, s34
	s_and_saveexec_b32 s34, s45
	s_cbranch_execnz .LBB693_168
.LBB693_92:
	s_or_b32 exec_lo, exec_lo, s34
	s_and_saveexec_b32 s34, s44
	s_cbranch_execnz .LBB693_171
.LBB693_93:
	s_or_b32 exec_lo, exec_lo, s34
	s_and_saveexec_b32 s34, s43
	s_cbranch_execnz .LBB693_174
.LBB693_94:
	s_or_b32 exec_lo, exec_lo, s34
	s_and_saveexec_b32 s34, s41
	s_cbranch_execnz .LBB693_177
.LBB693_95:
	s_or_b32 exec_lo, exec_lo, s34
	s_and_saveexec_b32 s34, s40
	s_cbranch_execnz .LBB693_180
.LBB693_96:
	s_or_b32 exec_lo, exec_lo, s34
	s_and_saveexec_b32 s34, s39
	s_cbranch_execnz .LBB693_183
.LBB693_97:
	s_or_b32 exec_lo, exec_lo, s34
	s_and_saveexec_b32 s34, s38
	s_cbranch_execnz .LBB693_186
.LBB693_98:
	s_or_b32 exec_lo, exec_lo, s34
	s_and_saveexec_b32 s34, s35
	s_cbranch_execnz .LBB693_189
	s_branch .LBB693_192
.LBB693_99:
	global_load_u8 v30, v[4:5], off offset:32
	s_waitcnt vmcnt(0)
	v_and_b32_e32 v30, 1, v30
	s_delay_alu instid0(VALU_DEP_1) | instskip(SKIP_1) | instid1(VALU_DEP_2)
	v_cmp_eq_u32_e64 s0, 1, v30
	v_dual_mov_b32 v30, v40 :: v_dual_mov_b32 v31, v41
	s_xor_b32 s70, s0, -1
	s_mov_b32 s0, s1
	s_and_saveexec_b32 s42, s70
; %bb.100:
	v_cmp_gt_f64_e64 s0, v[40:41], v[48:49]
	s_delay_alu instid0(VALU_DEP_1) | instskip(NEXT) | instid1(SALU_CYCLE_1)
	s_and_b32 s0, s1, s0
	v_cndmask_b32_e64 v31, v49, v41, s0
	v_cndmask_b32_e64 v30, v48, v40, s0
	s_or_b32 s0, s1, exec_lo
; %bb.101:
	s_or_b32 exec_lo, exec_lo, s42
	s_delay_alu instid0(SALU_CYCLE_1) | instskip(SKIP_1) | instid1(SALU_CYCLE_1)
	s_and_not1_b32 s1, s1, exec_lo
	s_and_b32 s0, s0, exec_lo
	s_or_b32 s1, s1, s0
	s_or_b32 exec_lo, exec_lo, s34
	s_and_saveexec_b32 s34, s67
	s_cbranch_execz .LBB693_70
.LBB693_102:
	global_load_u8 v32, v[4:5], off offset:64
	s_waitcnt vmcnt(0)
	v_and_b32_e32 v32, 1, v32
	s_delay_alu instid0(VALU_DEP_1) | instskip(NEXT) | instid1(VALU_DEP_1)
	v_cmp_eq_u32_e64 s0, 1, v32
	s_xor_b32 s70, s0, -1
	s_mov_b32 s0, s1
	s_and_saveexec_b32 s42, s70
; %bb.103:
	v_cmp_gt_f64_e64 s0, v[30:31], v[46:47]
	s_delay_alu instid0(VALU_DEP_1) | instskip(NEXT) | instid1(SALU_CYCLE_1)
	s_and_b32 s0, s1, s0
	v_cndmask_b32_e64 v31, v47, v31, s0
	v_cndmask_b32_e64 v30, v46, v30, s0
	s_or_b32 s0, s1, exec_lo
; %bb.104:
	s_or_b32 exec_lo, exec_lo, s42
	s_delay_alu instid0(SALU_CYCLE_1) | instskip(SKIP_1) | instid1(SALU_CYCLE_1)
	s_and_not1_b32 s1, s1, exec_lo
	s_and_b32 s0, s0, exec_lo
	s_or_b32 s1, s1, s0
	s_or_b32 exec_lo, exec_lo, s34
	s_and_saveexec_b32 s34, s66
	s_cbranch_execz .LBB693_71
.LBB693_105:
	global_load_u8 v32, v[4:5], off offset:96
	s_waitcnt vmcnt(0)
	v_and_b32_e32 v32, 1, v32
	s_delay_alu instid0(VALU_DEP_1) | instskip(NEXT) | instid1(VALU_DEP_1)
	v_cmp_eq_u32_e64 s0, 1, v32
	s_xor_b32 s70, s0, -1
	s_mov_b32 s0, s1
	s_and_saveexec_b32 s42, s70
; %bb.106:
	v_cmp_gt_f64_e64 s0, v[30:31], v[56:57]
	s_delay_alu instid0(VALU_DEP_1) | instskip(NEXT) | instid1(SALU_CYCLE_1)
	s_and_b32 s0, s1, s0
	v_cndmask_b32_e64 v31, v57, v31, s0
	v_cndmask_b32_e64 v30, v56, v30, s0
	s_or_b32 s0, s1, exec_lo
; %bb.107:
	s_or_b32 exec_lo, exec_lo, s42
	s_delay_alu instid0(SALU_CYCLE_1) | instskip(SKIP_1) | instid1(SALU_CYCLE_1)
	s_and_not1_b32 s1, s1, exec_lo
	s_and_b32 s0, s0, exec_lo
	s_or_b32 s1, s1, s0
	s_or_b32 exec_lo, exec_lo, s34
	s_and_saveexec_b32 s34, s65
	s_cbranch_execz .LBB693_72
.LBB693_108:
	global_load_u8 v32, v[4:5], off offset:128
	s_waitcnt vmcnt(0)
	v_and_b32_e32 v32, 1, v32
	s_delay_alu instid0(VALU_DEP_1) | instskip(NEXT) | instid1(VALU_DEP_1)
	v_cmp_eq_u32_e64 s0, 1, v32
	s_xor_b32 s70, s0, -1
	s_mov_b32 s0, s1
	s_and_saveexec_b32 s42, s70
; %bb.109:
	v_cmp_gt_f64_e64 s0, v[30:31], v[54:55]
	s_delay_alu instid0(VALU_DEP_1) | instskip(NEXT) | instid1(SALU_CYCLE_1)
	s_and_b32 s0, s1, s0
	v_cndmask_b32_e64 v31, v55, v31, s0
	v_cndmask_b32_e64 v30, v54, v30, s0
	s_or_b32 s0, s1, exec_lo
; %bb.110:
	s_or_b32 exec_lo, exec_lo, s42
	s_delay_alu instid0(SALU_CYCLE_1) | instskip(SKIP_1) | instid1(SALU_CYCLE_1)
	s_and_not1_b32 s1, s1, exec_lo
	s_and_b32 s0, s0, exec_lo
	s_or_b32 s1, s1, s0
	s_or_b32 exec_lo, exec_lo, s34
	s_and_saveexec_b32 s34, s64
	s_cbranch_execz .LBB693_73
.LBB693_111:
	global_load_u8 v32, v[4:5], off offset:160
	s_waitcnt vmcnt(0)
	v_and_b32_e32 v32, 1, v32
	s_delay_alu instid0(VALU_DEP_1) | instskip(NEXT) | instid1(VALU_DEP_1)
	v_cmp_eq_u32_e64 s0, 1, v32
	s_xor_b32 s70, s0, -1
	s_mov_b32 s0, s1
	s_and_saveexec_b32 s42, s70
; %bb.112:
	v_cmp_gt_f64_e64 s0, v[30:31], v[64:65]
	s_delay_alu instid0(VALU_DEP_1) | instskip(NEXT) | instid1(SALU_CYCLE_1)
	s_and_b32 s0, s1, s0
	v_cndmask_b32_e64 v31, v65, v31, s0
	v_cndmask_b32_e64 v30, v64, v30, s0
	s_or_b32 s0, s1, exec_lo
; %bb.113:
	s_or_b32 exec_lo, exec_lo, s42
	s_delay_alu instid0(SALU_CYCLE_1) | instskip(SKIP_1) | instid1(SALU_CYCLE_1)
	s_and_not1_b32 s1, s1, exec_lo
	s_and_b32 s0, s0, exec_lo
	s_or_b32 s1, s1, s0
	s_or_b32 exec_lo, exec_lo, s34
	s_and_saveexec_b32 s34, s63
	s_cbranch_execz .LBB693_74
.LBB693_114:
	global_load_u8 v32, v[4:5], off offset:192
	s_waitcnt vmcnt(0)
	v_and_b32_e32 v32, 1, v32
	s_delay_alu instid0(VALU_DEP_1) | instskip(NEXT) | instid1(VALU_DEP_1)
	v_cmp_eq_u32_e64 s0, 1, v32
	s_xor_b32 s70, s0, -1
	s_mov_b32 s0, s1
	s_and_saveexec_b32 s42, s70
; %bb.115:
	v_cmp_gt_f64_e64 s0, v[30:31], v[62:63]
	s_delay_alu instid0(VALU_DEP_1) | instskip(NEXT) | instid1(SALU_CYCLE_1)
	s_and_b32 s0, s1, s0
	v_cndmask_b32_e64 v31, v63, v31, s0
	v_cndmask_b32_e64 v30, v62, v30, s0
	s_or_b32 s0, s1, exec_lo
; %bb.116:
	s_or_b32 exec_lo, exec_lo, s42
	s_delay_alu instid0(SALU_CYCLE_1) | instskip(SKIP_1) | instid1(SALU_CYCLE_1)
	s_and_not1_b32 s1, s1, exec_lo
	s_and_b32 s0, s0, exec_lo
	s_or_b32 s1, s1, s0
	s_or_b32 exec_lo, exec_lo, s34
	s_and_saveexec_b32 s34, s62
	s_cbranch_execz .LBB693_75
.LBB693_117:
	global_load_u8 v32, v[4:5], off offset:224
	s_waitcnt vmcnt(0)
	v_and_b32_e32 v32, 1, v32
	s_delay_alu instid0(VALU_DEP_1) | instskip(NEXT) | instid1(VALU_DEP_1)
	v_cmp_eq_u32_e64 s0, 1, v32
	s_xor_b32 s70, s0, -1
	s_mov_b32 s0, s1
	s_and_saveexec_b32 s42, s70
; %bb.118:
	v_cmp_gt_f64_e64 s0, v[30:31], v[72:73]
	s_delay_alu instid0(VALU_DEP_1) | instskip(NEXT) | instid1(SALU_CYCLE_1)
	s_and_b32 s0, s1, s0
	v_cndmask_b32_e64 v31, v73, v31, s0
	v_cndmask_b32_e64 v30, v72, v30, s0
	s_or_b32 s0, s1, exec_lo
; %bb.119:
	s_or_b32 exec_lo, exec_lo, s42
	s_delay_alu instid0(SALU_CYCLE_1) | instskip(SKIP_1) | instid1(SALU_CYCLE_1)
	s_and_not1_b32 s1, s1, exec_lo
	s_and_b32 s0, s0, exec_lo
	s_or_b32 s1, s1, s0
	s_or_b32 exec_lo, exec_lo, s34
	s_and_saveexec_b32 s34, s61
	s_cbranch_execz .LBB693_76
.LBB693_120:
	global_load_u8 v32, v[4:5], off offset:256
	s_waitcnt vmcnt(0)
	v_and_b32_e32 v32, 1, v32
	s_delay_alu instid0(VALU_DEP_1) | instskip(NEXT) | instid1(VALU_DEP_1)
	v_cmp_eq_u32_e64 s0, 1, v32
	s_xor_b32 s70, s0, -1
	s_mov_b32 s0, s1
	s_and_saveexec_b32 s42, s70
; %bb.121:
	v_cmp_gt_f64_e64 s0, v[30:31], v[68:69]
	s_delay_alu instid0(VALU_DEP_1) | instskip(NEXT) | instid1(SALU_CYCLE_1)
	s_and_b32 s0, s1, s0
	v_cndmask_b32_e64 v31, v69, v31, s0
	v_cndmask_b32_e64 v30, v68, v30, s0
	s_or_b32 s0, s1, exec_lo
; %bb.122:
	s_or_b32 exec_lo, exec_lo, s42
	s_delay_alu instid0(SALU_CYCLE_1) | instskip(SKIP_1) | instid1(SALU_CYCLE_1)
	s_and_not1_b32 s1, s1, exec_lo
	s_and_b32 s0, s0, exec_lo
	s_or_b32 s1, s1, s0
	s_or_b32 exec_lo, exec_lo, s34
	s_and_saveexec_b32 s34, s60
	s_cbranch_execz .LBB693_77
.LBB693_123:
	global_load_u8 v32, v[4:5], off offset:288
	s_waitcnt vmcnt(0)
	v_and_b32_e32 v32, 1, v32
	s_delay_alu instid0(VALU_DEP_1) | instskip(NEXT) | instid1(VALU_DEP_1)
	v_cmp_eq_u32_e64 s0, 1, v32
	s_xor_b32 s70, s0, -1
	s_mov_b32 s0, s1
	s_and_saveexec_b32 s42, s70
; %bb.124:
	v_cmp_gt_f64_e64 s0, v[30:31], v[74:75]
	s_delay_alu instid0(VALU_DEP_1) | instskip(NEXT) | instid1(SALU_CYCLE_1)
	s_and_b32 s0, s1, s0
	v_cndmask_b32_e64 v31, v75, v31, s0
	v_cndmask_b32_e64 v30, v74, v30, s0
	s_or_b32 s0, s1, exec_lo
; %bb.125:
	s_or_b32 exec_lo, exec_lo, s42
	s_delay_alu instid0(SALU_CYCLE_1) | instskip(SKIP_1) | instid1(SALU_CYCLE_1)
	s_and_not1_b32 s1, s1, exec_lo
	s_and_b32 s0, s0, exec_lo
	s_or_b32 s1, s1, s0
	s_or_b32 exec_lo, exec_lo, s34
	s_and_saveexec_b32 s34, s59
	s_cbranch_execz .LBB693_78
.LBB693_126:
	global_load_u8 v32, v[4:5], off offset:320
	s_waitcnt vmcnt(0)
	v_and_b32_e32 v32, 1, v32
	s_delay_alu instid0(VALU_DEP_1) | instskip(NEXT) | instid1(VALU_DEP_1)
	v_cmp_eq_u32_e64 s0, 1, v32
	s_xor_b32 s70, s0, -1
	s_mov_b32 s0, s1
	s_and_saveexec_b32 s42, s70
; %bb.127:
	v_cmp_gt_f64_e64 s0, v[30:31], v[70:71]
	s_delay_alu instid0(VALU_DEP_1) | instskip(NEXT) | instid1(SALU_CYCLE_1)
	s_and_b32 s0, s1, s0
	v_cndmask_b32_e64 v31, v71, v31, s0
	v_cndmask_b32_e64 v30, v70, v30, s0
	s_or_b32 s0, s1, exec_lo
; %bb.128:
	s_or_b32 exec_lo, exec_lo, s42
	s_delay_alu instid0(SALU_CYCLE_1) | instskip(SKIP_1) | instid1(SALU_CYCLE_1)
	s_and_not1_b32 s1, s1, exec_lo
	s_and_b32 s0, s0, exec_lo
	s_or_b32 s1, s1, s0
	s_or_b32 exec_lo, exec_lo, s34
	s_and_saveexec_b32 s34, s58
	s_cbranch_execz .LBB693_79
.LBB693_129:
	global_load_u8 v32, v[4:5], off offset:352
	s_waitcnt vmcnt(0)
	v_and_b32_e32 v32, 1, v32
	s_delay_alu instid0(VALU_DEP_1) | instskip(NEXT) | instid1(VALU_DEP_1)
	v_cmp_eq_u32_e64 s0, 1, v32
	s_xor_b32 s70, s0, -1
	s_mov_b32 s0, s1
	s_and_saveexec_b32 s42, s70
; %bb.130:
	v_cmp_gt_f64_e64 s0, v[30:31], v[66:67]
	s_delay_alu instid0(VALU_DEP_1) | instskip(NEXT) | instid1(SALU_CYCLE_1)
	s_and_b32 s0, s1, s0
	v_cndmask_b32_e64 v31, v67, v31, s0
	v_cndmask_b32_e64 v30, v66, v30, s0
	s_or_b32 s0, s1, exec_lo
; %bb.131:
	s_or_b32 exec_lo, exec_lo, s42
	s_delay_alu instid0(SALU_CYCLE_1) | instskip(SKIP_1) | instid1(SALU_CYCLE_1)
	s_and_not1_b32 s1, s1, exec_lo
	s_and_b32 s0, s0, exec_lo
	s_or_b32 s1, s1, s0
	s_or_b32 exec_lo, exec_lo, s34
	s_and_saveexec_b32 s34, s57
	s_cbranch_execz .LBB693_80
.LBB693_132:
	global_load_u8 v32, v[4:5], off offset:384
	s_waitcnt vmcnt(0)
	v_and_b32_e32 v32, 1, v32
	s_delay_alu instid0(VALU_DEP_1) | instskip(NEXT) | instid1(VALU_DEP_1)
	v_cmp_eq_u32_e64 s0, 1, v32
	s_xor_b32 s70, s0, -1
	s_mov_b32 s0, s1
	s_and_saveexec_b32 s42, s70
; %bb.133:
	v_cmp_gt_f64_e64 s0, v[30:31], v[60:61]
	s_delay_alu instid0(VALU_DEP_1) | instskip(NEXT) | instid1(SALU_CYCLE_1)
	s_and_b32 s0, s1, s0
	v_cndmask_b32_e64 v31, v61, v31, s0
	v_cndmask_b32_e64 v30, v60, v30, s0
	s_or_b32 s0, s1, exec_lo
; %bb.134:
	s_or_b32 exec_lo, exec_lo, s42
	s_delay_alu instid0(SALU_CYCLE_1) | instskip(SKIP_1) | instid1(SALU_CYCLE_1)
	s_and_not1_b32 s1, s1, exec_lo
	s_and_b32 s0, s0, exec_lo
	s_or_b32 s1, s1, s0
	s_or_b32 exec_lo, exec_lo, s34
	s_and_saveexec_b32 s34, s56
	s_cbranch_execz .LBB693_81
.LBB693_135:
	global_load_u8 v32, v[4:5], off offset:416
	s_waitcnt vmcnt(0)
	v_and_b32_e32 v32, 1, v32
	s_delay_alu instid0(VALU_DEP_1) | instskip(NEXT) | instid1(VALU_DEP_1)
	v_cmp_eq_u32_e64 s0, 1, v32
	s_xor_b32 s70, s0, -1
	s_mov_b32 s0, s1
	s_and_saveexec_b32 s42, s70
; %bb.136:
	v_cmp_gt_f64_e64 s0, v[30:31], v[58:59]
	s_delay_alu instid0(VALU_DEP_1) | instskip(NEXT) | instid1(SALU_CYCLE_1)
	s_and_b32 s0, s1, s0
	v_cndmask_b32_e64 v31, v59, v31, s0
	v_cndmask_b32_e64 v30, v58, v30, s0
	s_or_b32 s0, s1, exec_lo
; %bb.137:
	s_or_b32 exec_lo, exec_lo, s42
	s_delay_alu instid0(SALU_CYCLE_1) | instskip(SKIP_1) | instid1(SALU_CYCLE_1)
	s_and_not1_b32 s1, s1, exec_lo
	s_and_b32 s0, s0, exec_lo
	s_or_b32 s1, s1, s0
	s_or_b32 exec_lo, exec_lo, s34
	s_and_saveexec_b32 s34, s55
	s_cbranch_execz .LBB693_82
.LBB693_138:
	global_load_u8 v32, v[4:5], off offset:448
	s_waitcnt vmcnt(0)
	v_and_b32_e32 v32, 1, v32
	s_delay_alu instid0(VALU_DEP_1) | instskip(NEXT) | instid1(VALU_DEP_1)
	v_cmp_eq_u32_e64 s0, 1, v32
	s_xor_b32 s70, s0, -1
	s_mov_b32 s0, s1
	s_and_saveexec_b32 s42, s70
; %bb.139:
	v_cmp_gt_f64_e64 s0, v[30:31], v[52:53]
	s_delay_alu instid0(VALU_DEP_1) | instskip(NEXT) | instid1(SALU_CYCLE_1)
	s_and_b32 s0, s1, s0
	v_cndmask_b32_e64 v31, v53, v31, s0
	v_cndmask_b32_e64 v30, v52, v30, s0
	s_or_b32 s0, s1, exec_lo
; %bb.140:
	s_or_b32 exec_lo, exec_lo, s42
	s_delay_alu instid0(SALU_CYCLE_1) | instskip(SKIP_1) | instid1(SALU_CYCLE_1)
	s_and_not1_b32 s1, s1, exec_lo
	s_and_b32 s0, s0, exec_lo
	s_or_b32 s1, s1, s0
	s_or_b32 exec_lo, exec_lo, s34
	s_and_saveexec_b32 s34, s54
	s_cbranch_execz .LBB693_83
.LBB693_141:
	global_load_u8 v32, v[4:5], off offset:480
	s_waitcnt vmcnt(0)
	v_and_b32_e32 v32, 1, v32
	s_delay_alu instid0(VALU_DEP_1) | instskip(NEXT) | instid1(VALU_DEP_1)
	v_cmp_eq_u32_e64 s0, 1, v32
	s_xor_b32 s70, s0, -1
	s_mov_b32 s0, s1
	s_and_saveexec_b32 s42, s70
; %bb.142:
	v_cmp_gt_f64_e64 s0, v[30:31], v[50:51]
	s_delay_alu instid0(VALU_DEP_1) | instskip(NEXT) | instid1(SALU_CYCLE_1)
	s_and_b32 s0, s1, s0
	v_cndmask_b32_e64 v31, v51, v31, s0
	v_cndmask_b32_e64 v30, v50, v30, s0
	s_or_b32 s0, s1, exec_lo
; %bb.143:
	s_or_b32 exec_lo, exec_lo, s42
	s_delay_alu instid0(SALU_CYCLE_1) | instskip(SKIP_1) | instid1(SALU_CYCLE_1)
	s_and_not1_b32 s1, s1, exec_lo
	s_and_b32 s0, s0, exec_lo
	s_or_b32 s1, s1, s0
	s_or_b32 exec_lo, exec_lo, s34
	s_and_saveexec_b32 s34, s53
	s_cbranch_execz .LBB693_84
.LBB693_144:
	global_load_u8 v32, v[4:5], off offset:512
	s_waitcnt vmcnt(0)
	v_and_b32_e32 v32, 1, v32
	s_delay_alu instid0(VALU_DEP_1) | instskip(NEXT) | instid1(VALU_DEP_1)
	v_cmp_eq_u32_e64 s0, 1, v32
	s_xor_b32 s70, s0, -1
	s_mov_b32 s0, s1
	s_and_saveexec_b32 s42, s70
; %bb.145:
	v_cmp_gt_f64_e64 s0, v[30:31], v[44:45]
	s_delay_alu instid0(VALU_DEP_1) | instskip(NEXT) | instid1(SALU_CYCLE_1)
	s_and_b32 s0, s1, s0
	v_cndmask_b32_e64 v31, v45, v31, s0
	v_cndmask_b32_e64 v30, v44, v30, s0
	s_or_b32 s0, s1, exec_lo
; %bb.146:
	s_or_b32 exec_lo, exec_lo, s42
	s_delay_alu instid0(SALU_CYCLE_1) | instskip(SKIP_1) | instid1(SALU_CYCLE_1)
	s_and_not1_b32 s1, s1, exec_lo
	s_and_b32 s0, s0, exec_lo
	s_or_b32 s1, s1, s0
	s_or_b32 exec_lo, exec_lo, s34
	s_and_saveexec_b32 s34, s52
	s_cbranch_execz .LBB693_85
.LBB693_147:
	global_load_u8 v32, v[4:5], off offset:544
	s_waitcnt vmcnt(0)
	v_and_b32_e32 v32, 1, v32
	s_delay_alu instid0(VALU_DEP_1) | instskip(NEXT) | instid1(VALU_DEP_1)
	v_cmp_eq_u32_e64 s0, 1, v32
	s_xor_b32 s70, s0, -1
	s_mov_b32 s0, s1
	s_and_saveexec_b32 s42, s70
; %bb.148:
	v_cmp_gt_f64_e64 s0, v[30:31], v[42:43]
	s_delay_alu instid0(VALU_DEP_1) | instskip(NEXT) | instid1(SALU_CYCLE_1)
	s_and_b32 s0, s1, s0
	v_cndmask_b32_e64 v31, v43, v31, s0
	v_cndmask_b32_e64 v30, v42, v30, s0
	s_or_b32 s0, s1, exec_lo
; %bb.149:
	s_or_b32 exec_lo, exec_lo, s42
	s_delay_alu instid0(SALU_CYCLE_1) | instskip(SKIP_1) | instid1(SALU_CYCLE_1)
	s_and_not1_b32 s1, s1, exec_lo
	s_and_b32 s0, s0, exec_lo
	s_or_b32 s1, s1, s0
	s_or_b32 exec_lo, exec_lo, s34
	s_and_saveexec_b32 s34, s51
	s_cbranch_execz .LBB693_86
.LBB693_150:
	global_load_u8 v32, v[4:5], off offset:576
	s_waitcnt vmcnt(0)
	v_and_b32_e32 v32, 1, v32
	s_delay_alu instid0(VALU_DEP_1) | instskip(NEXT) | instid1(VALU_DEP_1)
	v_cmp_eq_u32_e64 s0, 1, v32
	s_xor_b32 s70, s0, -1
	s_mov_b32 s0, s1
	s_and_saveexec_b32 s42, s70
; %bb.151:
	v_cmp_gt_f64_e64 s0, v[30:31], v[34:35]
	s_delay_alu instid0(VALU_DEP_1) | instskip(NEXT) | instid1(SALU_CYCLE_1)
	s_and_b32 s0, s1, s0
	v_cndmask_b32_e64 v31, v35, v31, s0
	v_cndmask_b32_e64 v30, v34, v30, s0
	s_or_b32 s0, s1, exec_lo
; %bb.152:
	s_or_b32 exec_lo, exec_lo, s42
	s_delay_alu instid0(SALU_CYCLE_1) | instskip(SKIP_1) | instid1(SALU_CYCLE_1)
	s_and_not1_b32 s1, s1, exec_lo
	s_and_b32 s0, s0, exec_lo
	s_or_b32 s1, s1, s0
	s_or_b32 exec_lo, exec_lo, s34
	s_and_saveexec_b32 s34, s50
	s_cbranch_execz .LBB693_87
.LBB693_153:
	global_load_u8 v32, v[4:5], off offset:608
	s_waitcnt vmcnt(0)
	v_and_b32_e32 v32, 1, v32
	s_delay_alu instid0(VALU_DEP_1) | instskip(NEXT) | instid1(VALU_DEP_1)
	v_cmp_eq_u32_e64 s0, 1, v32
	s_xor_b32 s70, s0, -1
	s_mov_b32 s0, s1
	s_and_saveexec_b32 s42, s70
; %bb.154:
	v_cmp_gt_f64_e64 s0, v[30:31], v[28:29]
	s_delay_alu instid0(VALU_DEP_1) | instskip(NEXT) | instid1(SALU_CYCLE_1)
	s_and_b32 s0, s1, s0
	v_cndmask_b32_e64 v31, v29, v31, s0
	v_cndmask_b32_e64 v30, v28, v30, s0
	s_or_b32 s0, s1, exec_lo
; %bb.155:
	s_or_b32 exec_lo, exec_lo, s42
	s_delay_alu instid0(SALU_CYCLE_1) | instskip(SKIP_1) | instid1(SALU_CYCLE_1)
	s_and_not1_b32 s1, s1, exec_lo
	s_and_b32 s0, s0, exec_lo
	s_or_b32 s1, s1, s0
	s_or_b32 exec_lo, exec_lo, s34
	s_and_saveexec_b32 s34, s49
	s_cbranch_execz .LBB693_88
.LBB693_156:
	global_load_u8 v32, v[4:5], off offset:640
	s_waitcnt vmcnt(0)
	v_and_b32_e32 v32, 1, v32
	s_delay_alu instid0(VALU_DEP_1) | instskip(NEXT) | instid1(VALU_DEP_1)
	v_cmp_eq_u32_e64 s0, 1, v32
	s_xor_b32 s70, s0, -1
	s_mov_b32 s0, s1
	s_and_saveexec_b32 s42, s70
; %bb.157:
	v_cmp_gt_f64_e64 s0, v[30:31], v[26:27]
	s_delay_alu instid0(VALU_DEP_1) | instskip(NEXT) | instid1(SALU_CYCLE_1)
	s_and_b32 s0, s1, s0
	v_cndmask_b32_e64 v31, v27, v31, s0
	v_cndmask_b32_e64 v30, v26, v30, s0
	s_or_b32 s0, s1, exec_lo
; %bb.158:
	s_or_b32 exec_lo, exec_lo, s42
	s_delay_alu instid0(SALU_CYCLE_1) | instskip(SKIP_1) | instid1(SALU_CYCLE_1)
	s_and_not1_b32 s1, s1, exec_lo
	s_and_b32 s0, s0, exec_lo
	s_or_b32 s1, s1, s0
	s_or_b32 exec_lo, exec_lo, s34
	s_and_saveexec_b32 s34, s48
	s_cbranch_execz .LBB693_89
.LBB693_159:
	global_load_u8 v32, v[4:5], off offset:672
	s_waitcnt vmcnt(0)
	v_and_b32_e32 v32, 1, v32
	s_delay_alu instid0(VALU_DEP_1) | instskip(NEXT) | instid1(VALU_DEP_1)
	v_cmp_eq_u32_e64 s0, 1, v32
	s_xor_b32 s70, s0, -1
	s_mov_b32 s0, s1
	s_and_saveexec_b32 s42, s70
; %bb.160:
	v_cmp_gt_f64_e64 s0, v[30:31], v[24:25]
	s_delay_alu instid0(VALU_DEP_1) | instskip(NEXT) | instid1(SALU_CYCLE_1)
	s_and_b32 s0, s1, s0
	v_cndmask_b32_e64 v31, v25, v31, s0
	v_cndmask_b32_e64 v30, v24, v30, s0
	s_or_b32 s0, s1, exec_lo
; %bb.161:
	s_or_b32 exec_lo, exec_lo, s42
	s_delay_alu instid0(SALU_CYCLE_1) | instskip(SKIP_1) | instid1(SALU_CYCLE_1)
	s_and_not1_b32 s1, s1, exec_lo
	s_and_b32 s0, s0, exec_lo
	s_or_b32 s1, s1, s0
	s_or_b32 exec_lo, exec_lo, s34
	s_and_saveexec_b32 s34, s47
	s_cbranch_execz .LBB693_90
.LBB693_162:
	global_load_u8 v32, v[4:5], off offset:704
	s_waitcnt vmcnt(0)
	v_and_b32_e32 v32, 1, v32
	s_delay_alu instid0(VALU_DEP_1) | instskip(NEXT) | instid1(VALU_DEP_1)
	v_cmp_eq_u32_e64 s0, 1, v32
	s_xor_b32 s70, s0, -1
	s_mov_b32 s0, s1
	s_and_saveexec_b32 s42, s70
; %bb.163:
	v_cmp_gt_f64_e64 s0, v[30:31], v[22:23]
	s_delay_alu instid0(VALU_DEP_1) | instskip(NEXT) | instid1(SALU_CYCLE_1)
	s_and_b32 s0, s1, s0
	v_cndmask_b32_e64 v31, v23, v31, s0
	v_cndmask_b32_e64 v30, v22, v30, s0
	s_or_b32 s0, s1, exec_lo
; %bb.164:
	s_or_b32 exec_lo, exec_lo, s42
	s_delay_alu instid0(SALU_CYCLE_1) | instskip(SKIP_1) | instid1(SALU_CYCLE_1)
	s_and_not1_b32 s1, s1, exec_lo
	s_and_b32 s0, s0, exec_lo
	s_or_b32 s1, s1, s0
	s_or_b32 exec_lo, exec_lo, s34
	s_and_saveexec_b32 s34, s46
	s_cbranch_execz .LBB693_91
.LBB693_165:
	global_load_u8 v32, v[4:5], off offset:736
	s_waitcnt vmcnt(0)
	v_and_b32_e32 v32, 1, v32
	s_delay_alu instid0(VALU_DEP_1) | instskip(NEXT) | instid1(VALU_DEP_1)
	v_cmp_eq_u32_e64 s0, 1, v32
	s_xor_b32 s70, s0, -1
	s_mov_b32 s0, s1
	s_and_saveexec_b32 s42, s70
; %bb.166:
	v_cmp_gt_f64_e64 s0, v[30:31], v[20:21]
	s_delay_alu instid0(VALU_DEP_1) | instskip(NEXT) | instid1(SALU_CYCLE_1)
	s_and_b32 s0, s1, s0
	v_cndmask_b32_e64 v31, v21, v31, s0
	v_cndmask_b32_e64 v30, v20, v30, s0
	s_or_b32 s0, s1, exec_lo
; %bb.167:
	s_or_b32 exec_lo, exec_lo, s42
	s_delay_alu instid0(SALU_CYCLE_1) | instskip(SKIP_1) | instid1(SALU_CYCLE_1)
	s_and_not1_b32 s1, s1, exec_lo
	s_and_b32 s0, s0, exec_lo
	s_or_b32 s1, s1, s0
	s_or_b32 exec_lo, exec_lo, s34
	s_and_saveexec_b32 s34, s45
	s_cbranch_execz .LBB693_92
.LBB693_168:
	global_load_u8 v32, v[4:5], off offset:768
	s_waitcnt vmcnt(0)
	v_and_b32_e32 v32, 1, v32
	s_delay_alu instid0(VALU_DEP_1) | instskip(NEXT) | instid1(VALU_DEP_1)
	v_cmp_eq_u32_e64 s0, 1, v32
	s_xor_b32 s70, s0, -1
	s_mov_b32 s0, s1
	s_and_saveexec_b32 s42, s70
; %bb.169:
	v_cmp_gt_f64_e64 s0, v[30:31], v[18:19]
	s_delay_alu instid0(VALU_DEP_1) | instskip(NEXT) | instid1(SALU_CYCLE_1)
	s_and_b32 s0, s1, s0
	v_cndmask_b32_e64 v31, v19, v31, s0
	v_cndmask_b32_e64 v30, v18, v30, s0
	s_or_b32 s0, s1, exec_lo
; %bb.170:
	s_or_b32 exec_lo, exec_lo, s42
	s_delay_alu instid0(SALU_CYCLE_1) | instskip(SKIP_1) | instid1(SALU_CYCLE_1)
	s_and_not1_b32 s1, s1, exec_lo
	s_and_b32 s0, s0, exec_lo
	s_or_b32 s1, s1, s0
	s_or_b32 exec_lo, exec_lo, s34
	s_and_saveexec_b32 s34, s44
	s_cbranch_execz .LBB693_93
.LBB693_171:
	global_load_u8 v32, v[4:5], off offset:800
	s_waitcnt vmcnt(0)
	v_and_b32_e32 v32, 1, v32
	s_delay_alu instid0(VALU_DEP_1) | instskip(NEXT) | instid1(VALU_DEP_1)
	v_cmp_eq_u32_e64 s0, 1, v32
	s_xor_b32 s70, s0, -1
	s_mov_b32 s0, s1
	s_and_saveexec_b32 s42, s70
; %bb.172:
	v_cmp_gt_f64_e64 s0, v[30:31], v[16:17]
	s_delay_alu instid0(VALU_DEP_1) | instskip(NEXT) | instid1(SALU_CYCLE_1)
	s_and_b32 s0, s1, s0
	v_cndmask_b32_e64 v31, v17, v31, s0
	v_cndmask_b32_e64 v30, v16, v30, s0
	s_or_b32 s0, s1, exec_lo
; %bb.173:
	s_or_b32 exec_lo, exec_lo, s42
	s_delay_alu instid0(SALU_CYCLE_1) | instskip(SKIP_1) | instid1(SALU_CYCLE_1)
	s_and_not1_b32 s1, s1, exec_lo
	s_and_b32 s0, s0, exec_lo
	s_or_b32 s1, s1, s0
	s_or_b32 exec_lo, exec_lo, s34
	s_and_saveexec_b32 s34, s43
	s_cbranch_execz .LBB693_94
.LBB693_174:
	global_load_u8 v32, v[4:5], off offset:832
	s_waitcnt vmcnt(0)
	v_and_b32_e32 v32, 1, v32
	s_delay_alu instid0(VALU_DEP_1) | instskip(NEXT) | instid1(VALU_DEP_1)
	v_cmp_eq_u32_e64 s0, 1, v32
	s_xor_b32 s70, s0, -1
	s_mov_b32 s0, s1
	s_and_saveexec_b32 s42, s70
; %bb.175:
	v_cmp_gt_f64_e64 s0, v[30:31], v[14:15]
	s_delay_alu instid0(VALU_DEP_1) | instskip(NEXT) | instid1(SALU_CYCLE_1)
	s_and_b32 s0, s1, s0
	v_cndmask_b32_e64 v31, v15, v31, s0
	v_cndmask_b32_e64 v30, v14, v30, s0
	s_or_b32 s0, s1, exec_lo
; %bb.176:
	s_or_b32 exec_lo, exec_lo, s42
	s_delay_alu instid0(SALU_CYCLE_1) | instskip(SKIP_1) | instid1(SALU_CYCLE_1)
	s_and_not1_b32 s1, s1, exec_lo
	s_and_b32 s0, s0, exec_lo
	s_or_b32 s1, s1, s0
	s_or_b32 exec_lo, exec_lo, s34
	s_and_saveexec_b32 s34, s41
	s_cbranch_execz .LBB693_95
.LBB693_177:
	global_load_u8 v32, v[4:5], off offset:864
	s_waitcnt vmcnt(0)
	v_and_b32_e32 v32, 1, v32
	s_delay_alu instid0(VALU_DEP_1) | instskip(NEXT) | instid1(VALU_DEP_1)
	v_cmp_eq_u32_e64 s0, 1, v32
	s_xor_b32 s70, s0, -1
	s_mov_b32 s0, s1
	s_and_saveexec_b32 s42, s70
; %bb.178:
	v_cmp_gt_f64_e64 s0, v[30:31], v[12:13]
	s_delay_alu instid0(VALU_DEP_1) | instskip(NEXT) | instid1(SALU_CYCLE_1)
	s_and_b32 s0, s1, s0
	v_cndmask_b32_e64 v31, v13, v31, s0
	v_cndmask_b32_e64 v30, v12, v30, s0
	s_or_b32 s0, s1, exec_lo
; %bb.179:
	s_or_b32 exec_lo, exec_lo, s42
	s_delay_alu instid0(SALU_CYCLE_1) | instskip(SKIP_1) | instid1(SALU_CYCLE_1)
	s_and_not1_b32 s1, s1, exec_lo
	s_and_b32 s0, s0, exec_lo
	s_or_b32 s1, s1, s0
	s_or_b32 exec_lo, exec_lo, s34
	s_and_saveexec_b32 s34, s40
	s_cbranch_execz .LBB693_96
.LBB693_180:
	global_load_u8 v32, v[4:5], off offset:896
	s_waitcnt vmcnt(0)
	v_and_b32_e32 v32, 1, v32
	s_delay_alu instid0(VALU_DEP_1) | instskip(NEXT) | instid1(VALU_DEP_1)
	v_cmp_eq_u32_e64 s0, 1, v32
	s_xor_b32 s70, s0, -1
	s_mov_b32 s0, s1
	s_and_saveexec_b32 s42, s70
; %bb.181:
	v_cmp_gt_f64_e64 s0, v[30:31], v[10:11]
	s_delay_alu instid0(VALU_DEP_1) | instskip(NEXT) | instid1(SALU_CYCLE_1)
	s_and_b32 s0, s1, s0
	v_cndmask_b32_e64 v31, v11, v31, s0
	v_cndmask_b32_e64 v30, v10, v30, s0
	s_or_b32 s0, s1, exec_lo
; %bb.182:
	s_or_b32 exec_lo, exec_lo, s42
	s_delay_alu instid0(SALU_CYCLE_1) | instskip(SKIP_1) | instid1(SALU_CYCLE_1)
	s_and_not1_b32 s1, s1, exec_lo
	s_and_b32 s0, s0, exec_lo
	s_or_b32 s1, s1, s0
	s_or_b32 exec_lo, exec_lo, s34
	s_and_saveexec_b32 s34, s39
	s_cbranch_execz .LBB693_97
.LBB693_183:
	global_load_u8 v32, v[4:5], off offset:928
	s_waitcnt vmcnt(0)
	v_and_b32_e32 v32, 1, v32
	s_delay_alu instid0(VALU_DEP_1) | instskip(NEXT) | instid1(VALU_DEP_1)
	v_cmp_eq_u32_e64 s0, 1, v32
	s_xor_b32 s70, s0, -1
	s_mov_b32 s0, s1
	s_and_saveexec_b32 s42, s70
; %bb.184:
	v_cmp_gt_f64_e64 s0, v[30:31], v[8:9]
	s_delay_alu instid0(VALU_DEP_1) | instskip(NEXT) | instid1(SALU_CYCLE_1)
	s_and_b32 s0, s1, s0
	v_cndmask_b32_e64 v31, v9, v31, s0
	v_cndmask_b32_e64 v30, v8, v30, s0
	s_or_b32 s0, s1, exec_lo
; %bb.185:
	s_or_b32 exec_lo, exec_lo, s42
	s_delay_alu instid0(SALU_CYCLE_1) | instskip(SKIP_1) | instid1(SALU_CYCLE_1)
	s_and_not1_b32 s1, s1, exec_lo
	s_and_b32 s0, s0, exec_lo
	s_or_b32 s1, s1, s0
	s_or_b32 exec_lo, exec_lo, s34
	s_and_saveexec_b32 s34, s38
	s_cbranch_execz .LBB693_98
.LBB693_186:
	global_load_u8 v32, v[4:5], off offset:960
	s_waitcnt vmcnt(0)
	v_and_b32_e32 v32, 1, v32
	s_delay_alu instid0(VALU_DEP_1) | instskip(NEXT) | instid1(VALU_DEP_1)
	v_cmp_eq_u32_e64 s0, 1, v32
	s_xor_b32 s70, s0, -1
	s_mov_b32 s0, s1
	s_and_saveexec_b32 s42, s70
; %bb.187:
	v_cmp_gt_f64_e64 s0, v[30:31], v[6:7]
	s_delay_alu instid0(VALU_DEP_1) | instskip(NEXT) | instid1(SALU_CYCLE_1)
	s_and_b32 s0, s1, s0
	v_cndmask_b32_e64 v31, v7, v31, s0
	v_cndmask_b32_e64 v30, v6, v30, s0
	s_or_b32 s0, s1, exec_lo
; %bb.188:
	s_or_b32 exec_lo, exec_lo, s42
	s_delay_alu instid0(SALU_CYCLE_1) | instskip(SKIP_1) | instid1(SALU_CYCLE_1)
	s_and_not1_b32 s1, s1, exec_lo
	s_and_b32 s0, s0, exec_lo
	s_or_b32 s1, s1, s0
	s_or_b32 exec_lo, exec_lo, s34
	s_and_saveexec_b32 s34, s35
	s_cbranch_execz .LBB693_192
.LBB693_189:
	global_load_u8 v32, v[4:5], off offset:992
	s_waitcnt vmcnt(0)
	v_and_b32_e32 v32, 1, v32
	s_delay_alu instid0(VALU_DEP_1) | instskip(NEXT) | instid1(VALU_DEP_1)
	v_cmp_eq_u32_e64 s0, 1, v32
	s_xor_b32 s70, s0, -1
	s_mov_b32 s0, s1
	s_and_saveexec_b32 s42, s70
; %bb.190:
	v_cmp_gt_f64_e64 s0, v[30:31], v[2:3]
	s_delay_alu instid0(VALU_DEP_1) | instskip(NEXT) | instid1(SALU_CYCLE_1)
	s_and_b32 s0, s1, s0
	v_cndmask_b32_e64 v31, v3, v31, s0
	v_cndmask_b32_e64 v30, v2, v30, s0
	s_or_b32 s0, s1, exec_lo
; %bb.191:
	s_or_b32 exec_lo, exec_lo, s42
	s_delay_alu instid0(SALU_CYCLE_1) | instskip(SKIP_1) | instid1(SALU_CYCLE_1)
	s_and_not1_b32 s1, s1, exec_lo
	s_and_b32 s0, s0, exec_lo
	s_or_b32 s1, s1, s0
.LBB693_192:
	s_or_b32 exec_lo, exec_lo, s34
	v_mbcnt_lo_u32_b32 v36, -1, 0
	v_cndmask_b32_e64 v30, 0, v30, s1
	v_cndmask_b32_e64 v31, 0xfff00000, v31, s1
	s_delay_alu instid0(VALU_DEP_3) | instskip(SKIP_1) | instid1(VALU_DEP_2)
	v_xor_b32_e32 v32, 16, v36
	v_xor_b32_e32 v37, 8, v36
	v_cmp_gt_i32_e64 s0, 32, v32
	s_delay_alu instid0(VALU_DEP_2) | instskip(NEXT) | instid1(VALU_DEP_2)
	v_cmp_gt_i32_e64 s1, 32, v37
	v_cndmask_b32_e64 v32, v36, v32, s0
	s_delay_alu instid0(VALU_DEP_2) | instskip(NEXT) | instid1(VALU_DEP_2)
	v_cndmask_b32_e64 v37, v36, v37, s1
	v_lshlrev_b32_e32 v77, 2, v32
	s_delay_alu instid0(VALU_DEP_2) | instskip(SKIP_4) | instid1(VALU_DEP_1)
	v_lshlrev_b32_e32 v78, 2, v37
	v_xor_b32_e32 v37, 4, v36
	ds_bpermute_b32 v32, v77, v30
	ds_bpermute_b32 v33, v77, v31
	v_cmp_gt_i32_e64 s1, 32, v37
	v_cndmask_b32_e64 v37, v36, v37, s1
	s_delay_alu instid0(VALU_DEP_1) | instskip(SKIP_1) | instid1(VALU_DEP_1)
	v_lshlrev_b32_e32 v79, 2, v37
	v_xor_b32_e32 v37, 2, v36
	v_cmp_gt_i32_e64 s1, 32, v37
	s_waitcnt lgkmcnt(0)
	v_cmp_lt_f64_e64 s0, v[30:31], v[32:33]
	s_delay_alu instid0(VALU_DEP_2) | instskip(NEXT) | instid1(VALU_DEP_1)
	v_cndmask_b32_e64 v37, v36, v37, s1
	v_lshlrev_b32_e32 v80, 2, v37
	v_xor_b32_e32 v37, 1, v36
	s_delay_alu instid0(VALU_DEP_1) | instskip(NEXT) | instid1(VALU_DEP_1)
	v_cmp_gt_i32_e64 s1, 32, v37
	v_cndmask_b32_e64 v36, v36, v37, s1
	s_delay_alu instid0(VALU_DEP_1)
	v_lshlrev_b32_e32 v81, 2, v36
	v_cndmask_b32_e64 v31, v31, v33, s0
	v_cndmask_b32_e64 v30, v30, v32, s0
	ds_bpermute_b32 v33, v78, v31
	ds_bpermute_b32 v32, v78, v30
	s_waitcnt lgkmcnt(0)
	v_cmp_lt_f64_e64 s0, v[30:31], v[32:33]
	s_delay_alu instid0(VALU_DEP_1)
	v_cndmask_b32_e64 v31, v31, v33, s0
	v_cndmask_b32_e64 v30, v30, v32, s0
	ds_bpermute_b32 v33, v79, v31
	ds_bpermute_b32 v32, v79, v30
	s_waitcnt lgkmcnt(0)
	v_cmp_lt_f64_e64 s0, v[30:31], v[32:33]
	s_delay_alu instid0(VALU_DEP_1)
	;; [unrolled: 7-line block ×3, first 2 shown]
	v_cndmask_b32_e64 v37, v31, v33, s0
	v_cndmask_b32_e64 v36, v30, v32, s0
	v_mov_b32_e32 v30, 0
	v_mov_b32_e32 v31, 0
	ds_bpermute_b32 v39, v81, v37
	ds_bpermute_b32 v38, v81, v36
	v_dual_mov_b32 v33, v31 :: v_dual_mov_b32 v32, v30
	s_waitcnt lgkmcnt(0)
	v_cmp_lt_f64_e64 s0, v[36:37], v[38:39]
	s_delay_alu instid0(VALU_DEP_1)
	v_cndmask_b32_e64 v39, v37, v39, s0
	v_cndmask_b32_e64 v38, v36, v38, s0
	v_dual_mov_b32 v37, v31 :: v_dual_mov_b32 v36, v30
	s_and_saveexec_b32 s34, s69
	s_cbranch_execz .LBB693_196
; %bb.193:
	global_load_u8 v32, v[4:5], off
	v_mov_b32_e32 v36, 0
	s_waitcnt vmcnt(0)
	v_dual_mov_b32 v37, 0 :: v_dual_and_b32 v32, 1, v32
	s_delay_alu instid0(VALU_DEP_1) | instskip(NEXT) | instid1(VALU_DEP_2)
	v_cmp_eq_u32_e64 s0, 1, v32
	v_dual_mov_b32 v32, v36 :: v_dual_mov_b32 v33, v37
	s_delay_alu instid0(VALU_DEP_2) | instskip(NEXT) | instid1(SALU_CYCLE_1)
	s_xor_b32 s0, s0, -1
	s_and_saveexec_b32 s42, s0
	s_cbranch_execz .LBB693_195
; %bb.194:
	v_add_f64 v[32:33], v[40:41], -v[38:39]
	s_mov_b32 s0, 0x652b82fe
	s_mov_b32 s1, 0x3ff71547
	;; [unrolled: 1-line block ×4, first 2 shown]
	s_delay_alu instid0(VALU_DEP_1) | instskip(SKIP_2) | instid1(VALU_DEP_1)
	v_mul_f64 v[36:37], v[32:33], s[0:1]
	s_mov_b32 s0, 0xfefa39ef
	s_mov_b32 s1, 0xbfe62e42
	v_rndne_f64_e32 v[36:37], v[36:37]
	s_delay_alu instid0(VALU_DEP_1) | instskip(SKIP_3) | instid1(VALU_DEP_2)
	v_fma_f64 v[40:41], v[36:37], s[0:1], v[32:33]
	s_mov_b32 s0, 0x3b39803f
	s_mov_b32 s1, 0xbc7abc9e
	v_cvt_i32_f64_e32 v84, v[36:37]
	v_fma_f64 v[40:41], v[36:37], s[0:1], v[40:41]
	s_mov_b32 s0, 0xfca7ab0c
	s_mov_b32 s1, 0x3e928af3
	s_delay_alu instid0(VALU_DEP_1) | instid1(SALU_CYCLE_1)
	v_fma_f64 v[82:83], v[40:41], s[70:71], s[0:1]
	s_mov_b32 s0, 0x623fde64
	s_mov_b32 s1, 0x3ec71dee
	s_delay_alu instid0(VALU_DEP_1) | instid1(SALU_CYCLE_1)
	;; [unrolled: 4-line block ×9, first 2 shown]
	v_fma_f64 v[82:83], v[40:41], v[82:83], s[0:1]
	v_cmp_nlt_f64_e64 s0, 0x40900000, v[32:33]
	v_cmp_ngt_f64_e64 s1, 0xc090cc00, v[32:33]
	s_delay_alu instid0(VALU_DEP_3) | instskip(NEXT) | instid1(VALU_DEP_1)
	v_fma_f64 v[82:83], v[40:41], v[82:83], 1.0
	v_fma_f64 v[36:37], v[40:41], v[82:83], 1.0
	s_delay_alu instid0(VALU_DEP_1) | instskip(NEXT) | instid1(VALU_DEP_1)
	v_ldexp_f64 v[36:37], v[36:37], v84
	v_cndmask_b32_e64 v37, 0x7ff00000, v37, s0
	s_and_b32 s0, s1, s0
	s_delay_alu instid0(VALU_DEP_2) | instid1(SALU_CYCLE_1)
	v_cndmask_b32_e64 v32, 0, v36, s0
	s_delay_alu instid0(VALU_DEP_2) | instskip(NEXT) | instid1(VALU_DEP_1)
	v_cndmask_b32_e64 v33, 0, v37, s1
	v_add_f64 v[36:37], v[32:33], 0
.LBB693_195:
	s_or_b32 exec_lo, exec_lo, s42
.LBB693_196:
	s_delay_alu instid0(SALU_CYCLE_1)
	s_or_b32 exec_lo, exec_lo, s34
	v_dual_mov_b32 v41, v31 :: v_dual_mov_b32 v40, v30
	s_and_saveexec_b32 s34, s68
	s_cbranch_execz .LBB693_200
; %bb.197:
	global_load_u8 v40, v[4:5], off offset:32
	s_waitcnt vmcnt(0)
	v_and_b32_e32 v40, 1, v40
	s_delay_alu instid0(VALU_DEP_1) | instskip(SKIP_2) | instid1(VALU_DEP_3)
	v_cmp_eq_u32_e64 s0, 1, v40
	v_mov_b32_e32 v40, 0
	v_mov_b32_e32 v41, 0
	s_xor_b32 s0, s0, -1
	s_delay_alu instid0(SALU_CYCLE_1)
	s_and_saveexec_b32 s42, s0
	s_cbranch_execz .LBB693_199
; %bb.198:
	v_add_f64 v[40:41], v[48:49], -v[38:39]
	s_mov_b32 s0, 0x652b82fe
	s_mov_b32 s1, 0x3ff71547
	;; [unrolled: 1-line block ×4, first 2 shown]
	s_delay_alu instid0(VALU_DEP_1) | instskip(SKIP_2) | instid1(VALU_DEP_1)
	v_mul_f64 v[48:49], v[40:41], s[0:1]
	s_mov_b32 s0, 0xfefa39ef
	s_mov_b32 s1, 0xbfe62e42
	v_rndne_f64_e32 v[48:49], v[48:49]
	s_delay_alu instid0(VALU_DEP_1) | instskip(SKIP_3) | instid1(VALU_DEP_2)
	v_fma_f64 v[82:83], v[48:49], s[0:1], v[40:41]
	s_mov_b32 s0, 0x3b39803f
	s_mov_b32 s1, 0xbc7abc9e
	v_cvt_i32_f64_e32 v86, v[48:49]
	v_fma_f64 v[82:83], v[48:49], s[0:1], v[82:83]
	s_mov_b32 s0, 0xfca7ab0c
	s_mov_b32 s1, 0x3e928af3
	s_delay_alu instid0(VALU_DEP_1) | instid1(SALU_CYCLE_1)
	v_fma_f64 v[84:85], v[82:83], s[68:69], s[0:1]
	s_mov_b32 s0, 0x623fde64
	s_mov_b32 s1, 0x3ec71dee
	s_delay_alu instid0(VALU_DEP_1) | instid1(SALU_CYCLE_1)
	;; [unrolled: 4-line block ×9, first 2 shown]
	v_fma_f64 v[84:85], v[82:83], v[84:85], s[0:1]
	v_cmp_nlt_f64_e64 s0, 0x40900000, v[40:41]
	v_cmp_ngt_f64_e64 s1, 0xc090cc00, v[40:41]
	s_delay_alu instid0(VALU_DEP_3) | instskip(NEXT) | instid1(VALU_DEP_1)
	v_fma_f64 v[84:85], v[82:83], v[84:85], 1.0
	v_fma_f64 v[48:49], v[82:83], v[84:85], 1.0
	s_delay_alu instid0(VALU_DEP_1) | instskip(NEXT) | instid1(VALU_DEP_1)
	v_ldexp_f64 v[48:49], v[48:49], v86
	v_cndmask_b32_e64 v49, 0x7ff00000, v49, s0
	s_and_b32 s0, s1, s0
	s_delay_alu instid0(VALU_DEP_2) | instid1(SALU_CYCLE_1)
	v_cndmask_b32_e64 v40, 0, v48, s0
	s_delay_alu instid0(VALU_DEP_2) | instskip(NEXT) | instid1(VALU_DEP_1)
	v_cndmask_b32_e64 v41, 0, v49, s1
	v_add_f64 v[36:37], v[36:37], v[40:41]
.LBB693_199:
	s_or_b32 exec_lo, exec_lo, s42
.LBB693_200:
	s_delay_alu instid0(SALU_CYCLE_1)
	s_or_b32 exec_lo, exec_lo, s34
	s_and_saveexec_b32 s34, s67
	s_cbranch_execz .LBB693_204
; %bb.201:
	global_load_u8 v30, v[4:5], off offset:64
	s_waitcnt vmcnt(0)
	v_and_b32_e32 v30, 1, v30
	s_delay_alu instid0(VALU_DEP_1) | instskip(SKIP_2) | instid1(VALU_DEP_3)
	v_cmp_eq_u32_e64 s0, 1, v30
	v_mov_b32_e32 v30, 0
	v_mov_b32_e32 v31, 0
	s_xor_b32 s0, s0, -1
	s_delay_alu instid0(SALU_CYCLE_1)
	s_and_saveexec_b32 s42, s0
	s_cbranch_execz .LBB693_203
; %bb.202:
	v_add_f64 v[30:31], v[46:47], -v[38:39]
	s_mov_b32 s0, 0x652b82fe
	s_mov_b32 s1, 0x3ff71547
	;; [unrolled: 1-line block ×4, first 2 shown]
	s_delay_alu instid0(VALU_DEP_1) | instskip(SKIP_2) | instid1(VALU_DEP_1)
	v_mul_f64 v[46:47], v[30:31], s[0:1]
	s_mov_b32 s0, 0xfefa39ef
	s_mov_b32 s1, 0xbfe62e42
	v_rndne_f64_e32 v[46:47], v[46:47]
	s_delay_alu instid0(VALU_DEP_1) | instskip(SKIP_3) | instid1(VALU_DEP_2)
	v_fma_f64 v[48:49], v[46:47], s[0:1], v[30:31]
	s_mov_b32 s0, 0x3b39803f
	s_mov_b32 s1, 0xbc7abc9e
	v_cvt_i32_f64_e32 v84, v[46:47]
	v_fma_f64 v[48:49], v[46:47], s[0:1], v[48:49]
	s_mov_b32 s0, 0xfca7ab0c
	s_mov_b32 s1, 0x3e928af3
	s_delay_alu instid0(VALU_DEP_1) | instid1(SALU_CYCLE_1)
	v_fma_f64 v[82:83], v[48:49], s[68:69], s[0:1]
	s_mov_b32 s0, 0x623fde64
	s_mov_b32 s1, 0x3ec71dee
	s_delay_alu instid0(VALU_DEP_1) | instid1(SALU_CYCLE_1)
	;; [unrolled: 4-line block ×9, first 2 shown]
	v_fma_f64 v[82:83], v[48:49], v[82:83], s[0:1]
	v_cmp_nlt_f64_e64 s0, 0x40900000, v[30:31]
	v_cmp_ngt_f64_e64 s1, 0xc090cc00, v[30:31]
	s_delay_alu instid0(VALU_DEP_3) | instskip(NEXT) | instid1(VALU_DEP_1)
	v_fma_f64 v[82:83], v[48:49], v[82:83], 1.0
	v_fma_f64 v[46:47], v[48:49], v[82:83], 1.0
	s_delay_alu instid0(VALU_DEP_1) | instskip(NEXT) | instid1(VALU_DEP_1)
	v_ldexp_f64 v[46:47], v[46:47], v84
	v_cndmask_b32_e64 v47, 0x7ff00000, v47, s0
	s_and_b32 s0, s1, s0
	s_delay_alu instid0(VALU_DEP_2) | instid1(SALU_CYCLE_1)
	v_cndmask_b32_e64 v30, 0, v46, s0
	s_delay_alu instid0(VALU_DEP_2) | instskip(NEXT) | instid1(VALU_DEP_1)
	v_cndmask_b32_e64 v31, 0, v47, s1
	v_add_f64 v[36:37], v[36:37], v[30:31]
.LBB693_203:
	s_or_b32 exec_lo, exec_lo, s42
.LBB693_204:
	s_delay_alu instid0(SALU_CYCLE_1) | instskip(SKIP_2) | instid1(VALU_DEP_1)
	s_or_b32 exec_lo, exec_lo, s34
	v_mov_b32_e32 v46, 0
	v_mov_b32_e32 v47, 0
	v_dual_mov_b32 v49, v47 :: v_dual_mov_b32 v48, v46
	s_and_saveexec_b32 s34, s66
	s_cbranch_execz .LBB693_208
; %bb.205:
	global_load_u8 v48, v[4:5], off offset:96
	s_waitcnt vmcnt(0)
	v_and_b32_e32 v48, 1, v48
	s_delay_alu instid0(VALU_DEP_1) | instskip(SKIP_2) | instid1(VALU_DEP_3)
	v_cmp_eq_u32_e64 s0, 1, v48
	v_mov_b32_e32 v48, 0
	v_mov_b32_e32 v49, 0
	s_xor_b32 s0, s0, -1
	s_delay_alu instid0(SALU_CYCLE_1)
	s_and_saveexec_b32 s42, s0
	s_cbranch_execz .LBB693_207
; %bb.206:
	v_add_f64 v[48:49], v[56:57], -v[38:39]
	s_mov_b32 s0, 0x652b82fe
	s_mov_b32 s1, 0x3ff71547
	;; [unrolled: 1-line block ×4, first 2 shown]
	s_delay_alu instid0(VALU_DEP_1) | instskip(SKIP_2) | instid1(VALU_DEP_1)
	v_mul_f64 v[56:57], v[48:49], s[0:1]
	s_mov_b32 s0, 0xfefa39ef
	s_mov_b32 s1, 0xbfe62e42
	v_rndne_f64_e32 v[56:57], v[56:57]
	s_delay_alu instid0(VALU_DEP_1) | instskip(SKIP_3) | instid1(VALU_DEP_2)
	v_fma_f64 v[82:83], v[56:57], s[0:1], v[48:49]
	s_mov_b32 s0, 0x3b39803f
	s_mov_b32 s1, 0xbc7abc9e
	v_cvt_i32_f64_e32 v86, v[56:57]
	v_fma_f64 v[82:83], v[56:57], s[0:1], v[82:83]
	s_mov_b32 s0, 0xfca7ab0c
	s_mov_b32 s1, 0x3e928af3
	s_delay_alu instid0(VALU_DEP_1) | instid1(SALU_CYCLE_1)
	v_fma_f64 v[84:85], v[82:83], s[66:67], s[0:1]
	s_mov_b32 s0, 0x623fde64
	s_mov_b32 s1, 0x3ec71dee
	s_delay_alu instid0(VALU_DEP_1) | instid1(SALU_CYCLE_1)
	;; [unrolled: 4-line block ×9, first 2 shown]
	v_fma_f64 v[84:85], v[82:83], v[84:85], s[0:1]
	v_cmp_nlt_f64_e64 s0, 0x40900000, v[48:49]
	v_cmp_ngt_f64_e64 s1, 0xc090cc00, v[48:49]
	s_delay_alu instid0(VALU_DEP_3) | instskip(NEXT) | instid1(VALU_DEP_1)
	v_fma_f64 v[84:85], v[82:83], v[84:85], 1.0
	v_fma_f64 v[56:57], v[82:83], v[84:85], 1.0
	s_delay_alu instid0(VALU_DEP_1) | instskip(NEXT) | instid1(VALU_DEP_1)
	v_ldexp_f64 v[56:57], v[56:57], v86
	v_cndmask_b32_e64 v57, 0x7ff00000, v57, s0
	s_and_b32 s0, s1, s0
	s_delay_alu instid0(VALU_DEP_2) | instid1(SALU_CYCLE_1)
	v_cndmask_b32_e64 v48, 0, v56, s0
	s_delay_alu instid0(VALU_DEP_2) | instskip(NEXT) | instid1(VALU_DEP_1)
	v_cndmask_b32_e64 v49, 0, v57, s1
	v_add_f64 v[36:37], v[36:37], v[48:49]
.LBB693_207:
	s_or_b32 exec_lo, exec_lo, s42
.LBB693_208:
	s_delay_alu instid0(SALU_CYCLE_1)
	s_or_b32 exec_lo, exec_lo, s34
	s_and_saveexec_b32 s34, s65
	s_cbranch_execz .LBB693_212
; %bb.209:
	global_load_u8 v46, v[4:5], off offset:128
	s_waitcnt vmcnt(0)
	v_and_b32_e32 v46, 1, v46
	s_delay_alu instid0(VALU_DEP_1) | instskip(SKIP_2) | instid1(VALU_DEP_3)
	v_cmp_eq_u32_e64 s0, 1, v46
	v_mov_b32_e32 v46, 0
	v_mov_b32_e32 v47, 0
	s_xor_b32 s0, s0, -1
	s_delay_alu instid0(SALU_CYCLE_1)
	s_and_saveexec_b32 s42, s0
	s_cbranch_execz .LBB693_211
; %bb.210:
	v_add_f64 v[46:47], v[54:55], -v[38:39]
	s_mov_b32 s0, 0x652b82fe
	s_mov_b32 s1, 0x3ff71547
	;; [unrolled: 1-line block ×4, first 2 shown]
	s_delay_alu instid0(VALU_DEP_1) | instskip(SKIP_2) | instid1(VALU_DEP_1)
	v_mul_f64 v[54:55], v[46:47], s[0:1]
	s_mov_b32 s0, 0xfefa39ef
	s_mov_b32 s1, 0xbfe62e42
	v_rndne_f64_e32 v[54:55], v[54:55]
	s_delay_alu instid0(VALU_DEP_1) | instskip(SKIP_3) | instid1(VALU_DEP_2)
	v_fma_f64 v[56:57], v[54:55], s[0:1], v[46:47]
	s_mov_b32 s0, 0x3b39803f
	s_mov_b32 s1, 0xbc7abc9e
	v_cvt_i32_f64_e32 v84, v[54:55]
	v_fma_f64 v[56:57], v[54:55], s[0:1], v[56:57]
	s_mov_b32 s0, 0xfca7ab0c
	s_mov_b32 s1, 0x3e928af3
	s_delay_alu instid0(VALU_DEP_1) | instid1(SALU_CYCLE_1)
	v_fma_f64 v[82:83], v[56:57], s[66:67], s[0:1]
	s_mov_b32 s0, 0x623fde64
	s_mov_b32 s1, 0x3ec71dee
	s_delay_alu instid0(VALU_DEP_1) | instid1(SALU_CYCLE_1)
	;; [unrolled: 4-line block ×9, first 2 shown]
	v_fma_f64 v[82:83], v[56:57], v[82:83], s[0:1]
	v_cmp_nlt_f64_e64 s0, 0x40900000, v[46:47]
	v_cmp_ngt_f64_e64 s1, 0xc090cc00, v[46:47]
	s_delay_alu instid0(VALU_DEP_3) | instskip(NEXT) | instid1(VALU_DEP_1)
	v_fma_f64 v[82:83], v[56:57], v[82:83], 1.0
	v_fma_f64 v[54:55], v[56:57], v[82:83], 1.0
	s_delay_alu instid0(VALU_DEP_1) | instskip(NEXT) | instid1(VALU_DEP_1)
	v_ldexp_f64 v[54:55], v[54:55], v84
	v_cndmask_b32_e64 v55, 0x7ff00000, v55, s0
	s_and_b32 s0, s1, s0
	s_delay_alu instid0(VALU_DEP_2) | instid1(SALU_CYCLE_1)
	v_cndmask_b32_e64 v46, 0, v54, s0
	s_delay_alu instid0(VALU_DEP_2) | instskip(NEXT) | instid1(VALU_DEP_1)
	v_cndmask_b32_e64 v47, 0, v55, s1
	v_add_f64 v[36:37], v[36:37], v[46:47]
.LBB693_211:
	s_or_b32 exec_lo, exec_lo, s42
.LBB693_212:
	s_delay_alu instid0(SALU_CYCLE_1) | instskip(SKIP_2) | instid1(VALU_DEP_1)
	s_or_b32 exec_lo, exec_lo, s34
	v_mov_b32_e32 v54, 0
	v_mov_b32_e32 v55, 0
	v_dual_mov_b32 v57, v55 :: v_dual_mov_b32 v56, v54
	s_and_saveexec_b32 s34, s64
	s_cbranch_execz .LBB693_216
; %bb.213:
	global_load_u8 v56, v[4:5], off offset:160
	s_waitcnt vmcnt(0)
	v_and_b32_e32 v56, 1, v56
	s_delay_alu instid0(VALU_DEP_1) | instskip(SKIP_2) | instid1(VALU_DEP_3)
	v_cmp_eq_u32_e64 s0, 1, v56
	v_mov_b32_e32 v56, 0
	v_mov_b32_e32 v57, 0
	s_xor_b32 s0, s0, -1
	s_delay_alu instid0(SALU_CYCLE_1)
	s_and_saveexec_b32 s42, s0
	s_cbranch_execz .LBB693_215
; %bb.214:
	v_add_f64 v[56:57], v[64:65], -v[38:39]
	s_mov_b32 s0, 0x652b82fe
	s_mov_b32 s1, 0x3ff71547
	;; [unrolled: 1-line block ×4, first 2 shown]
	s_delay_alu instid0(VALU_DEP_1) | instskip(SKIP_2) | instid1(VALU_DEP_1)
	v_mul_f64 v[64:65], v[56:57], s[0:1]
	s_mov_b32 s0, 0xfefa39ef
	s_mov_b32 s1, 0xbfe62e42
	v_rndne_f64_e32 v[64:65], v[64:65]
	s_delay_alu instid0(VALU_DEP_1) | instskip(SKIP_3) | instid1(VALU_DEP_2)
	v_fma_f64 v[82:83], v[64:65], s[0:1], v[56:57]
	s_mov_b32 s0, 0x3b39803f
	s_mov_b32 s1, 0xbc7abc9e
	v_cvt_i32_f64_e32 v86, v[64:65]
	v_fma_f64 v[82:83], v[64:65], s[0:1], v[82:83]
	s_mov_b32 s0, 0xfca7ab0c
	s_mov_b32 s1, 0x3e928af3
	s_delay_alu instid0(VALU_DEP_1) | instid1(SALU_CYCLE_1)
	v_fma_f64 v[84:85], v[82:83], s[64:65], s[0:1]
	s_mov_b32 s0, 0x623fde64
	s_mov_b32 s1, 0x3ec71dee
	s_delay_alu instid0(VALU_DEP_1) | instid1(SALU_CYCLE_1)
	;; [unrolled: 4-line block ×9, first 2 shown]
	v_fma_f64 v[84:85], v[82:83], v[84:85], s[0:1]
	v_cmp_nlt_f64_e64 s0, 0x40900000, v[56:57]
	v_cmp_ngt_f64_e64 s1, 0xc090cc00, v[56:57]
	s_delay_alu instid0(VALU_DEP_3) | instskip(NEXT) | instid1(VALU_DEP_1)
	v_fma_f64 v[84:85], v[82:83], v[84:85], 1.0
	v_fma_f64 v[64:65], v[82:83], v[84:85], 1.0
	s_delay_alu instid0(VALU_DEP_1) | instskip(NEXT) | instid1(VALU_DEP_1)
	v_ldexp_f64 v[64:65], v[64:65], v86
	v_cndmask_b32_e64 v65, 0x7ff00000, v65, s0
	s_and_b32 s0, s1, s0
	s_delay_alu instid0(VALU_DEP_2) | instid1(SALU_CYCLE_1)
	v_cndmask_b32_e64 v56, 0, v64, s0
	s_delay_alu instid0(VALU_DEP_2) | instskip(NEXT) | instid1(VALU_DEP_1)
	v_cndmask_b32_e64 v57, 0, v65, s1
	v_add_f64 v[36:37], v[36:37], v[56:57]
.LBB693_215:
	s_or_b32 exec_lo, exec_lo, s42
.LBB693_216:
	s_delay_alu instid0(SALU_CYCLE_1)
	s_or_b32 exec_lo, exec_lo, s34
	s_and_saveexec_b32 s34, s63
	s_cbranch_execz .LBB693_220
; %bb.217:
	global_load_u8 v54, v[4:5], off offset:192
	s_waitcnt vmcnt(0)
	v_and_b32_e32 v54, 1, v54
	s_delay_alu instid0(VALU_DEP_1) | instskip(SKIP_2) | instid1(VALU_DEP_3)
	v_cmp_eq_u32_e64 s0, 1, v54
	v_mov_b32_e32 v54, 0
	v_mov_b32_e32 v55, 0
	s_xor_b32 s0, s0, -1
	s_delay_alu instid0(SALU_CYCLE_1)
	s_and_saveexec_b32 s42, s0
	s_cbranch_execz .LBB693_219
; %bb.218:
	v_add_f64 v[54:55], v[62:63], -v[38:39]
	s_mov_b32 s0, 0x652b82fe
	s_mov_b32 s1, 0x3ff71547
	;; [unrolled: 1-line block ×4, first 2 shown]
	s_delay_alu instid0(VALU_DEP_1) | instskip(SKIP_2) | instid1(VALU_DEP_1)
	v_mul_f64 v[62:63], v[54:55], s[0:1]
	s_mov_b32 s0, 0xfefa39ef
	s_mov_b32 s1, 0xbfe62e42
	v_rndne_f64_e32 v[62:63], v[62:63]
	s_delay_alu instid0(VALU_DEP_1) | instskip(SKIP_3) | instid1(VALU_DEP_2)
	v_fma_f64 v[64:65], v[62:63], s[0:1], v[54:55]
	s_mov_b32 s0, 0x3b39803f
	s_mov_b32 s1, 0xbc7abc9e
	v_cvt_i32_f64_e32 v84, v[62:63]
	v_fma_f64 v[64:65], v[62:63], s[0:1], v[64:65]
	s_mov_b32 s0, 0xfca7ab0c
	s_mov_b32 s1, 0x3e928af3
	s_delay_alu instid0(VALU_DEP_1) | instid1(SALU_CYCLE_1)
	v_fma_f64 v[82:83], v[64:65], s[64:65], s[0:1]
	s_mov_b32 s0, 0x623fde64
	s_mov_b32 s1, 0x3ec71dee
	s_delay_alu instid0(VALU_DEP_1) | instid1(SALU_CYCLE_1)
	;; [unrolled: 4-line block ×9, first 2 shown]
	v_fma_f64 v[82:83], v[64:65], v[82:83], s[0:1]
	v_cmp_nlt_f64_e64 s0, 0x40900000, v[54:55]
	v_cmp_ngt_f64_e64 s1, 0xc090cc00, v[54:55]
	s_delay_alu instid0(VALU_DEP_3) | instskip(NEXT) | instid1(VALU_DEP_1)
	v_fma_f64 v[82:83], v[64:65], v[82:83], 1.0
	v_fma_f64 v[62:63], v[64:65], v[82:83], 1.0
	s_delay_alu instid0(VALU_DEP_1) | instskip(NEXT) | instid1(VALU_DEP_1)
	v_ldexp_f64 v[62:63], v[62:63], v84
	v_cndmask_b32_e64 v63, 0x7ff00000, v63, s0
	s_and_b32 s0, s1, s0
	s_delay_alu instid0(VALU_DEP_2) | instid1(SALU_CYCLE_1)
	v_cndmask_b32_e64 v54, 0, v62, s0
	s_delay_alu instid0(VALU_DEP_2) | instskip(NEXT) | instid1(VALU_DEP_1)
	v_cndmask_b32_e64 v55, 0, v63, s1
	v_add_f64 v[36:37], v[36:37], v[54:55]
.LBB693_219:
	s_or_b32 exec_lo, exec_lo, s42
.LBB693_220:
	s_delay_alu instid0(SALU_CYCLE_1) | instskip(SKIP_2) | instid1(VALU_DEP_1)
	s_or_b32 exec_lo, exec_lo, s34
	v_mov_b32_e32 v62, 0
	v_mov_b32_e32 v63, 0
	v_dual_mov_b32 v65, v63 :: v_dual_mov_b32 v64, v62
	s_and_saveexec_b32 s34, s62
	s_cbranch_execz .LBB693_224
; %bb.221:
	global_load_u8 v64, v[4:5], off offset:224
	s_waitcnt vmcnt(0)
	v_and_b32_e32 v64, 1, v64
	s_delay_alu instid0(VALU_DEP_1) | instskip(SKIP_2) | instid1(VALU_DEP_3)
	v_cmp_eq_u32_e64 s0, 1, v64
	v_mov_b32_e32 v64, 0
	v_mov_b32_e32 v65, 0
	s_xor_b32 s0, s0, -1
	s_delay_alu instid0(SALU_CYCLE_1)
	s_and_saveexec_b32 s42, s0
	s_cbranch_execz .LBB693_223
; %bb.222:
	v_add_f64 v[64:65], v[72:73], -v[38:39]
	s_mov_b32 s0, 0x652b82fe
	s_mov_b32 s1, 0x3ff71547
	;; [unrolled: 1-line block ×4, first 2 shown]
	s_delay_alu instid0(VALU_DEP_1) | instskip(SKIP_2) | instid1(VALU_DEP_1)
	v_mul_f64 v[72:73], v[64:65], s[0:1]
	s_mov_b32 s0, 0xfefa39ef
	s_mov_b32 s1, 0xbfe62e42
	v_rndne_f64_e32 v[72:73], v[72:73]
	s_delay_alu instid0(VALU_DEP_1) | instskip(SKIP_3) | instid1(VALU_DEP_2)
	v_fma_f64 v[82:83], v[72:73], s[0:1], v[64:65]
	s_mov_b32 s0, 0x3b39803f
	s_mov_b32 s1, 0xbc7abc9e
	v_cvt_i32_f64_e32 v86, v[72:73]
	v_fma_f64 v[82:83], v[72:73], s[0:1], v[82:83]
	s_mov_b32 s0, 0xfca7ab0c
	s_mov_b32 s1, 0x3e928af3
	s_delay_alu instid0(VALU_DEP_1) | instid1(SALU_CYCLE_1)
	v_fma_f64 v[84:85], v[82:83], s[62:63], s[0:1]
	s_mov_b32 s0, 0x623fde64
	s_mov_b32 s1, 0x3ec71dee
	s_delay_alu instid0(VALU_DEP_1) | instid1(SALU_CYCLE_1)
	;; [unrolled: 4-line block ×9, first 2 shown]
	v_fma_f64 v[84:85], v[82:83], v[84:85], s[0:1]
	v_cmp_nlt_f64_e64 s0, 0x40900000, v[64:65]
	v_cmp_ngt_f64_e64 s1, 0xc090cc00, v[64:65]
	s_delay_alu instid0(VALU_DEP_3) | instskip(NEXT) | instid1(VALU_DEP_1)
	v_fma_f64 v[84:85], v[82:83], v[84:85], 1.0
	v_fma_f64 v[72:73], v[82:83], v[84:85], 1.0
	s_delay_alu instid0(VALU_DEP_1) | instskip(NEXT) | instid1(VALU_DEP_1)
	v_ldexp_f64 v[72:73], v[72:73], v86
	v_cndmask_b32_e64 v73, 0x7ff00000, v73, s0
	s_and_b32 s0, s1, s0
	s_delay_alu instid0(VALU_DEP_2) | instid1(SALU_CYCLE_1)
	v_cndmask_b32_e64 v64, 0, v72, s0
	s_delay_alu instid0(VALU_DEP_2) | instskip(NEXT) | instid1(VALU_DEP_1)
	v_cndmask_b32_e64 v65, 0, v73, s1
	v_add_f64 v[36:37], v[36:37], v[64:65]
.LBB693_223:
	s_or_b32 exec_lo, exec_lo, s42
.LBB693_224:
	s_delay_alu instid0(SALU_CYCLE_1)
	s_or_b32 exec_lo, exec_lo, s34
	s_and_saveexec_b32 s34, s61
	s_cbranch_execz .LBB693_228
; %bb.225:
	global_load_u8 v62, v[4:5], off offset:256
	s_waitcnt vmcnt(0)
	v_and_b32_e32 v62, 1, v62
	s_delay_alu instid0(VALU_DEP_1) | instskip(SKIP_2) | instid1(VALU_DEP_3)
	v_cmp_eq_u32_e64 s0, 1, v62
	v_mov_b32_e32 v62, 0
	v_mov_b32_e32 v63, 0
	s_xor_b32 s0, s0, -1
	s_delay_alu instid0(SALU_CYCLE_1)
	s_and_saveexec_b32 s42, s0
	s_cbranch_execz .LBB693_227
; %bb.226:
	v_add_f64 v[62:63], v[68:69], -v[38:39]
	s_mov_b32 s0, 0x652b82fe
	s_mov_b32 s1, 0x3ff71547
	;; [unrolled: 1-line block ×4, first 2 shown]
	s_delay_alu instid0(VALU_DEP_1) | instskip(SKIP_2) | instid1(VALU_DEP_1)
	v_mul_f64 v[68:69], v[62:63], s[0:1]
	s_mov_b32 s0, 0xfefa39ef
	s_mov_b32 s1, 0xbfe62e42
	v_rndne_f64_e32 v[68:69], v[68:69]
	s_delay_alu instid0(VALU_DEP_1) | instskip(SKIP_3) | instid1(VALU_DEP_2)
	v_fma_f64 v[72:73], v[68:69], s[0:1], v[62:63]
	s_mov_b32 s0, 0x3b39803f
	s_mov_b32 s1, 0xbc7abc9e
	v_cvt_i32_f64_e32 v84, v[68:69]
	v_fma_f64 v[72:73], v[68:69], s[0:1], v[72:73]
	s_mov_b32 s0, 0xfca7ab0c
	s_mov_b32 s1, 0x3e928af3
	s_delay_alu instid0(VALU_DEP_1) | instid1(SALU_CYCLE_1)
	v_fma_f64 v[82:83], v[72:73], s[62:63], s[0:1]
	s_mov_b32 s0, 0x623fde64
	s_mov_b32 s1, 0x3ec71dee
	s_delay_alu instid0(VALU_DEP_1) | instid1(SALU_CYCLE_1)
	;; [unrolled: 4-line block ×9, first 2 shown]
	v_fma_f64 v[82:83], v[72:73], v[82:83], s[0:1]
	v_cmp_nlt_f64_e64 s0, 0x40900000, v[62:63]
	v_cmp_ngt_f64_e64 s1, 0xc090cc00, v[62:63]
	s_delay_alu instid0(VALU_DEP_3) | instskip(NEXT) | instid1(VALU_DEP_1)
	v_fma_f64 v[82:83], v[72:73], v[82:83], 1.0
	v_fma_f64 v[68:69], v[72:73], v[82:83], 1.0
	s_delay_alu instid0(VALU_DEP_1) | instskip(NEXT) | instid1(VALU_DEP_1)
	v_ldexp_f64 v[68:69], v[68:69], v84
	v_cndmask_b32_e64 v69, 0x7ff00000, v69, s0
	s_and_b32 s0, s1, s0
	s_delay_alu instid0(VALU_DEP_2) | instid1(SALU_CYCLE_1)
	v_cndmask_b32_e64 v62, 0, v68, s0
	s_delay_alu instid0(VALU_DEP_2) | instskip(NEXT) | instid1(VALU_DEP_1)
	v_cndmask_b32_e64 v63, 0, v69, s1
	v_add_f64 v[36:37], v[36:37], v[62:63]
.LBB693_227:
	s_or_b32 exec_lo, exec_lo, s42
.LBB693_228:
	s_delay_alu instid0(SALU_CYCLE_1) | instskip(SKIP_2) | instid1(VALU_DEP_1)
	s_or_b32 exec_lo, exec_lo, s34
	v_mov_b32_e32 v68, 0
	v_mov_b32_e32 v69, 0
	v_dual_mov_b32 v73, v69 :: v_dual_mov_b32 v72, v68
	s_and_saveexec_b32 s34, s60
	s_cbranch_execz .LBB693_232
; %bb.229:
	global_load_u8 v72, v[4:5], off offset:288
	s_waitcnt vmcnt(0)
	v_and_b32_e32 v72, 1, v72
	s_delay_alu instid0(VALU_DEP_1) | instskip(SKIP_2) | instid1(VALU_DEP_3)
	v_cmp_eq_u32_e64 s0, 1, v72
	v_mov_b32_e32 v72, 0
	v_mov_b32_e32 v73, 0
	s_xor_b32 s0, s0, -1
	s_delay_alu instid0(SALU_CYCLE_1)
	s_and_saveexec_b32 s42, s0
	s_cbranch_execz .LBB693_231
; %bb.230:
	v_add_f64 v[72:73], v[74:75], -v[38:39]
	s_mov_b32 s0, 0x652b82fe
	s_mov_b32 s1, 0x3ff71547
	s_mov_b32 s60, 0x6a5dcb37
	s_mov_b32 s61, 0x3e5ade15
	s_delay_alu instid0(VALU_DEP_1) | instskip(SKIP_2) | instid1(VALU_DEP_1)
	v_mul_f64 v[74:75], v[72:73], s[0:1]
	s_mov_b32 s0, 0xfefa39ef
	s_mov_b32 s1, 0xbfe62e42
	v_rndne_f64_e32 v[74:75], v[74:75]
	s_delay_alu instid0(VALU_DEP_1) | instskip(SKIP_3) | instid1(VALU_DEP_2)
	v_fma_f64 v[82:83], v[74:75], s[0:1], v[72:73]
	s_mov_b32 s0, 0x3b39803f
	s_mov_b32 s1, 0xbc7abc9e
	v_cvt_i32_f64_e32 v86, v[74:75]
	v_fma_f64 v[82:83], v[74:75], s[0:1], v[82:83]
	s_mov_b32 s0, 0xfca7ab0c
	s_mov_b32 s1, 0x3e928af3
	s_delay_alu instid0(VALU_DEP_1) | instid1(SALU_CYCLE_1)
	v_fma_f64 v[84:85], v[82:83], s[60:61], s[0:1]
	s_mov_b32 s0, 0x623fde64
	s_mov_b32 s1, 0x3ec71dee
	s_delay_alu instid0(VALU_DEP_1) | instid1(SALU_CYCLE_1)
	;; [unrolled: 4-line block ×9, first 2 shown]
	v_fma_f64 v[84:85], v[82:83], v[84:85], s[0:1]
	v_cmp_nlt_f64_e64 s0, 0x40900000, v[72:73]
	v_cmp_ngt_f64_e64 s1, 0xc090cc00, v[72:73]
	s_delay_alu instid0(VALU_DEP_3) | instskip(NEXT) | instid1(VALU_DEP_1)
	v_fma_f64 v[84:85], v[82:83], v[84:85], 1.0
	v_fma_f64 v[74:75], v[82:83], v[84:85], 1.0
	s_delay_alu instid0(VALU_DEP_1) | instskip(NEXT) | instid1(VALU_DEP_1)
	v_ldexp_f64 v[74:75], v[74:75], v86
	v_cndmask_b32_e64 v75, 0x7ff00000, v75, s0
	s_and_b32 s0, s1, s0
	s_delay_alu instid0(VALU_DEP_2) | instid1(SALU_CYCLE_1)
	v_cndmask_b32_e64 v72, 0, v74, s0
	s_delay_alu instid0(VALU_DEP_2) | instskip(NEXT) | instid1(VALU_DEP_1)
	v_cndmask_b32_e64 v73, 0, v75, s1
	v_add_f64 v[36:37], v[36:37], v[72:73]
.LBB693_231:
	s_or_b32 exec_lo, exec_lo, s42
.LBB693_232:
	s_delay_alu instid0(SALU_CYCLE_1)
	s_or_b32 exec_lo, exec_lo, s34
	s_and_saveexec_b32 s34, s59
	s_cbranch_execz .LBB693_236
; %bb.233:
	global_load_u8 v68, v[4:5], off offset:320
	s_waitcnt vmcnt(0)
	v_and_b32_e32 v68, 1, v68
	s_delay_alu instid0(VALU_DEP_1) | instskip(SKIP_2) | instid1(VALU_DEP_3)
	v_cmp_eq_u32_e64 s0, 1, v68
	v_mov_b32_e32 v68, 0
	v_mov_b32_e32 v69, 0
	s_xor_b32 s0, s0, -1
	s_delay_alu instid0(SALU_CYCLE_1)
	s_and_saveexec_b32 s42, s0
	s_cbranch_execz .LBB693_235
; %bb.234:
	v_add_f64 v[68:69], v[70:71], -v[38:39]
	s_mov_b32 s0, 0x652b82fe
	s_mov_b32 s1, 0x3ff71547
	s_mov_b32 s60, 0x6a5dcb37
	s_mov_b32 s61, 0x3e5ade15
	s_delay_alu instid0(VALU_DEP_1) | instskip(SKIP_2) | instid1(VALU_DEP_1)
	v_mul_f64 v[70:71], v[68:69], s[0:1]
	s_mov_b32 s0, 0xfefa39ef
	s_mov_b32 s1, 0xbfe62e42
	v_rndne_f64_e32 v[70:71], v[70:71]
	s_delay_alu instid0(VALU_DEP_1) | instskip(SKIP_3) | instid1(VALU_DEP_2)
	v_fma_f64 v[74:75], v[70:71], s[0:1], v[68:69]
	s_mov_b32 s0, 0x3b39803f
	s_mov_b32 s1, 0xbc7abc9e
	v_cvt_i32_f64_e32 v84, v[70:71]
	v_fma_f64 v[74:75], v[70:71], s[0:1], v[74:75]
	s_mov_b32 s0, 0xfca7ab0c
	s_mov_b32 s1, 0x3e928af3
	s_delay_alu instid0(VALU_DEP_1) | instid1(SALU_CYCLE_1)
	v_fma_f64 v[82:83], v[74:75], s[60:61], s[0:1]
	s_mov_b32 s0, 0x623fde64
	s_mov_b32 s1, 0x3ec71dee
	s_delay_alu instid0(VALU_DEP_1) | instid1(SALU_CYCLE_1)
	v_fma_f64 v[82:83], v[74:75], v[82:83], s[0:1]
	s_mov_b32 s0, 0x7c89e6b0
	s_mov_b32 s1, 0x3efa0199
	s_delay_alu instid0(VALU_DEP_1) | instid1(SALU_CYCLE_1)
	v_fma_f64 v[82:83], v[74:75], v[82:83], s[0:1]
	s_mov_b32 s0, 0x14761f6e
	s_mov_b32 s1, 0x3f2a01a0
	s_delay_alu instid0(VALU_DEP_1) | instid1(SALU_CYCLE_1)
	v_fma_f64 v[82:83], v[74:75], v[82:83], s[0:1]
	s_mov_b32 s0, 0x1852b7b0
	s_mov_b32 s1, 0x3f56c16c
	s_delay_alu instid0(VALU_DEP_1) | instid1(SALU_CYCLE_1)
	v_fma_f64 v[82:83], v[74:75], v[82:83], s[0:1]
	s_mov_b32 s0, 0x11122322
	s_mov_b32 s1, 0x3f811111
	s_delay_alu instid0(VALU_DEP_1) | instid1(SALU_CYCLE_1)
	v_fma_f64 v[82:83], v[74:75], v[82:83], s[0:1]
	s_mov_b32 s0, 0x555502a1
	s_mov_b32 s1, 0x3fa55555
	s_delay_alu instid0(VALU_DEP_1) | instid1(SALU_CYCLE_1)
	v_fma_f64 v[82:83], v[74:75], v[82:83], s[0:1]
	s_mov_b32 s0, 0x55555511
	s_mov_b32 s1, 0x3fc55555
	s_delay_alu instid0(VALU_DEP_1) | instid1(SALU_CYCLE_1)
	v_fma_f64 v[82:83], v[74:75], v[82:83], s[0:1]
	s_mov_b32 s0, 11
	s_mov_b32 s1, 0x3fe00000
	s_delay_alu instid0(VALU_DEP_1) | instid1(SALU_CYCLE_1)
	v_fma_f64 v[82:83], v[74:75], v[82:83], s[0:1]
	v_cmp_nlt_f64_e64 s0, 0x40900000, v[68:69]
	v_cmp_ngt_f64_e64 s1, 0xc090cc00, v[68:69]
	s_delay_alu instid0(VALU_DEP_3) | instskip(NEXT) | instid1(VALU_DEP_1)
	v_fma_f64 v[82:83], v[74:75], v[82:83], 1.0
	v_fma_f64 v[70:71], v[74:75], v[82:83], 1.0
	s_delay_alu instid0(VALU_DEP_1) | instskip(NEXT) | instid1(VALU_DEP_1)
	v_ldexp_f64 v[70:71], v[70:71], v84
	v_cndmask_b32_e64 v71, 0x7ff00000, v71, s0
	s_and_b32 s0, s1, s0
	s_delay_alu instid0(VALU_DEP_2) | instid1(SALU_CYCLE_1)
	v_cndmask_b32_e64 v68, 0, v70, s0
	s_delay_alu instid0(VALU_DEP_2) | instskip(NEXT) | instid1(VALU_DEP_1)
	v_cndmask_b32_e64 v69, 0, v71, s1
	v_add_f64 v[36:37], v[36:37], v[68:69]
.LBB693_235:
	s_or_b32 exec_lo, exec_lo, s42
.LBB693_236:
	s_delay_alu instid0(SALU_CYCLE_1) | instskip(SKIP_2) | instid1(VALU_DEP_1)
	s_or_b32 exec_lo, exec_lo, s34
	v_mov_b32_e32 v70, 0
	v_mov_b32_e32 v71, 0
	v_dual_mov_b32 v75, v71 :: v_dual_mov_b32 v74, v70
	s_and_saveexec_b32 s34, s58
	s_cbranch_execz .LBB693_240
; %bb.237:
	global_load_u8 v74, v[4:5], off offset:352
	s_waitcnt vmcnt(0)
	v_and_b32_e32 v74, 1, v74
	s_delay_alu instid0(VALU_DEP_1) | instskip(SKIP_2) | instid1(VALU_DEP_3)
	v_cmp_eq_u32_e64 s0, 1, v74
	v_mov_b32_e32 v74, 0
	v_mov_b32_e32 v75, 0
	s_xor_b32 s0, s0, -1
	s_delay_alu instid0(SALU_CYCLE_1)
	s_and_saveexec_b32 s42, s0
	s_cbranch_execz .LBB693_239
; %bb.238:
	v_add_f64 v[66:67], v[66:67], -v[38:39]
	s_mov_b32 s0, 0x652b82fe
	s_mov_b32 s1, 0x3ff71547
	;; [unrolled: 1-line block ×4, first 2 shown]
	s_delay_alu instid0(VALU_DEP_1) | instskip(SKIP_2) | instid1(VALU_DEP_1)
	v_mul_f64 v[74:75], v[66:67], s[0:1]
	s_mov_b32 s0, 0xfefa39ef
	s_mov_b32 s1, 0xbfe62e42
	v_rndne_f64_e32 v[74:75], v[74:75]
	s_delay_alu instid0(VALU_DEP_1) | instskip(SKIP_3) | instid1(VALU_DEP_2)
	v_fma_f64 v[82:83], v[74:75], s[0:1], v[66:67]
	s_mov_b32 s0, 0x3b39803f
	s_mov_b32 s1, 0xbc7abc9e
	v_cvt_i32_f64_e32 v86, v[74:75]
	v_fma_f64 v[82:83], v[74:75], s[0:1], v[82:83]
	s_mov_b32 s0, 0xfca7ab0c
	s_mov_b32 s1, 0x3e928af3
	s_delay_alu instid0(VALU_DEP_1) | instid1(SALU_CYCLE_1)
	v_fma_f64 v[84:85], v[82:83], s[58:59], s[0:1]
	s_mov_b32 s0, 0x623fde64
	s_mov_b32 s1, 0x3ec71dee
	s_delay_alu instid0(VALU_DEP_1) | instid1(SALU_CYCLE_1)
	;; [unrolled: 4-line block ×9, first 2 shown]
	v_fma_f64 v[84:85], v[82:83], v[84:85], s[0:1]
	v_cmp_nlt_f64_e64 s0, 0x40900000, v[66:67]
	v_cmp_ngt_f64_e64 s1, 0xc090cc00, v[66:67]
	s_delay_alu instid0(VALU_DEP_3) | instskip(NEXT) | instid1(VALU_DEP_1)
	v_fma_f64 v[84:85], v[82:83], v[84:85], 1.0
	v_fma_f64 v[74:75], v[82:83], v[84:85], 1.0
	s_delay_alu instid0(VALU_DEP_1) | instskip(NEXT) | instid1(VALU_DEP_1)
	v_ldexp_f64 v[74:75], v[74:75], v86
	v_cndmask_b32_e64 v75, 0x7ff00000, v75, s0
	s_and_b32 s0, s1, s0
	s_delay_alu instid0(VALU_DEP_2) | instid1(SALU_CYCLE_1)
	v_cndmask_b32_e64 v74, 0, v74, s0
	s_delay_alu instid0(VALU_DEP_2) | instskip(NEXT) | instid1(VALU_DEP_1)
	v_cndmask_b32_e64 v75, 0, v75, s1
	v_add_f64 v[36:37], v[36:37], v[74:75]
.LBB693_239:
	s_or_b32 exec_lo, exec_lo, s42
.LBB693_240:
	s_delay_alu instid0(SALU_CYCLE_1)
	s_or_b32 exec_lo, exec_lo, s34
	s_and_saveexec_b32 s34, s57
	s_cbranch_execz .LBB693_244
; %bb.241:
	global_load_u8 v66, v[4:5], off offset:384
	v_mov_b32_e32 v70, 0
	s_waitcnt vmcnt(0)
	v_dual_mov_b32 v71, 0 :: v_dual_and_b32 v66, 1, v66
	s_delay_alu instid0(VALU_DEP_1) | instskip(NEXT) | instid1(VALU_DEP_1)
	v_cmp_eq_u32_e64 s0, 1, v66
	s_xor_b32 s0, s0, -1
	s_delay_alu instid0(SALU_CYCLE_1)
	s_and_saveexec_b32 s42, s0
	s_cbranch_execz .LBB693_243
; %bb.242:
	v_add_f64 v[60:61], v[60:61], -v[38:39]
	s_mov_b32 s0, 0x652b82fe
	s_mov_b32 s1, 0x3ff71547
	;; [unrolled: 1-line block ×4, first 2 shown]
	s_delay_alu instid0(VALU_DEP_1) | instskip(SKIP_2) | instid1(VALU_DEP_1)
	v_mul_f64 v[66:67], v[60:61], s[0:1]
	s_mov_b32 s0, 0xfefa39ef
	s_mov_b32 s1, 0xbfe62e42
	v_rndne_f64_e32 v[66:67], v[66:67]
	s_delay_alu instid0(VALU_DEP_1) | instskip(SKIP_3) | instid1(VALU_DEP_2)
	v_fma_f64 v[70:71], v[66:67], s[0:1], v[60:61]
	s_mov_b32 s0, 0x3b39803f
	s_mov_b32 s1, 0xbc7abc9e
	v_cvt_i32_f64_e32 v84, v[66:67]
	v_fma_f64 v[70:71], v[66:67], s[0:1], v[70:71]
	s_mov_b32 s0, 0xfca7ab0c
	s_mov_b32 s1, 0x3e928af3
	s_delay_alu instid0(VALU_DEP_1) | instid1(SALU_CYCLE_1)
	v_fma_f64 v[82:83], v[70:71], s[58:59], s[0:1]
	s_mov_b32 s0, 0x623fde64
	s_mov_b32 s1, 0x3ec71dee
	s_delay_alu instid0(VALU_DEP_1) | instid1(SALU_CYCLE_1)
	;; [unrolled: 4-line block ×9, first 2 shown]
	v_fma_f64 v[82:83], v[70:71], v[82:83], s[0:1]
	v_cmp_nlt_f64_e64 s0, 0x40900000, v[60:61]
	v_cmp_ngt_f64_e64 s1, 0xc090cc00, v[60:61]
	s_delay_alu instid0(VALU_DEP_3) | instskip(NEXT) | instid1(VALU_DEP_1)
	v_fma_f64 v[82:83], v[70:71], v[82:83], 1.0
	v_fma_f64 v[66:67], v[70:71], v[82:83], 1.0
	s_delay_alu instid0(VALU_DEP_1) | instskip(NEXT) | instid1(VALU_DEP_1)
	v_ldexp_f64 v[66:67], v[66:67], v84
	v_cndmask_b32_e64 v67, 0x7ff00000, v67, s0
	s_and_b32 s0, s1, s0
	s_delay_alu instid0(VALU_DEP_2) | instid1(SALU_CYCLE_1)
	v_cndmask_b32_e64 v70, 0, v66, s0
	s_delay_alu instid0(VALU_DEP_2) | instskip(NEXT) | instid1(VALU_DEP_1)
	v_cndmask_b32_e64 v71, 0, v67, s1
	v_add_f64 v[36:37], v[36:37], v[70:71]
.LBB693_243:
	s_or_b32 exec_lo, exec_lo, s42
.LBB693_244:
	s_delay_alu instid0(SALU_CYCLE_1) | instskip(SKIP_2) | instid1(VALU_DEP_1)
	s_or_b32 exec_lo, exec_lo, s34
	v_mov_b32_e32 v60, 0
	v_mov_b32_e32 v61, 0
	v_dual_mov_b32 v67, v61 :: v_dual_mov_b32 v66, v60
	s_and_saveexec_b32 s34, s56
	s_cbranch_execz .LBB693_248
; %bb.245:
	global_load_u8 v66, v[4:5], off offset:416
	s_waitcnt vmcnt(0)
	v_and_b32_e32 v66, 1, v66
	s_delay_alu instid0(VALU_DEP_1) | instskip(SKIP_2) | instid1(VALU_DEP_3)
	v_cmp_eq_u32_e64 s0, 1, v66
	v_mov_b32_e32 v66, 0
	v_mov_b32_e32 v67, 0
	s_xor_b32 s0, s0, -1
	s_delay_alu instid0(SALU_CYCLE_1)
	s_and_saveexec_b32 s42, s0
	s_cbranch_execz .LBB693_247
; %bb.246:
	v_add_f64 v[58:59], v[58:59], -v[38:39]
	s_mov_b32 s0, 0x652b82fe
	s_mov_b32 s1, 0x3ff71547
	;; [unrolled: 1-line block ×4, first 2 shown]
	s_delay_alu instid0(VALU_DEP_1) | instskip(SKIP_2) | instid1(VALU_DEP_1)
	v_mul_f64 v[66:67], v[58:59], s[0:1]
	s_mov_b32 s0, 0xfefa39ef
	s_mov_b32 s1, 0xbfe62e42
	v_rndne_f64_e32 v[66:67], v[66:67]
	s_delay_alu instid0(VALU_DEP_1) | instskip(SKIP_3) | instid1(VALU_DEP_2)
	v_fma_f64 v[82:83], v[66:67], s[0:1], v[58:59]
	s_mov_b32 s0, 0x3b39803f
	s_mov_b32 s1, 0xbc7abc9e
	v_cvt_i32_f64_e32 v86, v[66:67]
	v_fma_f64 v[82:83], v[66:67], s[0:1], v[82:83]
	s_mov_b32 s0, 0xfca7ab0c
	s_mov_b32 s1, 0x3e928af3
	s_delay_alu instid0(VALU_DEP_1) | instid1(SALU_CYCLE_1)
	v_fma_f64 v[84:85], v[82:83], s[56:57], s[0:1]
	s_mov_b32 s0, 0x623fde64
	s_mov_b32 s1, 0x3ec71dee
	s_delay_alu instid0(VALU_DEP_1) | instid1(SALU_CYCLE_1)
	;; [unrolled: 4-line block ×9, first 2 shown]
	v_fma_f64 v[84:85], v[82:83], v[84:85], s[0:1]
	v_cmp_nlt_f64_e64 s0, 0x40900000, v[58:59]
	v_cmp_ngt_f64_e64 s1, 0xc090cc00, v[58:59]
	s_delay_alu instid0(VALU_DEP_3) | instskip(NEXT) | instid1(VALU_DEP_1)
	v_fma_f64 v[84:85], v[82:83], v[84:85], 1.0
	v_fma_f64 v[66:67], v[82:83], v[84:85], 1.0
	s_delay_alu instid0(VALU_DEP_1) | instskip(NEXT) | instid1(VALU_DEP_1)
	v_ldexp_f64 v[66:67], v[66:67], v86
	v_cndmask_b32_e64 v67, 0x7ff00000, v67, s0
	s_and_b32 s0, s1, s0
	s_delay_alu instid0(VALU_DEP_2) | instid1(SALU_CYCLE_1)
	v_cndmask_b32_e64 v66, 0, v66, s0
	s_delay_alu instid0(VALU_DEP_2) | instskip(NEXT) | instid1(VALU_DEP_1)
	v_cndmask_b32_e64 v67, 0, v67, s1
	v_add_f64 v[36:37], v[36:37], v[66:67]
.LBB693_247:
	s_or_b32 exec_lo, exec_lo, s42
.LBB693_248:
	s_delay_alu instid0(SALU_CYCLE_1)
	s_or_b32 exec_lo, exec_lo, s34
	s_and_saveexec_b32 s34, s55
	s_cbranch_execz .LBB693_252
; %bb.249:
	global_load_u8 v58, v[4:5], off offset:448
	v_mov_b32_e32 v60, 0
	s_waitcnt vmcnt(0)
	v_dual_mov_b32 v61, 0 :: v_dual_and_b32 v58, 1, v58
	s_delay_alu instid0(VALU_DEP_1) | instskip(NEXT) | instid1(VALU_DEP_1)
	v_cmp_eq_u32_e64 s0, 1, v58
	s_xor_b32 s0, s0, -1
	s_delay_alu instid0(SALU_CYCLE_1)
	s_and_saveexec_b32 s42, s0
	s_cbranch_execz .LBB693_251
; %bb.250:
	v_add_f64 v[52:53], v[52:53], -v[38:39]
	s_mov_b32 s0, 0x652b82fe
	s_mov_b32 s1, 0x3ff71547
	;; [unrolled: 1-line block ×4, first 2 shown]
	s_delay_alu instid0(VALU_DEP_1) | instskip(SKIP_2) | instid1(VALU_DEP_1)
	v_mul_f64 v[58:59], v[52:53], s[0:1]
	s_mov_b32 s0, 0xfefa39ef
	s_mov_b32 s1, 0xbfe62e42
	v_rndne_f64_e32 v[58:59], v[58:59]
	s_delay_alu instid0(VALU_DEP_1) | instskip(SKIP_3) | instid1(VALU_DEP_2)
	v_fma_f64 v[60:61], v[58:59], s[0:1], v[52:53]
	s_mov_b32 s0, 0x3b39803f
	s_mov_b32 s1, 0xbc7abc9e
	v_cvt_i32_f64_e32 v84, v[58:59]
	v_fma_f64 v[60:61], v[58:59], s[0:1], v[60:61]
	s_mov_b32 s0, 0xfca7ab0c
	s_mov_b32 s1, 0x3e928af3
	s_delay_alu instid0(VALU_DEP_1) | instid1(SALU_CYCLE_1)
	v_fma_f64 v[82:83], v[60:61], s[56:57], s[0:1]
	s_mov_b32 s0, 0x623fde64
	s_mov_b32 s1, 0x3ec71dee
	s_delay_alu instid0(VALU_DEP_1) | instid1(SALU_CYCLE_1)
	;; [unrolled: 4-line block ×9, first 2 shown]
	v_fma_f64 v[82:83], v[60:61], v[82:83], s[0:1]
	v_cmp_nlt_f64_e64 s0, 0x40900000, v[52:53]
	v_cmp_ngt_f64_e64 s1, 0xc090cc00, v[52:53]
	s_delay_alu instid0(VALU_DEP_3) | instskip(NEXT) | instid1(VALU_DEP_1)
	v_fma_f64 v[82:83], v[60:61], v[82:83], 1.0
	v_fma_f64 v[58:59], v[60:61], v[82:83], 1.0
	s_delay_alu instid0(VALU_DEP_1) | instskip(NEXT) | instid1(VALU_DEP_1)
	v_ldexp_f64 v[58:59], v[58:59], v84
	v_cndmask_b32_e64 v59, 0x7ff00000, v59, s0
	s_and_b32 s0, s1, s0
	s_delay_alu instid0(VALU_DEP_2) | instid1(SALU_CYCLE_1)
	v_cndmask_b32_e64 v60, 0, v58, s0
	s_delay_alu instid0(VALU_DEP_2) | instskip(NEXT) | instid1(VALU_DEP_1)
	v_cndmask_b32_e64 v61, 0, v59, s1
	v_add_f64 v[36:37], v[36:37], v[60:61]
.LBB693_251:
	s_or_b32 exec_lo, exec_lo, s42
.LBB693_252:
	s_delay_alu instid0(SALU_CYCLE_1) | instskip(SKIP_2) | instid1(VALU_DEP_1)
	s_or_b32 exec_lo, exec_lo, s34
	v_mov_b32_e32 v52, 0
	v_mov_b32_e32 v53, 0
	v_dual_mov_b32 v59, v53 :: v_dual_mov_b32 v58, v52
	s_and_saveexec_b32 s34, s54
	s_cbranch_execz .LBB693_256
; %bb.253:
	global_load_u8 v58, v[4:5], off offset:480
	s_waitcnt vmcnt(0)
	v_and_b32_e32 v58, 1, v58
	s_delay_alu instid0(VALU_DEP_1) | instskip(SKIP_2) | instid1(VALU_DEP_3)
	v_cmp_eq_u32_e64 s0, 1, v58
	v_mov_b32_e32 v58, 0
	v_mov_b32_e32 v59, 0
	s_xor_b32 s0, s0, -1
	s_delay_alu instid0(SALU_CYCLE_1)
	s_and_saveexec_b32 s42, s0
	s_cbranch_execz .LBB693_255
; %bb.254:
	v_add_f64 v[50:51], v[50:51], -v[38:39]
	s_mov_b32 s0, 0x652b82fe
	s_mov_b32 s1, 0x3ff71547
	;; [unrolled: 1-line block ×4, first 2 shown]
	s_delay_alu instid0(VALU_DEP_1) | instskip(SKIP_2) | instid1(VALU_DEP_1)
	v_mul_f64 v[58:59], v[50:51], s[0:1]
	s_mov_b32 s0, 0xfefa39ef
	s_mov_b32 s1, 0xbfe62e42
	v_rndne_f64_e32 v[58:59], v[58:59]
	s_delay_alu instid0(VALU_DEP_1) | instskip(SKIP_3) | instid1(VALU_DEP_2)
	v_fma_f64 v[82:83], v[58:59], s[0:1], v[50:51]
	s_mov_b32 s0, 0x3b39803f
	s_mov_b32 s1, 0xbc7abc9e
	v_cvt_i32_f64_e32 v86, v[58:59]
	v_fma_f64 v[82:83], v[58:59], s[0:1], v[82:83]
	s_mov_b32 s0, 0xfca7ab0c
	s_mov_b32 s1, 0x3e928af3
	s_delay_alu instid0(VALU_DEP_1) | instid1(SALU_CYCLE_1)
	v_fma_f64 v[84:85], v[82:83], s[54:55], s[0:1]
	s_mov_b32 s0, 0x623fde64
	s_mov_b32 s1, 0x3ec71dee
	s_delay_alu instid0(VALU_DEP_1) | instid1(SALU_CYCLE_1)
	;; [unrolled: 4-line block ×9, first 2 shown]
	v_fma_f64 v[84:85], v[82:83], v[84:85], s[0:1]
	v_cmp_nlt_f64_e64 s0, 0x40900000, v[50:51]
	v_cmp_ngt_f64_e64 s1, 0xc090cc00, v[50:51]
	s_delay_alu instid0(VALU_DEP_3) | instskip(NEXT) | instid1(VALU_DEP_1)
	v_fma_f64 v[84:85], v[82:83], v[84:85], 1.0
	v_fma_f64 v[58:59], v[82:83], v[84:85], 1.0
	s_delay_alu instid0(VALU_DEP_1) | instskip(NEXT) | instid1(VALU_DEP_1)
	v_ldexp_f64 v[58:59], v[58:59], v86
	v_cndmask_b32_e64 v59, 0x7ff00000, v59, s0
	s_and_b32 s0, s1, s0
	s_delay_alu instid0(VALU_DEP_2) | instid1(SALU_CYCLE_1)
	v_cndmask_b32_e64 v58, 0, v58, s0
	s_delay_alu instid0(VALU_DEP_2) | instskip(NEXT) | instid1(VALU_DEP_1)
	v_cndmask_b32_e64 v59, 0, v59, s1
	v_add_f64 v[36:37], v[36:37], v[58:59]
.LBB693_255:
	s_or_b32 exec_lo, exec_lo, s42
.LBB693_256:
	s_delay_alu instid0(SALU_CYCLE_1)
	s_or_b32 exec_lo, exec_lo, s34
	s_and_saveexec_b32 s34, s53
	s_cbranch_execz .LBB693_260
; %bb.257:
	global_load_u8 v50, v[4:5], off offset:512
	v_mov_b32_e32 v52, 0
	s_waitcnt vmcnt(0)
	v_dual_mov_b32 v53, 0 :: v_dual_and_b32 v50, 1, v50
	s_delay_alu instid0(VALU_DEP_1) | instskip(NEXT) | instid1(VALU_DEP_1)
	v_cmp_eq_u32_e64 s0, 1, v50
	s_xor_b32 s0, s0, -1
	s_delay_alu instid0(SALU_CYCLE_1)
	s_and_saveexec_b32 s42, s0
	s_cbranch_execz .LBB693_259
; %bb.258:
	v_add_f64 v[44:45], v[44:45], -v[38:39]
	s_mov_b32 s0, 0x652b82fe
	s_mov_b32 s1, 0x3ff71547
	;; [unrolled: 1-line block ×4, first 2 shown]
	s_delay_alu instid0(VALU_DEP_1) | instskip(SKIP_2) | instid1(VALU_DEP_1)
	v_mul_f64 v[50:51], v[44:45], s[0:1]
	s_mov_b32 s0, 0xfefa39ef
	s_mov_b32 s1, 0xbfe62e42
	v_rndne_f64_e32 v[50:51], v[50:51]
	s_delay_alu instid0(VALU_DEP_1) | instskip(SKIP_3) | instid1(VALU_DEP_2)
	v_fma_f64 v[52:53], v[50:51], s[0:1], v[44:45]
	s_mov_b32 s0, 0x3b39803f
	s_mov_b32 s1, 0xbc7abc9e
	v_cvt_i32_f64_e32 v84, v[50:51]
	v_fma_f64 v[52:53], v[50:51], s[0:1], v[52:53]
	s_mov_b32 s0, 0xfca7ab0c
	s_mov_b32 s1, 0x3e928af3
	s_delay_alu instid0(VALU_DEP_1) | instid1(SALU_CYCLE_1)
	v_fma_f64 v[82:83], v[52:53], s[54:55], s[0:1]
	s_mov_b32 s0, 0x623fde64
	s_mov_b32 s1, 0x3ec71dee
	s_delay_alu instid0(VALU_DEP_1) | instid1(SALU_CYCLE_1)
	v_fma_f64 v[82:83], v[52:53], v[82:83], s[0:1]
	s_mov_b32 s0, 0x7c89e6b0
	s_mov_b32 s1, 0x3efa0199
	s_delay_alu instid0(VALU_DEP_1) | instid1(SALU_CYCLE_1)
	v_fma_f64 v[82:83], v[52:53], v[82:83], s[0:1]
	s_mov_b32 s0, 0x14761f6e
	s_mov_b32 s1, 0x3f2a01a0
	s_delay_alu instid0(VALU_DEP_1) | instid1(SALU_CYCLE_1)
	v_fma_f64 v[82:83], v[52:53], v[82:83], s[0:1]
	s_mov_b32 s0, 0x1852b7b0
	s_mov_b32 s1, 0x3f56c16c
	s_delay_alu instid0(VALU_DEP_1) | instid1(SALU_CYCLE_1)
	v_fma_f64 v[82:83], v[52:53], v[82:83], s[0:1]
	s_mov_b32 s0, 0x11122322
	s_mov_b32 s1, 0x3f811111
	s_delay_alu instid0(VALU_DEP_1) | instid1(SALU_CYCLE_1)
	v_fma_f64 v[82:83], v[52:53], v[82:83], s[0:1]
	s_mov_b32 s0, 0x555502a1
	s_mov_b32 s1, 0x3fa55555
	s_delay_alu instid0(VALU_DEP_1) | instid1(SALU_CYCLE_1)
	v_fma_f64 v[82:83], v[52:53], v[82:83], s[0:1]
	s_mov_b32 s0, 0x55555511
	s_mov_b32 s1, 0x3fc55555
	s_delay_alu instid0(VALU_DEP_1) | instid1(SALU_CYCLE_1)
	v_fma_f64 v[82:83], v[52:53], v[82:83], s[0:1]
	s_mov_b32 s0, 11
	s_mov_b32 s1, 0x3fe00000
	s_delay_alu instid0(VALU_DEP_1) | instid1(SALU_CYCLE_1)
	v_fma_f64 v[82:83], v[52:53], v[82:83], s[0:1]
	v_cmp_nlt_f64_e64 s0, 0x40900000, v[44:45]
	v_cmp_ngt_f64_e64 s1, 0xc090cc00, v[44:45]
	s_delay_alu instid0(VALU_DEP_3) | instskip(NEXT) | instid1(VALU_DEP_1)
	v_fma_f64 v[82:83], v[52:53], v[82:83], 1.0
	v_fma_f64 v[50:51], v[52:53], v[82:83], 1.0
	s_delay_alu instid0(VALU_DEP_1) | instskip(NEXT) | instid1(VALU_DEP_1)
	v_ldexp_f64 v[50:51], v[50:51], v84
	v_cndmask_b32_e64 v51, 0x7ff00000, v51, s0
	s_and_b32 s0, s1, s0
	s_delay_alu instid0(VALU_DEP_2) | instid1(SALU_CYCLE_1)
	v_cndmask_b32_e64 v52, 0, v50, s0
	s_delay_alu instid0(VALU_DEP_2) | instskip(NEXT) | instid1(VALU_DEP_1)
	v_cndmask_b32_e64 v53, 0, v51, s1
	v_add_f64 v[36:37], v[36:37], v[52:53]
.LBB693_259:
	s_or_b32 exec_lo, exec_lo, s42
.LBB693_260:
	s_delay_alu instid0(SALU_CYCLE_1) | instskip(SKIP_2) | instid1(VALU_DEP_1)
	s_or_b32 exec_lo, exec_lo, s34
	v_mov_b32_e32 v44, 0
	v_mov_b32_e32 v45, 0
	v_dual_mov_b32 v51, v45 :: v_dual_mov_b32 v50, v44
	s_and_saveexec_b32 s34, s52
	s_cbranch_execz .LBB693_264
; %bb.261:
	global_load_u8 v50, v[4:5], off offset:544
	s_waitcnt vmcnt(0)
	v_and_b32_e32 v50, 1, v50
	s_delay_alu instid0(VALU_DEP_1) | instskip(SKIP_2) | instid1(VALU_DEP_3)
	v_cmp_eq_u32_e64 s0, 1, v50
	v_mov_b32_e32 v50, 0
	v_mov_b32_e32 v51, 0
	s_xor_b32 s0, s0, -1
	s_delay_alu instid0(SALU_CYCLE_1)
	s_and_saveexec_b32 s42, s0
	s_cbranch_execz .LBB693_263
; %bb.262:
	v_add_f64 v[42:43], v[42:43], -v[38:39]
	s_mov_b32 s0, 0x652b82fe
	s_mov_b32 s1, 0x3ff71547
	;; [unrolled: 1-line block ×4, first 2 shown]
	s_delay_alu instid0(VALU_DEP_1) | instskip(SKIP_2) | instid1(VALU_DEP_1)
	v_mul_f64 v[50:51], v[42:43], s[0:1]
	s_mov_b32 s0, 0xfefa39ef
	s_mov_b32 s1, 0xbfe62e42
	v_rndne_f64_e32 v[50:51], v[50:51]
	s_delay_alu instid0(VALU_DEP_1) | instskip(SKIP_3) | instid1(VALU_DEP_2)
	v_fma_f64 v[82:83], v[50:51], s[0:1], v[42:43]
	s_mov_b32 s0, 0x3b39803f
	s_mov_b32 s1, 0xbc7abc9e
	v_cvt_i32_f64_e32 v86, v[50:51]
	v_fma_f64 v[82:83], v[50:51], s[0:1], v[82:83]
	s_mov_b32 s0, 0xfca7ab0c
	s_mov_b32 s1, 0x3e928af3
	s_delay_alu instid0(VALU_DEP_1) | instid1(SALU_CYCLE_1)
	v_fma_f64 v[84:85], v[82:83], s[52:53], s[0:1]
	s_mov_b32 s0, 0x623fde64
	s_mov_b32 s1, 0x3ec71dee
	s_delay_alu instid0(VALU_DEP_1) | instid1(SALU_CYCLE_1)
	;; [unrolled: 4-line block ×9, first 2 shown]
	v_fma_f64 v[84:85], v[82:83], v[84:85], s[0:1]
	v_cmp_nlt_f64_e64 s0, 0x40900000, v[42:43]
	v_cmp_ngt_f64_e64 s1, 0xc090cc00, v[42:43]
	s_delay_alu instid0(VALU_DEP_3) | instskip(NEXT) | instid1(VALU_DEP_1)
	v_fma_f64 v[84:85], v[82:83], v[84:85], 1.0
	v_fma_f64 v[50:51], v[82:83], v[84:85], 1.0
	s_delay_alu instid0(VALU_DEP_1) | instskip(NEXT) | instid1(VALU_DEP_1)
	v_ldexp_f64 v[50:51], v[50:51], v86
	v_cndmask_b32_e64 v51, 0x7ff00000, v51, s0
	s_and_b32 s0, s1, s0
	s_delay_alu instid0(VALU_DEP_2) | instid1(SALU_CYCLE_1)
	v_cndmask_b32_e64 v50, 0, v50, s0
	s_delay_alu instid0(VALU_DEP_2) | instskip(NEXT) | instid1(VALU_DEP_1)
	v_cndmask_b32_e64 v51, 0, v51, s1
	v_add_f64 v[36:37], v[36:37], v[50:51]
.LBB693_263:
	s_or_b32 exec_lo, exec_lo, s42
.LBB693_264:
	s_delay_alu instid0(SALU_CYCLE_1)
	s_or_b32 exec_lo, exec_lo, s34
	s_and_saveexec_b32 s34, s51
	s_cbranch_execz .LBB693_268
; %bb.265:
	global_load_u8 v42, v[4:5], off offset:576
	v_mov_b32_e32 v44, 0
	s_waitcnt vmcnt(0)
	v_dual_mov_b32 v45, 0 :: v_dual_and_b32 v42, 1, v42
	s_delay_alu instid0(VALU_DEP_1) | instskip(NEXT) | instid1(VALU_DEP_1)
	v_cmp_eq_u32_e64 s0, 1, v42
	s_xor_b32 s0, s0, -1
	s_delay_alu instid0(SALU_CYCLE_1)
	s_and_saveexec_b32 s42, s0
	s_cbranch_execz .LBB693_267
; %bb.266:
	v_add_f64 v[34:35], v[34:35], -v[38:39]
	s_mov_b32 s0, 0x652b82fe
	s_mov_b32 s1, 0x3ff71547
	;; [unrolled: 1-line block ×4, first 2 shown]
	s_delay_alu instid0(VALU_DEP_1) | instskip(SKIP_2) | instid1(VALU_DEP_1)
	v_mul_f64 v[42:43], v[34:35], s[0:1]
	s_mov_b32 s0, 0xfefa39ef
	s_mov_b32 s1, 0xbfe62e42
	v_rndne_f64_e32 v[42:43], v[42:43]
	s_delay_alu instid0(VALU_DEP_1) | instskip(SKIP_3) | instid1(VALU_DEP_2)
	v_fma_f64 v[44:45], v[42:43], s[0:1], v[34:35]
	s_mov_b32 s0, 0x3b39803f
	s_mov_b32 s1, 0xbc7abc9e
	v_cvt_i32_f64_e32 v84, v[42:43]
	v_fma_f64 v[44:45], v[42:43], s[0:1], v[44:45]
	s_mov_b32 s0, 0xfca7ab0c
	s_mov_b32 s1, 0x3e928af3
	s_delay_alu instid0(VALU_DEP_1) | instid1(SALU_CYCLE_1)
	v_fma_f64 v[82:83], v[44:45], s[52:53], s[0:1]
	s_mov_b32 s0, 0x623fde64
	s_mov_b32 s1, 0x3ec71dee
	s_delay_alu instid0(VALU_DEP_1) | instid1(SALU_CYCLE_1)
	;; [unrolled: 4-line block ×9, first 2 shown]
	v_fma_f64 v[82:83], v[44:45], v[82:83], s[0:1]
	v_cmp_nlt_f64_e64 s0, 0x40900000, v[34:35]
	v_cmp_ngt_f64_e64 s1, 0xc090cc00, v[34:35]
	s_delay_alu instid0(VALU_DEP_3) | instskip(NEXT) | instid1(VALU_DEP_1)
	v_fma_f64 v[82:83], v[44:45], v[82:83], 1.0
	v_fma_f64 v[42:43], v[44:45], v[82:83], 1.0
	s_delay_alu instid0(VALU_DEP_1) | instskip(NEXT) | instid1(VALU_DEP_1)
	v_ldexp_f64 v[42:43], v[42:43], v84
	v_cndmask_b32_e64 v43, 0x7ff00000, v43, s0
	s_and_b32 s0, s1, s0
	s_delay_alu instid0(VALU_DEP_2) | instid1(SALU_CYCLE_1)
	v_cndmask_b32_e64 v44, 0, v42, s0
	s_delay_alu instid0(VALU_DEP_2) | instskip(NEXT) | instid1(VALU_DEP_1)
	v_cndmask_b32_e64 v45, 0, v43, s1
	v_add_f64 v[36:37], v[36:37], v[44:45]
.LBB693_267:
	s_or_b32 exec_lo, exec_lo, s42
.LBB693_268:
	s_delay_alu instid0(SALU_CYCLE_1) | instskip(SKIP_2) | instid1(VALU_DEP_1)
	s_or_b32 exec_lo, exec_lo, s34
	v_mov_b32_e32 v34, 0
	v_mov_b32_e32 v35, 0
	v_dual_mov_b32 v43, v35 :: v_dual_mov_b32 v42, v34
	s_and_saveexec_b32 s34, s50
	s_cbranch_execz .LBB693_272
; %bb.269:
	global_load_u8 v42, v[4:5], off offset:608
	s_waitcnt vmcnt(0)
	v_and_b32_e32 v42, 1, v42
	s_delay_alu instid0(VALU_DEP_1) | instskip(SKIP_2) | instid1(VALU_DEP_3)
	v_cmp_eq_u32_e64 s0, 1, v42
	v_mov_b32_e32 v42, 0
	v_mov_b32_e32 v43, 0
	s_xor_b32 s0, s0, -1
	s_delay_alu instid0(SALU_CYCLE_1)
	s_and_saveexec_b32 s42, s0
	s_cbranch_execz .LBB693_271
; %bb.270:
	v_add_f64 v[28:29], v[28:29], -v[38:39]
	s_mov_b32 s0, 0x652b82fe
	s_mov_b32 s1, 0x3ff71547
	;; [unrolled: 1-line block ×4, first 2 shown]
	s_delay_alu instid0(VALU_DEP_1) | instskip(SKIP_2) | instid1(VALU_DEP_1)
	v_mul_f64 v[42:43], v[28:29], s[0:1]
	s_mov_b32 s0, 0xfefa39ef
	s_mov_b32 s1, 0xbfe62e42
	v_rndne_f64_e32 v[42:43], v[42:43]
	s_delay_alu instid0(VALU_DEP_1) | instskip(SKIP_3) | instid1(VALU_DEP_2)
	v_fma_f64 v[82:83], v[42:43], s[0:1], v[28:29]
	s_mov_b32 s0, 0x3b39803f
	s_mov_b32 s1, 0xbc7abc9e
	v_cvt_i32_f64_e32 v86, v[42:43]
	v_fma_f64 v[82:83], v[42:43], s[0:1], v[82:83]
	s_mov_b32 s0, 0xfca7ab0c
	s_mov_b32 s1, 0x3e928af3
	s_delay_alu instid0(VALU_DEP_1) | instid1(SALU_CYCLE_1)
	v_fma_f64 v[84:85], v[82:83], s[50:51], s[0:1]
	s_mov_b32 s0, 0x623fde64
	s_mov_b32 s1, 0x3ec71dee
	s_delay_alu instid0(VALU_DEP_1) | instid1(SALU_CYCLE_1)
	;; [unrolled: 4-line block ×9, first 2 shown]
	v_fma_f64 v[84:85], v[82:83], v[84:85], s[0:1]
	v_cmp_nlt_f64_e64 s0, 0x40900000, v[28:29]
	v_cmp_ngt_f64_e64 s1, 0xc090cc00, v[28:29]
	s_delay_alu instid0(VALU_DEP_3) | instskip(NEXT) | instid1(VALU_DEP_1)
	v_fma_f64 v[84:85], v[82:83], v[84:85], 1.0
	v_fma_f64 v[42:43], v[82:83], v[84:85], 1.0
	s_delay_alu instid0(VALU_DEP_1) | instskip(NEXT) | instid1(VALU_DEP_1)
	v_ldexp_f64 v[42:43], v[42:43], v86
	v_cndmask_b32_e64 v43, 0x7ff00000, v43, s0
	s_and_b32 s0, s1, s0
	s_delay_alu instid0(VALU_DEP_2) | instid1(SALU_CYCLE_1)
	v_cndmask_b32_e64 v42, 0, v42, s0
	s_delay_alu instid0(VALU_DEP_2) | instskip(NEXT) | instid1(VALU_DEP_1)
	v_cndmask_b32_e64 v43, 0, v43, s1
	v_add_f64 v[36:37], v[36:37], v[42:43]
.LBB693_271:
	s_or_b32 exec_lo, exec_lo, s42
.LBB693_272:
	s_delay_alu instid0(SALU_CYCLE_1)
	s_or_b32 exec_lo, exec_lo, s34
	s_and_saveexec_b32 s34, s49
	s_cbranch_execz .LBB693_276
; %bb.273:
	global_load_u8 v28, v[4:5], off offset:640
	v_mov_b32_e32 v34, 0
	s_waitcnt vmcnt(0)
	v_dual_mov_b32 v35, 0 :: v_dual_and_b32 v28, 1, v28
	s_delay_alu instid0(VALU_DEP_1) | instskip(NEXT) | instid1(VALU_DEP_1)
	v_cmp_eq_u32_e64 s0, 1, v28
	s_xor_b32 s0, s0, -1
	s_delay_alu instid0(SALU_CYCLE_1)
	s_and_saveexec_b32 s42, s0
	s_cbranch_execz .LBB693_275
; %bb.274:
	v_add_f64 v[26:27], v[26:27], -v[38:39]
	s_mov_b32 s0, 0x652b82fe
	s_mov_b32 s1, 0x3ff71547
	;; [unrolled: 1-line block ×4, first 2 shown]
	s_delay_alu instid0(VALU_DEP_1) | instskip(SKIP_2) | instid1(VALU_DEP_1)
	v_mul_f64 v[28:29], v[26:27], s[0:1]
	s_mov_b32 s0, 0xfefa39ef
	s_mov_b32 s1, 0xbfe62e42
	v_rndne_f64_e32 v[28:29], v[28:29]
	s_delay_alu instid0(VALU_DEP_1) | instskip(SKIP_3) | instid1(VALU_DEP_2)
	v_fma_f64 v[34:35], v[28:29], s[0:1], v[26:27]
	s_mov_b32 s0, 0x3b39803f
	s_mov_b32 s1, 0xbc7abc9e
	v_cvt_i32_f64_e32 v84, v[28:29]
	v_fma_f64 v[34:35], v[28:29], s[0:1], v[34:35]
	s_mov_b32 s0, 0xfca7ab0c
	s_mov_b32 s1, 0x3e928af3
	s_delay_alu instid0(VALU_DEP_1) | instid1(SALU_CYCLE_1)
	v_fma_f64 v[82:83], v[34:35], s[50:51], s[0:1]
	s_mov_b32 s0, 0x623fde64
	s_mov_b32 s1, 0x3ec71dee
	s_delay_alu instid0(VALU_DEP_1) | instid1(SALU_CYCLE_1)
	;; [unrolled: 4-line block ×9, first 2 shown]
	v_fma_f64 v[82:83], v[34:35], v[82:83], s[0:1]
	v_cmp_nlt_f64_e64 s0, 0x40900000, v[26:27]
	v_cmp_ngt_f64_e64 s1, 0xc090cc00, v[26:27]
	s_delay_alu instid0(VALU_DEP_3) | instskip(NEXT) | instid1(VALU_DEP_1)
	v_fma_f64 v[82:83], v[34:35], v[82:83], 1.0
	v_fma_f64 v[28:29], v[34:35], v[82:83], 1.0
	s_delay_alu instid0(VALU_DEP_1) | instskip(NEXT) | instid1(VALU_DEP_1)
	v_ldexp_f64 v[28:29], v[28:29], v84
	v_cndmask_b32_e64 v29, 0x7ff00000, v29, s0
	s_and_b32 s0, s1, s0
	s_delay_alu instid0(VALU_DEP_2) | instid1(SALU_CYCLE_1)
	v_cndmask_b32_e64 v34, 0, v28, s0
	s_delay_alu instid0(VALU_DEP_2) | instskip(NEXT) | instid1(VALU_DEP_1)
	v_cndmask_b32_e64 v35, 0, v29, s1
	v_add_f64 v[36:37], v[36:37], v[34:35]
.LBB693_275:
	s_or_b32 exec_lo, exec_lo, s42
.LBB693_276:
	s_delay_alu instid0(SALU_CYCLE_1) | instskip(SKIP_2) | instid1(VALU_DEP_1)
	s_or_b32 exec_lo, exec_lo, s34
	v_mov_b32_e32 v26, 0
	v_mov_b32_e32 v27, 0
	v_dual_mov_b32 v29, v27 :: v_dual_mov_b32 v28, v26
	s_and_saveexec_b32 s34, s48
	s_cbranch_execz .LBB693_280
; %bb.277:
	global_load_u8 v28, v[4:5], off offset:672
	s_waitcnt vmcnt(0)
	v_and_b32_e32 v28, 1, v28
	s_delay_alu instid0(VALU_DEP_1) | instskip(SKIP_2) | instid1(VALU_DEP_3)
	v_cmp_eq_u32_e64 s0, 1, v28
	v_mov_b32_e32 v28, 0
	v_mov_b32_e32 v29, 0
	s_xor_b32 s0, s0, -1
	s_delay_alu instid0(SALU_CYCLE_1)
	s_and_saveexec_b32 s42, s0
	s_cbranch_execz .LBB693_279
; %bb.278:
	v_add_f64 v[24:25], v[24:25], -v[38:39]
	s_mov_b32 s0, 0x652b82fe
	s_mov_b32 s1, 0x3ff71547
	;; [unrolled: 1-line block ×4, first 2 shown]
	s_delay_alu instid0(VALU_DEP_1) | instskip(SKIP_2) | instid1(VALU_DEP_1)
	v_mul_f64 v[28:29], v[24:25], s[0:1]
	s_mov_b32 s0, 0xfefa39ef
	s_mov_b32 s1, 0xbfe62e42
	v_rndne_f64_e32 v[28:29], v[28:29]
	s_delay_alu instid0(VALU_DEP_1) | instskip(SKIP_3) | instid1(VALU_DEP_2)
	v_fma_f64 v[82:83], v[28:29], s[0:1], v[24:25]
	s_mov_b32 s0, 0x3b39803f
	s_mov_b32 s1, 0xbc7abc9e
	v_cvt_i32_f64_e32 v86, v[28:29]
	v_fma_f64 v[82:83], v[28:29], s[0:1], v[82:83]
	s_mov_b32 s0, 0xfca7ab0c
	s_mov_b32 s1, 0x3e928af3
	s_delay_alu instid0(VALU_DEP_1) | instid1(SALU_CYCLE_1)
	v_fma_f64 v[84:85], v[82:83], s[48:49], s[0:1]
	s_mov_b32 s0, 0x623fde64
	s_mov_b32 s1, 0x3ec71dee
	s_delay_alu instid0(VALU_DEP_1) | instid1(SALU_CYCLE_1)
	;; [unrolled: 4-line block ×9, first 2 shown]
	v_fma_f64 v[84:85], v[82:83], v[84:85], s[0:1]
	v_cmp_nlt_f64_e64 s0, 0x40900000, v[24:25]
	v_cmp_ngt_f64_e64 s1, 0xc090cc00, v[24:25]
	s_delay_alu instid0(VALU_DEP_3) | instskip(NEXT) | instid1(VALU_DEP_1)
	v_fma_f64 v[84:85], v[82:83], v[84:85], 1.0
	v_fma_f64 v[28:29], v[82:83], v[84:85], 1.0
	s_delay_alu instid0(VALU_DEP_1) | instskip(NEXT) | instid1(VALU_DEP_1)
	v_ldexp_f64 v[28:29], v[28:29], v86
	v_cndmask_b32_e64 v29, 0x7ff00000, v29, s0
	s_and_b32 s0, s1, s0
	s_delay_alu instid0(VALU_DEP_2) | instid1(SALU_CYCLE_1)
	v_cndmask_b32_e64 v28, 0, v28, s0
	s_delay_alu instid0(VALU_DEP_2) | instskip(NEXT) | instid1(VALU_DEP_1)
	v_cndmask_b32_e64 v29, 0, v29, s1
	v_add_f64 v[36:37], v[36:37], v[28:29]
.LBB693_279:
	s_or_b32 exec_lo, exec_lo, s42
.LBB693_280:
	s_delay_alu instid0(SALU_CYCLE_1)
	s_or_b32 exec_lo, exec_lo, s34
	s_and_saveexec_b32 s34, s47
	s_cbranch_execz .LBB693_284
; %bb.281:
	global_load_u8 v24, v[4:5], off offset:704
	v_mov_b32_e32 v26, 0
	s_waitcnt vmcnt(0)
	v_dual_mov_b32 v27, 0 :: v_dual_and_b32 v24, 1, v24
	s_delay_alu instid0(VALU_DEP_1) | instskip(NEXT) | instid1(VALU_DEP_1)
	v_cmp_eq_u32_e64 s0, 1, v24
	s_xor_b32 s0, s0, -1
	s_delay_alu instid0(SALU_CYCLE_1)
	s_and_saveexec_b32 s42, s0
	s_cbranch_execz .LBB693_283
; %bb.282:
	v_add_f64 v[22:23], v[22:23], -v[38:39]
	s_mov_b32 s0, 0x652b82fe
	s_mov_b32 s1, 0x3ff71547
	;; [unrolled: 1-line block ×4, first 2 shown]
	s_delay_alu instid0(VALU_DEP_1) | instskip(SKIP_2) | instid1(VALU_DEP_1)
	v_mul_f64 v[24:25], v[22:23], s[0:1]
	s_mov_b32 s0, 0xfefa39ef
	s_mov_b32 s1, 0xbfe62e42
	v_rndne_f64_e32 v[24:25], v[24:25]
	s_delay_alu instid0(VALU_DEP_1) | instskip(SKIP_3) | instid1(VALU_DEP_2)
	v_fma_f64 v[26:27], v[24:25], s[0:1], v[22:23]
	s_mov_b32 s0, 0x3b39803f
	s_mov_b32 s1, 0xbc7abc9e
	v_cvt_i32_f64_e32 v84, v[24:25]
	v_fma_f64 v[26:27], v[24:25], s[0:1], v[26:27]
	s_mov_b32 s0, 0xfca7ab0c
	s_mov_b32 s1, 0x3e928af3
	s_delay_alu instid0(VALU_DEP_1) | instid1(SALU_CYCLE_1)
	v_fma_f64 v[82:83], v[26:27], s[48:49], s[0:1]
	s_mov_b32 s0, 0x623fde64
	s_mov_b32 s1, 0x3ec71dee
	s_delay_alu instid0(VALU_DEP_1) | instid1(SALU_CYCLE_1)
	;; [unrolled: 4-line block ×9, first 2 shown]
	v_fma_f64 v[82:83], v[26:27], v[82:83], s[0:1]
	v_cmp_nlt_f64_e64 s0, 0x40900000, v[22:23]
	v_cmp_ngt_f64_e64 s1, 0xc090cc00, v[22:23]
	s_delay_alu instid0(VALU_DEP_3) | instskip(NEXT) | instid1(VALU_DEP_1)
	v_fma_f64 v[82:83], v[26:27], v[82:83], 1.0
	v_fma_f64 v[24:25], v[26:27], v[82:83], 1.0
	s_delay_alu instid0(VALU_DEP_1) | instskip(NEXT) | instid1(VALU_DEP_1)
	v_ldexp_f64 v[24:25], v[24:25], v84
	v_cndmask_b32_e64 v25, 0x7ff00000, v25, s0
	s_and_b32 s0, s1, s0
	s_delay_alu instid0(VALU_DEP_2) | instid1(SALU_CYCLE_1)
	v_cndmask_b32_e64 v26, 0, v24, s0
	s_delay_alu instid0(VALU_DEP_2) | instskip(NEXT) | instid1(VALU_DEP_1)
	v_cndmask_b32_e64 v27, 0, v25, s1
	v_add_f64 v[36:37], v[36:37], v[26:27]
.LBB693_283:
	s_or_b32 exec_lo, exec_lo, s42
.LBB693_284:
	s_delay_alu instid0(SALU_CYCLE_1) | instskip(SKIP_2) | instid1(VALU_DEP_1)
	s_or_b32 exec_lo, exec_lo, s34
	v_mov_b32_e32 v22, 0
	v_mov_b32_e32 v23, 0
	v_dual_mov_b32 v25, v23 :: v_dual_mov_b32 v24, v22
	s_and_saveexec_b32 s34, s46
	s_cbranch_execz .LBB693_288
; %bb.285:
	global_load_u8 v24, v[4:5], off offset:736
	s_waitcnt vmcnt(0)
	v_and_b32_e32 v24, 1, v24
	s_delay_alu instid0(VALU_DEP_1) | instskip(SKIP_2) | instid1(VALU_DEP_3)
	v_cmp_eq_u32_e64 s0, 1, v24
	v_mov_b32_e32 v24, 0
	v_mov_b32_e32 v25, 0
	s_xor_b32 s0, s0, -1
	s_delay_alu instid0(SALU_CYCLE_1)
	s_and_saveexec_b32 s42, s0
	s_cbranch_execz .LBB693_287
; %bb.286:
	v_add_f64 v[20:21], v[20:21], -v[38:39]
	s_mov_b32 s0, 0x652b82fe
	s_mov_b32 s1, 0x3ff71547
	;; [unrolled: 1-line block ×4, first 2 shown]
	s_delay_alu instid0(VALU_DEP_1) | instskip(SKIP_2) | instid1(VALU_DEP_1)
	v_mul_f64 v[24:25], v[20:21], s[0:1]
	s_mov_b32 s0, 0xfefa39ef
	s_mov_b32 s1, 0xbfe62e42
	v_rndne_f64_e32 v[24:25], v[24:25]
	s_delay_alu instid0(VALU_DEP_1) | instskip(SKIP_3) | instid1(VALU_DEP_2)
	v_fma_f64 v[82:83], v[24:25], s[0:1], v[20:21]
	s_mov_b32 s0, 0x3b39803f
	s_mov_b32 s1, 0xbc7abc9e
	v_cvt_i32_f64_e32 v86, v[24:25]
	v_fma_f64 v[82:83], v[24:25], s[0:1], v[82:83]
	s_mov_b32 s0, 0xfca7ab0c
	s_mov_b32 s1, 0x3e928af3
	s_delay_alu instid0(VALU_DEP_1) | instid1(SALU_CYCLE_1)
	v_fma_f64 v[84:85], v[82:83], s[46:47], s[0:1]
	s_mov_b32 s0, 0x623fde64
	s_mov_b32 s1, 0x3ec71dee
	s_delay_alu instid0(VALU_DEP_1) | instid1(SALU_CYCLE_1)
	;; [unrolled: 4-line block ×9, first 2 shown]
	v_fma_f64 v[84:85], v[82:83], v[84:85], s[0:1]
	v_cmp_nlt_f64_e64 s0, 0x40900000, v[20:21]
	v_cmp_ngt_f64_e64 s1, 0xc090cc00, v[20:21]
	s_delay_alu instid0(VALU_DEP_3) | instskip(NEXT) | instid1(VALU_DEP_1)
	v_fma_f64 v[84:85], v[82:83], v[84:85], 1.0
	v_fma_f64 v[24:25], v[82:83], v[84:85], 1.0
	s_delay_alu instid0(VALU_DEP_1) | instskip(NEXT) | instid1(VALU_DEP_1)
	v_ldexp_f64 v[24:25], v[24:25], v86
	v_cndmask_b32_e64 v25, 0x7ff00000, v25, s0
	s_and_b32 s0, s1, s0
	s_delay_alu instid0(VALU_DEP_2) | instid1(SALU_CYCLE_1)
	v_cndmask_b32_e64 v24, 0, v24, s0
	s_delay_alu instid0(VALU_DEP_2) | instskip(NEXT) | instid1(VALU_DEP_1)
	v_cndmask_b32_e64 v25, 0, v25, s1
	v_add_f64 v[36:37], v[36:37], v[24:25]
.LBB693_287:
	s_or_b32 exec_lo, exec_lo, s42
.LBB693_288:
	s_delay_alu instid0(SALU_CYCLE_1)
	s_or_b32 exec_lo, exec_lo, s34
	s_and_saveexec_b32 s34, s45
	s_cbranch_execz .LBB693_292
; %bb.289:
	global_load_u8 v20, v[4:5], off offset:768
	v_mov_b32_e32 v22, 0
	s_waitcnt vmcnt(0)
	v_dual_mov_b32 v23, 0 :: v_dual_and_b32 v20, 1, v20
	s_delay_alu instid0(VALU_DEP_1) | instskip(NEXT) | instid1(VALU_DEP_1)
	v_cmp_eq_u32_e64 s0, 1, v20
	s_xor_b32 s0, s0, -1
	s_delay_alu instid0(SALU_CYCLE_1)
	s_and_saveexec_b32 s42, s0
	s_cbranch_execz .LBB693_291
; %bb.290:
	v_add_f64 v[18:19], v[18:19], -v[38:39]
	s_mov_b32 s0, 0x652b82fe
	s_mov_b32 s1, 0x3ff71547
	;; [unrolled: 1-line block ×4, first 2 shown]
	s_delay_alu instid0(VALU_DEP_1) | instskip(SKIP_2) | instid1(VALU_DEP_1)
	v_mul_f64 v[20:21], v[18:19], s[0:1]
	s_mov_b32 s0, 0xfefa39ef
	s_mov_b32 s1, 0xbfe62e42
	v_rndne_f64_e32 v[20:21], v[20:21]
	s_delay_alu instid0(VALU_DEP_1) | instskip(SKIP_3) | instid1(VALU_DEP_2)
	v_fma_f64 v[22:23], v[20:21], s[0:1], v[18:19]
	s_mov_b32 s0, 0x3b39803f
	s_mov_b32 s1, 0xbc7abc9e
	v_cvt_i32_f64_e32 v84, v[20:21]
	v_fma_f64 v[22:23], v[20:21], s[0:1], v[22:23]
	s_mov_b32 s0, 0xfca7ab0c
	s_mov_b32 s1, 0x3e928af3
	s_delay_alu instid0(VALU_DEP_1) | instid1(SALU_CYCLE_1)
	v_fma_f64 v[82:83], v[22:23], s[46:47], s[0:1]
	s_mov_b32 s0, 0x623fde64
	s_mov_b32 s1, 0x3ec71dee
	s_delay_alu instid0(VALU_DEP_1) | instid1(SALU_CYCLE_1)
	;; [unrolled: 4-line block ×9, first 2 shown]
	v_fma_f64 v[82:83], v[22:23], v[82:83], s[0:1]
	v_cmp_nlt_f64_e64 s0, 0x40900000, v[18:19]
	v_cmp_ngt_f64_e64 s1, 0xc090cc00, v[18:19]
	s_delay_alu instid0(VALU_DEP_3) | instskip(NEXT) | instid1(VALU_DEP_1)
	v_fma_f64 v[82:83], v[22:23], v[82:83], 1.0
	v_fma_f64 v[20:21], v[22:23], v[82:83], 1.0
	s_delay_alu instid0(VALU_DEP_1) | instskip(NEXT) | instid1(VALU_DEP_1)
	v_ldexp_f64 v[20:21], v[20:21], v84
	v_cndmask_b32_e64 v21, 0x7ff00000, v21, s0
	s_and_b32 s0, s1, s0
	s_delay_alu instid0(VALU_DEP_2) | instid1(SALU_CYCLE_1)
	v_cndmask_b32_e64 v22, 0, v20, s0
	s_delay_alu instid0(VALU_DEP_2) | instskip(NEXT) | instid1(VALU_DEP_1)
	v_cndmask_b32_e64 v23, 0, v21, s1
	v_add_f64 v[36:37], v[36:37], v[22:23]
.LBB693_291:
	s_or_b32 exec_lo, exec_lo, s42
.LBB693_292:
	s_delay_alu instid0(SALU_CYCLE_1) | instskip(SKIP_2) | instid1(VALU_DEP_1)
	s_or_b32 exec_lo, exec_lo, s34
	v_mov_b32_e32 v18, 0
	v_mov_b32_e32 v19, 0
	v_dual_mov_b32 v21, v19 :: v_dual_mov_b32 v20, v18
	s_and_saveexec_b32 s34, s44
	s_cbranch_execz .LBB693_296
; %bb.293:
	global_load_u8 v20, v[4:5], off offset:800
	s_waitcnt vmcnt(0)
	v_and_b32_e32 v20, 1, v20
	s_delay_alu instid0(VALU_DEP_1) | instskip(SKIP_2) | instid1(VALU_DEP_3)
	v_cmp_eq_u32_e64 s0, 1, v20
	v_mov_b32_e32 v20, 0
	v_mov_b32_e32 v21, 0
	s_xor_b32 s0, s0, -1
	s_delay_alu instid0(SALU_CYCLE_1)
	s_and_saveexec_b32 s42, s0
	s_cbranch_execz .LBB693_295
; %bb.294:
	v_add_f64 v[16:17], v[16:17], -v[38:39]
	s_mov_b32 s0, 0x652b82fe
	s_mov_b32 s1, 0x3ff71547
	;; [unrolled: 1-line block ×4, first 2 shown]
	s_delay_alu instid0(VALU_DEP_1) | instskip(SKIP_2) | instid1(VALU_DEP_1)
	v_mul_f64 v[20:21], v[16:17], s[0:1]
	s_mov_b32 s0, 0xfefa39ef
	s_mov_b32 s1, 0xbfe62e42
	v_rndne_f64_e32 v[20:21], v[20:21]
	s_delay_alu instid0(VALU_DEP_1) | instskip(SKIP_3) | instid1(VALU_DEP_2)
	v_fma_f64 v[82:83], v[20:21], s[0:1], v[16:17]
	s_mov_b32 s0, 0x3b39803f
	s_mov_b32 s1, 0xbc7abc9e
	v_cvt_i32_f64_e32 v86, v[20:21]
	v_fma_f64 v[82:83], v[20:21], s[0:1], v[82:83]
	s_mov_b32 s0, 0xfca7ab0c
	s_mov_b32 s1, 0x3e928af3
	s_delay_alu instid0(VALU_DEP_1) | instid1(SALU_CYCLE_1)
	v_fma_f64 v[84:85], v[82:83], s[44:45], s[0:1]
	s_mov_b32 s0, 0x623fde64
	s_mov_b32 s1, 0x3ec71dee
	s_delay_alu instid0(VALU_DEP_1) | instid1(SALU_CYCLE_1)
	;; [unrolled: 4-line block ×9, first 2 shown]
	v_fma_f64 v[84:85], v[82:83], v[84:85], s[0:1]
	v_cmp_nlt_f64_e64 s0, 0x40900000, v[16:17]
	v_cmp_ngt_f64_e64 s1, 0xc090cc00, v[16:17]
	s_delay_alu instid0(VALU_DEP_3) | instskip(NEXT) | instid1(VALU_DEP_1)
	v_fma_f64 v[84:85], v[82:83], v[84:85], 1.0
	v_fma_f64 v[20:21], v[82:83], v[84:85], 1.0
	s_delay_alu instid0(VALU_DEP_1) | instskip(NEXT) | instid1(VALU_DEP_1)
	v_ldexp_f64 v[20:21], v[20:21], v86
	v_cndmask_b32_e64 v21, 0x7ff00000, v21, s0
	s_and_b32 s0, s1, s0
	s_delay_alu instid0(VALU_DEP_2) | instid1(SALU_CYCLE_1)
	v_cndmask_b32_e64 v20, 0, v20, s0
	s_delay_alu instid0(VALU_DEP_2) | instskip(NEXT) | instid1(VALU_DEP_1)
	v_cndmask_b32_e64 v21, 0, v21, s1
	v_add_f64 v[36:37], v[36:37], v[20:21]
.LBB693_295:
	s_or_b32 exec_lo, exec_lo, s42
.LBB693_296:
	s_delay_alu instid0(SALU_CYCLE_1)
	s_or_b32 exec_lo, exec_lo, s34
	s_and_saveexec_b32 s34, s43
	s_cbranch_execz .LBB693_300
; %bb.297:
	global_load_u8 v16, v[4:5], off offset:832
	v_mov_b32_e32 v18, 0
	s_waitcnt vmcnt(0)
	v_dual_mov_b32 v19, 0 :: v_dual_and_b32 v16, 1, v16
	s_delay_alu instid0(VALU_DEP_1) | instskip(NEXT) | instid1(VALU_DEP_1)
	v_cmp_eq_u32_e64 s0, 1, v16
	s_xor_b32 s0, s0, -1
	s_delay_alu instid0(SALU_CYCLE_1)
	s_and_saveexec_b32 s42, s0
	s_cbranch_execz .LBB693_299
; %bb.298:
	v_add_f64 v[14:15], v[14:15], -v[38:39]
	s_mov_b32 s0, 0x652b82fe
	s_mov_b32 s1, 0x3ff71547
	;; [unrolled: 1-line block ×4, first 2 shown]
	s_delay_alu instid0(VALU_DEP_1) | instskip(SKIP_2) | instid1(VALU_DEP_1)
	v_mul_f64 v[16:17], v[14:15], s[0:1]
	s_mov_b32 s0, 0xfefa39ef
	s_mov_b32 s1, 0xbfe62e42
	v_rndne_f64_e32 v[16:17], v[16:17]
	s_delay_alu instid0(VALU_DEP_1) | instskip(SKIP_3) | instid1(VALU_DEP_2)
	v_fma_f64 v[18:19], v[16:17], s[0:1], v[14:15]
	s_mov_b32 s0, 0x3b39803f
	s_mov_b32 s1, 0xbc7abc9e
	v_cvt_i32_f64_e32 v84, v[16:17]
	v_fma_f64 v[18:19], v[16:17], s[0:1], v[18:19]
	s_mov_b32 s0, 0xfca7ab0c
	s_mov_b32 s1, 0x3e928af3
	s_delay_alu instid0(VALU_DEP_1) | instid1(SALU_CYCLE_1)
	v_fma_f64 v[82:83], v[18:19], s[44:45], s[0:1]
	s_mov_b32 s0, 0x623fde64
	s_mov_b32 s1, 0x3ec71dee
	s_delay_alu instid0(VALU_DEP_1) | instid1(SALU_CYCLE_1)
	;; [unrolled: 4-line block ×9, first 2 shown]
	v_fma_f64 v[82:83], v[18:19], v[82:83], s[0:1]
	v_cmp_nlt_f64_e64 s0, 0x40900000, v[14:15]
	v_cmp_ngt_f64_e64 s1, 0xc090cc00, v[14:15]
	s_delay_alu instid0(VALU_DEP_3) | instskip(NEXT) | instid1(VALU_DEP_1)
	v_fma_f64 v[82:83], v[18:19], v[82:83], 1.0
	v_fma_f64 v[16:17], v[18:19], v[82:83], 1.0
	s_delay_alu instid0(VALU_DEP_1) | instskip(NEXT) | instid1(VALU_DEP_1)
	v_ldexp_f64 v[16:17], v[16:17], v84
	v_cndmask_b32_e64 v17, 0x7ff00000, v17, s0
	s_and_b32 s0, s1, s0
	s_delay_alu instid0(VALU_DEP_2) | instid1(SALU_CYCLE_1)
	v_cndmask_b32_e64 v18, 0, v16, s0
	s_delay_alu instid0(VALU_DEP_2) | instskip(NEXT) | instid1(VALU_DEP_1)
	v_cndmask_b32_e64 v19, 0, v17, s1
	v_add_f64 v[36:37], v[36:37], v[18:19]
.LBB693_299:
	s_or_b32 exec_lo, exec_lo, s42
.LBB693_300:
	s_delay_alu instid0(SALU_CYCLE_1) | instskip(SKIP_2) | instid1(VALU_DEP_1)
	s_or_b32 exec_lo, exec_lo, s34
	v_mov_b32_e32 v14, 0
	v_mov_b32_e32 v15, 0
	v_dual_mov_b32 v17, v15 :: v_dual_mov_b32 v16, v14
	s_and_saveexec_b32 s34, s41
	s_cbranch_execz .LBB693_304
; %bb.301:
	global_load_u8 v16, v[4:5], off offset:864
	s_waitcnt vmcnt(0)
	v_and_b32_e32 v16, 1, v16
	s_delay_alu instid0(VALU_DEP_1) | instskip(SKIP_2) | instid1(VALU_DEP_3)
	v_cmp_eq_u32_e64 s0, 1, v16
	v_mov_b32_e32 v16, 0
	v_mov_b32_e32 v17, 0
	s_xor_b32 s0, s0, -1
	s_delay_alu instid0(SALU_CYCLE_1)
	s_and_saveexec_b32 s41, s0
	s_cbranch_execz .LBB693_303
; %bb.302:
	v_add_f64 v[12:13], v[12:13], -v[38:39]
	s_mov_b32 s0, 0x652b82fe
	s_mov_b32 s1, 0x3ff71547
	;; [unrolled: 1-line block ×4, first 2 shown]
	s_delay_alu instid0(VALU_DEP_1) | instskip(SKIP_2) | instid1(VALU_DEP_1)
	v_mul_f64 v[16:17], v[12:13], s[0:1]
	s_mov_b32 s0, 0xfefa39ef
	s_mov_b32 s1, 0xbfe62e42
	v_rndne_f64_e32 v[16:17], v[16:17]
	s_delay_alu instid0(VALU_DEP_1) | instskip(SKIP_3) | instid1(VALU_DEP_2)
	v_fma_f64 v[82:83], v[16:17], s[0:1], v[12:13]
	s_mov_b32 s0, 0x3b39803f
	s_mov_b32 s1, 0xbc7abc9e
	v_cvt_i32_f64_e32 v86, v[16:17]
	v_fma_f64 v[82:83], v[16:17], s[0:1], v[82:83]
	s_mov_b32 s0, 0xfca7ab0c
	s_mov_b32 s1, 0x3e928af3
	s_delay_alu instid0(VALU_DEP_1) | instid1(SALU_CYCLE_1)
	v_fma_f64 v[84:85], v[82:83], s[42:43], s[0:1]
	s_mov_b32 s0, 0x623fde64
	s_mov_b32 s1, 0x3ec71dee
	s_delay_alu instid0(VALU_DEP_1) | instid1(SALU_CYCLE_1)
	;; [unrolled: 4-line block ×9, first 2 shown]
	v_fma_f64 v[84:85], v[82:83], v[84:85], s[0:1]
	v_cmp_nlt_f64_e64 s0, 0x40900000, v[12:13]
	v_cmp_ngt_f64_e64 s1, 0xc090cc00, v[12:13]
	s_delay_alu instid0(VALU_DEP_3) | instskip(NEXT) | instid1(VALU_DEP_1)
	v_fma_f64 v[84:85], v[82:83], v[84:85], 1.0
	v_fma_f64 v[16:17], v[82:83], v[84:85], 1.0
	s_delay_alu instid0(VALU_DEP_1) | instskip(NEXT) | instid1(VALU_DEP_1)
	v_ldexp_f64 v[16:17], v[16:17], v86
	v_cndmask_b32_e64 v17, 0x7ff00000, v17, s0
	s_and_b32 s0, s1, s0
	s_delay_alu instid0(VALU_DEP_2) | instid1(SALU_CYCLE_1)
	v_cndmask_b32_e64 v16, 0, v16, s0
	s_delay_alu instid0(VALU_DEP_2) | instskip(NEXT) | instid1(VALU_DEP_1)
	v_cndmask_b32_e64 v17, 0, v17, s1
	v_add_f64 v[36:37], v[36:37], v[16:17]
.LBB693_303:
	s_or_b32 exec_lo, exec_lo, s41
.LBB693_304:
	s_delay_alu instid0(SALU_CYCLE_1)
	s_or_b32 exec_lo, exec_lo, s34
	s_and_saveexec_b32 s34, s40
	s_cbranch_execz .LBB693_308
; %bb.305:
	global_load_u8 v12, v[4:5], off offset:896
	v_mov_b32_e32 v14, 0
	s_waitcnt vmcnt(0)
	v_dual_mov_b32 v15, 0 :: v_dual_and_b32 v12, 1, v12
	s_delay_alu instid0(VALU_DEP_1) | instskip(NEXT) | instid1(VALU_DEP_1)
	v_cmp_eq_u32_e64 s0, 1, v12
	s_xor_b32 s0, s0, -1
	s_delay_alu instid0(SALU_CYCLE_1)
	s_and_saveexec_b32 s40, s0
	s_cbranch_execz .LBB693_307
; %bb.306:
	v_add_f64 v[10:11], v[10:11], -v[38:39]
	s_mov_b32 s0, 0x652b82fe
	s_mov_b32 s1, 0x3ff71547
	;; [unrolled: 1-line block ×4, first 2 shown]
	s_delay_alu instid0(VALU_DEP_1) | instskip(SKIP_2) | instid1(VALU_DEP_1)
	v_mul_f64 v[12:13], v[10:11], s[0:1]
	s_mov_b32 s0, 0xfefa39ef
	s_mov_b32 s1, 0xbfe62e42
	v_rndne_f64_e32 v[12:13], v[12:13]
	s_delay_alu instid0(VALU_DEP_1) | instskip(SKIP_3) | instid1(VALU_DEP_2)
	v_fma_f64 v[14:15], v[12:13], s[0:1], v[10:11]
	s_mov_b32 s0, 0x3b39803f
	s_mov_b32 s1, 0xbc7abc9e
	v_cvt_i32_f64_e32 v84, v[12:13]
	v_fma_f64 v[14:15], v[12:13], s[0:1], v[14:15]
	s_mov_b32 s0, 0xfca7ab0c
	s_mov_b32 s1, 0x3e928af3
	s_delay_alu instid0(VALU_DEP_1) | instid1(SALU_CYCLE_1)
	v_fma_f64 v[82:83], v[14:15], s[42:43], s[0:1]
	s_mov_b32 s0, 0x623fde64
	s_mov_b32 s1, 0x3ec71dee
	s_delay_alu instid0(VALU_DEP_1) | instid1(SALU_CYCLE_1)
	;; [unrolled: 4-line block ×9, first 2 shown]
	v_fma_f64 v[82:83], v[14:15], v[82:83], s[0:1]
	v_cmp_nlt_f64_e64 s0, 0x40900000, v[10:11]
	v_cmp_ngt_f64_e64 s1, 0xc090cc00, v[10:11]
	s_delay_alu instid0(VALU_DEP_3) | instskip(NEXT) | instid1(VALU_DEP_1)
	v_fma_f64 v[82:83], v[14:15], v[82:83], 1.0
	v_fma_f64 v[12:13], v[14:15], v[82:83], 1.0
	s_delay_alu instid0(VALU_DEP_1) | instskip(NEXT) | instid1(VALU_DEP_1)
	v_ldexp_f64 v[12:13], v[12:13], v84
	v_cndmask_b32_e64 v13, 0x7ff00000, v13, s0
	s_and_b32 s0, s1, s0
	s_delay_alu instid0(VALU_DEP_2) | instid1(SALU_CYCLE_1)
	v_cndmask_b32_e64 v14, 0, v12, s0
	s_delay_alu instid0(VALU_DEP_2) | instskip(NEXT) | instid1(VALU_DEP_1)
	v_cndmask_b32_e64 v15, 0, v13, s1
	v_add_f64 v[36:37], v[36:37], v[14:15]
.LBB693_307:
	s_or_b32 exec_lo, exec_lo, s40
.LBB693_308:
	s_delay_alu instid0(SALU_CYCLE_1) | instskip(SKIP_2) | instid1(VALU_DEP_1)
	s_or_b32 exec_lo, exec_lo, s34
	v_mov_b32_e32 v10, 0
	v_mov_b32_e32 v11, 0
	v_dual_mov_b32 v13, v11 :: v_dual_mov_b32 v12, v10
	s_and_saveexec_b32 s34, s39
	s_cbranch_execz .LBB693_312
; %bb.309:
	global_load_u8 v12, v[4:5], off offset:928
	s_waitcnt vmcnt(0)
	v_and_b32_e32 v12, 1, v12
	s_delay_alu instid0(VALU_DEP_1) | instskip(SKIP_2) | instid1(VALU_DEP_3)
	v_cmp_eq_u32_e64 s0, 1, v12
	v_mov_b32_e32 v12, 0
	v_mov_b32_e32 v13, 0
	s_xor_b32 s0, s0, -1
	s_delay_alu instid0(SALU_CYCLE_1)
	s_and_saveexec_b32 s39, s0
	s_cbranch_execz .LBB693_311
; %bb.310:
	v_add_f64 v[8:9], v[8:9], -v[38:39]
	s_mov_b32 s0, 0x652b82fe
	s_mov_b32 s1, 0x3ff71547
	;; [unrolled: 1-line block ×4, first 2 shown]
	s_delay_alu instid0(VALU_DEP_1) | instskip(SKIP_2) | instid1(VALU_DEP_1)
	v_mul_f64 v[12:13], v[8:9], s[0:1]
	s_mov_b32 s0, 0xfefa39ef
	s_mov_b32 s1, 0xbfe62e42
	v_rndne_f64_e32 v[12:13], v[12:13]
	s_delay_alu instid0(VALU_DEP_1) | instskip(SKIP_3) | instid1(VALU_DEP_2)
	v_fma_f64 v[82:83], v[12:13], s[0:1], v[8:9]
	s_mov_b32 s0, 0x3b39803f
	s_mov_b32 s1, 0xbc7abc9e
	v_cvt_i32_f64_e32 v86, v[12:13]
	v_fma_f64 v[82:83], v[12:13], s[0:1], v[82:83]
	s_mov_b32 s0, 0xfca7ab0c
	s_mov_b32 s1, 0x3e928af3
	s_delay_alu instid0(VALU_DEP_1) | instid1(SALU_CYCLE_1)
	v_fma_f64 v[84:85], v[82:83], s[40:41], s[0:1]
	s_mov_b32 s0, 0x623fde64
	s_mov_b32 s1, 0x3ec71dee
	s_delay_alu instid0(VALU_DEP_1) | instid1(SALU_CYCLE_1)
	;; [unrolled: 4-line block ×9, first 2 shown]
	v_fma_f64 v[84:85], v[82:83], v[84:85], s[0:1]
	v_cmp_nlt_f64_e64 s0, 0x40900000, v[8:9]
	v_cmp_ngt_f64_e64 s1, 0xc090cc00, v[8:9]
	s_delay_alu instid0(VALU_DEP_3) | instskip(NEXT) | instid1(VALU_DEP_1)
	v_fma_f64 v[84:85], v[82:83], v[84:85], 1.0
	v_fma_f64 v[12:13], v[82:83], v[84:85], 1.0
	s_delay_alu instid0(VALU_DEP_1) | instskip(NEXT) | instid1(VALU_DEP_1)
	v_ldexp_f64 v[12:13], v[12:13], v86
	v_cndmask_b32_e64 v13, 0x7ff00000, v13, s0
	s_and_b32 s0, s1, s0
	s_delay_alu instid0(VALU_DEP_2) | instid1(SALU_CYCLE_1)
	v_cndmask_b32_e64 v12, 0, v12, s0
	s_delay_alu instid0(VALU_DEP_2) | instskip(NEXT) | instid1(VALU_DEP_1)
	v_cndmask_b32_e64 v13, 0, v13, s1
	v_add_f64 v[36:37], v[36:37], v[12:13]
.LBB693_311:
	s_or_b32 exec_lo, exec_lo, s39
.LBB693_312:
	s_delay_alu instid0(SALU_CYCLE_1)
	s_or_b32 exec_lo, exec_lo, s34
	s_and_saveexec_b32 s34, s38
	s_cbranch_execz .LBB693_316
; %bb.313:
	global_load_u8 v8, v[4:5], off offset:960
	v_mov_b32_e32 v10, 0
	s_waitcnt vmcnt(0)
	v_dual_mov_b32 v11, 0 :: v_dual_and_b32 v8, 1, v8
	s_delay_alu instid0(VALU_DEP_1) | instskip(NEXT) | instid1(VALU_DEP_1)
	v_cmp_eq_u32_e64 s0, 1, v8
	s_xor_b32 s0, s0, -1
	s_delay_alu instid0(SALU_CYCLE_1)
	s_and_saveexec_b32 s38, s0
	s_cbranch_execz .LBB693_315
; %bb.314:
	v_add_f64 v[6:7], v[6:7], -v[38:39]
	s_mov_b32 s0, 0x652b82fe
	s_mov_b32 s1, 0x3ff71547
	;; [unrolled: 1-line block ×4, first 2 shown]
	s_delay_alu instid0(VALU_DEP_1) | instskip(SKIP_2) | instid1(VALU_DEP_1)
	v_mul_f64 v[8:9], v[6:7], s[0:1]
	s_mov_b32 s0, 0xfefa39ef
	s_mov_b32 s1, 0xbfe62e42
	v_rndne_f64_e32 v[8:9], v[8:9]
	s_delay_alu instid0(VALU_DEP_1) | instskip(SKIP_3) | instid1(VALU_DEP_2)
	v_fma_f64 v[10:11], v[8:9], s[0:1], v[6:7]
	s_mov_b32 s0, 0x3b39803f
	s_mov_b32 s1, 0xbc7abc9e
	v_cvt_i32_f64_e32 v84, v[8:9]
	v_fma_f64 v[10:11], v[8:9], s[0:1], v[10:11]
	s_mov_b32 s0, 0xfca7ab0c
	s_mov_b32 s1, 0x3e928af3
	s_delay_alu instid0(VALU_DEP_1) | instid1(SALU_CYCLE_1)
	v_fma_f64 v[82:83], v[10:11], s[40:41], s[0:1]
	s_mov_b32 s0, 0x623fde64
	s_mov_b32 s1, 0x3ec71dee
	s_delay_alu instid0(VALU_DEP_1) | instid1(SALU_CYCLE_1)
	v_fma_f64 v[82:83], v[10:11], v[82:83], s[0:1]
	s_mov_b32 s0, 0x7c89e6b0
	s_mov_b32 s1, 0x3efa0199
	s_delay_alu instid0(VALU_DEP_1) | instid1(SALU_CYCLE_1)
	v_fma_f64 v[82:83], v[10:11], v[82:83], s[0:1]
	s_mov_b32 s0, 0x14761f6e
	s_mov_b32 s1, 0x3f2a01a0
	s_delay_alu instid0(VALU_DEP_1) | instid1(SALU_CYCLE_1)
	v_fma_f64 v[82:83], v[10:11], v[82:83], s[0:1]
	s_mov_b32 s0, 0x1852b7b0
	s_mov_b32 s1, 0x3f56c16c
	s_delay_alu instid0(VALU_DEP_1) | instid1(SALU_CYCLE_1)
	v_fma_f64 v[82:83], v[10:11], v[82:83], s[0:1]
	s_mov_b32 s0, 0x11122322
	s_mov_b32 s1, 0x3f811111
	s_delay_alu instid0(VALU_DEP_1) | instid1(SALU_CYCLE_1)
	v_fma_f64 v[82:83], v[10:11], v[82:83], s[0:1]
	s_mov_b32 s0, 0x555502a1
	s_mov_b32 s1, 0x3fa55555
	s_delay_alu instid0(VALU_DEP_1) | instid1(SALU_CYCLE_1)
	v_fma_f64 v[82:83], v[10:11], v[82:83], s[0:1]
	s_mov_b32 s0, 0x55555511
	s_mov_b32 s1, 0x3fc55555
	s_delay_alu instid0(VALU_DEP_1) | instid1(SALU_CYCLE_1)
	v_fma_f64 v[82:83], v[10:11], v[82:83], s[0:1]
	s_mov_b32 s0, 11
	s_mov_b32 s1, 0x3fe00000
	s_delay_alu instid0(VALU_DEP_1) | instid1(SALU_CYCLE_1)
	v_fma_f64 v[82:83], v[10:11], v[82:83], s[0:1]
	v_cmp_nlt_f64_e64 s0, 0x40900000, v[6:7]
	v_cmp_ngt_f64_e64 s1, 0xc090cc00, v[6:7]
	s_delay_alu instid0(VALU_DEP_3) | instskip(NEXT) | instid1(VALU_DEP_1)
	v_fma_f64 v[82:83], v[10:11], v[82:83], 1.0
	v_fma_f64 v[8:9], v[10:11], v[82:83], 1.0
	s_delay_alu instid0(VALU_DEP_1) | instskip(NEXT) | instid1(VALU_DEP_1)
	v_ldexp_f64 v[8:9], v[8:9], v84
	v_cndmask_b32_e64 v9, 0x7ff00000, v9, s0
	s_and_b32 s0, s1, s0
	s_delay_alu instid0(VALU_DEP_2) | instid1(SALU_CYCLE_1)
	v_cndmask_b32_e64 v10, 0, v8, s0
	s_delay_alu instid0(VALU_DEP_2) | instskip(NEXT) | instid1(VALU_DEP_1)
	v_cndmask_b32_e64 v11, 0, v9, s1
	v_add_f64 v[36:37], v[36:37], v[10:11]
.LBB693_315:
	s_or_b32 exec_lo, exec_lo, s38
.LBB693_316:
	s_delay_alu instid0(SALU_CYCLE_1)
	s_or_b32 exec_lo, exec_lo, s34
	v_mov_b32_e32 v6, 0
	v_mov_b32_e32 v7, 0
	s_and_saveexec_b32 s34, s35
	s_cbranch_execz .LBB693_320
; %bb.317:
	global_load_u8 v4, v[4:5], off offset:992
	v_mov_b32_e32 v6, 0
	s_waitcnt vmcnt(0)
	v_dual_mov_b32 v7, 0 :: v_dual_and_b32 v4, 1, v4
	s_delay_alu instid0(VALU_DEP_1) | instskip(NEXT) | instid1(VALU_DEP_1)
	v_cmp_eq_u32_e64 s0, 1, v4
	s_xor_b32 s0, s0, -1
	s_delay_alu instid0(SALU_CYCLE_1)
	s_and_saveexec_b32 s35, s0
	s_cbranch_execz .LBB693_319
; %bb.318:
	v_add_f64 v[2:3], v[2:3], -v[38:39]
	s_mov_b32 s0, 0x652b82fe
	s_mov_b32 s1, 0x3ff71547
	;; [unrolled: 1-line block ×4, first 2 shown]
	s_delay_alu instid0(VALU_DEP_1) | instskip(SKIP_2) | instid1(VALU_DEP_1)
	v_mul_f64 v[4:5], v[2:3], s[0:1]
	s_mov_b32 s0, 0xfefa39ef
	s_mov_b32 s1, 0xbfe62e42
	v_rndne_f64_e32 v[4:5], v[4:5]
	s_delay_alu instid0(VALU_DEP_1) | instskip(SKIP_3) | instid1(VALU_DEP_2)
	v_fma_f64 v[6:7], v[4:5], s[0:1], v[2:3]
	s_mov_b32 s0, 0x3b39803f
	s_mov_b32 s1, 0xbc7abc9e
	v_cvt_i32_f64_e32 v38, v[4:5]
	v_fma_f64 v[6:7], v[4:5], s[0:1], v[6:7]
	s_mov_b32 s0, 0xfca7ab0c
	s_mov_b32 s1, 0x3e928af3
	s_delay_alu instid0(VALU_DEP_1) | instid1(SALU_CYCLE_1)
	v_fma_f64 v[8:9], v[6:7], s[38:39], s[0:1]
	s_mov_b32 s0, 0x623fde64
	s_mov_b32 s1, 0x3ec71dee
	s_delay_alu instid0(VALU_DEP_1) | instid1(SALU_CYCLE_1)
	;; [unrolled: 4-line block ×9, first 2 shown]
	v_fma_f64 v[8:9], v[6:7], v[8:9], s[0:1]
	v_cmp_nlt_f64_e64 s0, 0x40900000, v[2:3]
	v_cmp_ngt_f64_e64 s1, 0xc090cc00, v[2:3]
	s_delay_alu instid0(VALU_DEP_3) | instskip(NEXT) | instid1(VALU_DEP_1)
	v_fma_f64 v[8:9], v[6:7], v[8:9], 1.0
	v_fma_f64 v[4:5], v[6:7], v[8:9], 1.0
	s_delay_alu instid0(VALU_DEP_1) | instskip(NEXT) | instid1(VALU_DEP_1)
	v_ldexp_f64 v[4:5], v[4:5], v38
	v_cndmask_b32_e64 v5, 0x7ff00000, v5, s0
	s_and_b32 s0, s1, s0
	s_delay_alu instid0(VALU_DEP_2) | instid1(SALU_CYCLE_1)
	v_cndmask_b32_e64 v6, 0, v4, s0
	s_delay_alu instid0(VALU_DEP_2) | instskip(NEXT) | instid1(VALU_DEP_1)
	v_cndmask_b32_e64 v7, 0, v5, s1
	v_add_f64 v[36:37], v[36:37], v[6:7]
.LBB693_319:
	s_or_b32 exec_lo, exec_lo, s35
.LBB693_320:
	s_delay_alu instid0(SALU_CYCLE_1)
	s_or_b32 exec_lo, exec_lo, s34
	ds_bpermute_b32 v2, v77, v36
	ds_bpermute_b32 v3, v77, v37
	s_mov_b32 s1, exec_lo
	s_waitcnt lgkmcnt(0)
	v_add_f64 v[2:3], v[36:37], v[2:3]
	ds_bpermute_b32 v4, v78, v2
	ds_bpermute_b32 v5, v78, v3
	s_waitcnt lgkmcnt(0)
	v_add_f64 v[2:3], v[2:3], v[4:5]
	ds_bpermute_b32 v4, v79, v2
	ds_bpermute_b32 v5, v79, v3
	;; [unrolled: 4-line block ×4, first 2 shown]
	v_cmpx_lt_i32_e32 0, v76
	s_cbranch_execz .LBB693_354
; %bb.321:
	s_and_b32 exec_lo, exec_lo, vcc_lo
	s_cbranch_execz .LBB693_354
; %bb.322:
	s_waitcnt lgkmcnt(0)
	v_add_f64 v[2:3], v[2:3], v[4:5]
	s_delay_alu instid0(VALU_DEP_1) | instskip(SKIP_2) | instid1(VALU_DEP_3)
	v_div_scale_f64 v[4:5], null, v[2:3], v[2:3], v[32:33]
	v_div_scale_f64 v[38:39], vcc_lo, v[32:33], v[2:3], v[32:33]
	v_cmp_eq_f64_e64 s0, 0, v[2:3]
	v_rcp_f64_e32 v[8:9], v[4:5]
	s_waitcnt_depctr 0xfff
	v_fma_f64 v[36:37], -v[4:5], v[8:9], 1.0
	s_delay_alu instid0(VALU_DEP_1) | instskip(NEXT) | instid1(VALU_DEP_1)
	v_fma_f64 v[8:9], v[8:9], v[36:37], v[8:9]
	v_fma_f64 v[36:37], -v[4:5], v[8:9], 1.0
	s_delay_alu instid0(VALU_DEP_1) | instskip(NEXT) | instid1(VALU_DEP_1)
	v_fma_f64 v[8:9], v[8:9], v[36:37], v[8:9]
	v_mul_f64 v[36:37], v[38:39], v[8:9]
	s_delay_alu instid0(VALU_DEP_1) | instskip(NEXT) | instid1(VALU_DEP_1)
	v_fma_f64 v[4:5], -v[4:5], v[36:37], v[38:39]
	v_div_fmas_f64 v[4:5], v[4:5], v[8:9], v[36:37]
	v_add_co_u32 v0, vcc_lo, s36, v0
	v_add_co_ci_u32_e32 v1, vcc_lo, s37, v1, vcc_lo
	s_delay_alu instid0(VALU_DEP_3) | instskip(NEXT) | instid1(VALU_DEP_1)
	v_div_fixup_f64 v[4:5], v[4:5], v[2:3], v[32:33]
	v_cndmask_b32_e64 v5, v5, 0x7ff80000, s0
	s_delay_alu instid0(VALU_DEP_2)
	v_cndmask_b32_e64 v4, v4, 0, s0
	global_store_b64 v[0:1], v[4:5], off
	s_and_b32 exec_lo, exec_lo, s33
	s_cbranch_execz .LBB693_354
; %bb.323:
	v_div_scale_f64 v[4:5], null, v[2:3], v[2:3], v[40:41]
	v_div_scale_f64 v[36:37], vcc_lo, v[40:41], v[2:3], v[40:41]
	s_delay_alu instid0(VALU_DEP_2) | instskip(SKIP_2) | instid1(VALU_DEP_1)
	v_rcp_f64_e32 v[8:9], v[4:5]
	s_waitcnt_depctr 0xfff
	v_fma_f64 v[32:33], -v[4:5], v[8:9], 1.0
	v_fma_f64 v[8:9], v[8:9], v[32:33], v[8:9]
	s_delay_alu instid0(VALU_DEP_1) | instskip(NEXT) | instid1(VALU_DEP_1)
	v_fma_f64 v[32:33], -v[4:5], v[8:9], 1.0
	v_fma_f64 v[8:9], v[8:9], v[32:33], v[8:9]
	s_delay_alu instid0(VALU_DEP_1) | instskip(NEXT) | instid1(VALU_DEP_1)
	v_mul_f64 v[32:33], v[36:37], v[8:9]
	v_fma_f64 v[4:5], -v[4:5], v[32:33], v[36:37]
	s_delay_alu instid0(VALU_DEP_1) | instskip(NEXT) | instid1(VALU_DEP_1)
	v_div_fmas_f64 v[4:5], v[4:5], v[8:9], v[32:33]
	v_div_fixup_f64 v[4:5], v[4:5], v[2:3], v[40:41]
	s_delay_alu instid0(VALU_DEP_1) | instskip(NEXT) | instid1(VALU_DEP_2)
	v_cndmask_b32_e64 v5, v5, 0x7ff80000, s0
	v_cndmask_b32_e64 v4, v4, 0, s0
	global_store_b64 v[0:1], v[4:5], off offset:256
	s_and_b32 exec_lo, exec_lo, s31
	s_cbranch_execz .LBB693_354
; %bb.324:
	v_div_scale_f64 v[4:5], null, v[2:3], v[2:3], v[30:31]
	v_div_scale_f64 v[36:37], vcc_lo, v[30:31], v[2:3], v[30:31]
	s_delay_alu instid0(VALU_DEP_2) | instskip(SKIP_2) | instid1(VALU_DEP_1)
	v_rcp_f64_e32 v[8:9], v[4:5]
	s_waitcnt_depctr 0xfff
	v_fma_f64 v[32:33], -v[4:5], v[8:9], 1.0
	v_fma_f64 v[8:9], v[8:9], v[32:33], v[8:9]
	s_delay_alu instid0(VALU_DEP_1) | instskip(NEXT) | instid1(VALU_DEP_1)
	v_fma_f64 v[32:33], -v[4:5], v[8:9], 1.0
	v_fma_f64 v[8:9], v[8:9], v[32:33], v[8:9]
	s_delay_alu instid0(VALU_DEP_1) | instskip(NEXT) | instid1(VALU_DEP_1)
	v_mul_f64 v[32:33], v[36:37], v[8:9]
	v_fma_f64 v[4:5], -v[4:5], v[32:33], v[36:37]
	s_delay_alu instid0(VALU_DEP_1) | instskip(NEXT) | instid1(VALU_DEP_1)
	v_div_fmas_f64 v[4:5], v[4:5], v[8:9], v[32:33]
	v_div_fixup_f64 v[4:5], v[4:5], v[2:3], v[30:31]
	s_delay_alu instid0(VALU_DEP_1) | instskip(NEXT) | instid1(VALU_DEP_2)
	v_cndmask_b32_e64 v5, v5, 0x7ff80000, s0
	v_cndmask_b32_e64 v4, v4, 0, s0
	global_store_b64 v[0:1], v[4:5], off offset:512
	;; [unrolled: 23-line block ×15, first 2 shown]
	s_and_b32 exec_lo, exec_lo, s17
	s_cbranch_execz .LBB693_354
; %bb.338:
	v_div_scale_f64 v[4:5], null, v[2:3], v[2:3], v[52:53]
	v_div_scale_f64 v[32:33], vcc_lo, v[52:53], v[2:3], v[52:53]
	s_delay_alu instid0(VALU_DEP_2) | instskip(SKIP_2) | instid1(VALU_DEP_1)
	v_rcp_f64_e32 v[8:9], v[4:5]
	s_waitcnt_depctr 0xfff
	v_fma_f64 v[30:31], -v[4:5], v[8:9], 1.0
	v_fma_f64 v[8:9], v[8:9], v[30:31], v[8:9]
	s_delay_alu instid0(VALU_DEP_1) | instskip(NEXT) | instid1(VALU_DEP_1)
	v_fma_f64 v[30:31], -v[4:5], v[8:9], 1.0
	v_fma_f64 v[8:9], v[8:9], v[30:31], v[8:9]
	s_delay_alu instid0(VALU_DEP_1) | instskip(NEXT) | instid1(VALU_DEP_1)
	v_mul_f64 v[30:31], v[32:33], v[8:9]
	v_fma_f64 v[4:5], -v[4:5], v[30:31], v[32:33]
	s_delay_alu instid0(VALU_DEP_1) | instskip(SKIP_2) | instid1(VALU_DEP_3)
	v_div_fmas_f64 v[4:5], v[4:5], v[8:9], v[30:31]
	v_add_co_u32 v0, vcc_lo, 0x1000, v0
	v_add_co_ci_u32_e32 v1, vcc_lo, 0, v1, vcc_lo
	v_div_fixup_f64 v[4:5], v[4:5], v[2:3], v[52:53]
	s_delay_alu instid0(VALU_DEP_1) | instskip(NEXT) | instid1(VALU_DEP_2)
	v_cndmask_b32_e64 v5, v5, 0x7ff80000, s0
	v_cndmask_b32_e64 v4, v4, 0, s0
	global_store_b64 v[0:1], v[4:5], off
	s_and_b32 exec_lo, exec_lo, s16
	s_cbranch_execz .LBB693_354
; %bb.339:
	v_div_scale_f64 v[4:5], null, v[2:3], v[2:3], v[50:51]
	v_div_scale_f64 v[32:33], vcc_lo, v[50:51], v[2:3], v[50:51]
	s_delay_alu instid0(VALU_DEP_2) | instskip(SKIP_2) | instid1(VALU_DEP_1)
	v_rcp_f64_e32 v[8:9], v[4:5]
	s_waitcnt_depctr 0xfff
	v_fma_f64 v[30:31], -v[4:5], v[8:9], 1.0
	v_fma_f64 v[8:9], v[8:9], v[30:31], v[8:9]
	s_delay_alu instid0(VALU_DEP_1) | instskip(NEXT) | instid1(VALU_DEP_1)
	v_fma_f64 v[30:31], -v[4:5], v[8:9], 1.0
	v_fma_f64 v[8:9], v[8:9], v[30:31], v[8:9]
	s_delay_alu instid0(VALU_DEP_1) | instskip(NEXT) | instid1(VALU_DEP_1)
	v_mul_f64 v[30:31], v[32:33], v[8:9]
	v_fma_f64 v[4:5], -v[4:5], v[30:31], v[32:33]
	s_delay_alu instid0(VALU_DEP_1) | instskip(NEXT) | instid1(VALU_DEP_1)
	v_div_fmas_f64 v[4:5], v[4:5], v[8:9], v[30:31]
	v_div_fixup_f64 v[4:5], v[4:5], v[2:3], v[50:51]
	s_delay_alu instid0(VALU_DEP_1) | instskip(NEXT) | instid1(VALU_DEP_2)
	v_cndmask_b32_e64 v5, v5, 0x7ff80000, s0
	v_cndmask_b32_e64 v4, v4, 0, s0
	global_store_b64 v[0:1], v[4:5], off offset:256
	s_and_b32 exec_lo, exec_lo, s15
	s_cbranch_execz .LBB693_354
; %bb.340:
	v_div_scale_f64 v[4:5], null, v[2:3], v[2:3], v[44:45]
	v_div_scale_f64 v[32:33], vcc_lo, v[44:45], v[2:3], v[44:45]
	s_delay_alu instid0(VALU_DEP_2) | instskip(SKIP_2) | instid1(VALU_DEP_1)
	v_rcp_f64_e32 v[8:9], v[4:5]
	s_waitcnt_depctr 0xfff
	v_fma_f64 v[30:31], -v[4:5], v[8:9], 1.0
	v_fma_f64 v[8:9], v[8:9], v[30:31], v[8:9]
	s_delay_alu instid0(VALU_DEP_1) | instskip(NEXT) | instid1(VALU_DEP_1)
	v_fma_f64 v[30:31], -v[4:5], v[8:9], 1.0
	v_fma_f64 v[8:9], v[8:9], v[30:31], v[8:9]
	s_delay_alu instid0(VALU_DEP_1) | instskip(NEXT) | instid1(VALU_DEP_1)
	v_mul_f64 v[30:31], v[32:33], v[8:9]
	v_fma_f64 v[4:5], -v[4:5], v[30:31], v[32:33]
	s_delay_alu instid0(VALU_DEP_1) | instskip(NEXT) | instid1(VALU_DEP_1)
	v_div_fmas_f64 v[4:5], v[4:5], v[8:9], v[30:31]
	v_div_fixup_f64 v[4:5], v[4:5], v[2:3], v[44:45]
	s_delay_alu instid0(VALU_DEP_1) | instskip(NEXT) | instid1(VALU_DEP_2)
	v_cndmask_b32_e64 v5, v5, 0x7ff80000, s0
	v_cndmask_b32_e64 v4, v4, 0, s0
	global_store_b64 v[0:1], v[4:5], off offset:512
	;; [unrolled: 23-line block ×15, first 2 shown]
.LBB693_354:
	s_nop 0
	s_sendmsg sendmsg(MSG_DEALLOC_VGPRS)
	s_endpgm
	.section	.rodata,"a",@progbits
	.p2align	6, 0x0
	.amdhsa_kernel _ZN12_GLOBAL__N_120softmax_warp_forwardIdddLi10ELb0ELb1ELi32EEEvPT0_PKT_iiiPKbib
		.amdhsa_group_segment_fixed_size 0
		.amdhsa_private_segment_fixed_size 0
		.amdhsa_kernarg_size 304
		.amdhsa_user_sgpr_count 15
		.amdhsa_user_sgpr_dispatch_ptr 0
		.amdhsa_user_sgpr_queue_ptr 0
		.amdhsa_user_sgpr_kernarg_segment_ptr 1
		.amdhsa_user_sgpr_dispatch_id 0
		.amdhsa_user_sgpr_private_segment_size 0
		.amdhsa_wavefront_size32 1
		.amdhsa_uses_dynamic_stack 0
		.amdhsa_enable_private_segment 0
		.amdhsa_system_sgpr_workgroup_id_x 1
		.amdhsa_system_sgpr_workgroup_id_y 0
		.amdhsa_system_sgpr_workgroup_id_z 0
		.amdhsa_system_sgpr_workgroup_info 0
		.amdhsa_system_vgpr_workitem_id 1
		.amdhsa_next_free_vgpr 87
		.amdhsa_next_free_sgpr 72
		.amdhsa_reserve_vcc 1
		.amdhsa_float_round_mode_32 0
		.amdhsa_float_round_mode_16_64 0
		.amdhsa_float_denorm_mode_32 3
		.amdhsa_float_denorm_mode_16_64 3
		.amdhsa_dx10_clamp 1
		.amdhsa_ieee_mode 1
		.amdhsa_fp16_overflow 0
		.amdhsa_workgroup_processor_mode 1
		.amdhsa_memory_ordered 1
		.amdhsa_forward_progress 0
		.amdhsa_shared_vgpr_count 0
		.amdhsa_exception_fp_ieee_invalid_op 0
		.amdhsa_exception_fp_denorm_src 0
		.amdhsa_exception_fp_ieee_div_zero 0
		.amdhsa_exception_fp_ieee_overflow 0
		.amdhsa_exception_fp_ieee_underflow 0
		.amdhsa_exception_fp_ieee_inexact 0
		.amdhsa_exception_int_div_zero 0
	.end_amdhsa_kernel
	.section	.text._ZN12_GLOBAL__N_120softmax_warp_forwardIdddLi10ELb0ELb1ELi32EEEvPT0_PKT_iiiPKbib,"axG",@progbits,_ZN12_GLOBAL__N_120softmax_warp_forwardIdddLi10ELb0ELb1ELi32EEEvPT0_PKT_iiiPKbib,comdat
.Lfunc_end693:
	.size	_ZN12_GLOBAL__N_120softmax_warp_forwardIdddLi10ELb0ELb1ELi32EEEvPT0_PKT_iiiPKbib, .Lfunc_end693-_ZN12_GLOBAL__N_120softmax_warp_forwardIdddLi10ELb0ELb1ELi32EEEvPT0_PKT_iiiPKbib
                                        ; -- End function
	.section	.AMDGPU.csdata,"",@progbits
; Kernel info:
; codeLenInByte = 29072
; NumSgprs: 74
; NumVgprs: 87
; ScratchSize: 0
; MemoryBound: 0
; FloatMode: 240
; IeeeMode: 1
; LDSByteSize: 0 bytes/workgroup (compile time only)
; SGPRBlocks: 9
; VGPRBlocks: 10
; NumSGPRsForWavesPerEU: 74
; NumVGPRsForWavesPerEU: 87
; Occupancy: 16
; WaveLimiterHint : 0
; COMPUTE_PGM_RSRC2:SCRATCH_EN: 0
; COMPUTE_PGM_RSRC2:USER_SGPR: 15
; COMPUTE_PGM_RSRC2:TRAP_HANDLER: 0
; COMPUTE_PGM_RSRC2:TGID_X_EN: 1
; COMPUTE_PGM_RSRC2:TGID_Y_EN: 0
; COMPUTE_PGM_RSRC2:TGID_Z_EN: 0
; COMPUTE_PGM_RSRC2:TIDIG_COMP_CNT: 1
	.section	.text._ZN12_GLOBAL__N_120softmax_warp_forwardIdddLi11ELb0ELb1ELi64EEEvPT0_PKT_iiiPKbib,"axG",@progbits,_ZN12_GLOBAL__N_120softmax_warp_forwardIdddLi11ELb0ELb1ELi64EEEvPT0_PKT_iiiPKbib,comdat
	.globl	_ZN12_GLOBAL__N_120softmax_warp_forwardIdddLi11ELb0ELb1ELi64EEEvPT0_PKT_iiiPKbib ; -- Begin function _ZN12_GLOBAL__N_120softmax_warp_forwardIdddLi11ELb0ELb1ELi64EEEvPT0_PKT_iiiPKbib
	.p2align	8
	.type	_ZN12_GLOBAL__N_120softmax_warp_forwardIdddLi11ELb0ELb1ELi64EEEvPT0_PKT_iiiPKbib,@function
_ZN12_GLOBAL__N_120softmax_warp_forwardIdddLi11ELb0ELb1ELi64EEEvPT0_PKT_iiiPKbib: ; @_ZN12_GLOBAL__N_120softmax_warp_forwardIdddLi11ELb0ELb1ELi64EEEvPT0_PKT_iiiPKbib
; %bb.0:
	s_clause 0x1
	s_load_b32 s2, s[0:1], 0x3c
	s_load_b128 s[40:43], s[0:1], 0x10
	v_bfe_u32 v3, v0, 10, 10
	s_waitcnt lgkmcnt(0)
	s_lshr_b32 s2, s2, 16
	s_delay_alu instid0(VALU_DEP_1) | instid1(SALU_CYCLE_1)
	v_mad_u64_u32 v[1:2], null, s15, s2, v[3:4]
	s_load_b64 s[2:3], s[0:1], 0x28
	v_and_b32_e32 v4, 0x3ff, v0
	s_delay_alu instid0(VALU_DEP_2) | instskip(NEXT) | instid1(VALU_DEP_1)
	v_mul_lo_u32 v5, v1, s41
	v_add_nc_u32_e32 v2, v5, v4
	s_delay_alu instid0(VALU_DEP_1) | instskip(SKIP_2) | instid1(VALU_DEP_1)
	v_ashrrev_i32_e32 v3, 31, v2
	s_waitcnt lgkmcnt(0)
	s_bitcmp0_b32 s3, 0
	v_dual_mov_b32 v31, v3 :: v_dual_mov_b32 v30, v2
	s_cbranch_scc1 .LBB694_2
; %bb.1:
	s_abs_i32 s3, s2
	v_sub_nc_u32_e32 v7, 0, v5
	v_cvt_f32_u32_e32 v0, s3
	s_sub_i32 s4, 0, s3
	s_delay_alu instid0(VALU_DEP_2) | instskip(NEXT) | instid1(VALU_DEP_2)
	v_max_i32_e32 v7, v5, v7
	v_rcp_iflag_f32_e32 v0, v0
	v_xor_b32_e32 v5, s2, v5
	s_delay_alu instid0(VALU_DEP_1) | instskip(SKIP_2) | instid1(VALU_DEP_1)
	v_ashrrev_i32_e32 v5, 31, v5
	s_waitcnt_depctr 0xfff
	v_mul_f32_e32 v0, 0x4f7ffffe, v0
	v_cvt_u32_f32_e32 v0, v0
	s_delay_alu instid0(VALU_DEP_1) | instskip(NEXT) | instid1(VALU_DEP_1)
	v_mul_lo_u32 v6, s4, v0
	v_mul_hi_u32 v6, v0, v6
	s_delay_alu instid0(VALU_DEP_1) | instskip(NEXT) | instid1(VALU_DEP_1)
	v_add_nc_u32_e32 v0, v0, v6
	v_mul_hi_u32 v0, v7, v0
	s_delay_alu instid0(VALU_DEP_1) | instskip(NEXT) | instid1(VALU_DEP_1)
	v_mul_lo_u32 v6, v0, s3
	v_sub_nc_u32_e32 v6, v7, v6
	v_add_nc_u32_e32 v7, 1, v0
	s_delay_alu instid0(VALU_DEP_2) | instskip(SKIP_1) | instid1(VALU_DEP_3)
	v_subrev_nc_u32_e32 v8, s3, v6
	v_cmp_le_u32_e32 vcc_lo, s3, v6
	v_cndmask_b32_e32 v0, v0, v7, vcc_lo
	s_delay_alu instid0(VALU_DEP_3) | instskip(NEXT) | instid1(VALU_DEP_2)
	v_cndmask_b32_e32 v6, v6, v8, vcc_lo
	v_add_nc_u32_e32 v7, 1, v0
	s_delay_alu instid0(VALU_DEP_2) | instskip(NEXT) | instid1(VALU_DEP_2)
	v_cmp_le_u32_e32 vcc_lo, s3, v6
	v_cndmask_b32_e32 v0, v0, v7, vcc_lo
	s_delay_alu instid0(VALU_DEP_1) | instskip(NEXT) | instid1(VALU_DEP_1)
	v_xor_b32_e32 v0, v0, v5
	v_sub_nc_u32_e32 v0, v0, v5
	s_delay_alu instid0(VALU_DEP_1) | instskip(NEXT) | instid1(VALU_DEP_1)
	v_mad_u64_u32 v[30:31], null, v0, s41, v[4:5]
	v_ashrrev_i32_e32 v31, 31, v30
.LBB694_2:
	s_load_b128 s[36:39], s[0:1], 0x0
	v_sub_nc_u32_e32 v76, s40, v1
	v_lshlrev_b64 v[0:1], 3, v[2:3]
	v_mov_b32_e32 v48, 0
	v_mov_b32_e32 v49, 0xfff00000
	v_cmp_gt_i32_e32 vcc_lo, s42, v4
	v_cmp_lt_i32_e64 s34, 0, v76
	s_delay_alu instid0(VALU_DEP_3) | instskip(NEXT) | instid1(VALU_DEP_2)
	v_dual_mov_b32 v40, v48 :: v_dual_mov_b32 v41, v49
	s_and_b32 s69, s34, vcc_lo
	s_waitcnt lgkmcnt(0)
	v_add_co_u32 v32, s2, s38, v0
	s_delay_alu instid0(VALU_DEP_1)
	v_add_co_ci_u32_e64 v33, s2, s39, v1, s2
	s_and_saveexec_b32 s2, s69
	s_cbranch_execz .LBB694_4
; %bb.3:
	global_load_b64 v[40:41], v[32:33], off
.LBB694_4:
	s_or_b32 exec_lo, exec_lo, s2
	v_add_nc_u32_e32 v2, 64, v4
	s_delay_alu instid0(VALU_DEP_1) | instskip(NEXT) | instid1(VALU_DEP_1)
	v_cmp_gt_i32_e64 s33, s42, v2
	s_and_b32 s68, s34, s33
	s_delay_alu instid0(SALU_CYCLE_1)
	s_and_saveexec_b32 s2, s68
	s_cbranch_execz .LBB694_6
; %bb.5:
	global_load_b64 v[48:49], v[32:33], off offset:512
.LBB694_6:
	s_or_b32 exec_lo, exec_lo, s2
	v_mov_b32_e32 v56, 0
	v_mov_b32_e32 v57, 0xfff00000
	v_add_nc_u32_e32 v2, 0x80, v4
	s_delay_alu instid0(VALU_DEP_2) | instskip(NEXT) | instid1(VALU_DEP_2)
	v_dual_mov_b32 v46, v56 :: v_dual_mov_b32 v47, v57
	v_cmp_gt_i32_e64 s31, s42, v2
	s_delay_alu instid0(VALU_DEP_1) | instskip(NEXT) | instid1(SALU_CYCLE_1)
	s_and_b32 s67, s34, s31
	s_and_saveexec_b32 s2, s67
	s_cbranch_execz .LBB694_8
; %bb.7:
	global_load_b64 v[46:47], v[32:33], off offset:1024
.LBB694_8:
	s_or_b32 exec_lo, exec_lo, s2
	v_add_nc_u32_e32 v2, 0xc0, v4
	s_delay_alu instid0(VALU_DEP_1) | instskip(NEXT) | instid1(VALU_DEP_1)
	v_cmp_gt_i32_e64 s30, s42, v2
	s_and_b32 s66, s34, s30
	s_delay_alu instid0(SALU_CYCLE_1)
	s_and_saveexec_b32 s2, s66
	s_cbranch_execz .LBB694_10
; %bb.9:
	global_load_b64 v[56:57], v[32:33], off offset:1536
.LBB694_10:
	s_or_b32 exec_lo, exec_lo, s2
	v_mov_b32_e32 v64, 0
	v_mov_b32_e32 v65, 0xfff00000
	v_add_nc_u32_e32 v2, 0x100, v4
	s_delay_alu instid0(VALU_DEP_2) | instskip(NEXT) | instid1(VALU_DEP_2)
	v_dual_mov_b32 v54, v64 :: v_dual_mov_b32 v55, v65
	v_cmp_gt_i32_e64 s29, s42, v2
	s_delay_alu instid0(VALU_DEP_1) | instskip(NEXT) | instid1(SALU_CYCLE_1)
	s_and_b32 s65, s34, s29
	s_and_saveexec_b32 s2, s65
	s_cbranch_execz .LBB694_12
; %bb.11:
	global_load_b64 v[54:55], v[32:33], off offset:2048
.LBB694_12:
	;; [unrolled: 25-line block ×3, first 2 shown]
	s_or_b32 exec_lo, exec_lo, s2
	v_add_nc_u32_e32 v2, 0x1c0, v4
	s_delay_alu instid0(VALU_DEP_1) | instskip(NEXT) | instid1(VALU_DEP_1)
	v_cmp_gt_i32_e64 s26, s42, v2
	s_and_b32 s62, s34, s26
	s_delay_alu instid0(SALU_CYCLE_1)
	s_and_saveexec_b32 s2, s62
	s_cbranch_execz .LBB694_18
; %bb.17:
	global_load_b64 v[72:73], v[32:33], off offset:3584
.LBB694_18:
	s_or_b32 exec_lo, exec_lo, s2
	v_mov_b32_e32 v74, 0
	v_mov_b32_e32 v75, 0xfff00000
	v_add_nc_u32_e32 v2, 0x200, v4
	s_delay_alu instid0(VALU_DEP_2) | instskip(NEXT) | instid1(VALU_DEP_2)
	v_dual_mov_b32 v70, v74 :: v_dual_mov_b32 v71, v75
	v_cmp_gt_i32_e64 s25, s42, v2
	s_delay_alu instid0(VALU_DEP_1) | instskip(NEXT) | instid1(SALU_CYCLE_1)
	s_and_b32 s61, s34, s25
	s_and_saveexec_b32 s3, s61
	s_cbranch_execz .LBB694_20
; %bb.19:
	v_add_co_u32 v2, s2, 0x1000, v32
	s_delay_alu instid0(VALU_DEP_1)
	v_add_co_ci_u32_e64 v3, s2, 0, v33, s2
	global_load_b64 v[70:71], v[2:3], off
.LBB694_20:
	s_or_b32 exec_lo, exec_lo, s3
	v_add_nc_u32_e32 v2, 0x240, v4
	s_delay_alu instid0(VALU_DEP_1) | instskip(NEXT) | instid1(VALU_DEP_1)
	v_cmp_gt_i32_e64 s24, s42, v2
	s_and_b32 s60, s34, s24
	s_delay_alu instid0(SALU_CYCLE_1)
	s_and_saveexec_b32 s3, s60
	s_cbranch_execz .LBB694_22
; %bb.21:
	v_add_co_u32 v2, s2, 0x1000, v32
	s_delay_alu instid0(VALU_DEP_1)
	v_add_co_ci_u32_e64 v3, s2, 0, v33, s2
	global_load_b64 v[74:75], v[2:3], off offset:512
.LBB694_22:
	s_or_b32 exec_lo, exec_lo, s3
	v_mov_b32_e32 v66, 0
	v_mov_b32_e32 v67, 0xfff00000
	s_delay_alu instid0(VALU_DEP_1) | instskip(NEXT) | instid1(VALU_DEP_1)
	v_dual_mov_b32 v69, v67 :: v_dual_add_nc_u32 v2, 0x280, v4
	v_cmp_gt_i32_e64 s23, s42, v2
	s_delay_alu instid0(VALU_DEP_4) | instskip(NEXT) | instid1(VALU_DEP_2)
	v_mov_b32_e32 v68, v66
	s_and_b32 s59, s34, s23
	s_delay_alu instid0(SALU_CYCLE_1)
	s_and_saveexec_b32 s3, s59
	s_cbranch_execz .LBB694_24
; %bb.23:
	v_add_co_u32 v2, s2, 0x1000, v32
	s_delay_alu instid0(VALU_DEP_1)
	v_add_co_ci_u32_e64 v3, s2, 0, v33, s2
	global_load_b64 v[68:69], v[2:3], off offset:1024
.LBB694_24:
	s_or_b32 exec_lo, exec_lo, s3
	v_add_nc_u32_e32 v2, 0x2c0, v4
	s_delay_alu instid0(VALU_DEP_1) | instskip(NEXT) | instid1(VALU_DEP_1)
	v_cmp_gt_i32_e64 s22, s42, v2
	s_and_b32 s58, s34, s22
	s_delay_alu instid0(SALU_CYCLE_1)
	s_and_saveexec_b32 s3, s58
	s_cbranch_execz .LBB694_26
; %bb.25:
	v_add_co_u32 v2, s2, 0x1000, v32
	s_delay_alu instid0(VALU_DEP_1)
	v_add_co_ci_u32_e64 v3, s2, 0, v33, s2
	global_load_b64 v[66:67], v[2:3], off offset:1536
.LBB694_26:
	s_or_b32 exec_lo, exec_lo, s3
	v_mov_b32_e32 v58, 0
	v_mov_b32_e32 v59, 0xfff00000
	s_delay_alu instid0(VALU_DEP_1) | instskip(NEXT) | instid1(VALU_DEP_1)
	v_dual_mov_b32 v61, v59 :: v_dual_add_nc_u32 v2, 0x300, v4
	v_cmp_gt_i32_e64 s21, s42, v2
	s_delay_alu instid0(VALU_DEP_4) | instskip(NEXT) | instid1(VALU_DEP_2)
	v_mov_b32_e32 v60, v58
	s_and_b32 s57, s34, s21
	s_delay_alu instid0(SALU_CYCLE_1)
	s_and_saveexec_b32 s3, s57
	s_cbranch_execz .LBB694_28
; %bb.27:
	v_add_co_u32 v2, s2, 0x1000, v32
	s_delay_alu instid0(VALU_DEP_1)
	v_add_co_ci_u32_e64 v3, s2, 0, v33, s2
	global_load_b64 v[60:61], v[2:3], off offset:2048
.LBB694_28:
	;; [unrolled: 32-line block ×3, first 2 shown]
	s_or_b32 exec_lo, exec_lo, s3
	v_add_nc_u32_e32 v2, 0x3c0, v4
	s_delay_alu instid0(VALU_DEP_1) | instskip(NEXT) | instid1(VALU_DEP_1)
	v_cmp_gt_i32_e64 s18, s42, v2
	s_and_b32 s54, s34, s18
	s_delay_alu instid0(SALU_CYCLE_1)
	s_and_saveexec_b32 s3, s54
	s_cbranch_execz .LBB694_34
; %bb.33:
	v_add_co_u32 v2, s2, 0x1000, v32
	s_delay_alu instid0(VALU_DEP_1)
	v_add_co_ci_u32_e64 v3, s2, 0, v33, s2
	global_load_b64 v[50:51], v[2:3], off offset:3584
.LBB694_34:
	s_or_b32 exec_lo, exec_lo, s3
	v_or_b32_e32 v2, 0x400, v4
	v_mov_b32_e32 v42, 0
	v_mov_b32_e32 v43, 0xfff00000
	s_delay_alu instid0(VALU_DEP_3) | instskip(NEXT) | instid1(VALU_DEP_2)
	v_cmp_gt_i32_e64 s17, s42, v2
	v_dual_mov_b32 v45, v43 :: v_dual_mov_b32 v44, v42
	s_delay_alu instid0(VALU_DEP_2) | instskip(NEXT) | instid1(SALU_CYCLE_1)
	s_and_b32 s53, s34, s17
	s_and_saveexec_b32 s3, s53
	s_cbranch_execz .LBB694_36
; %bb.35:
	v_add_co_u32 v2, s2, 0x2000, v32
	s_delay_alu instid0(VALU_DEP_1)
	v_add_co_ci_u32_e64 v3, s2, 0, v33, s2
	global_load_b64 v[44:45], v[2:3], off
.LBB694_36:
	s_or_b32 exec_lo, exec_lo, s3
	v_add_nc_u32_e32 v2, 0x440, v4
	s_delay_alu instid0(VALU_DEP_1) | instskip(NEXT) | instid1(VALU_DEP_1)
	v_cmp_gt_i32_e64 s16, s42, v2
	s_and_b32 s52, s34, s16
	s_delay_alu instid0(SALU_CYCLE_1)
	s_and_saveexec_b32 s3, s52
	s_cbranch_execz .LBB694_38
; %bb.37:
	v_add_co_u32 v2, s2, 0x2000, v32
	s_delay_alu instid0(VALU_DEP_1)
	v_add_co_ci_u32_e64 v3, s2, 0, v33, s2
	global_load_b64 v[42:43], v[2:3], off offset:512
.LBB694_38:
	s_or_b32 exec_lo, exec_lo, s3
	v_mov_b32_e32 v28, 0
	v_mov_b32_e32 v29, 0xfff00000
	s_delay_alu instid0(VALU_DEP_1) | instskip(NEXT) | instid1(VALU_DEP_1)
	v_dual_mov_b32 v35, v29 :: v_dual_add_nc_u32 v2, 0x480, v4
	v_cmp_gt_i32_e64 s15, s42, v2
	s_delay_alu instid0(VALU_DEP_4) | instskip(NEXT) | instid1(VALU_DEP_2)
	v_mov_b32_e32 v34, v28
	s_and_b32 s51, s34, s15
	s_delay_alu instid0(SALU_CYCLE_1)
	s_and_saveexec_b32 s3, s51
	s_cbranch_execz .LBB694_40
; %bb.39:
	v_add_co_u32 v2, s2, 0x2000, v32
	s_delay_alu instid0(VALU_DEP_1)
	v_add_co_ci_u32_e64 v3, s2, 0, v33, s2
	global_load_b64 v[34:35], v[2:3], off offset:1024
.LBB694_40:
	s_or_b32 exec_lo, exec_lo, s3
	v_add_nc_u32_e32 v2, 0x4c0, v4
	s_delay_alu instid0(VALU_DEP_1) | instskip(NEXT) | instid1(VALU_DEP_1)
	v_cmp_gt_i32_e64 s14, s42, v2
	s_and_b32 s50, s34, s14
	s_delay_alu instid0(SALU_CYCLE_1)
	s_and_saveexec_b32 s3, s50
	s_cbranch_execz .LBB694_42
; %bb.41:
	v_add_co_u32 v2, s2, 0x2000, v32
	s_delay_alu instid0(VALU_DEP_1)
	v_add_co_ci_u32_e64 v3, s2, 0, v33, s2
	global_load_b64 v[28:29], v[2:3], off offset:1536
.LBB694_42:
	s_or_b32 exec_lo, exec_lo, s3
	v_mov_b32_e32 v24, 0
	v_mov_b32_e32 v25, 0xfff00000
	s_delay_alu instid0(VALU_DEP_1) | instskip(NEXT) | instid1(VALU_DEP_1)
	v_dual_mov_b32 v27, v25 :: v_dual_add_nc_u32 v2, 0x500, v4
	v_cmp_gt_i32_e64 s13, s42, v2
	s_delay_alu instid0(VALU_DEP_4) | instskip(NEXT) | instid1(VALU_DEP_2)
	v_mov_b32_e32 v26, v24
	s_and_b32 s49, s34, s13
	s_delay_alu instid0(SALU_CYCLE_1)
	s_and_saveexec_b32 s3, s49
	s_cbranch_execz .LBB694_44
; %bb.43:
	v_add_co_u32 v2, s2, 0x2000, v32
	s_delay_alu instid0(VALU_DEP_1)
	v_add_co_ci_u32_e64 v3, s2, 0, v33, s2
	global_load_b64 v[26:27], v[2:3], off offset:2048
.LBB694_44:
	;; [unrolled: 32-line block ×3, first 2 shown]
	s_or_b32 exec_lo, exec_lo, s3
	v_add_nc_u32_e32 v2, 0x5c0, v4
	s_delay_alu instid0(VALU_DEP_1) | instskip(NEXT) | instid1(VALU_DEP_1)
	v_cmp_gt_i32_e64 s10, s42, v2
	s_and_b32 s46, s34, s10
	s_delay_alu instid0(SALU_CYCLE_1)
	s_and_saveexec_b32 s3, s46
	s_cbranch_execz .LBB694_50
; %bb.49:
	v_add_co_u32 v2, s2, 0x2000, v32
	s_delay_alu instid0(VALU_DEP_1)
	v_add_co_ci_u32_e64 v3, s2, 0, v33, s2
	global_load_b64 v[20:21], v[2:3], off offset:3584
.LBB694_50:
	s_or_b32 exec_lo, exec_lo, s3
	v_mov_b32_e32 v16, 0
	v_mov_b32_e32 v17, 0xfff00000
	s_delay_alu instid0(VALU_DEP_1) | instskip(NEXT) | instid1(VALU_DEP_1)
	v_dual_mov_b32 v19, v17 :: v_dual_add_nc_u32 v2, 0x600, v4
	v_cmp_gt_i32_e64 s9, s42, v2
	s_delay_alu instid0(VALU_DEP_4) | instskip(NEXT) | instid1(VALU_DEP_2)
	v_mov_b32_e32 v18, v16
	s_and_b32 s45, s34, s9
	s_delay_alu instid0(SALU_CYCLE_1)
	s_and_saveexec_b32 s3, s45
	s_cbranch_execz .LBB694_52
; %bb.51:
	v_add_co_u32 v2, s2, 0x3000, v32
	s_delay_alu instid0(VALU_DEP_1)
	v_add_co_ci_u32_e64 v3, s2, 0, v33, s2
	global_load_b64 v[18:19], v[2:3], off
.LBB694_52:
	s_or_b32 exec_lo, exec_lo, s3
	v_add_nc_u32_e32 v2, 0x640, v4
	s_delay_alu instid0(VALU_DEP_1) | instskip(NEXT) | instid1(VALU_DEP_1)
	v_cmp_gt_i32_e64 s8, s42, v2
	s_and_b32 s44, s34, s8
	s_delay_alu instid0(SALU_CYCLE_1)
	s_and_saveexec_b32 s3, s44
	s_cbranch_execz .LBB694_54
; %bb.53:
	v_add_co_u32 v2, s2, 0x3000, v32
	s_delay_alu instid0(VALU_DEP_1)
	v_add_co_ci_u32_e64 v3, s2, 0, v33, s2
	global_load_b64 v[16:17], v[2:3], off offset:512
.LBB694_54:
	s_or_b32 exec_lo, exec_lo, s3
	v_mov_b32_e32 v12, 0
	v_mov_b32_e32 v13, 0xfff00000
	s_delay_alu instid0(VALU_DEP_1) | instskip(NEXT) | instid1(VALU_DEP_1)
	v_dual_mov_b32 v15, v13 :: v_dual_add_nc_u32 v2, 0x680, v4
	v_cmp_gt_i32_e64 s7, s42, v2
	s_delay_alu instid0(VALU_DEP_4) | instskip(NEXT) | instid1(VALU_DEP_2)
	v_mov_b32_e32 v14, v12
	s_and_b32 s43, s34, s7
	s_delay_alu instid0(SALU_CYCLE_1)
	s_and_saveexec_b32 s3, s43
	s_cbranch_execz .LBB694_56
; %bb.55:
	v_add_co_u32 v2, s2, 0x3000, v32
	s_delay_alu instid0(VALU_DEP_1)
	v_add_co_ci_u32_e64 v3, s2, 0, v33, s2
	global_load_b64 v[14:15], v[2:3], off offset:1024
.LBB694_56:
	s_or_b32 exec_lo, exec_lo, s3
	v_add_nc_u32_e32 v2, 0x6c0, v4
	s_delay_alu instid0(VALU_DEP_1) | instskip(NEXT) | instid1(VALU_DEP_1)
	v_cmp_gt_i32_e64 s6, s42, v2
	s_and_b32 s41, s34, s6
	s_delay_alu instid0(SALU_CYCLE_1)
	s_and_saveexec_b32 s3, s41
	s_cbranch_execz .LBB694_58
; %bb.57:
	v_add_co_u32 v2, s2, 0x3000, v32
	s_delay_alu instid0(VALU_DEP_1)
	v_add_co_ci_u32_e64 v3, s2, 0, v33, s2
	global_load_b64 v[12:13], v[2:3], off offset:1536
.LBB694_58:
	s_or_b32 exec_lo, exec_lo, s3
	v_mov_b32_e32 v8, 0
	v_mov_b32_e32 v9, 0xfff00000
	s_delay_alu instid0(VALU_DEP_1) | instskip(NEXT) | instid1(VALU_DEP_1)
	v_dual_mov_b32 v11, v9 :: v_dual_add_nc_u32 v2, 0x700, v4
	v_cmp_gt_i32_e64 s5, s42, v2
	s_delay_alu instid0(VALU_DEP_4) | instskip(NEXT) | instid1(VALU_DEP_2)
	v_mov_b32_e32 v10, v8
	s_and_b32 s40, s34, s5
	s_delay_alu instid0(SALU_CYCLE_1)
	s_and_saveexec_b32 s3, s40
	s_cbranch_execz .LBB694_60
; %bb.59:
	v_add_co_u32 v2, s2, 0x3000, v32
	s_delay_alu instid0(VALU_DEP_1)
	v_add_co_ci_u32_e64 v3, s2, 0, v33, s2
	global_load_b64 v[10:11], v[2:3], off offset:2048
.LBB694_60:
	s_or_b32 exec_lo, exec_lo, s3
	v_add_nc_u32_e32 v2, 0x740, v4
	s_delay_alu instid0(VALU_DEP_1) | instskip(NEXT) | instid1(VALU_DEP_1)
	v_cmp_gt_i32_e64 s4, s42, v2
	s_and_b32 s39, s34, s4
	s_delay_alu instid0(SALU_CYCLE_1)
	s_and_saveexec_b32 s3, s39
	s_cbranch_execz .LBB694_62
; %bb.61:
	v_add_co_u32 v2, s2, 0x3000, v32
	s_delay_alu instid0(VALU_DEP_1)
	v_add_co_ci_u32_e64 v3, s2, 0, v33, s2
	global_load_b64 v[8:9], v[2:3], off offset:2560
.LBB694_62:
	s_or_b32 exec_lo, exec_lo, s3
	v_dual_mov_b32 v2, 0 :: v_dual_add_nc_u32 v5, 0x780, v4
	v_mov_b32_e32 v3, 0xfff00000
	s_delay_alu instid0(VALU_DEP_2) | instskip(NEXT) | instid1(VALU_DEP_2)
	v_cmp_gt_i32_e64 s3, s42, v5
	v_dual_mov_b32 v7, v3 :: v_dual_mov_b32 v6, v2
	s_delay_alu instid0(VALU_DEP_2) | instskip(NEXT) | instid1(SALU_CYCLE_1)
	s_and_b32 s38, s34, s3
	s_and_saveexec_b32 s35, s38
	s_cbranch_execz .LBB694_64
; %bb.63:
	v_add_co_u32 v5, s2, 0x3000, v32
	s_delay_alu instid0(VALU_DEP_1)
	v_add_co_ci_u32_e64 v6, s2, 0, v33, s2
	global_load_b64 v[6:7], v[5:6], off offset:3072
.LBB694_64:
	s_or_b32 exec_lo, exec_lo, s35
	v_add_nc_u32_e32 v4, 0x7c0, v4
	s_delay_alu instid0(VALU_DEP_1) | instskip(NEXT) | instid1(VALU_DEP_1)
	v_cmp_gt_i32_e64 s2, s42, v4
	s_and_b32 s35, s34, s2
	s_delay_alu instid0(SALU_CYCLE_1)
	s_and_saveexec_b32 s42, s35
	s_cbranch_execz .LBB694_66
; %bb.65:
	v_add_co_u32 v2, s34, 0x3000, v32
	s_delay_alu instid0(VALU_DEP_1)
	v_add_co_ci_u32_e64 v3, s34, 0, v33, s34
	global_load_b64 v[2:3], v[2:3], off offset:3584
.LBB694_66:
	s_or_b32 exec_lo, exec_lo, s42
	s_load_b64 s[0:1], s[0:1], 0x20
	s_waitcnt lgkmcnt(0)
	v_add_co_u32 v4, s0, s0, v30
	s_delay_alu instid0(VALU_DEP_1)
	v_add_co_ci_u32_e64 v5, s0, s1, v31, s0
	s_mov_b32 s1, 0
	s_and_saveexec_b32 s34, s69
	s_cbranch_execz .LBB694_68
; %bb.67:
	global_load_u8 v30, v[4:5], off
	s_waitcnt vmcnt(0)
	v_and_b32_e32 v30, 1, v30
	s_delay_alu instid0(VALU_DEP_1) | instskip(NEXT) | instid1(VALU_DEP_1)
	v_cmp_eq_u32_e64 s0, 1, v30
	s_xor_b32 s0, s0, -1
	s_delay_alu instid0(SALU_CYCLE_1)
	s_and_b32 s1, s0, exec_lo
.LBB694_68:
	s_or_b32 exec_lo, exec_lo, s34
	s_waitcnt vmcnt(0)
	v_dual_mov_b32 v30, v40 :: v_dual_mov_b32 v31, v41
	s_and_saveexec_b32 s34, s68
	s_cbranch_execnz .LBB694_99
; %bb.69:
	s_or_b32 exec_lo, exec_lo, s34
	s_and_saveexec_b32 s34, s67
	s_cbranch_execnz .LBB694_102
.LBB694_70:
	s_or_b32 exec_lo, exec_lo, s34
	s_and_saveexec_b32 s34, s66
	s_cbranch_execnz .LBB694_105
.LBB694_71:
	s_or_b32 exec_lo, exec_lo, s34
	s_and_saveexec_b32 s34, s65
	s_cbranch_execnz .LBB694_108
.LBB694_72:
	s_or_b32 exec_lo, exec_lo, s34
	s_and_saveexec_b32 s34, s64
	s_cbranch_execnz .LBB694_111
.LBB694_73:
	s_or_b32 exec_lo, exec_lo, s34
	s_and_saveexec_b32 s34, s63
	s_cbranch_execnz .LBB694_114
.LBB694_74:
	s_or_b32 exec_lo, exec_lo, s34
	s_and_saveexec_b32 s34, s62
	s_cbranch_execnz .LBB694_117
.LBB694_75:
	s_or_b32 exec_lo, exec_lo, s34
	s_and_saveexec_b32 s34, s61
	s_cbranch_execnz .LBB694_120
.LBB694_76:
	s_or_b32 exec_lo, exec_lo, s34
	s_and_saveexec_b32 s34, s60
	s_cbranch_execnz .LBB694_123
.LBB694_77:
	s_or_b32 exec_lo, exec_lo, s34
	s_and_saveexec_b32 s34, s59
	s_cbranch_execnz .LBB694_126
.LBB694_78:
	s_or_b32 exec_lo, exec_lo, s34
	s_and_saveexec_b32 s34, s58
	s_cbranch_execnz .LBB694_129
.LBB694_79:
	s_or_b32 exec_lo, exec_lo, s34
	s_and_saveexec_b32 s34, s57
	s_cbranch_execnz .LBB694_132
.LBB694_80:
	s_or_b32 exec_lo, exec_lo, s34
	s_and_saveexec_b32 s34, s56
	s_cbranch_execnz .LBB694_135
.LBB694_81:
	s_or_b32 exec_lo, exec_lo, s34
	s_and_saveexec_b32 s34, s55
	s_cbranch_execnz .LBB694_138
.LBB694_82:
	s_or_b32 exec_lo, exec_lo, s34
	s_and_saveexec_b32 s34, s54
	s_cbranch_execnz .LBB694_141
.LBB694_83:
	s_or_b32 exec_lo, exec_lo, s34
	s_and_saveexec_b32 s34, s53
	s_cbranch_execnz .LBB694_144
.LBB694_84:
	s_or_b32 exec_lo, exec_lo, s34
	s_and_saveexec_b32 s34, s52
	s_cbranch_execnz .LBB694_147
.LBB694_85:
	s_or_b32 exec_lo, exec_lo, s34
	s_and_saveexec_b32 s34, s51
	s_cbranch_execnz .LBB694_150
.LBB694_86:
	s_or_b32 exec_lo, exec_lo, s34
	s_and_saveexec_b32 s34, s50
	s_cbranch_execnz .LBB694_153
.LBB694_87:
	s_or_b32 exec_lo, exec_lo, s34
	s_and_saveexec_b32 s34, s49
	s_cbranch_execnz .LBB694_156
.LBB694_88:
	s_or_b32 exec_lo, exec_lo, s34
	s_and_saveexec_b32 s34, s48
	s_cbranch_execnz .LBB694_159
.LBB694_89:
	s_or_b32 exec_lo, exec_lo, s34
	s_and_saveexec_b32 s34, s47
	s_cbranch_execnz .LBB694_162
.LBB694_90:
	s_or_b32 exec_lo, exec_lo, s34
	s_and_saveexec_b32 s34, s46
	s_cbranch_execnz .LBB694_165
.LBB694_91:
	s_or_b32 exec_lo, exec_lo, s34
	s_and_saveexec_b32 s34, s45
	s_cbranch_execnz .LBB694_168
.LBB694_92:
	s_or_b32 exec_lo, exec_lo, s34
	s_and_saveexec_b32 s34, s44
	s_cbranch_execnz .LBB694_171
.LBB694_93:
	s_or_b32 exec_lo, exec_lo, s34
	s_and_saveexec_b32 s34, s43
	s_cbranch_execnz .LBB694_174
.LBB694_94:
	s_or_b32 exec_lo, exec_lo, s34
	s_and_saveexec_b32 s34, s41
	s_cbranch_execnz .LBB694_177
.LBB694_95:
	s_or_b32 exec_lo, exec_lo, s34
	s_and_saveexec_b32 s34, s40
	s_cbranch_execnz .LBB694_180
.LBB694_96:
	s_or_b32 exec_lo, exec_lo, s34
	s_and_saveexec_b32 s34, s39
	s_cbranch_execnz .LBB694_183
.LBB694_97:
	s_or_b32 exec_lo, exec_lo, s34
	s_and_saveexec_b32 s34, s38
	s_cbranch_execnz .LBB694_186
.LBB694_98:
	s_or_b32 exec_lo, exec_lo, s34
	s_and_saveexec_b32 s34, s35
	s_cbranch_execnz .LBB694_189
	s_branch .LBB694_192
.LBB694_99:
	global_load_u8 v30, v[4:5], off offset:64
	s_waitcnt vmcnt(0)
	v_and_b32_e32 v30, 1, v30
	s_delay_alu instid0(VALU_DEP_1) | instskip(SKIP_1) | instid1(VALU_DEP_2)
	v_cmp_eq_u32_e64 s0, 1, v30
	v_dual_mov_b32 v30, v40 :: v_dual_mov_b32 v31, v41
	s_xor_b32 s70, s0, -1
	s_mov_b32 s0, s1
	s_and_saveexec_b32 s42, s70
; %bb.100:
	v_cmp_gt_f64_e64 s0, v[40:41], v[48:49]
	s_delay_alu instid0(VALU_DEP_1) | instskip(NEXT) | instid1(SALU_CYCLE_1)
	s_and_b32 s0, s1, s0
	v_cndmask_b32_e64 v31, v49, v41, s0
	v_cndmask_b32_e64 v30, v48, v40, s0
	s_or_b32 s0, s1, exec_lo
; %bb.101:
	s_or_b32 exec_lo, exec_lo, s42
	s_delay_alu instid0(SALU_CYCLE_1) | instskip(SKIP_1) | instid1(SALU_CYCLE_1)
	s_and_not1_b32 s1, s1, exec_lo
	s_and_b32 s0, s0, exec_lo
	s_or_b32 s1, s1, s0
	s_or_b32 exec_lo, exec_lo, s34
	s_and_saveexec_b32 s34, s67
	s_cbranch_execz .LBB694_70
.LBB694_102:
	global_load_u8 v32, v[4:5], off offset:128
	s_waitcnt vmcnt(0)
	v_and_b32_e32 v32, 1, v32
	s_delay_alu instid0(VALU_DEP_1) | instskip(NEXT) | instid1(VALU_DEP_1)
	v_cmp_eq_u32_e64 s0, 1, v32
	s_xor_b32 s70, s0, -1
	s_mov_b32 s0, s1
	s_and_saveexec_b32 s42, s70
; %bb.103:
	v_cmp_gt_f64_e64 s0, v[30:31], v[46:47]
	s_delay_alu instid0(VALU_DEP_1) | instskip(NEXT) | instid1(SALU_CYCLE_1)
	s_and_b32 s0, s1, s0
	v_cndmask_b32_e64 v31, v47, v31, s0
	v_cndmask_b32_e64 v30, v46, v30, s0
	s_or_b32 s0, s1, exec_lo
; %bb.104:
	s_or_b32 exec_lo, exec_lo, s42
	s_delay_alu instid0(SALU_CYCLE_1) | instskip(SKIP_1) | instid1(SALU_CYCLE_1)
	s_and_not1_b32 s1, s1, exec_lo
	s_and_b32 s0, s0, exec_lo
	s_or_b32 s1, s1, s0
	s_or_b32 exec_lo, exec_lo, s34
	s_and_saveexec_b32 s34, s66
	s_cbranch_execz .LBB694_71
.LBB694_105:
	global_load_u8 v32, v[4:5], off offset:192
	s_waitcnt vmcnt(0)
	v_and_b32_e32 v32, 1, v32
	s_delay_alu instid0(VALU_DEP_1) | instskip(NEXT) | instid1(VALU_DEP_1)
	v_cmp_eq_u32_e64 s0, 1, v32
	s_xor_b32 s70, s0, -1
	s_mov_b32 s0, s1
	s_and_saveexec_b32 s42, s70
; %bb.106:
	v_cmp_gt_f64_e64 s0, v[30:31], v[56:57]
	s_delay_alu instid0(VALU_DEP_1) | instskip(NEXT) | instid1(SALU_CYCLE_1)
	s_and_b32 s0, s1, s0
	v_cndmask_b32_e64 v31, v57, v31, s0
	v_cndmask_b32_e64 v30, v56, v30, s0
	s_or_b32 s0, s1, exec_lo
; %bb.107:
	s_or_b32 exec_lo, exec_lo, s42
	s_delay_alu instid0(SALU_CYCLE_1) | instskip(SKIP_1) | instid1(SALU_CYCLE_1)
	s_and_not1_b32 s1, s1, exec_lo
	s_and_b32 s0, s0, exec_lo
	s_or_b32 s1, s1, s0
	s_or_b32 exec_lo, exec_lo, s34
	s_and_saveexec_b32 s34, s65
	s_cbranch_execz .LBB694_72
.LBB694_108:
	global_load_u8 v32, v[4:5], off offset:256
	s_waitcnt vmcnt(0)
	v_and_b32_e32 v32, 1, v32
	s_delay_alu instid0(VALU_DEP_1) | instskip(NEXT) | instid1(VALU_DEP_1)
	v_cmp_eq_u32_e64 s0, 1, v32
	s_xor_b32 s70, s0, -1
	s_mov_b32 s0, s1
	s_and_saveexec_b32 s42, s70
; %bb.109:
	v_cmp_gt_f64_e64 s0, v[30:31], v[54:55]
	s_delay_alu instid0(VALU_DEP_1) | instskip(NEXT) | instid1(SALU_CYCLE_1)
	s_and_b32 s0, s1, s0
	v_cndmask_b32_e64 v31, v55, v31, s0
	v_cndmask_b32_e64 v30, v54, v30, s0
	s_or_b32 s0, s1, exec_lo
; %bb.110:
	s_or_b32 exec_lo, exec_lo, s42
	s_delay_alu instid0(SALU_CYCLE_1) | instskip(SKIP_1) | instid1(SALU_CYCLE_1)
	s_and_not1_b32 s1, s1, exec_lo
	s_and_b32 s0, s0, exec_lo
	s_or_b32 s1, s1, s0
	s_or_b32 exec_lo, exec_lo, s34
	s_and_saveexec_b32 s34, s64
	s_cbranch_execz .LBB694_73
.LBB694_111:
	global_load_u8 v32, v[4:5], off offset:320
	s_waitcnt vmcnt(0)
	v_and_b32_e32 v32, 1, v32
	s_delay_alu instid0(VALU_DEP_1) | instskip(NEXT) | instid1(VALU_DEP_1)
	v_cmp_eq_u32_e64 s0, 1, v32
	s_xor_b32 s70, s0, -1
	s_mov_b32 s0, s1
	s_and_saveexec_b32 s42, s70
; %bb.112:
	v_cmp_gt_f64_e64 s0, v[30:31], v[64:65]
	s_delay_alu instid0(VALU_DEP_1) | instskip(NEXT) | instid1(SALU_CYCLE_1)
	s_and_b32 s0, s1, s0
	v_cndmask_b32_e64 v31, v65, v31, s0
	v_cndmask_b32_e64 v30, v64, v30, s0
	s_or_b32 s0, s1, exec_lo
; %bb.113:
	s_or_b32 exec_lo, exec_lo, s42
	s_delay_alu instid0(SALU_CYCLE_1) | instskip(SKIP_1) | instid1(SALU_CYCLE_1)
	s_and_not1_b32 s1, s1, exec_lo
	s_and_b32 s0, s0, exec_lo
	s_or_b32 s1, s1, s0
	s_or_b32 exec_lo, exec_lo, s34
	s_and_saveexec_b32 s34, s63
	s_cbranch_execz .LBB694_74
.LBB694_114:
	global_load_u8 v32, v[4:5], off offset:384
	s_waitcnt vmcnt(0)
	v_and_b32_e32 v32, 1, v32
	s_delay_alu instid0(VALU_DEP_1) | instskip(NEXT) | instid1(VALU_DEP_1)
	v_cmp_eq_u32_e64 s0, 1, v32
	s_xor_b32 s70, s0, -1
	s_mov_b32 s0, s1
	s_and_saveexec_b32 s42, s70
; %bb.115:
	v_cmp_gt_f64_e64 s0, v[30:31], v[62:63]
	s_delay_alu instid0(VALU_DEP_1) | instskip(NEXT) | instid1(SALU_CYCLE_1)
	s_and_b32 s0, s1, s0
	v_cndmask_b32_e64 v31, v63, v31, s0
	v_cndmask_b32_e64 v30, v62, v30, s0
	s_or_b32 s0, s1, exec_lo
; %bb.116:
	s_or_b32 exec_lo, exec_lo, s42
	s_delay_alu instid0(SALU_CYCLE_1) | instskip(SKIP_1) | instid1(SALU_CYCLE_1)
	s_and_not1_b32 s1, s1, exec_lo
	s_and_b32 s0, s0, exec_lo
	s_or_b32 s1, s1, s0
	s_or_b32 exec_lo, exec_lo, s34
	s_and_saveexec_b32 s34, s62
	s_cbranch_execz .LBB694_75
.LBB694_117:
	global_load_u8 v32, v[4:5], off offset:448
	s_waitcnt vmcnt(0)
	v_and_b32_e32 v32, 1, v32
	s_delay_alu instid0(VALU_DEP_1) | instskip(NEXT) | instid1(VALU_DEP_1)
	v_cmp_eq_u32_e64 s0, 1, v32
	s_xor_b32 s70, s0, -1
	s_mov_b32 s0, s1
	s_and_saveexec_b32 s42, s70
; %bb.118:
	v_cmp_gt_f64_e64 s0, v[30:31], v[72:73]
	s_delay_alu instid0(VALU_DEP_1) | instskip(NEXT) | instid1(SALU_CYCLE_1)
	s_and_b32 s0, s1, s0
	v_cndmask_b32_e64 v31, v73, v31, s0
	v_cndmask_b32_e64 v30, v72, v30, s0
	s_or_b32 s0, s1, exec_lo
; %bb.119:
	s_or_b32 exec_lo, exec_lo, s42
	s_delay_alu instid0(SALU_CYCLE_1) | instskip(SKIP_1) | instid1(SALU_CYCLE_1)
	s_and_not1_b32 s1, s1, exec_lo
	s_and_b32 s0, s0, exec_lo
	s_or_b32 s1, s1, s0
	s_or_b32 exec_lo, exec_lo, s34
	s_and_saveexec_b32 s34, s61
	s_cbranch_execz .LBB694_76
.LBB694_120:
	global_load_u8 v32, v[4:5], off offset:512
	s_waitcnt vmcnt(0)
	v_and_b32_e32 v32, 1, v32
	s_delay_alu instid0(VALU_DEP_1) | instskip(NEXT) | instid1(VALU_DEP_1)
	v_cmp_eq_u32_e64 s0, 1, v32
	s_xor_b32 s70, s0, -1
	s_mov_b32 s0, s1
	s_and_saveexec_b32 s42, s70
; %bb.121:
	v_cmp_gt_f64_e64 s0, v[30:31], v[70:71]
	s_delay_alu instid0(VALU_DEP_1) | instskip(NEXT) | instid1(SALU_CYCLE_1)
	s_and_b32 s0, s1, s0
	v_cndmask_b32_e64 v31, v71, v31, s0
	v_cndmask_b32_e64 v30, v70, v30, s0
	s_or_b32 s0, s1, exec_lo
; %bb.122:
	s_or_b32 exec_lo, exec_lo, s42
	s_delay_alu instid0(SALU_CYCLE_1) | instskip(SKIP_1) | instid1(SALU_CYCLE_1)
	s_and_not1_b32 s1, s1, exec_lo
	s_and_b32 s0, s0, exec_lo
	s_or_b32 s1, s1, s0
	s_or_b32 exec_lo, exec_lo, s34
	s_and_saveexec_b32 s34, s60
	s_cbranch_execz .LBB694_77
.LBB694_123:
	global_load_u8 v32, v[4:5], off offset:576
	s_waitcnt vmcnt(0)
	v_and_b32_e32 v32, 1, v32
	s_delay_alu instid0(VALU_DEP_1) | instskip(NEXT) | instid1(VALU_DEP_1)
	v_cmp_eq_u32_e64 s0, 1, v32
	s_xor_b32 s70, s0, -1
	s_mov_b32 s0, s1
	s_and_saveexec_b32 s42, s70
; %bb.124:
	v_cmp_gt_f64_e64 s0, v[30:31], v[74:75]
	s_delay_alu instid0(VALU_DEP_1) | instskip(NEXT) | instid1(SALU_CYCLE_1)
	s_and_b32 s0, s1, s0
	v_cndmask_b32_e64 v31, v75, v31, s0
	v_cndmask_b32_e64 v30, v74, v30, s0
	s_or_b32 s0, s1, exec_lo
; %bb.125:
	s_or_b32 exec_lo, exec_lo, s42
	s_delay_alu instid0(SALU_CYCLE_1) | instskip(SKIP_1) | instid1(SALU_CYCLE_1)
	s_and_not1_b32 s1, s1, exec_lo
	s_and_b32 s0, s0, exec_lo
	s_or_b32 s1, s1, s0
	s_or_b32 exec_lo, exec_lo, s34
	s_and_saveexec_b32 s34, s59
	s_cbranch_execz .LBB694_78
.LBB694_126:
	global_load_u8 v32, v[4:5], off offset:640
	s_waitcnt vmcnt(0)
	v_and_b32_e32 v32, 1, v32
	s_delay_alu instid0(VALU_DEP_1) | instskip(NEXT) | instid1(VALU_DEP_1)
	v_cmp_eq_u32_e64 s0, 1, v32
	s_xor_b32 s70, s0, -1
	s_mov_b32 s0, s1
	s_and_saveexec_b32 s42, s70
; %bb.127:
	v_cmp_gt_f64_e64 s0, v[30:31], v[68:69]
	s_delay_alu instid0(VALU_DEP_1) | instskip(NEXT) | instid1(SALU_CYCLE_1)
	s_and_b32 s0, s1, s0
	v_cndmask_b32_e64 v31, v69, v31, s0
	v_cndmask_b32_e64 v30, v68, v30, s0
	s_or_b32 s0, s1, exec_lo
; %bb.128:
	s_or_b32 exec_lo, exec_lo, s42
	s_delay_alu instid0(SALU_CYCLE_1) | instskip(SKIP_1) | instid1(SALU_CYCLE_1)
	s_and_not1_b32 s1, s1, exec_lo
	s_and_b32 s0, s0, exec_lo
	s_or_b32 s1, s1, s0
	s_or_b32 exec_lo, exec_lo, s34
	s_and_saveexec_b32 s34, s58
	s_cbranch_execz .LBB694_79
.LBB694_129:
	global_load_u8 v32, v[4:5], off offset:704
	s_waitcnt vmcnt(0)
	v_and_b32_e32 v32, 1, v32
	s_delay_alu instid0(VALU_DEP_1) | instskip(NEXT) | instid1(VALU_DEP_1)
	v_cmp_eq_u32_e64 s0, 1, v32
	s_xor_b32 s70, s0, -1
	s_mov_b32 s0, s1
	s_and_saveexec_b32 s42, s70
; %bb.130:
	v_cmp_gt_f64_e64 s0, v[30:31], v[66:67]
	s_delay_alu instid0(VALU_DEP_1) | instskip(NEXT) | instid1(SALU_CYCLE_1)
	s_and_b32 s0, s1, s0
	v_cndmask_b32_e64 v31, v67, v31, s0
	v_cndmask_b32_e64 v30, v66, v30, s0
	s_or_b32 s0, s1, exec_lo
; %bb.131:
	s_or_b32 exec_lo, exec_lo, s42
	s_delay_alu instid0(SALU_CYCLE_1) | instskip(SKIP_1) | instid1(SALU_CYCLE_1)
	s_and_not1_b32 s1, s1, exec_lo
	s_and_b32 s0, s0, exec_lo
	s_or_b32 s1, s1, s0
	s_or_b32 exec_lo, exec_lo, s34
	s_and_saveexec_b32 s34, s57
	s_cbranch_execz .LBB694_80
.LBB694_132:
	global_load_u8 v32, v[4:5], off offset:768
	s_waitcnt vmcnt(0)
	v_and_b32_e32 v32, 1, v32
	s_delay_alu instid0(VALU_DEP_1) | instskip(NEXT) | instid1(VALU_DEP_1)
	v_cmp_eq_u32_e64 s0, 1, v32
	s_xor_b32 s70, s0, -1
	s_mov_b32 s0, s1
	s_and_saveexec_b32 s42, s70
; %bb.133:
	v_cmp_gt_f64_e64 s0, v[30:31], v[60:61]
	s_delay_alu instid0(VALU_DEP_1) | instskip(NEXT) | instid1(SALU_CYCLE_1)
	s_and_b32 s0, s1, s0
	v_cndmask_b32_e64 v31, v61, v31, s0
	v_cndmask_b32_e64 v30, v60, v30, s0
	s_or_b32 s0, s1, exec_lo
; %bb.134:
	s_or_b32 exec_lo, exec_lo, s42
	s_delay_alu instid0(SALU_CYCLE_1) | instskip(SKIP_1) | instid1(SALU_CYCLE_1)
	s_and_not1_b32 s1, s1, exec_lo
	s_and_b32 s0, s0, exec_lo
	s_or_b32 s1, s1, s0
	s_or_b32 exec_lo, exec_lo, s34
	s_and_saveexec_b32 s34, s56
	s_cbranch_execz .LBB694_81
.LBB694_135:
	global_load_u8 v32, v[4:5], off offset:832
	s_waitcnt vmcnt(0)
	v_and_b32_e32 v32, 1, v32
	s_delay_alu instid0(VALU_DEP_1) | instskip(NEXT) | instid1(VALU_DEP_1)
	v_cmp_eq_u32_e64 s0, 1, v32
	s_xor_b32 s70, s0, -1
	s_mov_b32 s0, s1
	s_and_saveexec_b32 s42, s70
; %bb.136:
	v_cmp_gt_f64_e64 s0, v[30:31], v[58:59]
	s_delay_alu instid0(VALU_DEP_1) | instskip(NEXT) | instid1(SALU_CYCLE_1)
	s_and_b32 s0, s1, s0
	v_cndmask_b32_e64 v31, v59, v31, s0
	v_cndmask_b32_e64 v30, v58, v30, s0
	s_or_b32 s0, s1, exec_lo
; %bb.137:
	s_or_b32 exec_lo, exec_lo, s42
	s_delay_alu instid0(SALU_CYCLE_1) | instskip(SKIP_1) | instid1(SALU_CYCLE_1)
	s_and_not1_b32 s1, s1, exec_lo
	s_and_b32 s0, s0, exec_lo
	s_or_b32 s1, s1, s0
	s_or_b32 exec_lo, exec_lo, s34
	s_and_saveexec_b32 s34, s55
	s_cbranch_execz .LBB694_82
.LBB694_138:
	global_load_u8 v32, v[4:5], off offset:896
	s_waitcnt vmcnt(0)
	v_and_b32_e32 v32, 1, v32
	s_delay_alu instid0(VALU_DEP_1) | instskip(NEXT) | instid1(VALU_DEP_1)
	v_cmp_eq_u32_e64 s0, 1, v32
	s_xor_b32 s70, s0, -1
	s_mov_b32 s0, s1
	s_and_saveexec_b32 s42, s70
; %bb.139:
	v_cmp_gt_f64_e64 s0, v[30:31], v[52:53]
	s_delay_alu instid0(VALU_DEP_1) | instskip(NEXT) | instid1(SALU_CYCLE_1)
	s_and_b32 s0, s1, s0
	v_cndmask_b32_e64 v31, v53, v31, s0
	v_cndmask_b32_e64 v30, v52, v30, s0
	s_or_b32 s0, s1, exec_lo
; %bb.140:
	s_or_b32 exec_lo, exec_lo, s42
	s_delay_alu instid0(SALU_CYCLE_1) | instskip(SKIP_1) | instid1(SALU_CYCLE_1)
	s_and_not1_b32 s1, s1, exec_lo
	s_and_b32 s0, s0, exec_lo
	s_or_b32 s1, s1, s0
	s_or_b32 exec_lo, exec_lo, s34
	s_and_saveexec_b32 s34, s54
	s_cbranch_execz .LBB694_83
.LBB694_141:
	global_load_u8 v32, v[4:5], off offset:960
	s_waitcnt vmcnt(0)
	v_and_b32_e32 v32, 1, v32
	s_delay_alu instid0(VALU_DEP_1) | instskip(NEXT) | instid1(VALU_DEP_1)
	v_cmp_eq_u32_e64 s0, 1, v32
	s_xor_b32 s70, s0, -1
	s_mov_b32 s0, s1
	s_and_saveexec_b32 s42, s70
; %bb.142:
	v_cmp_gt_f64_e64 s0, v[30:31], v[50:51]
	s_delay_alu instid0(VALU_DEP_1) | instskip(NEXT) | instid1(SALU_CYCLE_1)
	s_and_b32 s0, s1, s0
	v_cndmask_b32_e64 v31, v51, v31, s0
	v_cndmask_b32_e64 v30, v50, v30, s0
	s_or_b32 s0, s1, exec_lo
; %bb.143:
	s_or_b32 exec_lo, exec_lo, s42
	s_delay_alu instid0(SALU_CYCLE_1) | instskip(SKIP_1) | instid1(SALU_CYCLE_1)
	s_and_not1_b32 s1, s1, exec_lo
	s_and_b32 s0, s0, exec_lo
	s_or_b32 s1, s1, s0
	s_or_b32 exec_lo, exec_lo, s34
	s_and_saveexec_b32 s34, s53
	s_cbranch_execz .LBB694_84
.LBB694_144:
	global_load_u8 v32, v[4:5], off offset:1024
	s_waitcnt vmcnt(0)
	v_and_b32_e32 v32, 1, v32
	s_delay_alu instid0(VALU_DEP_1) | instskip(NEXT) | instid1(VALU_DEP_1)
	v_cmp_eq_u32_e64 s0, 1, v32
	s_xor_b32 s70, s0, -1
	s_mov_b32 s0, s1
	s_and_saveexec_b32 s42, s70
; %bb.145:
	v_cmp_gt_f64_e64 s0, v[30:31], v[44:45]
	s_delay_alu instid0(VALU_DEP_1) | instskip(NEXT) | instid1(SALU_CYCLE_1)
	s_and_b32 s0, s1, s0
	v_cndmask_b32_e64 v31, v45, v31, s0
	v_cndmask_b32_e64 v30, v44, v30, s0
	s_or_b32 s0, s1, exec_lo
; %bb.146:
	s_or_b32 exec_lo, exec_lo, s42
	s_delay_alu instid0(SALU_CYCLE_1) | instskip(SKIP_1) | instid1(SALU_CYCLE_1)
	s_and_not1_b32 s1, s1, exec_lo
	s_and_b32 s0, s0, exec_lo
	s_or_b32 s1, s1, s0
	s_or_b32 exec_lo, exec_lo, s34
	s_and_saveexec_b32 s34, s52
	s_cbranch_execz .LBB694_85
.LBB694_147:
	global_load_u8 v32, v[4:5], off offset:1088
	s_waitcnt vmcnt(0)
	v_and_b32_e32 v32, 1, v32
	s_delay_alu instid0(VALU_DEP_1) | instskip(NEXT) | instid1(VALU_DEP_1)
	v_cmp_eq_u32_e64 s0, 1, v32
	s_xor_b32 s70, s0, -1
	s_mov_b32 s0, s1
	s_and_saveexec_b32 s42, s70
; %bb.148:
	v_cmp_gt_f64_e64 s0, v[30:31], v[42:43]
	s_delay_alu instid0(VALU_DEP_1) | instskip(NEXT) | instid1(SALU_CYCLE_1)
	s_and_b32 s0, s1, s0
	v_cndmask_b32_e64 v31, v43, v31, s0
	v_cndmask_b32_e64 v30, v42, v30, s0
	s_or_b32 s0, s1, exec_lo
; %bb.149:
	s_or_b32 exec_lo, exec_lo, s42
	s_delay_alu instid0(SALU_CYCLE_1) | instskip(SKIP_1) | instid1(SALU_CYCLE_1)
	s_and_not1_b32 s1, s1, exec_lo
	s_and_b32 s0, s0, exec_lo
	s_or_b32 s1, s1, s0
	s_or_b32 exec_lo, exec_lo, s34
	s_and_saveexec_b32 s34, s51
	s_cbranch_execz .LBB694_86
.LBB694_150:
	global_load_u8 v32, v[4:5], off offset:1152
	s_waitcnt vmcnt(0)
	v_and_b32_e32 v32, 1, v32
	s_delay_alu instid0(VALU_DEP_1) | instskip(NEXT) | instid1(VALU_DEP_1)
	v_cmp_eq_u32_e64 s0, 1, v32
	s_xor_b32 s70, s0, -1
	s_mov_b32 s0, s1
	s_and_saveexec_b32 s42, s70
; %bb.151:
	v_cmp_gt_f64_e64 s0, v[30:31], v[34:35]
	s_delay_alu instid0(VALU_DEP_1) | instskip(NEXT) | instid1(SALU_CYCLE_1)
	s_and_b32 s0, s1, s0
	v_cndmask_b32_e64 v31, v35, v31, s0
	v_cndmask_b32_e64 v30, v34, v30, s0
	s_or_b32 s0, s1, exec_lo
; %bb.152:
	s_or_b32 exec_lo, exec_lo, s42
	s_delay_alu instid0(SALU_CYCLE_1) | instskip(SKIP_1) | instid1(SALU_CYCLE_1)
	s_and_not1_b32 s1, s1, exec_lo
	s_and_b32 s0, s0, exec_lo
	s_or_b32 s1, s1, s0
	s_or_b32 exec_lo, exec_lo, s34
	s_and_saveexec_b32 s34, s50
	s_cbranch_execz .LBB694_87
.LBB694_153:
	global_load_u8 v32, v[4:5], off offset:1216
	s_waitcnt vmcnt(0)
	v_and_b32_e32 v32, 1, v32
	s_delay_alu instid0(VALU_DEP_1) | instskip(NEXT) | instid1(VALU_DEP_1)
	v_cmp_eq_u32_e64 s0, 1, v32
	s_xor_b32 s70, s0, -1
	s_mov_b32 s0, s1
	s_and_saveexec_b32 s42, s70
; %bb.154:
	v_cmp_gt_f64_e64 s0, v[30:31], v[28:29]
	s_delay_alu instid0(VALU_DEP_1) | instskip(NEXT) | instid1(SALU_CYCLE_1)
	s_and_b32 s0, s1, s0
	v_cndmask_b32_e64 v31, v29, v31, s0
	v_cndmask_b32_e64 v30, v28, v30, s0
	s_or_b32 s0, s1, exec_lo
; %bb.155:
	s_or_b32 exec_lo, exec_lo, s42
	s_delay_alu instid0(SALU_CYCLE_1) | instskip(SKIP_1) | instid1(SALU_CYCLE_1)
	s_and_not1_b32 s1, s1, exec_lo
	s_and_b32 s0, s0, exec_lo
	s_or_b32 s1, s1, s0
	s_or_b32 exec_lo, exec_lo, s34
	s_and_saveexec_b32 s34, s49
	s_cbranch_execz .LBB694_88
.LBB694_156:
	global_load_u8 v32, v[4:5], off offset:1280
	s_waitcnt vmcnt(0)
	v_and_b32_e32 v32, 1, v32
	s_delay_alu instid0(VALU_DEP_1) | instskip(NEXT) | instid1(VALU_DEP_1)
	v_cmp_eq_u32_e64 s0, 1, v32
	s_xor_b32 s70, s0, -1
	s_mov_b32 s0, s1
	s_and_saveexec_b32 s42, s70
; %bb.157:
	v_cmp_gt_f64_e64 s0, v[30:31], v[26:27]
	s_delay_alu instid0(VALU_DEP_1) | instskip(NEXT) | instid1(SALU_CYCLE_1)
	s_and_b32 s0, s1, s0
	v_cndmask_b32_e64 v31, v27, v31, s0
	v_cndmask_b32_e64 v30, v26, v30, s0
	s_or_b32 s0, s1, exec_lo
; %bb.158:
	s_or_b32 exec_lo, exec_lo, s42
	s_delay_alu instid0(SALU_CYCLE_1) | instskip(SKIP_1) | instid1(SALU_CYCLE_1)
	s_and_not1_b32 s1, s1, exec_lo
	s_and_b32 s0, s0, exec_lo
	s_or_b32 s1, s1, s0
	s_or_b32 exec_lo, exec_lo, s34
	s_and_saveexec_b32 s34, s48
	s_cbranch_execz .LBB694_89
.LBB694_159:
	global_load_u8 v32, v[4:5], off offset:1344
	s_waitcnt vmcnt(0)
	v_and_b32_e32 v32, 1, v32
	s_delay_alu instid0(VALU_DEP_1) | instskip(NEXT) | instid1(VALU_DEP_1)
	v_cmp_eq_u32_e64 s0, 1, v32
	s_xor_b32 s70, s0, -1
	s_mov_b32 s0, s1
	s_and_saveexec_b32 s42, s70
; %bb.160:
	v_cmp_gt_f64_e64 s0, v[30:31], v[24:25]
	s_delay_alu instid0(VALU_DEP_1) | instskip(NEXT) | instid1(SALU_CYCLE_1)
	s_and_b32 s0, s1, s0
	v_cndmask_b32_e64 v31, v25, v31, s0
	v_cndmask_b32_e64 v30, v24, v30, s0
	s_or_b32 s0, s1, exec_lo
; %bb.161:
	s_or_b32 exec_lo, exec_lo, s42
	s_delay_alu instid0(SALU_CYCLE_1) | instskip(SKIP_1) | instid1(SALU_CYCLE_1)
	s_and_not1_b32 s1, s1, exec_lo
	s_and_b32 s0, s0, exec_lo
	s_or_b32 s1, s1, s0
	s_or_b32 exec_lo, exec_lo, s34
	s_and_saveexec_b32 s34, s47
	s_cbranch_execz .LBB694_90
.LBB694_162:
	global_load_u8 v32, v[4:5], off offset:1408
	s_waitcnt vmcnt(0)
	v_and_b32_e32 v32, 1, v32
	s_delay_alu instid0(VALU_DEP_1) | instskip(NEXT) | instid1(VALU_DEP_1)
	v_cmp_eq_u32_e64 s0, 1, v32
	s_xor_b32 s70, s0, -1
	s_mov_b32 s0, s1
	s_and_saveexec_b32 s42, s70
; %bb.163:
	v_cmp_gt_f64_e64 s0, v[30:31], v[22:23]
	s_delay_alu instid0(VALU_DEP_1) | instskip(NEXT) | instid1(SALU_CYCLE_1)
	s_and_b32 s0, s1, s0
	v_cndmask_b32_e64 v31, v23, v31, s0
	v_cndmask_b32_e64 v30, v22, v30, s0
	s_or_b32 s0, s1, exec_lo
; %bb.164:
	s_or_b32 exec_lo, exec_lo, s42
	s_delay_alu instid0(SALU_CYCLE_1) | instskip(SKIP_1) | instid1(SALU_CYCLE_1)
	s_and_not1_b32 s1, s1, exec_lo
	s_and_b32 s0, s0, exec_lo
	s_or_b32 s1, s1, s0
	s_or_b32 exec_lo, exec_lo, s34
	s_and_saveexec_b32 s34, s46
	s_cbranch_execz .LBB694_91
.LBB694_165:
	global_load_u8 v32, v[4:5], off offset:1472
	s_waitcnt vmcnt(0)
	v_and_b32_e32 v32, 1, v32
	s_delay_alu instid0(VALU_DEP_1) | instskip(NEXT) | instid1(VALU_DEP_1)
	v_cmp_eq_u32_e64 s0, 1, v32
	s_xor_b32 s70, s0, -1
	s_mov_b32 s0, s1
	s_and_saveexec_b32 s42, s70
; %bb.166:
	v_cmp_gt_f64_e64 s0, v[30:31], v[20:21]
	s_delay_alu instid0(VALU_DEP_1) | instskip(NEXT) | instid1(SALU_CYCLE_1)
	s_and_b32 s0, s1, s0
	v_cndmask_b32_e64 v31, v21, v31, s0
	v_cndmask_b32_e64 v30, v20, v30, s0
	s_or_b32 s0, s1, exec_lo
; %bb.167:
	s_or_b32 exec_lo, exec_lo, s42
	s_delay_alu instid0(SALU_CYCLE_1) | instskip(SKIP_1) | instid1(SALU_CYCLE_1)
	s_and_not1_b32 s1, s1, exec_lo
	s_and_b32 s0, s0, exec_lo
	s_or_b32 s1, s1, s0
	s_or_b32 exec_lo, exec_lo, s34
	s_and_saveexec_b32 s34, s45
	s_cbranch_execz .LBB694_92
.LBB694_168:
	global_load_u8 v32, v[4:5], off offset:1536
	s_waitcnt vmcnt(0)
	v_and_b32_e32 v32, 1, v32
	s_delay_alu instid0(VALU_DEP_1) | instskip(NEXT) | instid1(VALU_DEP_1)
	v_cmp_eq_u32_e64 s0, 1, v32
	s_xor_b32 s70, s0, -1
	s_mov_b32 s0, s1
	s_and_saveexec_b32 s42, s70
; %bb.169:
	v_cmp_gt_f64_e64 s0, v[30:31], v[18:19]
	s_delay_alu instid0(VALU_DEP_1) | instskip(NEXT) | instid1(SALU_CYCLE_1)
	s_and_b32 s0, s1, s0
	v_cndmask_b32_e64 v31, v19, v31, s0
	v_cndmask_b32_e64 v30, v18, v30, s0
	s_or_b32 s0, s1, exec_lo
; %bb.170:
	s_or_b32 exec_lo, exec_lo, s42
	s_delay_alu instid0(SALU_CYCLE_1) | instskip(SKIP_1) | instid1(SALU_CYCLE_1)
	s_and_not1_b32 s1, s1, exec_lo
	s_and_b32 s0, s0, exec_lo
	s_or_b32 s1, s1, s0
	s_or_b32 exec_lo, exec_lo, s34
	s_and_saveexec_b32 s34, s44
	s_cbranch_execz .LBB694_93
.LBB694_171:
	global_load_u8 v32, v[4:5], off offset:1600
	s_waitcnt vmcnt(0)
	v_and_b32_e32 v32, 1, v32
	s_delay_alu instid0(VALU_DEP_1) | instskip(NEXT) | instid1(VALU_DEP_1)
	v_cmp_eq_u32_e64 s0, 1, v32
	s_xor_b32 s70, s0, -1
	s_mov_b32 s0, s1
	s_and_saveexec_b32 s42, s70
; %bb.172:
	v_cmp_gt_f64_e64 s0, v[30:31], v[16:17]
	s_delay_alu instid0(VALU_DEP_1) | instskip(NEXT) | instid1(SALU_CYCLE_1)
	s_and_b32 s0, s1, s0
	v_cndmask_b32_e64 v31, v17, v31, s0
	v_cndmask_b32_e64 v30, v16, v30, s0
	s_or_b32 s0, s1, exec_lo
; %bb.173:
	s_or_b32 exec_lo, exec_lo, s42
	s_delay_alu instid0(SALU_CYCLE_1) | instskip(SKIP_1) | instid1(SALU_CYCLE_1)
	s_and_not1_b32 s1, s1, exec_lo
	s_and_b32 s0, s0, exec_lo
	s_or_b32 s1, s1, s0
	s_or_b32 exec_lo, exec_lo, s34
	s_and_saveexec_b32 s34, s43
	s_cbranch_execz .LBB694_94
.LBB694_174:
	global_load_u8 v32, v[4:5], off offset:1664
	s_waitcnt vmcnt(0)
	v_and_b32_e32 v32, 1, v32
	s_delay_alu instid0(VALU_DEP_1) | instskip(NEXT) | instid1(VALU_DEP_1)
	v_cmp_eq_u32_e64 s0, 1, v32
	s_xor_b32 s70, s0, -1
	s_mov_b32 s0, s1
	s_and_saveexec_b32 s42, s70
; %bb.175:
	v_cmp_gt_f64_e64 s0, v[30:31], v[14:15]
	s_delay_alu instid0(VALU_DEP_1) | instskip(NEXT) | instid1(SALU_CYCLE_1)
	s_and_b32 s0, s1, s0
	v_cndmask_b32_e64 v31, v15, v31, s0
	v_cndmask_b32_e64 v30, v14, v30, s0
	s_or_b32 s0, s1, exec_lo
; %bb.176:
	s_or_b32 exec_lo, exec_lo, s42
	s_delay_alu instid0(SALU_CYCLE_1) | instskip(SKIP_1) | instid1(SALU_CYCLE_1)
	s_and_not1_b32 s1, s1, exec_lo
	s_and_b32 s0, s0, exec_lo
	s_or_b32 s1, s1, s0
	s_or_b32 exec_lo, exec_lo, s34
	s_and_saveexec_b32 s34, s41
	s_cbranch_execz .LBB694_95
.LBB694_177:
	global_load_u8 v32, v[4:5], off offset:1728
	s_waitcnt vmcnt(0)
	v_and_b32_e32 v32, 1, v32
	s_delay_alu instid0(VALU_DEP_1) | instskip(NEXT) | instid1(VALU_DEP_1)
	v_cmp_eq_u32_e64 s0, 1, v32
	s_xor_b32 s70, s0, -1
	s_mov_b32 s0, s1
	s_and_saveexec_b32 s42, s70
; %bb.178:
	v_cmp_gt_f64_e64 s0, v[30:31], v[12:13]
	s_delay_alu instid0(VALU_DEP_1) | instskip(NEXT) | instid1(SALU_CYCLE_1)
	s_and_b32 s0, s1, s0
	v_cndmask_b32_e64 v31, v13, v31, s0
	v_cndmask_b32_e64 v30, v12, v30, s0
	s_or_b32 s0, s1, exec_lo
; %bb.179:
	s_or_b32 exec_lo, exec_lo, s42
	s_delay_alu instid0(SALU_CYCLE_1) | instskip(SKIP_1) | instid1(SALU_CYCLE_1)
	s_and_not1_b32 s1, s1, exec_lo
	s_and_b32 s0, s0, exec_lo
	s_or_b32 s1, s1, s0
	s_or_b32 exec_lo, exec_lo, s34
	s_and_saveexec_b32 s34, s40
	s_cbranch_execz .LBB694_96
.LBB694_180:
	global_load_u8 v32, v[4:5], off offset:1792
	s_waitcnt vmcnt(0)
	v_and_b32_e32 v32, 1, v32
	s_delay_alu instid0(VALU_DEP_1) | instskip(NEXT) | instid1(VALU_DEP_1)
	v_cmp_eq_u32_e64 s0, 1, v32
	s_xor_b32 s70, s0, -1
	s_mov_b32 s0, s1
	s_and_saveexec_b32 s42, s70
; %bb.181:
	v_cmp_gt_f64_e64 s0, v[30:31], v[10:11]
	s_delay_alu instid0(VALU_DEP_1) | instskip(NEXT) | instid1(SALU_CYCLE_1)
	s_and_b32 s0, s1, s0
	v_cndmask_b32_e64 v31, v11, v31, s0
	v_cndmask_b32_e64 v30, v10, v30, s0
	s_or_b32 s0, s1, exec_lo
; %bb.182:
	s_or_b32 exec_lo, exec_lo, s42
	s_delay_alu instid0(SALU_CYCLE_1) | instskip(SKIP_1) | instid1(SALU_CYCLE_1)
	s_and_not1_b32 s1, s1, exec_lo
	s_and_b32 s0, s0, exec_lo
	s_or_b32 s1, s1, s0
	s_or_b32 exec_lo, exec_lo, s34
	s_and_saveexec_b32 s34, s39
	s_cbranch_execz .LBB694_97
.LBB694_183:
	global_load_u8 v32, v[4:5], off offset:1856
	s_waitcnt vmcnt(0)
	v_and_b32_e32 v32, 1, v32
	s_delay_alu instid0(VALU_DEP_1) | instskip(NEXT) | instid1(VALU_DEP_1)
	v_cmp_eq_u32_e64 s0, 1, v32
	s_xor_b32 s70, s0, -1
	s_mov_b32 s0, s1
	s_and_saveexec_b32 s42, s70
; %bb.184:
	v_cmp_gt_f64_e64 s0, v[30:31], v[8:9]
	s_delay_alu instid0(VALU_DEP_1) | instskip(NEXT) | instid1(SALU_CYCLE_1)
	s_and_b32 s0, s1, s0
	v_cndmask_b32_e64 v31, v9, v31, s0
	v_cndmask_b32_e64 v30, v8, v30, s0
	s_or_b32 s0, s1, exec_lo
; %bb.185:
	s_or_b32 exec_lo, exec_lo, s42
	s_delay_alu instid0(SALU_CYCLE_1) | instskip(SKIP_1) | instid1(SALU_CYCLE_1)
	s_and_not1_b32 s1, s1, exec_lo
	s_and_b32 s0, s0, exec_lo
	s_or_b32 s1, s1, s0
	s_or_b32 exec_lo, exec_lo, s34
	s_and_saveexec_b32 s34, s38
	s_cbranch_execz .LBB694_98
.LBB694_186:
	global_load_u8 v32, v[4:5], off offset:1920
	s_waitcnt vmcnt(0)
	v_and_b32_e32 v32, 1, v32
	s_delay_alu instid0(VALU_DEP_1) | instskip(NEXT) | instid1(VALU_DEP_1)
	v_cmp_eq_u32_e64 s0, 1, v32
	s_xor_b32 s70, s0, -1
	s_mov_b32 s0, s1
	s_and_saveexec_b32 s42, s70
; %bb.187:
	v_cmp_gt_f64_e64 s0, v[30:31], v[6:7]
	s_delay_alu instid0(VALU_DEP_1) | instskip(NEXT) | instid1(SALU_CYCLE_1)
	s_and_b32 s0, s1, s0
	v_cndmask_b32_e64 v31, v7, v31, s0
	v_cndmask_b32_e64 v30, v6, v30, s0
	s_or_b32 s0, s1, exec_lo
; %bb.188:
	s_or_b32 exec_lo, exec_lo, s42
	s_delay_alu instid0(SALU_CYCLE_1) | instskip(SKIP_1) | instid1(SALU_CYCLE_1)
	s_and_not1_b32 s1, s1, exec_lo
	s_and_b32 s0, s0, exec_lo
	s_or_b32 s1, s1, s0
	s_or_b32 exec_lo, exec_lo, s34
	s_and_saveexec_b32 s34, s35
	s_cbranch_execz .LBB694_192
.LBB694_189:
	global_load_u8 v32, v[4:5], off offset:1984
	s_waitcnt vmcnt(0)
	v_and_b32_e32 v32, 1, v32
	s_delay_alu instid0(VALU_DEP_1) | instskip(NEXT) | instid1(VALU_DEP_1)
	v_cmp_eq_u32_e64 s0, 1, v32
	s_xor_b32 s70, s0, -1
	s_mov_b32 s0, s1
	s_and_saveexec_b32 s42, s70
; %bb.190:
	v_cmp_gt_f64_e64 s0, v[30:31], v[2:3]
	s_delay_alu instid0(VALU_DEP_1) | instskip(NEXT) | instid1(SALU_CYCLE_1)
	s_and_b32 s0, s1, s0
	v_cndmask_b32_e64 v31, v3, v31, s0
	v_cndmask_b32_e64 v30, v2, v30, s0
	s_or_b32 s0, s1, exec_lo
; %bb.191:
	s_or_b32 exec_lo, exec_lo, s42
	s_delay_alu instid0(SALU_CYCLE_1) | instskip(SKIP_1) | instid1(SALU_CYCLE_1)
	s_and_not1_b32 s1, s1, exec_lo
	s_and_b32 s0, s0, exec_lo
	s_or_b32 s1, s1, s0
.LBB694_192:
	s_or_b32 exec_lo, exec_lo, s34
	v_mbcnt_lo_u32_b32 v36, -1, 0
	v_cndmask_b32_e64 v30, 0, v30, s1
	v_cndmask_b32_e64 v31, 0xfff00000, v31, s1
	s_delay_alu instid0(VALU_DEP_3) | instskip(SKIP_1) | instid1(VALU_DEP_2)
	v_or_b32_e32 v32, 32, v36
	v_xor_b32_e32 v37, 16, v36
	v_cmp_gt_i32_e64 s0, 64, v32
	s_delay_alu instid0(VALU_DEP_2) | instskip(NEXT) | instid1(VALU_DEP_2)
	v_cmp_gt_i32_e64 s1, 64, v37
	v_cndmask_b32_e64 v32, v36, v32, s0
	s_delay_alu instid0(VALU_DEP_2) | instskip(NEXT) | instid1(VALU_DEP_2)
	v_cndmask_b32_e64 v37, v36, v37, s1
	v_lshlrev_b32_e32 v77, 2, v32
	s_delay_alu instid0(VALU_DEP_2) | instskip(SKIP_4) | instid1(VALU_DEP_1)
	v_lshlrev_b32_e32 v78, 2, v37
	v_xor_b32_e32 v37, 8, v36
	ds_bpermute_b32 v32, v77, v30
	ds_bpermute_b32 v33, v77, v31
	v_cmp_gt_i32_e64 s1, 64, v37
	v_cndmask_b32_e64 v37, v36, v37, s1
	s_delay_alu instid0(VALU_DEP_1) | instskip(SKIP_1) | instid1(VALU_DEP_1)
	v_lshlrev_b32_e32 v79, 2, v37
	v_xor_b32_e32 v37, 4, v36
	v_cmp_gt_i32_e64 s1, 64, v37
	s_waitcnt lgkmcnt(0)
	v_cmp_lt_f64_e64 s0, v[30:31], v[32:33]
	s_delay_alu instid0(VALU_DEP_2) | instskip(NEXT) | instid1(VALU_DEP_1)
	v_cndmask_b32_e64 v37, v36, v37, s1
	v_lshlrev_b32_e32 v80, 2, v37
	v_xor_b32_e32 v37, 2, v36
	s_delay_alu instid0(VALU_DEP_1) | instskip(NEXT) | instid1(VALU_DEP_1)
	v_cmp_gt_i32_e64 s1, 64, v37
	v_cndmask_b32_e64 v37, v36, v37, s1
	s_delay_alu instid0(VALU_DEP_1) | instskip(SKIP_1) | instid1(VALU_DEP_1)
	v_lshlrev_b32_e32 v81, 2, v37
	v_xor_b32_e32 v37, 1, v36
	v_cmp_gt_i32_e64 s1, 64, v37
	s_delay_alu instid0(VALU_DEP_1) | instskip(SKIP_2) | instid1(VALU_DEP_3)
	v_cndmask_b32_e64 v36, v36, v37, s1
	v_cndmask_b32_e64 v31, v31, v33, s0
	;; [unrolled: 1-line block ×3, first 2 shown]
	v_lshlrev_b32_e32 v82, 2, v36
	ds_bpermute_b32 v33, v78, v31
	ds_bpermute_b32 v32, v78, v30
	s_waitcnt lgkmcnt(0)
	v_cmp_lt_f64_e64 s0, v[30:31], v[32:33]
	s_delay_alu instid0(VALU_DEP_1)
	v_cndmask_b32_e64 v31, v31, v33, s0
	v_cndmask_b32_e64 v30, v30, v32, s0
	ds_bpermute_b32 v33, v79, v31
	ds_bpermute_b32 v32, v79, v30
	s_waitcnt lgkmcnt(0)
	v_cmp_lt_f64_e64 s0, v[30:31], v[32:33]
	s_delay_alu instid0(VALU_DEP_1)
	v_cndmask_b32_e64 v31, v31, v33, s0
	v_cndmask_b32_e64 v30, v30, v32, s0
	;; [unrolled: 7-line block ×4, first 2 shown]
	v_mov_b32_e32 v30, 0
	v_mov_b32_e32 v31, 0
	ds_bpermute_b32 v39, v82, v37
	ds_bpermute_b32 v38, v82, v36
	v_dual_mov_b32 v33, v31 :: v_dual_mov_b32 v32, v30
	s_waitcnt lgkmcnt(0)
	v_cmp_lt_f64_e64 s0, v[36:37], v[38:39]
	s_delay_alu instid0(VALU_DEP_1)
	v_cndmask_b32_e64 v39, v37, v39, s0
	v_cndmask_b32_e64 v38, v36, v38, s0
	v_dual_mov_b32 v37, v31 :: v_dual_mov_b32 v36, v30
	s_and_saveexec_b32 s34, s69
	s_cbranch_execz .LBB694_196
; %bb.193:
	global_load_u8 v32, v[4:5], off
	v_mov_b32_e32 v36, 0
	s_waitcnt vmcnt(0)
	v_dual_mov_b32 v37, 0 :: v_dual_and_b32 v32, 1, v32
	s_delay_alu instid0(VALU_DEP_1) | instskip(NEXT) | instid1(VALU_DEP_2)
	v_cmp_eq_u32_e64 s0, 1, v32
	v_dual_mov_b32 v32, v36 :: v_dual_mov_b32 v33, v37
	s_delay_alu instid0(VALU_DEP_2) | instskip(NEXT) | instid1(SALU_CYCLE_1)
	s_xor_b32 s0, s0, -1
	s_and_saveexec_b32 s42, s0
	s_cbranch_execz .LBB694_195
; %bb.194:
	v_add_f64 v[32:33], v[40:41], -v[38:39]
	s_mov_b32 s0, 0x652b82fe
	s_mov_b32 s1, 0x3ff71547
	;; [unrolled: 1-line block ×4, first 2 shown]
	s_delay_alu instid0(VALU_DEP_1) | instskip(SKIP_2) | instid1(VALU_DEP_1)
	v_mul_f64 v[36:37], v[32:33], s[0:1]
	s_mov_b32 s0, 0xfefa39ef
	s_mov_b32 s1, 0xbfe62e42
	v_rndne_f64_e32 v[36:37], v[36:37]
	s_delay_alu instid0(VALU_DEP_1) | instskip(SKIP_3) | instid1(VALU_DEP_2)
	v_fma_f64 v[40:41], v[36:37], s[0:1], v[32:33]
	s_mov_b32 s0, 0x3b39803f
	s_mov_b32 s1, 0xbc7abc9e
	v_cvt_i32_f64_e32 v85, v[36:37]
	v_fma_f64 v[40:41], v[36:37], s[0:1], v[40:41]
	s_mov_b32 s0, 0xfca7ab0c
	s_mov_b32 s1, 0x3e928af3
	s_delay_alu instid0(VALU_DEP_1) | instid1(SALU_CYCLE_1)
	v_fma_f64 v[83:84], v[40:41], s[70:71], s[0:1]
	s_mov_b32 s0, 0x623fde64
	s_mov_b32 s1, 0x3ec71dee
	s_delay_alu instid0(VALU_DEP_1) | instid1(SALU_CYCLE_1)
	;; [unrolled: 4-line block ×9, first 2 shown]
	v_fma_f64 v[83:84], v[40:41], v[83:84], s[0:1]
	v_cmp_nlt_f64_e64 s0, 0x40900000, v[32:33]
	v_cmp_ngt_f64_e64 s1, 0xc090cc00, v[32:33]
	s_delay_alu instid0(VALU_DEP_3) | instskip(NEXT) | instid1(VALU_DEP_1)
	v_fma_f64 v[83:84], v[40:41], v[83:84], 1.0
	v_fma_f64 v[36:37], v[40:41], v[83:84], 1.0
	s_delay_alu instid0(VALU_DEP_1) | instskip(NEXT) | instid1(VALU_DEP_1)
	v_ldexp_f64 v[36:37], v[36:37], v85
	v_cndmask_b32_e64 v37, 0x7ff00000, v37, s0
	s_and_b32 s0, s1, s0
	s_delay_alu instid0(VALU_DEP_2) | instid1(SALU_CYCLE_1)
	v_cndmask_b32_e64 v32, 0, v36, s0
	s_delay_alu instid0(VALU_DEP_2) | instskip(NEXT) | instid1(VALU_DEP_1)
	v_cndmask_b32_e64 v33, 0, v37, s1
	v_add_f64 v[36:37], v[32:33], 0
.LBB694_195:
	s_or_b32 exec_lo, exec_lo, s42
.LBB694_196:
	s_delay_alu instid0(SALU_CYCLE_1)
	s_or_b32 exec_lo, exec_lo, s34
	v_dual_mov_b32 v41, v31 :: v_dual_mov_b32 v40, v30
	s_and_saveexec_b32 s34, s68
	s_cbranch_execz .LBB694_200
; %bb.197:
	global_load_u8 v40, v[4:5], off offset:64
	s_waitcnt vmcnt(0)
	v_and_b32_e32 v40, 1, v40
	s_delay_alu instid0(VALU_DEP_1) | instskip(SKIP_2) | instid1(VALU_DEP_3)
	v_cmp_eq_u32_e64 s0, 1, v40
	v_mov_b32_e32 v40, 0
	v_mov_b32_e32 v41, 0
	s_xor_b32 s0, s0, -1
	s_delay_alu instid0(SALU_CYCLE_1)
	s_and_saveexec_b32 s42, s0
	s_cbranch_execz .LBB694_199
; %bb.198:
	v_add_f64 v[40:41], v[48:49], -v[38:39]
	s_mov_b32 s0, 0x652b82fe
	s_mov_b32 s1, 0x3ff71547
	;; [unrolled: 1-line block ×4, first 2 shown]
	s_delay_alu instid0(VALU_DEP_1) | instskip(SKIP_2) | instid1(VALU_DEP_1)
	v_mul_f64 v[48:49], v[40:41], s[0:1]
	s_mov_b32 s0, 0xfefa39ef
	s_mov_b32 s1, 0xbfe62e42
	v_rndne_f64_e32 v[48:49], v[48:49]
	s_delay_alu instid0(VALU_DEP_1) | instskip(SKIP_3) | instid1(VALU_DEP_2)
	v_fma_f64 v[83:84], v[48:49], s[0:1], v[40:41]
	s_mov_b32 s0, 0x3b39803f
	s_mov_b32 s1, 0xbc7abc9e
	v_cvt_i32_f64_e32 v87, v[48:49]
	v_fma_f64 v[83:84], v[48:49], s[0:1], v[83:84]
	s_mov_b32 s0, 0xfca7ab0c
	s_mov_b32 s1, 0x3e928af3
	s_delay_alu instid0(VALU_DEP_1) | instid1(SALU_CYCLE_1)
	v_fma_f64 v[85:86], v[83:84], s[68:69], s[0:1]
	s_mov_b32 s0, 0x623fde64
	s_mov_b32 s1, 0x3ec71dee
	s_delay_alu instid0(VALU_DEP_1) | instid1(SALU_CYCLE_1)
	;; [unrolled: 4-line block ×9, first 2 shown]
	v_fma_f64 v[85:86], v[83:84], v[85:86], s[0:1]
	v_cmp_nlt_f64_e64 s0, 0x40900000, v[40:41]
	v_cmp_ngt_f64_e64 s1, 0xc090cc00, v[40:41]
	s_delay_alu instid0(VALU_DEP_3) | instskip(NEXT) | instid1(VALU_DEP_1)
	v_fma_f64 v[85:86], v[83:84], v[85:86], 1.0
	v_fma_f64 v[48:49], v[83:84], v[85:86], 1.0
	s_delay_alu instid0(VALU_DEP_1) | instskip(NEXT) | instid1(VALU_DEP_1)
	v_ldexp_f64 v[48:49], v[48:49], v87
	v_cndmask_b32_e64 v49, 0x7ff00000, v49, s0
	s_and_b32 s0, s1, s0
	s_delay_alu instid0(VALU_DEP_2) | instid1(SALU_CYCLE_1)
	v_cndmask_b32_e64 v40, 0, v48, s0
	s_delay_alu instid0(VALU_DEP_2) | instskip(NEXT) | instid1(VALU_DEP_1)
	v_cndmask_b32_e64 v41, 0, v49, s1
	v_add_f64 v[36:37], v[36:37], v[40:41]
.LBB694_199:
	s_or_b32 exec_lo, exec_lo, s42
.LBB694_200:
	s_delay_alu instid0(SALU_CYCLE_1)
	s_or_b32 exec_lo, exec_lo, s34
	s_and_saveexec_b32 s34, s67
	s_cbranch_execz .LBB694_204
; %bb.201:
	global_load_u8 v30, v[4:5], off offset:128
	s_waitcnt vmcnt(0)
	v_and_b32_e32 v30, 1, v30
	s_delay_alu instid0(VALU_DEP_1) | instskip(SKIP_2) | instid1(VALU_DEP_3)
	v_cmp_eq_u32_e64 s0, 1, v30
	v_mov_b32_e32 v30, 0
	v_mov_b32_e32 v31, 0
	s_xor_b32 s0, s0, -1
	s_delay_alu instid0(SALU_CYCLE_1)
	s_and_saveexec_b32 s42, s0
	s_cbranch_execz .LBB694_203
; %bb.202:
	v_add_f64 v[30:31], v[46:47], -v[38:39]
	s_mov_b32 s0, 0x652b82fe
	s_mov_b32 s1, 0x3ff71547
	;; [unrolled: 1-line block ×4, first 2 shown]
	s_delay_alu instid0(VALU_DEP_1) | instskip(SKIP_2) | instid1(VALU_DEP_1)
	v_mul_f64 v[46:47], v[30:31], s[0:1]
	s_mov_b32 s0, 0xfefa39ef
	s_mov_b32 s1, 0xbfe62e42
	v_rndne_f64_e32 v[46:47], v[46:47]
	s_delay_alu instid0(VALU_DEP_1) | instskip(SKIP_3) | instid1(VALU_DEP_2)
	v_fma_f64 v[48:49], v[46:47], s[0:1], v[30:31]
	s_mov_b32 s0, 0x3b39803f
	s_mov_b32 s1, 0xbc7abc9e
	v_cvt_i32_f64_e32 v85, v[46:47]
	v_fma_f64 v[48:49], v[46:47], s[0:1], v[48:49]
	s_mov_b32 s0, 0xfca7ab0c
	s_mov_b32 s1, 0x3e928af3
	s_delay_alu instid0(VALU_DEP_1) | instid1(SALU_CYCLE_1)
	v_fma_f64 v[83:84], v[48:49], s[68:69], s[0:1]
	s_mov_b32 s0, 0x623fde64
	s_mov_b32 s1, 0x3ec71dee
	s_delay_alu instid0(VALU_DEP_1) | instid1(SALU_CYCLE_1)
	;; [unrolled: 4-line block ×9, first 2 shown]
	v_fma_f64 v[83:84], v[48:49], v[83:84], s[0:1]
	v_cmp_nlt_f64_e64 s0, 0x40900000, v[30:31]
	v_cmp_ngt_f64_e64 s1, 0xc090cc00, v[30:31]
	s_delay_alu instid0(VALU_DEP_3) | instskip(NEXT) | instid1(VALU_DEP_1)
	v_fma_f64 v[83:84], v[48:49], v[83:84], 1.0
	v_fma_f64 v[46:47], v[48:49], v[83:84], 1.0
	s_delay_alu instid0(VALU_DEP_1) | instskip(NEXT) | instid1(VALU_DEP_1)
	v_ldexp_f64 v[46:47], v[46:47], v85
	v_cndmask_b32_e64 v47, 0x7ff00000, v47, s0
	s_and_b32 s0, s1, s0
	s_delay_alu instid0(VALU_DEP_2) | instid1(SALU_CYCLE_1)
	v_cndmask_b32_e64 v30, 0, v46, s0
	s_delay_alu instid0(VALU_DEP_2) | instskip(NEXT) | instid1(VALU_DEP_1)
	v_cndmask_b32_e64 v31, 0, v47, s1
	v_add_f64 v[36:37], v[36:37], v[30:31]
.LBB694_203:
	s_or_b32 exec_lo, exec_lo, s42
.LBB694_204:
	s_delay_alu instid0(SALU_CYCLE_1) | instskip(SKIP_2) | instid1(VALU_DEP_1)
	s_or_b32 exec_lo, exec_lo, s34
	v_mov_b32_e32 v46, 0
	v_mov_b32_e32 v47, 0
	v_dual_mov_b32 v49, v47 :: v_dual_mov_b32 v48, v46
	s_and_saveexec_b32 s34, s66
	s_cbranch_execz .LBB694_208
; %bb.205:
	global_load_u8 v48, v[4:5], off offset:192
	s_waitcnt vmcnt(0)
	v_and_b32_e32 v48, 1, v48
	s_delay_alu instid0(VALU_DEP_1) | instskip(SKIP_2) | instid1(VALU_DEP_3)
	v_cmp_eq_u32_e64 s0, 1, v48
	v_mov_b32_e32 v48, 0
	v_mov_b32_e32 v49, 0
	s_xor_b32 s0, s0, -1
	s_delay_alu instid0(SALU_CYCLE_1)
	s_and_saveexec_b32 s42, s0
	s_cbranch_execz .LBB694_207
; %bb.206:
	v_add_f64 v[48:49], v[56:57], -v[38:39]
	s_mov_b32 s0, 0x652b82fe
	s_mov_b32 s1, 0x3ff71547
	;; [unrolled: 1-line block ×4, first 2 shown]
	s_delay_alu instid0(VALU_DEP_1) | instskip(SKIP_2) | instid1(VALU_DEP_1)
	v_mul_f64 v[56:57], v[48:49], s[0:1]
	s_mov_b32 s0, 0xfefa39ef
	s_mov_b32 s1, 0xbfe62e42
	v_rndne_f64_e32 v[56:57], v[56:57]
	s_delay_alu instid0(VALU_DEP_1) | instskip(SKIP_3) | instid1(VALU_DEP_2)
	v_fma_f64 v[83:84], v[56:57], s[0:1], v[48:49]
	s_mov_b32 s0, 0x3b39803f
	s_mov_b32 s1, 0xbc7abc9e
	v_cvt_i32_f64_e32 v87, v[56:57]
	v_fma_f64 v[83:84], v[56:57], s[0:1], v[83:84]
	s_mov_b32 s0, 0xfca7ab0c
	s_mov_b32 s1, 0x3e928af3
	s_delay_alu instid0(VALU_DEP_1) | instid1(SALU_CYCLE_1)
	v_fma_f64 v[85:86], v[83:84], s[66:67], s[0:1]
	s_mov_b32 s0, 0x623fde64
	s_mov_b32 s1, 0x3ec71dee
	s_delay_alu instid0(VALU_DEP_1) | instid1(SALU_CYCLE_1)
	;; [unrolled: 4-line block ×9, first 2 shown]
	v_fma_f64 v[85:86], v[83:84], v[85:86], s[0:1]
	v_cmp_nlt_f64_e64 s0, 0x40900000, v[48:49]
	v_cmp_ngt_f64_e64 s1, 0xc090cc00, v[48:49]
	s_delay_alu instid0(VALU_DEP_3) | instskip(NEXT) | instid1(VALU_DEP_1)
	v_fma_f64 v[85:86], v[83:84], v[85:86], 1.0
	v_fma_f64 v[56:57], v[83:84], v[85:86], 1.0
	s_delay_alu instid0(VALU_DEP_1) | instskip(NEXT) | instid1(VALU_DEP_1)
	v_ldexp_f64 v[56:57], v[56:57], v87
	v_cndmask_b32_e64 v57, 0x7ff00000, v57, s0
	s_and_b32 s0, s1, s0
	s_delay_alu instid0(VALU_DEP_2) | instid1(SALU_CYCLE_1)
	v_cndmask_b32_e64 v48, 0, v56, s0
	s_delay_alu instid0(VALU_DEP_2) | instskip(NEXT) | instid1(VALU_DEP_1)
	v_cndmask_b32_e64 v49, 0, v57, s1
	v_add_f64 v[36:37], v[36:37], v[48:49]
.LBB694_207:
	s_or_b32 exec_lo, exec_lo, s42
.LBB694_208:
	s_delay_alu instid0(SALU_CYCLE_1)
	s_or_b32 exec_lo, exec_lo, s34
	s_and_saveexec_b32 s34, s65
	s_cbranch_execz .LBB694_212
; %bb.209:
	global_load_u8 v46, v[4:5], off offset:256
	s_waitcnt vmcnt(0)
	v_and_b32_e32 v46, 1, v46
	s_delay_alu instid0(VALU_DEP_1) | instskip(SKIP_2) | instid1(VALU_DEP_3)
	v_cmp_eq_u32_e64 s0, 1, v46
	v_mov_b32_e32 v46, 0
	v_mov_b32_e32 v47, 0
	s_xor_b32 s0, s0, -1
	s_delay_alu instid0(SALU_CYCLE_1)
	s_and_saveexec_b32 s42, s0
	s_cbranch_execz .LBB694_211
; %bb.210:
	v_add_f64 v[46:47], v[54:55], -v[38:39]
	s_mov_b32 s0, 0x652b82fe
	s_mov_b32 s1, 0x3ff71547
	;; [unrolled: 1-line block ×4, first 2 shown]
	s_delay_alu instid0(VALU_DEP_1) | instskip(SKIP_2) | instid1(VALU_DEP_1)
	v_mul_f64 v[54:55], v[46:47], s[0:1]
	s_mov_b32 s0, 0xfefa39ef
	s_mov_b32 s1, 0xbfe62e42
	v_rndne_f64_e32 v[54:55], v[54:55]
	s_delay_alu instid0(VALU_DEP_1) | instskip(SKIP_3) | instid1(VALU_DEP_2)
	v_fma_f64 v[56:57], v[54:55], s[0:1], v[46:47]
	s_mov_b32 s0, 0x3b39803f
	s_mov_b32 s1, 0xbc7abc9e
	v_cvt_i32_f64_e32 v85, v[54:55]
	v_fma_f64 v[56:57], v[54:55], s[0:1], v[56:57]
	s_mov_b32 s0, 0xfca7ab0c
	s_mov_b32 s1, 0x3e928af3
	s_delay_alu instid0(VALU_DEP_1) | instid1(SALU_CYCLE_1)
	v_fma_f64 v[83:84], v[56:57], s[66:67], s[0:1]
	s_mov_b32 s0, 0x623fde64
	s_mov_b32 s1, 0x3ec71dee
	s_delay_alu instid0(VALU_DEP_1) | instid1(SALU_CYCLE_1)
	v_fma_f64 v[83:84], v[56:57], v[83:84], s[0:1]
	s_mov_b32 s0, 0x7c89e6b0
	s_mov_b32 s1, 0x3efa0199
	s_delay_alu instid0(VALU_DEP_1) | instid1(SALU_CYCLE_1)
	v_fma_f64 v[83:84], v[56:57], v[83:84], s[0:1]
	s_mov_b32 s0, 0x14761f6e
	s_mov_b32 s1, 0x3f2a01a0
	s_delay_alu instid0(VALU_DEP_1) | instid1(SALU_CYCLE_1)
	v_fma_f64 v[83:84], v[56:57], v[83:84], s[0:1]
	s_mov_b32 s0, 0x1852b7b0
	s_mov_b32 s1, 0x3f56c16c
	s_delay_alu instid0(VALU_DEP_1) | instid1(SALU_CYCLE_1)
	v_fma_f64 v[83:84], v[56:57], v[83:84], s[0:1]
	s_mov_b32 s0, 0x11122322
	s_mov_b32 s1, 0x3f811111
	s_delay_alu instid0(VALU_DEP_1) | instid1(SALU_CYCLE_1)
	v_fma_f64 v[83:84], v[56:57], v[83:84], s[0:1]
	s_mov_b32 s0, 0x555502a1
	s_mov_b32 s1, 0x3fa55555
	s_delay_alu instid0(VALU_DEP_1) | instid1(SALU_CYCLE_1)
	v_fma_f64 v[83:84], v[56:57], v[83:84], s[0:1]
	s_mov_b32 s0, 0x55555511
	s_mov_b32 s1, 0x3fc55555
	s_delay_alu instid0(VALU_DEP_1) | instid1(SALU_CYCLE_1)
	v_fma_f64 v[83:84], v[56:57], v[83:84], s[0:1]
	s_mov_b32 s0, 11
	s_mov_b32 s1, 0x3fe00000
	s_delay_alu instid0(VALU_DEP_1) | instid1(SALU_CYCLE_1)
	v_fma_f64 v[83:84], v[56:57], v[83:84], s[0:1]
	v_cmp_nlt_f64_e64 s0, 0x40900000, v[46:47]
	v_cmp_ngt_f64_e64 s1, 0xc090cc00, v[46:47]
	s_delay_alu instid0(VALU_DEP_3) | instskip(NEXT) | instid1(VALU_DEP_1)
	v_fma_f64 v[83:84], v[56:57], v[83:84], 1.0
	v_fma_f64 v[54:55], v[56:57], v[83:84], 1.0
	s_delay_alu instid0(VALU_DEP_1) | instskip(NEXT) | instid1(VALU_DEP_1)
	v_ldexp_f64 v[54:55], v[54:55], v85
	v_cndmask_b32_e64 v55, 0x7ff00000, v55, s0
	s_and_b32 s0, s1, s0
	s_delay_alu instid0(VALU_DEP_2) | instid1(SALU_CYCLE_1)
	v_cndmask_b32_e64 v46, 0, v54, s0
	s_delay_alu instid0(VALU_DEP_2) | instskip(NEXT) | instid1(VALU_DEP_1)
	v_cndmask_b32_e64 v47, 0, v55, s1
	v_add_f64 v[36:37], v[36:37], v[46:47]
.LBB694_211:
	s_or_b32 exec_lo, exec_lo, s42
.LBB694_212:
	s_delay_alu instid0(SALU_CYCLE_1) | instskip(SKIP_2) | instid1(VALU_DEP_1)
	s_or_b32 exec_lo, exec_lo, s34
	v_mov_b32_e32 v54, 0
	v_mov_b32_e32 v55, 0
	v_dual_mov_b32 v57, v55 :: v_dual_mov_b32 v56, v54
	s_and_saveexec_b32 s34, s64
	s_cbranch_execz .LBB694_216
; %bb.213:
	global_load_u8 v56, v[4:5], off offset:320
	s_waitcnt vmcnt(0)
	v_and_b32_e32 v56, 1, v56
	s_delay_alu instid0(VALU_DEP_1) | instskip(SKIP_2) | instid1(VALU_DEP_3)
	v_cmp_eq_u32_e64 s0, 1, v56
	v_mov_b32_e32 v56, 0
	v_mov_b32_e32 v57, 0
	s_xor_b32 s0, s0, -1
	s_delay_alu instid0(SALU_CYCLE_1)
	s_and_saveexec_b32 s42, s0
	s_cbranch_execz .LBB694_215
; %bb.214:
	v_add_f64 v[56:57], v[64:65], -v[38:39]
	s_mov_b32 s0, 0x652b82fe
	s_mov_b32 s1, 0x3ff71547
	;; [unrolled: 1-line block ×4, first 2 shown]
	s_delay_alu instid0(VALU_DEP_1) | instskip(SKIP_2) | instid1(VALU_DEP_1)
	v_mul_f64 v[64:65], v[56:57], s[0:1]
	s_mov_b32 s0, 0xfefa39ef
	s_mov_b32 s1, 0xbfe62e42
	v_rndne_f64_e32 v[64:65], v[64:65]
	s_delay_alu instid0(VALU_DEP_1) | instskip(SKIP_3) | instid1(VALU_DEP_2)
	v_fma_f64 v[83:84], v[64:65], s[0:1], v[56:57]
	s_mov_b32 s0, 0x3b39803f
	s_mov_b32 s1, 0xbc7abc9e
	v_cvt_i32_f64_e32 v87, v[64:65]
	v_fma_f64 v[83:84], v[64:65], s[0:1], v[83:84]
	s_mov_b32 s0, 0xfca7ab0c
	s_mov_b32 s1, 0x3e928af3
	s_delay_alu instid0(VALU_DEP_1) | instid1(SALU_CYCLE_1)
	v_fma_f64 v[85:86], v[83:84], s[64:65], s[0:1]
	s_mov_b32 s0, 0x623fde64
	s_mov_b32 s1, 0x3ec71dee
	s_delay_alu instid0(VALU_DEP_1) | instid1(SALU_CYCLE_1)
	;; [unrolled: 4-line block ×9, first 2 shown]
	v_fma_f64 v[85:86], v[83:84], v[85:86], s[0:1]
	v_cmp_nlt_f64_e64 s0, 0x40900000, v[56:57]
	v_cmp_ngt_f64_e64 s1, 0xc090cc00, v[56:57]
	s_delay_alu instid0(VALU_DEP_3) | instskip(NEXT) | instid1(VALU_DEP_1)
	v_fma_f64 v[85:86], v[83:84], v[85:86], 1.0
	v_fma_f64 v[64:65], v[83:84], v[85:86], 1.0
	s_delay_alu instid0(VALU_DEP_1) | instskip(NEXT) | instid1(VALU_DEP_1)
	v_ldexp_f64 v[64:65], v[64:65], v87
	v_cndmask_b32_e64 v65, 0x7ff00000, v65, s0
	s_and_b32 s0, s1, s0
	s_delay_alu instid0(VALU_DEP_2) | instid1(SALU_CYCLE_1)
	v_cndmask_b32_e64 v56, 0, v64, s0
	s_delay_alu instid0(VALU_DEP_2) | instskip(NEXT) | instid1(VALU_DEP_1)
	v_cndmask_b32_e64 v57, 0, v65, s1
	v_add_f64 v[36:37], v[36:37], v[56:57]
.LBB694_215:
	s_or_b32 exec_lo, exec_lo, s42
.LBB694_216:
	s_delay_alu instid0(SALU_CYCLE_1)
	s_or_b32 exec_lo, exec_lo, s34
	s_and_saveexec_b32 s34, s63
	s_cbranch_execz .LBB694_220
; %bb.217:
	global_load_u8 v54, v[4:5], off offset:384
	s_waitcnt vmcnt(0)
	v_and_b32_e32 v54, 1, v54
	s_delay_alu instid0(VALU_DEP_1) | instskip(SKIP_2) | instid1(VALU_DEP_3)
	v_cmp_eq_u32_e64 s0, 1, v54
	v_mov_b32_e32 v54, 0
	v_mov_b32_e32 v55, 0
	s_xor_b32 s0, s0, -1
	s_delay_alu instid0(SALU_CYCLE_1)
	s_and_saveexec_b32 s42, s0
	s_cbranch_execz .LBB694_219
; %bb.218:
	v_add_f64 v[54:55], v[62:63], -v[38:39]
	s_mov_b32 s0, 0x652b82fe
	s_mov_b32 s1, 0x3ff71547
	;; [unrolled: 1-line block ×4, first 2 shown]
	s_delay_alu instid0(VALU_DEP_1) | instskip(SKIP_2) | instid1(VALU_DEP_1)
	v_mul_f64 v[62:63], v[54:55], s[0:1]
	s_mov_b32 s0, 0xfefa39ef
	s_mov_b32 s1, 0xbfe62e42
	v_rndne_f64_e32 v[62:63], v[62:63]
	s_delay_alu instid0(VALU_DEP_1) | instskip(SKIP_3) | instid1(VALU_DEP_2)
	v_fma_f64 v[64:65], v[62:63], s[0:1], v[54:55]
	s_mov_b32 s0, 0x3b39803f
	s_mov_b32 s1, 0xbc7abc9e
	v_cvt_i32_f64_e32 v85, v[62:63]
	v_fma_f64 v[64:65], v[62:63], s[0:1], v[64:65]
	s_mov_b32 s0, 0xfca7ab0c
	s_mov_b32 s1, 0x3e928af3
	s_delay_alu instid0(VALU_DEP_1) | instid1(SALU_CYCLE_1)
	v_fma_f64 v[83:84], v[64:65], s[64:65], s[0:1]
	s_mov_b32 s0, 0x623fde64
	s_mov_b32 s1, 0x3ec71dee
	s_delay_alu instid0(VALU_DEP_1) | instid1(SALU_CYCLE_1)
	;; [unrolled: 4-line block ×9, first 2 shown]
	v_fma_f64 v[83:84], v[64:65], v[83:84], s[0:1]
	v_cmp_nlt_f64_e64 s0, 0x40900000, v[54:55]
	v_cmp_ngt_f64_e64 s1, 0xc090cc00, v[54:55]
	s_delay_alu instid0(VALU_DEP_3) | instskip(NEXT) | instid1(VALU_DEP_1)
	v_fma_f64 v[83:84], v[64:65], v[83:84], 1.0
	v_fma_f64 v[62:63], v[64:65], v[83:84], 1.0
	s_delay_alu instid0(VALU_DEP_1) | instskip(NEXT) | instid1(VALU_DEP_1)
	v_ldexp_f64 v[62:63], v[62:63], v85
	v_cndmask_b32_e64 v63, 0x7ff00000, v63, s0
	s_and_b32 s0, s1, s0
	s_delay_alu instid0(VALU_DEP_2) | instid1(SALU_CYCLE_1)
	v_cndmask_b32_e64 v54, 0, v62, s0
	s_delay_alu instid0(VALU_DEP_2) | instskip(NEXT) | instid1(VALU_DEP_1)
	v_cndmask_b32_e64 v55, 0, v63, s1
	v_add_f64 v[36:37], v[36:37], v[54:55]
.LBB694_219:
	s_or_b32 exec_lo, exec_lo, s42
.LBB694_220:
	s_delay_alu instid0(SALU_CYCLE_1) | instskip(SKIP_2) | instid1(VALU_DEP_1)
	s_or_b32 exec_lo, exec_lo, s34
	v_mov_b32_e32 v62, 0
	v_mov_b32_e32 v63, 0
	v_dual_mov_b32 v65, v63 :: v_dual_mov_b32 v64, v62
	s_and_saveexec_b32 s34, s62
	s_cbranch_execz .LBB694_224
; %bb.221:
	global_load_u8 v64, v[4:5], off offset:448
	s_waitcnt vmcnt(0)
	v_and_b32_e32 v64, 1, v64
	s_delay_alu instid0(VALU_DEP_1) | instskip(SKIP_2) | instid1(VALU_DEP_3)
	v_cmp_eq_u32_e64 s0, 1, v64
	v_mov_b32_e32 v64, 0
	v_mov_b32_e32 v65, 0
	s_xor_b32 s0, s0, -1
	s_delay_alu instid0(SALU_CYCLE_1)
	s_and_saveexec_b32 s42, s0
	s_cbranch_execz .LBB694_223
; %bb.222:
	v_add_f64 v[64:65], v[72:73], -v[38:39]
	s_mov_b32 s0, 0x652b82fe
	s_mov_b32 s1, 0x3ff71547
	;; [unrolled: 1-line block ×4, first 2 shown]
	s_delay_alu instid0(VALU_DEP_1) | instskip(SKIP_2) | instid1(VALU_DEP_1)
	v_mul_f64 v[72:73], v[64:65], s[0:1]
	s_mov_b32 s0, 0xfefa39ef
	s_mov_b32 s1, 0xbfe62e42
	v_rndne_f64_e32 v[72:73], v[72:73]
	s_delay_alu instid0(VALU_DEP_1) | instskip(SKIP_3) | instid1(VALU_DEP_2)
	v_fma_f64 v[83:84], v[72:73], s[0:1], v[64:65]
	s_mov_b32 s0, 0x3b39803f
	s_mov_b32 s1, 0xbc7abc9e
	v_cvt_i32_f64_e32 v87, v[72:73]
	v_fma_f64 v[83:84], v[72:73], s[0:1], v[83:84]
	s_mov_b32 s0, 0xfca7ab0c
	s_mov_b32 s1, 0x3e928af3
	s_delay_alu instid0(VALU_DEP_1) | instid1(SALU_CYCLE_1)
	v_fma_f64 v[85:86], v[83:84], s[62:63], s[0:1]
	s_mov_b32 s0, 0x623fde64
	s_mov_b32 s1, 0x3ec71dee
	s_delay_alu instid0(VALU_DEP_1) | instid1(SALU_CYCLE_1)
	;; [unrolled: 4-line block ×9, first 2 shown]
	v_fma_f64 v[85:86], v[83:84], v[85:86], s[0:1]
	v_cmp_nlt_f64_e64 s0, 0x40900000, v[64:65]
	v_cmp_ngt_f64_e64 s1, 0xc090cc00, v[64:65]
	s_delay_alu instid0(VALU_DEP_3) | instskip(NEXT) | instid1(VALU_DEP_1)
	v_fma_f64 v[85:86], v[83:84], v[85:86], 1.0
	v_fma_f64 v[72:73], v[83:84], v[85:86], 1.0
	s_delay_alu instid0(VALU_DEP_1) | instskip(NEXT) | instid1(VALU_DEP_1)
	v_ldexp_f64 v[72:73], v[72:73], v87
	v_cndmask_b32_e64 v73, 0x7ff00000, v73, s0
	s_and_b32 s0, s1, s0
	s_delay_alu instid0(VALU_DEP_2) | instid1(SALU_CYCLE_1)
	v_cndmask_b32_e64 v64, 0, v72, s0
	s_delay_alu instid0(VALU_DEP_2) | instskip(NEXT) | instid1(VALU_DEP_1)
	v_cndmask_b32_e64 v65, 0, v73, s1
	v_add_f64 v[36:37], v[36:37], v[64:65]
.LBB694_223:
	s_or_b32 exec_lo, exec_lo, s42
.LBB694_224:
	s_delay_alu instid0(SALU_CYCLE_1)
	s_or_b32 exec_lo, exec_lo, s34
	s_and_saveexec_b32 s34, s61
	s_cbranch_execz .LBB694_228
; %bb.225:
	global_load_u8 v62, v[4:5], off offset:512
	s_waitcnt vmcnt(0)
	v_and_b32_e32 v62, 1, v62
	s_delay_alu instid0(VALU_DEP_1) | instskip(SKIP_2) | instid1(VALU_DEP_3)
	v_cmp_eq_u32_e64 s0, 1, v62
	v_mov_b32_e32 v62, 0
	v_mov_b32_e32 v63, 0
	s_xor_b32 s0, s0, -1
	s_delay_alu instid0(SALU_CYCLE_1)
	s_and_saveexec_b32 s42, s0
	s_cbranch_execz .LBB694_227
; %bb.226:
	v_add_f64 v[62:63], v[70:71], -v[38:39]
	s_mov_b32 s0, 0x652b82fe
	s_mov_b32 s1, 0x3ff71547
	;; [unrolled: 1-line block ×4, first 2 shown]
	s_delay_alu instid0(VALU_DEP_1) | instskip(SKIP_2) | instid1(VALU_DEP_1)
	v_mul_f64 v[70:71], v[62:63], s[0:1]
	s_mov_b32 s0, 0xfefa39ef
	s_mov_b32 s1, 0xbfe62e42
	v_rndne_f64_e32 v[70:71], v[70:71]
	s_delay_alu instid0(VALU_DEP_1) | instskip(SKIP_3) | instid1(VALU_DEP_2)
	v_fma_f64 v[72:73], v[70:71], s[0:1], v[62:63]
	s_mov_b32 s0, 0x3b39803f
	s_mov_b32 s1, 0xbc7abc9e
	v_cvt_i32_f64_e32 v85, v[70:71]
	v_fma_f64 v[72:73], v[70:71], s[0:1], v[72:73]
	s_mov_b32 s0, 0xfca7ab0c
	s_mov_b32 s1, 0x3e928af3
	s_delay_alu instid0(VALU_DEP_1) | instid1(SALU_CYCLE_1)
	v_fma_f64 v[83:84], v[72:73], s[62:63], s[0:1]
	s_mov_b32 s0, 0x623fde64
	s_mov_b32 s1, 0x3ec71dee
	s_delay_alu instid0(VALU_DEP_1) | instid1(SALU_CYCLE_1)
	;; [unrolled: 4-line block ×9, first 2 shown]
	v_fma_f64 v[83:84], v[72:73], v[83:84], s[0:1]
	v_cmp_nlt_f64_e64 s0, 0x40900000, v[62:63]
	v_cmp_ngt_f64_e64 s1, 0xc090cc00, v[62:63]
	s_delay_alu instid0(VALU_DEP_3) | instskip(NEXT) | instid1(VALU_DEP_1)
	v_fma_f64 v[83:84], v[72:73], v[83:84], 1.0
	v_fma_f64 v[70:71], v[72:73], v[83:84], 1.0
	s_delay_alu instid0(VALU_DEP_1) | instskip(NEXT) | instid1(VALU_DEP_1)
	v_ldexp_f64 v[70:71], v[70:71], v85
	v_cndmask_b32_e64 v71, 0x7ff00000, v71, s0
	s_and_b32 s0, s1, s0
	s_delay_alu instid0(VALU_DEP_2) | instid1(SALU_CYCLE_1)
	v_cndmask_b32_e64 v62, 0, v70, s0
	s_delay_alu instid0(VALU_DEP_2) | instskip(NEXT) | instid1(VALU_DEP_1)
	v_cndmask_b32_e64 v63, 0, v71, s1
	v_add_f64 v[36:37], v[36:37], v[62:63]
.LBB694_227:
	s_or_b32 exec_lo, exec_lo, s42
.LBB694_228:
	s_delay_alu instid0(SALU_CYCLE_1) | instskip(SKIP_2) | instid1(VALU_DEP_1)
	s_or_b32 exec_lo, exec_lo, s34
	v_mov_b32_e32 v70, 0
	v_mov_b32_e32 v71, 0
	v_dual_mov_b32 v73, v71 :: v_dual_mov_b32 v72, v70
	s_and_saveexec_b32 s34, s60
	s_cbranch_execz .LBB694_232
; %bb.229:
	global_load_u8 v72, v[4:5], off offset:576
	s_waitcnt vmcnt(0)
	v_and_b32_e32 v72, 1, v72
	s_delay_alu instid0(VALU_DEP_1) | instskip(SKIP_2) | instid1(VALU_DEP_3)
	v_cmp_eq_u32_e64 s0, 1, v72
	v_mov_b32_e32 v72, 0
	v_mov_b32_e32 v73, 0
	s_xor_b32 s0, s0, -1
	s_delay_alu instid0(SALU_CYCLE_1)
	s_and_saveexec_b32 s42, s0
	s_cbranch_execz .LBB694_231
; %bb.230:
	v_add_f64 v[72:73], v[74:75], -v[38:39]
	s_mov_b32 s0, 0x652b82fe
	s_mov_b32 s1, 0x3ff71547
	;; [unrolled: 1-line block ×4, first 2 shown]
	s_delay_alu instid0(VALU_DEP_1) | instskip(SKIP_2) | instid1(VALU_DEP_1)
	v_mul_f64 v[74:75], v[72:73], s[0:1]
	s_mov_b32 s0, 0xfefa39ef
	s_mov_b32 s1, 0xbfe62e42
	v_rndne_f64_e32 v[74:75], v[74:75]
	s_delay_alu instid0(VALU_DEP_1) | instskip(SKIP_3) | instid1(VALU_DEP_2)
	v_fma_f64 v[83:84], v[74:75], s[0:1], v[72:73]
	s_mov_b32 s0, 0x3b39803f
	s_mov_b32 s1, 0xbc7abc9e
	v_cvt_i32_f64_e32 v87, v[74:75]
	v_fma_f64 v[83:84], v[74:75], s[0:1], v[83:84]
	s_mov_b32 s0, 0xfca7ab0c
	s_mov_b32 s1, 0x3e928af3
	s_delay_alu instid0(VALU_DEP_1) | instid1(SALU_CYCLE_1)
	v_fma_f64 v[85:86], v[83:84], s[60:61], s[0:1]
	s_mov_b32 s0, 0x623fde64
	s_mov_b32 s1, 0x3ec71dee
	s_delay_alu instid0(VALU_DEP_1) | instid1(SALU_CYCLE_1)
	;; [unrolled: 4-line block ×9, first 2 shown]
	v_fma_f64 v[85:86], v[83:84], v[85:86], s[0:1]
	v_cmp_nlt_f64_e64 s0, 0x40900000, v[72:73]
	v_cmp_ngt_f64_e64 s1, 0xc090cc00, v[72:73]
	s_delay_alu instid0(VALU_DEP_3) | instskip(NEXT) | instid1(VALU_DEP_1)
	v_fma_f64 v[85:86], v[83:84], v[85:86], 1.0
	v_fma_f64 v[74:75], v[83:84], v[85:86], 1.0
	s_delay_alu instid0(VALU_DEP_1) | instskip(NEXT) | instid1(VALU_DEP_1)
	v_ldexp_f64 v[74:75], v[74:75], v87
	v_cndmask_b32_e64 v75, 0x7ff00000, v75, s0
	s_and_b32 s0, s1, s0
	s_delay_alu instid0(VALU_DEP_2) | instid1(SALU_CYCLE_1)
	v_cndmask_b32_e64 v72, 0, v74, s0
	s_delay_alu instid0(VALU_DEP_2) | instskip(NEXT) | instid1(VALU_DEP_1)
	v_cndmask_b32_e64 v73, 0, v75, s1
	v_add_f64 v[36:37], v[36:37], v[72:73]
.LBB694_231:
	s_or_b32 exec_lo, exec_lo, s42
.LBB694_232:
	s_delay_alu instid0(SALU_CYCLE_1)
	s_or_b32 exec_lo, exec_lo, s34
	s_and_saveexec_b32 s34, s59
	s_cbranch_execz .LBB694_236
; %bb.233:
	global_load_u8 v70, v[4:5], off offset:640
	s_waitcnt vmcnt(0)
	v_and_b32_e32 v70, 1, v70
	s_delay_alu instid0(VALU_DEP_1) | instskip(SKIP_2) | instid1(VALU_DEP_3)
	v_cmp_eq_u32_e64 s0, 1, v70
	v_mov_b32_e32 v70, 0
	v_mov_b32_e32 v71, 0
	s_xor_b32 s0, s0, -1
	s_delay_alu instid0(SALU_CYCLE_1)
	s_and_saveexec_b32 s42, s0
	s_cbranch_execz .LBB694_235
; %bb.234:
	v_add_f64 v[68:69], v[68:69], -v[38:39]
	s_mov_b32 s0, 0x652b82fe
	s_mov_b32 s1, 0x3ff71547
	s_mov_b32 s60, 0x6a5dcb37
	s_mov_b32 s61, 0x3e5ade15
	s_delay_alu instid0(VALU_DEP_1) | instskip(SKIP_2) | instid1(VALU_DEP_1)
	v_mul_f64 v[70:71], v[68:69], s[0:1]
	s_mov_b32 s0, 0xfefa39ef
	s_mov_b32 s1, 0xbfe62e42
	v_rndne_f64_e32 v[70:71], v[70:71]
	s_delay_alu instid0(VALU_DEP_1) | instskip(SKIP_3) | instid1(VALU_DEP_2)
	v_fma_f64 v[74:75], v[70:71], s[0:1], v[68:69]
	s_mov_b32 s0, 0x3b39803f
	s_mov_b32 s1, 0xbc7abc9e
	v_cvt_i32_f64_e32 v85, v[70:71]
	v_fma_f64 v[74:75], v[70:71], s[0:1], v[74:75]
	s_mov_b32 s0, 0xfca7ab0c
	s_mov_b32 s1, 0x3e928af3
	s_delay_alu instid0(VALU_DEP_1) | instid1(SALU_CYCLE_1)
	v_fma_f64 v[83:84], v[74:75], s[60:61], s[0:1]
	s_mov_b32 s0, 0x623fde64
	s_mov_b32 s1, 0x3ec71dee
	s_delay_alu instid0(VALU_DEP_1) | instid1(SALU_CYCLE_1)
	;; [unrolled: 4-line block ×9, first 2 shown]
	v_fma_f64 v[83:84], v[74:75], v[83:84], s[0:1]
	v_cmp_nlt_f64_e64 s0, 0x40900000, v[68:69]
	v_cmp_ngt_f64_e64 s1, 0xc090cc00, v[68:69]
	s_delay_alu instid0(VALU_DEP_3) | instskip(NEXT) | instid1(VALU_DEP_1)
	v_fma_f64 v[83:84], v[74:75], v[83:84], 1.0
	v_fma_f64 v[70:71], v[74:75], v[83:84], 1.0
	s_delay_alu instid0(VALU_DEP_1) | instskip(NEXT) | instid1(VALU_DEP_1)
	v_ldexp_f64 v[70:71], v[70:71], v85
	v_cndmask_b32_e64 v71, 0x7ff00000, v71, s0
	s_and_b32 s0, s1, s0
	s_delay_alu instid0(VALU_DEP_2) | instid1(SALU_CYCLE_1)
	v_cndmask_b32_e64 v70, 0, v70, s0
	s_delay_alu instid0(VALU_DEP_2) | instskip(NEXT) | instid1(VALU_DEP_1)
	v_cndmask_b32_e64 v71, 0, v71, s1
	v_add_f64 v[36:37], v[36:37], v[70:71]
.LBB694_235:
	s_or_b32 exec_lo, exec_lo, s42
.LBB694_236:
	s_delay_alu instid0(SALU_CYCLE_1) | instskip(SKIP_2) | instid1(VALU_DEP_1)
	s_or_b32 exec_lo, exec_lo, s34
	v_mov_b32_e32 v68, 0
	v_mov_b32_e32 v69, 0
	v_dual_mov_b32 v75, v69 :: v_dual_mov_b32 v74, v68
	s_and_saveexec_b32 s34, s58
	s_cbranch_execz .LBB694_240
; %bb.237:
	global_load_u8 v74, v[4:5], off offset:704
	s_waitcnt vmcnt(0)
	v_and_b32_e32 v74, 1, v74
	s_delay_alu instid0(VALU_DEP_1) | instskip(SKIP_2) | instid1(VALU_DEP_3)
	v_cmp_eq_u32_e64 s0, 1, v74
	v_mov_b32_e32 v74, 0
	v_mov_b32_e32 v75, 0
	s_xor_b32 s0, s0, -1
	s_delay_alu instid0(SALU_CYCLE_1)
	s_and_saveexec_b32 s42, s0
	s_cbranch_execz .LBB694_239
; %bb.238:
	v_add_f64 v[66:67], v[66:67], -v[38:39]
	s_mov_b32 s0, 0x652b82fe
	s_mov_b32 s1, 0x3ff71547
	;; [unrolled: 1-line block ×4, first 2 shown]
	s_delay_alu instid0(VALU_DEP_1) | instskip(SKIP_2) | instid1(VALU_DEP_1)
	v_mul_f64 v[74:75], v[66:67], s[0:1]
	s_mov_b32 s0, 0xfefa39ef
	s_mov_b32 s1, 0xbfe62e42
	v_rndne_f64_e32 v[74:75], v[74:75]
	s_delay_alu instid0(VALU_DEP_1) | instskip(SKIP_3) | instid1(VALU_DEP_2)
	v_fma_f64 v[83:84], v[74:75], s[0:1], v[66:67]
	s_mov_b32 s0, 0x3b39803f
	s_mov_b32 s1, 0xbc7abc9e
	v_cvt_i32_f64_e32 v87, v[74:75]
	v_fma_f64 v[83:84], v[74:75], s[0:1], v[83:84]
	s_mov_b32 s0, 0xfca7ab0c
	s_mov_b32 s1, 0x3e928af3
	s_delay_alu instid0(VALU_DEP_1) | instid1(SALU_CYCLE_1)
	v_fma_f64 v[85:86], v[83:84], s[58:59], s[0:1]
	s_mov_b32 s0, 0x623fde64
	s_mov_b32 s1, 0x3ec71dee
	s_delay_alu instid0(VALU_DEP_1) | instid1(SALU_CYCLE_1)
	;; [unrolled: 4-line block ×9, first 2 shown]
	v_fma_f64 v[85:86], v[83:84], v[85:86], s[0:1]
	v_cmp_nlt_f64_e64 s0, 0x40900000, v[66:67]
	v_cmp_ngt_f64_e64 s1, 0xc090cc00, v[66:67]
	s_delay_alu instid0(VALU_DEP_3) | instskip(NEXT) | instid1(VALU_DEP_1)
	v_fma_f64 v[85:86], v[83:84], v[85:86], 1.0
	v_fma_f64 v[74:75], v[83:84], v[85:86], 1.0
	s_delay_alu instid0(VALU_DEP_1) | instskip(NEXT) | instid1(VALU_DEP_1)
	v_ldexp_f64 v[74:75], v[74:75], v87
	v_cndmask_b32_e64 v75, 0x7ff00000, v75, s0
	s_and_b32 s0, s1, s0
	s_delay_alu instid0(VALU_DEP_2) | instid1(SALU_CYCLE_1)
	v_cndmask_b32_e64 v74, 0, v74, s0
	s_delay_alu instid0(VALU_DEP_2) | instskip(NEXT) | instid1(VALU_DEP_1)
	v_cndmask_b32_e64 v75, 0, v75, s1
	v_add_f64 v[36:37], v[36:37], v[74:75]
.LBB694_239:
	s_or_b32 exec_lo, exec_lo, s42
.LBB694_240:
	s_delay_alu instid0(SALU_CYCLE_1)
	s_or_b32 exec_lo, exec_lo, s34
	s_and_saveexec_b32 s34, s57
	s_cbranch_execz .LBB694_244
; %bb.241:
	global_load_u8 v66, v[4:5], off offset:768
	v_mov_b32_e32 v68, 0
	s_waitcnt vmcnt(0)
	v_dual_mov_b32 v69, 0 :: v_dual_and_b32 v66, 1, v66
	s_delay_alu instid0(VALU_DEP_1) | instskip(NEXT) | instid1(VALU_DEP_1)
	v_cmp_eq_u32_e64 s0, 1, v66
	s_xor_b32 s0, s0, -1
	s_delay_alu instid0(SALU_CYCLE_1)
	s_and_saveexec_b32 s42, s0
	s_cbranch_execz .LBB694_243
; %bb.242:
	v_add_f64 v[60:61], v[60:61], -v[38:39]
	s_mov_b32 s0, 0x652b82fe
	s_mov_b32 s1, 0x3ff71547
	;; [unrolled: 1-line block ×4, first 2 shown]
	s_delay_alu instid0(VALU_DEP_1) | instskip(SKIP_2) | instid1(VALU_DEP_1)
	v_mul_f64 v[66:67], v[60:61], s[0:1]
	s_mov_b32 s0, 0xfefa39ef
	s_mov_b32 s1, 0xbfe62e42
	v_rndne_f64_e32 v[66:67], v[66:67]
	s_delay_alu instid0(VALU_DEP_1) | instskip(SKIP_3) | instid1(VALU_DEP_2)
	v_fma_f64 v[68:69], v[66:67], s[0:1], v[60:61]
	s_mov_b32 s0, 0x3b39803f
	s_mov_b32 s1, 0xbc7abc9e
	v_cvt_i32_f64_e32 v85, v[66:67]
	v_fma_f64 v[68:69], v[66:67], s[0:1], v[68:69]
	s_mov_b32 s0, 0xfca7ab0c
	s_mov_b32 s1, 0x3e928af3
	s_delay_alu instid0(VALU_DEP_1) | instid1(SALU_CYCLE_1)
	v_fma_f64 v[83:84], v[68:69], s[58:59], s[0:1]
	s_mov_b32 s0, 0x623fde64
	s_mov_b32 s1, 0x3ec71dee
	s_delay_alu instid0(VALU_DEP_1) | instid1(SALU_CYCLE_1)
	;; [unrolled: 4-line block ×9, first 2 shown]
	v_fma_f64 v[83:84], v[68:69], v[83:84], s[0:1]
	v_cmp_nlt_f64_e64 s0, 0x40900000, v[60:61]
	v_cmp_ngt_f64_e64 s1, 0xc090cc00, v[60:61]
	s_delay_alu instid0(VALU_DEP_3) | instskip(NEXT) | instid1(VALU_DEP_1)
	v_fma_f64 v[83:84], v[68:69], v[83:84], 1.0
	v_fma_f64 v[66:67], v[68:69], v[83:84], 1.0
	s_delay_alu instid0(VALU_DEP_1) | instskip(NEXT) | instid1(VALU_DEP_1)
	v_ldexp_f64 v[66:67], v[66:67], v85
	v_cndmask_b32_e64 v67, 0x7ff00000, v67, s0
	s_and_b32 s0, s1, s0
	s_delay_alu instid0(VALU_DEP_2) | instid1(SALU_CYCLE_1)
	v_cndmask_b32_e64 v68, 0, v66, s0
	s_delay_alu instid0(VALU_DEP_2) | instskip(NEXT) | instid1(VALU_DEP_1)
	v_cndmask_b32_e64 v69, 0, v67, s1
	v_add_f64 v[36:37], v[36:37], v[68:69]
.LBB694_243:
	s_or_b32 exec_lo, exec_lo, s42
.LBB694_244:
	s_delay_alu instid0(SALU_CYCLE_1) | instskip(SKIP_2) | instid1(VALU_DEP_1)
	s_or_b32 exec_lo, exec_lo, s34
	v_mov_b32_e32 v60, 0
	v_mov_b32_e32 v61, 0
	v_dual_mov_b32 v67, v61 :: v_dual_mov_b32 v66, v60
	s_and_saveexec_b32 s34, s56
	s_cbranch_execz .LBB694_248
; %bb.245:
	global_load_u8 v66, v[4:5], off offset:832
	s_waitcnt vmcnt(0)
	v_and_b32_e32 v66, 1, v66
	s_delay_alu instid0(VALU_DEP_1) | instskip(SKIP_2) | instid1(VALU_DEP_3)
	v_cmp_eq_u32_e64 s0, 1, v66
	v_mov_b32_e32 v66, 0
	v_mov_b32_e32 v67, 0
	s_xor_b32 s0, s0, -1
	s_delay_alu instid0(SALU_CYCLE_1)
	s_and_saveexec_b32 s42, s0
	s_cbranch_execz .LBB694_247
; %bb.246:
	v_add_f64 v[58:59], v[58:59], -v[38:39]
	s_mov_b32 s0, 0x652b82fe
	s_mov_b32 s1, 0x3ff71547
	;; [unrolled: 1-line block ×4, first 2 shown]
	s_delay_alu instid0(VALU_DEP_1) | instskip(SKIP_2) | instid1(VALU_DEP_1)
	v_mul_f64 v[66:67], v[58:59], s[0:1]
	s_mov_b32 s0, 0xfefa39ef
	s_mov_b32 s1, 0xbfe62e42
	v_rndne_f64_e32 v[66:67], v[66:67]
	s_delay_alu instid0(VALU_DEP_1) | instskip(SKIP_3) | instid1(VALU_DEP_2)
	v_fma_f64 v[83:84], v[66:67], s[0:1], v[58:59]
	s_mov_b32 s0, 0x3b39803f
	s_mov_b32 s1, 0xbc7abc9e
	v_cvt_i32_f64_e32 v87, v[66:67]
	v_fma_f64 v[83:84], v[66:67], s[0:1], v[83:84]
	s_mov_b32 s0, 0xfca7ab0c
	s_mov_b32 s1, 0x3e928af3
	s_delay_alu instid0(VALU_DEP_1) | instid1(SALU_CYCLE_1)
	v_fma_f64 v[85:86], v[83:84], s[56:57], s[0:1]
	s_mov_b32 s0, 0x623fde64
	s_mov_b32 s1, 0x3ec71dee
	s_delay_alu instid0(VALU_DEP_1) | instid1(SALU_CYCLE_1)
	;; [unrolled: 4-line block ×9, first 2 shown]
	v_fma_f64 v[85:86], v[83:84], v[85:86], s[0:1]
	v_cmp_nlt_f64_e64 s0, 0x40900000, v[58:59]
	v_cmp_ngt_f64_e64 s1, 0xc090cc00, v[58:59]
	s_delay_alu instid0(VALU_DEP_3) | instskip(NEXT) | instid1(VALU_DEP_1)
	v_fma_f64 v[85:86], v[83:84], v[85:86], 1.0
	v_fma_f64 v[66:67], v[83:84], v[85:86], 1.0
	s_delay_alu instid0(VALU_DEP_1) | instskip(NEXT) | instid1(VALU_DEP_1)
	v_ldexp_f64 v[66:67], v[66:67], v87
	v_cndmask_b32_e64 v67, 0x7ff00000, v67, s0
	s_and_b32 s0, s1, s0
	s_delay_alu instid0(VALU_DEP_2) | instid1(SALU_CYCLE_1)
	v_cndmask_b32_e64 v66, 0, v66, s0
	s_delay_alu instid0(VALU_DEP_2) | instskip(NEXT) | instid1(VALU_DEP_1)
	v_cndmask_b32_e64 v67, 0, v67, s1
	v_add_f64 v[36:37], v[36:37], v[66:67]
.LBB694_247:
	s_or_b32 exec_lo, exec_lo, s42
.LBB694_248:
	s_delay_alu instid0(SALU_CYCLE_1)
	s_or_b32 exec_lo, exec_lo, s34
	s_and_saveexec_b32 s34, s55
	s_cbranch_execz .LBB694_252
; %bb.249:
	global_load_u8 v58, v[4:5], off offset:896
	v_mov_b32_e32 v60, 0
	s_waitcnt vmcnt(0)
	v_dual_mov_b32 v61, 0 :: v_dual_and_b32 v58, 1, v58
	s_delay_alu instid0(VALU_DEP_1) | instskip(NEXT) | instid1(VALU_DEP_1)
	v_cmp_eq_u32_e64 s0, 1, v58
	s_xor_b32 s0, s0, -1
	s_delay_alu instid0(SALU_CYCLE_1)
	s_and_saveexec_b32 s42, s0
	s_cbranch_execz .LBB694_251
; %bb.250:
	v_add_f64 v[52:53], v[52:53], -v[38:39]
	s_mov_b32 s0, 0x652b82fe
	s_mov_b32 s1, 0x3ff71547
	;; [unrolled: 1-line block ×4, first 2 shown]
	s_delay_alu instid0(VALU_DEP_1) | instskip(SKIP_2) | instid1(VALU_DEP_1)
	v_mul_f64 v[58:59], v[52:53], s[0:1]
	s_mov_b32 s0, 0xfefa39ef
	s_mov_b32 s1, 0xbfe62e42
	v_rndne_f64_e32 v[58:59], v[58:59]
	s_delay_alu instid0(VALU_DEP_1) | instskip(SKIP_3) | instid1(VALU_DEP_2)
	v_fma_f64 v[60:61], v[58:59], s[0:1], v[52:53]
	s_mov_b32 s0, 0x3b39803f
	s_mov_b32 s1, 0xbc7abc9e
	v_cvt_i32_f64_e32 v85, v[58:59]
	v_fma_f64 v[60:61], v[58:59], s[0:1], v[60:61]
	s_mov_b32 s0, 0xfca7ab0c
	s_mov_b32 s1, 0x3e928af3
	s_delay_alu instid0(VALU_DEP_1) | instid1(SALU_CYCLE_1)
	v_fma_f64 v[83:84], v[60:61], s[56:57], s[0:1]
	s_mov_b32 s0, 0x623fde64
	s_mov_b32 s1, 0x3ec71dee
	s_delay_alu instid0(VALU_DEP_1) | instid1(SALU_CYCLE_1)
	v_fma_f64 v[83:84], v[60:61], v[83:84], s[0:1]
	s_mov_b32 s0, 0x7c89e6b0
	s_mov_b32 s1, 0x3efa0199
	s_delay_alu instid0(VALU_DEP_1) | instid1(SALU_CYCLE_1)
	v_fma_f64 v[83:84], v[60:61], v[83:84], s[0:1]
	s_mov_b32 s0, 0x14761f6e
	s_mov_b32 s1, 0x3f2a01a0
	s_delay_alu instid0(VALU_DEP_1) | instid1(SALU_CYCLE_1)
	v_fma_f64 v[83:84], v[60:61], v[83:84], s[0:1]
	s_mov_b32 s0, 0x1852b7b0
	s_mov_b32 s1, 0x3f56c16c
	s_delay_alu instid0(VALU_DEP_1) | instid1(SALU_CYCLE_1)
	v_fma_f64 v[83:84], v[60:61], v[83:84], s[0:1]
	s_mov_b32 s0, 0x11122322
	s_mov_b32 s1, 0x3f811111
	s_delay_alu instid0(VALU_DEP_1) | instid1(SALU_CYCLE_1)
	v_fma_f64 v[83:84], v[60:61], v[83:84], s[0:1]
	s_mov_b32 s0, 0x555502a1
	s_mov_b32 s1, 0x3fa55555
	s_delay_alu instid0(VALU_DEP_1) | instid1(SALU_CYCLE_1)
	v_fma_f64 v[83:84], v[60:61], v[83:84], s[0:1]
	s_mov_b32 s0, 0x55555511
	s_mov_b32 s1, 0x3fc55555
	s_delay_alu instid0(VALU_DEP_1) | instid1(SALU_CYCLE_1)
	v_fma_f64 v[83:84], v[60:61], v[83:84], s[0:1]
	s_mov_b32 s0, 11
	s_mov_b32 s1, 0x3fe00000
	s_delay_alu instid0(VALU_DEP_1) | instid1(SALU_CYCLE_1)
	v_fma_f64 v[83:84], v[60:61], v[83:84], s[0:1]
	v_cmp_nlt_f64_e64 s0, 0x40900000, v[52:53]
	v_cmp_ngt_f64_e64 s1, 0xc090cc00, v[52:53]
	s_delay_alu instid0(VALU_DEP_3) | instskip(NEXT) | instid1(VALU_DEP_1)
	v_fma_f64 v[83:84], v[60:61], v[83:84], 1.0
	v_fma_f64 v[58:59], v[60:61], v[83:84], 1.0
	s_delay_alu instid0(VALU_DEP_1) | instskip(NEXT) | instid1(VALU_DEP_1)
	v_ldexp_f64 v[58:59], v[58:59], v85
	v_cndmask_b32_e64 v59, 0x7ff00000, v59, s0
	s_and_b32 s0, s1, s0
	s_delay_alu instid0(VALU_DEP_2) | instid1(SALU_CYCLE_1)
	v_cndmask_b32_e64 v60, 0, v58, s0
	s_delay_alu instid0(VALU_DEP_2) | instskip(NEXT) | instid1(VALU_DEP_1)
	v_cndmask_b32_e64 v61, 0, v59, s1
	v_add_f64 v[36:37], v[36:37], v[60:61]
.LBB694_251:
	s_or_b32 exec_lo, exec_lo, s42
.LBB694_252:
	s_delay_alu instid0(SALU_CYCLE_1) | instskip(SKIP_2) | instid1(VALU_DEP_1)
	s_or_b32 exec_lo, exec_lo, s34
	v_mov_b32_e32 v52, 0
	v_mov_b32_e32 v53, 0
	v_dual_mov_b32 v59, v53 :: v_dual_mov_b32 v58, v52
	s_and_saveexec_b32 s34, s54
	s_cbranch_execz .LBB694_256
; %bb.253:
	global_load_u8 v58, v[4:5], off offset:960
	s_waitcnt vmcnt(0)
	v_and_b32_e32 v58, 1, v58
	s_delay_alu instid0(VALU_DEP_1) | instskip(SKIP_2) | instid1(VALU_DEP_3)
	v_cmp_eq_u32_e64 s0, 1, v58
	v_mov_b32_e32 v58, 0
	v_mov_b32_e32 v59, 0
	s_xor_b32 s0, s0, -1
	s_delay_alu instid0(SALU_CYCLE_1)
	s_and_saveexec_b32 s42, s0
	s_cbranch_execz .LBB694_255
; %bb.254:
	v_add_f64 v[50:51], v[50:51], -v[38:39]
	s_mov_b32 s0, 0x652b82fe
	s_mov_b32 s1, 0x3ff71547
	;; [unrolled: 1-line block ×4, first 2 shown]
	s_delay_alu instid0(VALU_DEP_1) | instskip(SKIP_2) | instid1(VALU_DEP_1)
	v_mul_f64 v[58:59], v[50:51], s[0:1]
	s_mov_b32 s0, 0xfefa39ef
	s_mov_b32 s1, 0xbfe62e42
	v_rndne_f64_e32 v[58:59], v[58:59]
	s_delay_alu instid0(VALU_DEP_1) | instskip(SKIP_3) | instid1(VALU_DEP_2)
	v_fma_f64 v[83:84], v[58:59], s[0:1], v[50:51]
	s_mov_b32 s0, 0x3b39803f
	s_mov_b32 s1, 0xbc7abc9e
	v_cvt_i32_f64_e32 v87, v[58:59]
	v_fma_f64 v[83:84], v[58:59], s[0:1], v[83:84]
	s_mov_b32 s0, 0xfca7ab0c
	s_mov_b32 s1, 0x3e928af3
	s_delay_alu instid0(VALU_DEP_1) | instid1(SALU_CYCLE_1)
	v_fma_f64 v[85:86], v[83:84], s[54:55], s[0:1]
	s_mov_b32 s0, 0x623fde64
	s_mov_b32 s1, 0x3ec71dee
	s_delay_alu instid0(VALU_DEP_1) | instid1(SALU_CYCLE_1)
	;; [unrolled: 4-line block ×9, first 2 shown]
	v_fma_f64 v[85:86], v[83:84], v[85:86], s[0:1]
	v_cmp_nlt_f64_e64 s0, 0x40900000, v[50:51]
	v_cmp_ngt_f64_e64 s1, 0xc090cc00, v[50:51]
	s_delay_alu instid0(VALU_DEP_3) | instskip(NEXT) | instid1(VALU_DEP_1)
	v_fma_f64 v[85:86], v[83:84], v[85:86], 1.0
	v_fma_f64 v[58:59], v[83:84], v[85:86], 1.0
	s_delay_alu instid0(VALU_DEP_1) | instskip(NEXT) | instid1(VALU_DEP_1)
	v_ldexp_f64 v[58:59], v[58:59], v87
	v_cndmask_b32_e64 v59, 0x7ff00000, v59, s0
	s_and_b32 s0, s1, s0
	s_delay_alu instid0(VALU_DEP_2) | instid1(SALU_CYCLE_1)
	v_cndmask_b32_e64 v58, 0, v58, s0
	s_delay_alu instid0(VALU_DEP_2) | instskip(NEXT) | instid1(VALU_DEP_1)
	v_cndmask_b32_e64 v59, 0, v59, s1
	v_add_f64 v[36:37], v[36:37], v[58:59]
.LBB694_255:
	s_or_b32 exec_lo, exec_lo, s42
.LBB694_256:
	s_delay_alu instid0(SALU_CYCLE_1)
	s_or_b32 exec_lo, exec_lo, s34
	s_and_saveexec_b32 s34, s53
	s_cbranch_execz .LBB694_260
; %bb.257:
	global_load_u8 v50, v[4:5], off offset:1024
	v_mov_b32_e32 v52, 0
	s_waitcnt vmcnt(0)
	v_dual_mov_b32 v53, 0 :: v_dual_and_b32 v50, 1, v50
	s_delay_alu instid0(VALU_DEP_1) | instskip(NEXT) | instid1(VALU_DEP_1)
	v_cmp_eq_u32_e64 s0, 1, v50
	s_xor_b32 s0, s0, -1
	s_delay_alu instid0(SALU_CYCLE_1)
	s_and_saveexec_b32 s42, s0
	s_cbranch_execz .LBB694_259
; %bb.258:
	v_add_f64 v[44:45], v[44:45], -v[38:39]
	s_mov_b32 s0, 0x652b82fe
	s_mov_b32 s1, 0x3ff71547
	;; [unrolled: 1-line block ×4, first 2 shown]
	s_delay_alu instid0(VALU_DEP_1) | instskip(SKIP_2) | instid1(VALU_DEP_1)
	v_mul_f64 v[50:51], v[44:45], s[0:1]
	s_mov_b32 s0, 0xfefa39ef
	s_mov_b32 s1, 0xbfe62e42
	v_rndne_f64_e32 v[50:51], v[50:51]
	s_delay_alu instid0(VALU_DEP_1) | instskip(SKIP_3) | instid1(VALU_DEP_2)
	v_fma_f64 v[52:53], v[50:51], s[0:1], v[44:45]
	s_mov_b32 s0, 0x3b39803f
	s_mov_b32 s1, 0xbc7abc9e
	v_cvt_i32_f64_e32 v85, v[50:51]
	v_fma_f64 v[52:53], v[50:51], s[0:1], v[52:53]
	s_mov_b32 s0, 0xfca7ab0c
	s_mov_b32 s1, 0x3e928af3
	s_delay_alu instid0(VALU_DEP_1) | instid1(SALU_CYCLE_1)
	v_fma_f64 v[83:84], v[52:53], s[54:55], s[0:1]
	s_mov_b32 s0, 0x623fde64
	s_mov_b32 s1, 0x3ec71dee
	s_delay_alu instid0(VALU_DEP_1) | instid1(SALU_CYCLE_1)
	;; [unrolled: 4-line block ×9, first 2 shown]
	v_fma_f64 v[83:84], v[52:53], v[83:84], s[0:1]
	v_cmp_nlt_f64_e64 s0, 0x40900000, v[44:45]
	v_cmp_ngt_f64_e64 s1, 0xc090cc00, v[44:45]
	s_delay_alu instid0(VALU_DEP_3) | instskip(NEXT) | instid1(VALU_DEP_1)
	v_fma_f64 v[83:84], v[52:53], v[83:84], 1.0
	v_fma_f64 v[50:51], v[52:53], v[83:84], 1.0
	s_delay_alu instid0(VALU_DEP_1) | instskip(NEXT) | instid1(VALU_DEP_1)
	v_ldexp_f64 v[50:51], v[50:51], v85
	v_cndmask_b32_e64 v51, 0x7ff00000, v51, s0
	s_and_b32 s0, s1, s0
	s_delay_alu instid0(VALU_DEP_2) | instid1(SALU_CYCLE_1)
	v_cndmask_b32_e64 v52, 0, v50, s0
	s_delay_alu instid0(VALU_DEP_2) | instskip(NEXT) | instid1(VALU_DEP_1)
	v_cndmask_b32_e64 v53, 0, v51, s1
	v_add_f64 v[36:37], v[36:37], v[52:53]
.LBB694_259:
	s_or_b32 exec_lo, exec_lo, s42
.LBB694_260:
	s_delay_alu instid0(SALU_CYCLE_1) | instskip(SKIP_2) | instid1(VALU_DEP_1)
	s_or_b32 exec_lo, exec_lo, s34
	v_mov_b32_e32 v44, 0
	v_mov_b32_e32 v45, 0
	v_dual_mov_b32 v51, v45 :: v_dual_mov_b32 v50, v44
	s_and_saveexec_b32 s34, s52
	s_cbranch_execz .LBB694_264
; %bb.261:
	global_load_u8 v50, v[4:5], off offset:1088
	s_waitcnt vmcnt(0)
	v_and_b32_e32 v50, 1, v50
	s_delay_alu instid0(VALU_DEP_1) | instskip(SKIP_2) | instid1(VALU_DEP_3)
	v_cmp_eq_u32_e64 s0, 1, v50
	v_mov_b32_e32 v50, 0
	v_mov_b32_e32 v51, 0
	s_xor_b32 s0, s0, -1
	s_delay_alu instid0(SALU_CYCLE_1)
	s_and_saveexec_b32 s42, s0
	s_cbranch_execz .LBB694_263
; %bb.262:
	v_add_f64 v[42:43], v[42:43], -v[38:39]
	s_mov_b32 s0, 0x652b82fe
	s_mov_b32 s1, 0x3ff71547
	s_mov_b32 s52, 0x6a5dcb37
	s_mov_b32 s53, 0x3e5ade15
	s_delay_alu instid0(VALU_DEP_1) | instskip(SKIP_2) | instid1(VALU_DEP_1)
	v_mul_f64 v[50:51], v[42:43], s[0:1]
	s_mov_b32 s0, 0xfefa39ef
	s_mov_b32 s1, 0xbfe62e42
	v_rndne_f64_e32 v[50:51], v[50:51]
	s_delay_alu instid0(VALU_DEP_1) | instskip(SKIP_3) | instid1(VALU_DEP_2)
	v_fma_f64 v[83:84], v[50:51], s[0:1], v[42:43]
	s_mov_b32 s0, 0x3b39803f
	s_mov_b32 s1, 0xbc7abc9e
	v_cvt_i32_f64_e32 v87, v[50:51]
	v_fma_f64 v[83:84], v[50:51], s[0:1], v[83:84]
	s_mov_b32 s0, 0xfca7ab0c
	s_mov_b32 s1, 0x3e928af3
	s_delay_alu instid0(VALU_DEP_1) | instid1(SALU_CYCLE_1)
	v_fma_f64 v[85:86], v[83:84], s[52:53], s[0:1]
	s_mov_b32 s0, 0x623fde64
	s_mov_b32 s1, 0x3ec71dee
	s_delay_alu instid0(VALU_DEP_1) | instid1(SALU_CYCLE_1)
	v_fma_f64 v[85:86], v[83:84], v[85:86], s[0:1]
	s_mov_b32 s0, 0x7c89e6b0
	s_mov_b32 s1, 0x3efa0199
	s_delay_alu instid0(VALU_DEP_1) | instid1(SALU_CYCLE_1)
	v_fma_f64 v[85:86], v[83:84], v[85:86], s[0:1]
	s_mov_b32 s0, 0x14761f6e
	s_mov_b32 s1, 0x3f2a01a0
	s_delay_alu instid0(VALU_DEP_1) | instid1(SALU_CYCLE_1)
	v_fma_f64 v[85:86], v[83:84], v[85:86], s[0:1]
	s_mov_b32 s0, 0x1852b7b0
	s_mov_b32 s1, 0x3f56c16c
	s_delay_alu instid0(VALU_DEP_1) | instid1(SALU_CYCLE_1)
	v_fma_f64 v[85:86], v[83:84], v[85:86], s[0:1]
	s_mov_b32 s0, 0x11122322
	s_mov_b32 s1, 0x3f811111
	s_delay_alu instid0(VALU_DEP_1) | instid1(SALU_CYCLE_1)
	v_fma_f64 v[85:86], v[83:84], v[85:86], s[0:1]
	s_mov_b32 s0, 0x555502a1
	s_mov_b32 s1, 0x3fa55555
	s_delay_alu instid0(VALU_DEP_1) | instid1(SALU_CYCLE_1)
	v_fma_f64 v[85:86], v[83:84], v[85:86], s[0:1]
	s_mov_b32 s0, 0x55555511
	s_mov_b32 s1, 0x3fc55555
	s_delay_alu instid0(VALU_DEP_1) | instid1(SALU_CYCLE_1)
	v_fma_f64 v[85:86], v[83:84], v[85:86], s[0:1]
	s_mov_b32 s0, 11
	s_mov_b32 s1, 0x3fe00000
	s_delay_alu instid0(VALU_DEP_1) | instid1(SALU_CYCLE_1)
	v_fma_f64 v[85:86], v[83:84], v[85:86], s[0:1]
	v_cmp_nlt_f64_e64 s0, 0x40900000, v[42:43]
	v_cmp_ngt_f64_e64 s1, 0xc090cc00, v[42:43]
	s_delay_alu instid0(VALU_DEP_3) | instskip(NEXT) | instid1(VALU_DEP_1)
	v_fma_f64 v[85:86], v[83:84], v[85:86], 1.0
	v_fma_f64 v[50:51], v[83:84], v[85:86], 1.0
	s_delay_alu instid0(VALU_DEP_1) | instskip(NEXT) | instid1(VALU_DEP_1)
	v_ldexp_f64 v[50:51], v[50:51], v87
	v_cndmask_b32_e64 v51, 0x7ff00000, v51, s0
	s_and_b32 s0, s1, s0
	s_delay_alu instid0(VALU_DEP_2) | instid1(SALU_CYCLE_1)
	v_cndmask_b32_e64 v50, 0, v50, s0
	s_delay_alu instid0(VALU_DEP_2) | instskip(NEXT) | instid1(VALU_DEP_1)
	v_cndmask_b32_e64 v51, 0, v51, s1
	v_add_f64 v[36:37], v[36:37], v[50:51]
.LBB694_263:
	s_or_b32 exec_lo, exec_lo, s42
.LBB694_264:
	s_delay_alu instid0(SALU_CYCLE_1)
	s_or_b32 exec_lo, exec_lo, s34
	s_and_saveexec_b32 s34, s51
	s_cbranch_execz .LBB694_268
; %bb.265:
	global_load_u8 v42, v[4:5], off offset:1152
	v_mov_b32_e32 v44, 0
	s_waitcnt vmcnt(0)
	v_dual_mov_b32 v45, 0 :: v_dual_and_b32 v42, 1, v42
	s_delay_alu instid0(VALU_DEP_1) | instskip(NEXT) | instid1(VALU_DEP_1)
	v_cmp_eq_u32_e64 s0, 1, v42
	s_xor_b32 s0, s0, -1
	s_delay_alu instid0(SALU_CYCLE_1)
	s_and_saveexec_b32 s42, s0
	s_cbranch_execz .LBB694_267
; %bb.266:
	v_add_f64 v[34:35], v[34:35], -v[38:39]
	s_mov_b32 s0, 0x652b82fe
	s_mov_b32 s1, 0x3ff71547
	;; [unrolled: 1-line block ×4, first 2 shown]
	s_delay_alu instid0(VALU_DEP_1) | instskip(SKIP_2) | instid1(VALU_DEP_1)
	v_mul_f64 v[42:43], v[34:35], s[0:1]
	s_mov_b32 s0, 0xfefa39ef
	s_mov_b32 s1, 0xbfe62e42
	v_rndne_f64_e32 v[42:43], v[42:43]
	s_delay_alu instid0(VALU_DEP_1) | instskip(SKIP_3) | instid1(VALU_DEP_2)
	v_fma_f64 v[44:45], v[42:43], s[0:1], v[34:35]
	s_mov_b32 s0, 0x3b39803f
	s_mov_b32 s1, 0xbc7abc9e
	v_cvt_i32_f64_e32 v85, v[42:43]
	v_fma_f64 v[44:45], v[42:43], s[0:1], v[44:45]
	s_mov_b32 s0, 0xfca7ab0c
	s_mov_b32 s1, 0x3e928af3
	s_delay_alu instid0(VALU_DEP_1) | instid1(SALU_CYCLE_1)
	v_fma_f64 v[83:84], v[44:45], s[52:53], s[0:1]
	s_mov_b32 s0, 0x623fde64
	s_mov_b32 s1, 0x3ec71dee
	s_delay_alu instid0(VALU_DEP_1) | instid1(SALU_CYCLE_1)
	v_fma_f64 v[83:84], v[44:45], v[83:84], s[0:1]
	s_mov_b32 s0, 0x7c89e6b0
	s_mov_b32 s1, 0x3efa0199
	s_delay_alu instid0(VALU_DEP_1) | instid1(SALU_CYCLE_1)
	v_fma_f64 v[83:84], v[44:45], v[83:84], s[0:1]
	s_mov_b32 s0, 0x14761f6e
	s_mov_b32 s1, 0x3f2a01a0
	s_delay_alu instid0(VALU_DEP_1) | instid1(SALU_CYCLE_1)
	v_fma_f64 v[83:84], v[44:45], v[83:84], s[0:1]
	s_mov_b32 s0, 0x1852b7b0
	s_mov_b32 s1, 0x3f56c16c
	s_delay_alu instid0(VALU_DEP_1) | instid1(SALU_CYCLE_1)
	v_fma_f64 v[83:84], v[44:45], v[83:84], s[0:1]
	s_mov_b32 s0, 0x11122322
	s_mov_b32 s1, 0x3f811111
	s_delay_alu instid0(VALU_DEP_1) | instid1(SALU_CYCLE_1)
	v_fma_f64 v[83:84], v[44:45], v[83:84], s[0:1]
	s_mov_b32 s0, 0x555502a1
	s_mov_b32 s1, 0x3fa55555
	s_delay_alu instid0(VALU_DEP_1) | instid1(SALU_CYCLE_1)
	v_fma_f64 v[83:84], v[44:45], v[83:84], s[0:1]
	s_mov_b32 s0, 0x55555511
	s_mov_b32 s1, 0x3fc55555
	s_delay_alu instid0(VALU_DEP_1) | instid1(SALU_CYCLE_1)
	v_fma_f64 v[83:84], v[44:45], v[83:84], s[0:1]
	s_mov_b32 s0, 11
	s_mov_b32 s1, 0x3fe00000
	s_delay_alu instid0(VALU_DEP_1) | instid1(SALU_CYCLE_1)
	v_fma_f64 v[83:84], v[44:45], v[83:84], s[0:1]
	v_cmp_nlt_f64_e64 s0, 0x40900000, v[34:35]
	v_cmp_ngt_f64_e64 s1, 0xc090cc00, v[34:35]
	s_delay_alu instid0(VALU_DEP_3) | instskip(NEXT) | instid1(VALU_DEP_1)
	v_fma_f64 v[83:84], v[44:45], v[83:84], 1.0
	v_fma_f64 v[42:43], v[44:45], v[83:84], 1.0
	s_delay_alu instid0(VALU_DEP_1) | instskip(NEXT) | instid1(VALU_DEP_1)
	v_ldexp_f64 v[42:43], v[42:43], v85
	v_cndmask_b32_e64 v43, 0x7ff00000, v43, s0
	s_and_b32 s0, s1, s0
	s_delay_alu instid0(VALU_DEP_2) | instid1(SALU_CYCLE_1)
	v_cndmask_b32_e64 v44, 0, v42, s0
	s_delay_alu instid0(VALU_DEP_2) | instskip(NEXT) | instid1(VALU_DEP_1)
	v_cndmask_b32_e64 v45, 0, v43, s1
	v_add_f64 v[36:37], v[36:37], v[44:45]
.LBB694_267:
	s_or_b32 exec_lo, exec_lo, s42
.LBB694_268:
	s_delay_alu instid0(SALU_CYCLE_1) | instskip(SKIP_2) | instid1(VALU_DEP_1)
	s_or_b32 exec_lo, exec_lo, s34
	v_mov_b32_e32 v34, 0
	v_mov_b32_e32 v35, 0
	v_dual_mov_b32 v43, v35 :: v_dual_mov_b32 v42, v34
	s_and_saveexec_b32 s34, s50
	s_cbranch_execz .LBB694_272
; %bb.269:
	global_load_u8 v42, v[4:5], off offset:1216
	s_waitcnt vmcnt(0)
	v_and_b32_e32 v42, 1, v42
	s_delay_alu instid0(VALU_DEP_1) | instskip(SKIP_2) | instid1(VALU_DEP_3)
	v_cmp_eq_u32_e64 s0, 1, v42
	v_mov_b32_e32 v42, 0
	v_mov_b32_e32 v43, 0
	s_xor_b32 s0, s0, -1
	s_delay_alu instid0(SALU_CYCLE_1)
	s_and_saveexec_b32 s42, s0
	s_cbranch_execz .LBB694_271
; %bb.270:
	v_add_f64 v[28:29], v[28:29], -v[38:39]
	s_mov_b32 s0, 0x652b82fe
	s_mov_b32 s1, 0x3ff71547
	;; [unrolled: 1-line block ×4, first 2 shown]
	s_delay_alu instid0(VALU_DEP_1) | instskip(SKIP_2) | instid1(VALU_DEP_1)
	v_mul_f64 v[42:43], v[28:29], s[0:1]
	s_mov_b32 s0, 0xfefa39ef
	s_mov_b32 s1, 0xbfe62e42
	v_rndne_f64_e32 v[42:43], v[42:43]
	s_delay_alu instid0(VALU_DEP_1) | instskip(SKIP_3) | instid1(VALU_DEP_2)
	v_fma_f64 v[83:84], v[42:43], s[0:1], v[28:29]
	s_mov_b32 s0, 0x3b39803f
	s_mov_b32 s1, 0xbc7abc9e
	v_cvt_i32_f64_e32 v87, v[42:43]
	v_fma_f64 v[83:84], v[42:43], s[0:1], v[83:84]
	s_mov_b32 s0, 0xfca7ab0c
	s_mov_b32 s1, 0x3e928af3
	s_delay_alu instid0(VALU_DEP_1) | instid1(SALU_CYCLE_1)
	v_fma_f64 v[85:86], v[83:84], s[50:51], s[0:1]
	s_mov_b32 s0, 0x623fde64
	s_mov_b32 s1, 0x3ec71dee
	s_delay_alu instid0(VALU_DEP_1) | instid1(SALU_CYCLE_1)
	;; [unrolled: 4-line block ×9, first 2 shown]
	v_fma_f64 v[85:86], v[83:84], v[85:86], s[0:1]
	v_cmp_nlt_f64_e64 s0, 0x40900000, v[28:29]
	v_cmp_ngt_f64_e64 s1, 0xc090cc00, v[28:29]
	s_delay_alu instid0(VALU_DEP_3) | instskip(NEXT) | instid1(VALU_DEP_1)
	v_fma_f64 v[85:86], v[83:84], v[85:86], 1.0
	v_fma_f64 v[42:43], v[83:84], v[85:86], 1.0
	s_delay_alu instid0(VALU_DEP_1) | instskip(NEXT) | instid1(VALU_DEP_1)
	v_ldexp_f64 v[42:43], v[42:43], v87
	v_cndmask_b32_e64 v43, 0x7ff00000, v43, s0
	s_and_b32 s0, s1, s0
	s_delay_alu instid0(VALU_DEP_2) | instid1(SALU_CYCLE_1)
	v_cndmask_b32_e64 v42, 0, v42, s0
	s_delay_alu instid0(VALU_DEP_2) | instskip(NEXT) | instid1(VALU_DEP_1)
	v_cndmask_b32_e64 v43, 0, v43, s1
	v_add_f64 v[36:37], v[36:37], v[42:43]
.LBB694_271:
	s_or_b32 exec_lo, exec_lo, s42
.LBB694_272:
	s_delay_alu instid0(SALU_CYCLE_1)
	s_or_b32 exec_lo, exec_lo, s34
	s_and_saveexec_b32 s34, s49
	s_cbranch_execz .LBB694_276
; %bb.273:
	global_load_u8 v28, v[4:5], off offset:1280
	v_mov_b32_e32 v34, 0
	s_waitcnt vmcnt(0)
	v_dual_mov_b32 v35, 0 :: v_dual_and_b32 v28, 1, v28
	s_delay_alu instid0(VALU_DEP_1) | instskip(NEXT) | instid1(VALU_DEP_1)
	v_cmp_eq_u32_e64 s0, 1, v28
	s_xor_b32 s0, s0, -1
	s_delay_alu instid0(SALU_CYCLE_1)
	s_and_saveexec_b32 s42, s0
	s_cbranch_execz .LBB694_275
; %bb.274:
	v_add_f64 v[26:27], v[26:27], -v[38:39]
	s_mov_b32 s0, 0x652b82fe
	s_mov_b32 s1, 0x3ff71547
	;; [unrolled: 1-line block ×4, first 2 shown]
	s_delay_alu instid0(VALU_DEP_1) | instskip(SKIP_2) | instid1(VALU_DEP_1)
	v_mul_f64 v[28:29], v[26:27], s[0:1]
	s_mov_b32 s0, 0xfefa39ef
	s_mov_b32 s1, 0xbfe62e42
	v_rndne_f64_e32 v[28:29], v[28:29]
	s_delay_alu instid0(VALU_DEP_1) | instskip(SKIP_3) | instid1(VALU_DEP_2)
	v_fma_f64 v[34:35], v[28:29], s[0:1], v[26:27]
	s_mov_b32 s0, 0x3b39803f
	s_mov_b32 s1, 0xbc7abc9e
	v_cvt_i32_f64_e32 v85, v[28:29]
	v_fma_f64 v[34:35], v[28:29], s[0:1], v[34:35]
	s_mov_b32 s0, 0xfca7ab0c
	s_mov_b32 s1, 0x3e928af3
	s_delay_alu instid0(VALU_DEP_1) | instid1(SALU_CYCLE_1)
	v_fma_f64 v[83:84], v[34:35], s[50:51], s[0:1]
	s_mov_b32 s0, 0x623fde64
	s_mov_b32 s1, 0x3ec71dee
	s_delay_alu instid0(VALU_DEP_1) | instid1(SALU_CYCLE_1)
	;; [unrolled: 4-line block ×9, first 2 shown]
	v_fma_f64 v[83:84], v[34:35], v[83:84], s[0:1]
	v_cmp_nlt_f64_e64 s0, 0x40900000, v[26:27]
	v_cmp_ngt_f64_e64 s1, 0xc090cc00, v[26:27]
	s_delay_alu instid0(VALU_DEP_3) | instskip(NEXT) | instid1(VALU_DEP_1)
	v_fma_f64 v[83:84], v[34:35], v[83:84], 1.0
	v_fma_f64 v[28:29], v[34:35], v[83:84], 1.0
	s_delay_alu instid0(VALU_DEP_1) | instskip(NEXT) | instid1(VALU_DEP_1)
	v_ldexp_f64 v[28:29], v[28:29], v85
	v_cndmask_b32_e64 v29, 0x7ff00000, v29, s0
	s_and_b32 s0, s1, s0
	s_delay_alu instid0(VALU_DEP_2) | instid1(SALU_CYCLE_1)
	v_cndmask_b32_e64 v34, 0, v28, s0
	s_delay_alu instid0(VALU_DEP_2) | instskip(NEXT) | instid1(VALU_DEP_1)
	v_cndmask_b32_e64 v35, 0, v29, s1
	v_add_f64 v[36:37], v[36:37], v[34:35]
.LBB694_275:
	s_or_b32 exec_lo, exec_lo, s42
.LBB694_276:
	s_delay_alu instid0(SALU_CYCLE_1) | instskip(SKIP_2) | instid1(VALU_DEP_1)
	s_or_b32 exec_lo, exec_lo, s34
	v_mov_b32_e32 v26, 0
	v_mov_b32_e32 v27, 0
	v_dual_mov_b32 v29, v27 :: v_dual_mov_b32 v28, v26
	s_and_saveexec_b32 s34, s48
	s_cbranch_execz .LBB694_280
; %bb.277:
	global_load_u8 v28, v[4:5], off offset:1344
	s_waitcnt vmcnt(0)
	v_and_b32_e32 v28, 1, v28
	s_delay_alu instid0(VALU_DEP_1) | instskip(SKIP_2) | instid1(VALU_DEP_3)
	v_cmp_eq_u32_e64 s0, 1, v28
	v_mov_b32_e32 v28, 0
	v_mov_b32_e32 v29, 0
	s_xor_b32 s0, s0, -1
	s_delay_alu instid0(SALU_CYCLE_1)
	s_and_saveexec_b32 s42, s0
	s_cbranch_execz .LBB694_279
; %bb.278:
	v_add_f64 v[24:25], v[24:25], -v[38:39]
	s_mov_b32 s0, 0x652b82fe
	s_mov_b32 s1, 0x3ff71547
	;; [unrolled: 1-line block ×4, first 2 shown]
	s_delay_alu instid0(VALU_DEP_1) | instskip(SKIP_2) | instid1(VALU_DEP_1)
	v_mul_f64 v[28:29], v[24:25], s[0:1]
	s_mov_b32 s0, 0xfefa39ef
	s_mov_b32 s1, 0xbfe62e42
	v_rndne_f64_e32 v[28:29], v[28:29]
	s_delay_alu instid0(VALU_DEP_1) | instskip(SKIP_3) | instid1(VALU_DEP_2)
	v_fma_f64 v[83:84], v[28:29], s[0:1], v[24:25]
	s_mov_b32 s0, 0x3b39803f
	s_mov_b32 s1, 0xbc7abc9e
	v_cvt_i32_f64_e32 v87, v[28:29]
	v_fma_f64 v[83:84], v[28:29], s[0:1], v[83:84]
	s_mov_b32 s0, 0xfca7ab0c
	s_mov_b32 s1, 0x3e928af3
	s_delay_alu instid0(VALU_DEP_1) | instid1(SALU_CYCLE_1)
	v_fma_f64 v[85:86], v[83:84], s[48:49], s[0:1]
	s_mov_b32 s0, 0x623fde64
	s_mov_b32 s1, 0x3ec71dee
	s_delay_alu instid0(VALU_DEP_1) | instid1(SALU_CYCLE_1)
	;; [unrolled: 4-line block ×9, first 2 shown]
	v_fma_f64 v[85:86], v[83:84], v[85:86], s[0:1]
	v_cmp_nlt_f64_e64 s0, 0x40900000, v[24:25]
	v_cmp_ngt_f64_e64 s1, 0xc090cc00, v[24:25]
	s_delay_alu instid0(VALU_DEP_3) | instskip(NEXT) | instid1(VALU_DEP_1)
	v_fma_f64 v[85:86], v[83:84], v[85:86], 1.0
	v_fma_f64 v[28:29], v[83:84], v[85:86], 1.0
	s_delay_alu instid0(VALU_DEP_1) | instskip(NEXT) | instid1(VALU_DEP_1)
	v_ldexp_f64 v[28:29], v[28:29], v87
	v_cndmask_b32_e64 v29, 0x7ff00000, v29, s0
	s_and_b32 s0, s1, s0
	s_delay_alu instid0(VALU_DEP_2) | instid1(SALU_CYCLE_1)
	v_cndmask_b32_e64 v28, 0, v28, s0
	s_delay_alu instid0(VALU_DEP_2) | instskip(NEXT) | instid1(VALU_DEP_1)
	v_cndmask_b32_e64 v29, 0, v29, s1
	v_add_f64 v[36:37], v[36:37], v[28:29]
.LBB694_279:
	s_or_b32 exec_lo, exec_lo, s42
.LBB694_280:
	s_delay_alu instid0(SALU_CYCLE_1)
	s_or_b32 exec_lo, exec_lo, s34
	s_and_saveexec_b32 s34, s47
	s_cbranch_execz .LBB694_284
; %bb.281:
	global_load_u8 v24, v[4:5], off offset:1408
	v_mov_b32_e32 v26, 0
	s_waitcnt vmcnt(0)
	v_dual_mov_b32 v27, 0 :: v_dual_and_b32 v24, 1, v24
	s_delay_alu instid0(VALU_DEP_1) | instskip(NEXT) | instid1(VALU_DEP_1)
	v_cmp_eq_u32_e64 s0, 1, v24
	s_xor_b32 s0, s0, -1
	s_delay_alu instid0(SALU_CYCLE_1)
	s_and_saveexec_b32 s42, s0
	s_cbranch_execz .LBB694_283
; %bb.282:
	v_add_f64 v[22:23], v[22:23], -v[38:39]
	s_mov_b32 s0, 0x652b82fe
	s_mov_b32 s1, 0x3ff71547
	;; [unrolled: 1-line block ×4, first 2 shown]
	s_delay_alu instid0(VALU_DEP_1) | instskip(SKIP_2) | instid1(VALU_DEP_1)
	v_mul_f64 v[24:25], v[22:23], s[0:1]
	s_mov_b32 s0, 0xfefa39ef
	s_mov_b32 s1, 0xbfe62e42
	v_rndne_f64_e32 v[24:25], v[24:25]
	s_delay_alu instid0(VALU_DEP_1) | instskip(SKIP_3) | instid1(VALU_DEP_2)
	v_fma_f64 v[26:27], v[24:25], s[0:1], v[22:23]
	s_mov_b32 s0, 0x3b39803f
	s_mov_b32 s1, 0xbc7abc9e
	v_cvt_i32_f64_e32 v85, v[24:25]
	v_fma_f64 v[26:27], v[24:25], s[0:1], v[26:27]
	s_mov_b32 s0, 0xfca7ab0c
	s_mov_b32 s1, 0x3e928af3
	s_delay_alu instid0(VALU_DEP_1) | instid1(SALU_CYCLE_1)
	v_fma_f64 v[83:84], v[26:27], s[48:49], s[0:1]
	s_mov_b32 s0, 0x623fde64
	s_mov_b32 s1, 0x3ec71dee
	s_delay_alu instid0(VALU_DEP_1) | instid1(SALU_CYCLE_1)
	;; [unrolled: 4-line block ×9, first 2 shown]
	v_fma_f64 v[83:84], v[26:27], v[83:84], s[0:1]
	v_cmp_nlt_f64_e64 s0, 0x40900000, v[22:23]
	v_cmp_ngt_f64_e64 s1, 0xc090cc00, v[22:23]
	s_delay_alu instid0(VALU_DEP_3) | instskip(NEXT) | instid1(VALU_DEP_1)
	v_fma_f64 v[83:84], v[26:27], v[83:84], 1.0
	v_fma_f64 v[24:25], v[26:27], v[83:84], 1.0
	s_delay_alu instid0(VALU_DEP_1) | instskip(NEXT) | instid1(VALU_DEP_1)
	v_ldexp_f64 v[24:25], v[24:25], v85
	v_cndmask_b32_e64 v25, 0x7ff00000, v25, s0
	s_and_b32 s0, s1, s0
	s_delay_alu instid0(VALU_DEP_2) | instid1(SALU_CYCLE_1)
	v_cndmask_b32_e64 v26, 0, v24, s0
	s_delay_alu instid0(VALU_DEP_2) | instskip(NEXT) | instid1(VALU_DEP_1)
	v_cndmask_b32_e64 v27, 0, v25, s1
	v_add_f64 v[36:37], v[36:37], v[26:27]
.LBB694_283:
	s_or_b32 exec_lo, exec_lo, s42
.LBB694_284:
	s_delay_alu instid0(SALU_CYCLE_1) | instskip(SKIP_2) | instid1(VALU_DEP_1)
	s_or_b32 exec_lo, exec_lo, s34
	v_mov_b32_e32 v22, 0
	v_mov_b32_e32 v23, 0
	v_dual_mov_b32 v25, v23 :: v_dual_mov_b32 v24, v22
	s_and_saveexec_b32 s34, s46
	s_cbranch_execz .LBB694_288
; %bb.285:
	global_load_u8 v24, v[4:5], off offset:1472
	s_waitcnt vmcnt(0)
	v_and_b32_e32 v24, 1, v24
	s_delay_alu instid0(VALU_DEP_1) | instskip(SKIP_2) | instid1(VALU_DEP_3)
	v_cmp_eq_u32_e64 s0, 1, v24
	v_mov_b32_e32 v24, 0
	v_mov_b32_e32 v25, 0
	s_xor_b32 s0, s0, -1
	s_delay_alu instid0(SALU_CYCLE_1)
	s_and_saveexec_b32 s42, s0
	s_cbranch_execz .LBB694_287
; %bb.286:
	v_add_f64 v[20:21], v[20:21], -v[38:39]
	s_mov_b32 s0, 0x652b82fe
	s_mov_b32 s1, 0x3ff71547
	s_mov_b32 s46, 0x6a5dcb37
	s_mov_b32 s47, 0x3e5ade15
	s_delay_alu instid0(VALU_DEP_1) | instskip(SKIP_2) | instid1(VALU_DEP_1)
	v_mul_f64 v[24:25], v[20:21], s[0:1]
	s_mov_b32 s0, 0xfefa39ef
	s_mov_b32 s1, 0xbfe62e42
	v_rndne_f64_e32 v[24:25], v[24:25]
	s_delay_alu instid0(VALU_DEP_1) | instskip(SKIP_3) | instid1(VALU_DEP_2)
	v_fma_f64 v[83:84], v[24:25], s[0:1], v[20:21]
	s_mov_b32 s0, 0x3b39803f
	s_mov_b32 s1, 0xbc7abc9e
	v_cvt_i32_f64_e32 v87, v[24:25]
	v_fma_f64 v[83:84], v[24:25], s[0:1], v[83:84]
	s_mov_b32 s0, 0xfca7ab0c
	s_mov_b32 s1, 0x3e928af3
	s_delay_alu instid0(VALU_DEP_1) | instid1(SALU_CYCLE_1)
	v_fma_f64 v[85:86], v[83:84], s[46:47], s[0:1]
	s_mov_b32 s0, 0x623fde64
	s_mov_b32 s1, 0x3ec71dee
	s_delay_alu instid0(VALU_DEP_1) | instid1(SALU_CYCLE_1)
	;; [unrolled: 4-line block ×9, first 2 shown]
	v_fma_f64 v[85:86], v[83:84], v[85:86], s[0:1]
	v_cmp_nlt_f64_e64 s0, 0x40900000, v[20:21]
	v_cmp_ngt_f64_e64 s1, 0xc090cc00, v[20:21]
	s_delay_alu instid0(VALU_DEP_3) | instskip(NEXT) | instid1(VALU_DEP_1)
	v_fma_f64 v[85:86], v[83:84], v[85:86], 1.0
	v_fma_f64 v[24:25], v[83:84], v[85:86], 1.0
	s_delay_alu instid0(VALU_DEP_1) | instskip(NEXT) | instid1(VALU_DEP_1)
	v_ldexp_f64 v[24:25], v[24:25], v87
	v_cndmask_b32_e64 v25, 0x7ff00000, v25, s0
	s_and_b32 s0, s1, s0
	s_delay_alu instid0(VALU_DEP_2) | instid1(SALU_CYCLE_1)
	v_cndmask_b32_e64 v24, 0, v24, s0
	s_delay_alu instid0(VALU_DEP_2) | instskip(NEXT) | instid1(VALU_DEP_1)
	v_cndmask_b32_e64 v25, 0, v25, s1
	v_add_f64 v[36:37], v[36:37], v[24:25]
.LBB694_287:
	s_or_b32 exec_lo, exec_lo, s42
.LBB694_288:
	s_delay_alu instid0(SALU_CYCLE_1)
	s_or_b32 exec_lo, exec_lo, s34
	s_and_saveexec_b32 s34, s45
	s_cbranch_execz .LBB694_292
; %bb.289:
	global_load_u8 v20, v[4:5], off offset:1536
	v_mov_b32_e32 v22, 0
	s_waitcnt vmcnt(0)
	v_dual_mov_b32 v23, 0 :: v_dual_and_b32 v20, 1, v20
	s_delay_alu instid0(VALU_DEP_1) | instskip(NEXT) | instid1(VALU_DEP_1)
	v_cmp_eq_u32_e64 s0, 1, v20
	s_xor_b32 s0, s0, -1
	s_delay_alu instid0(SALU_CYCLE_1)
	s_and_saveexec_b32 s42, s0
	s_cbranch_execz .LBB694_291
; %bb.290:
	v_add_f64 v[18:19], v[18:19], -v[38:39]
	s_mov_b32 s0, 0x652b82fe
	s_mov_b32 s1, 0x3ff71547
	;; [unrolled: 1-line block ×4, first 2 shown]
	s_delay_alu instid0(VALU_DEP_1) | instskip(SKIP_2) | instid1(VALU_DEP_1)
	v_mul_f64 v[20:21], v[18:19], s[0:1]
	s_mov_b32 s0, 0xfefa39ef
	s_mov_b32 s1, 0xbfe62e42
	v_rndne_f64_e32 v[20:21], v[20:21]
	s_delay_alu instid0(VALU_DEP_1) | instskip(SKIP_3) | instid1(VALU_DEP_2)
	v_fma_f64 v[22:23], v[20:21], s[0:1], v[18:19]
	s_mov_b32 s0, 0x3b39803f
	s_mov_b32 s1, 0xbc7abc9e
	v_cvt_i32_f64_e32 v85, v[20:21]
	v_fma_f64 v[22:23], v[20:21], s[0:1], v[22:23]
	s_mov_b32 s0, 0xfca7ab0c
	s_mov_b32 s1, 0x3e928af3
	s_delay_alu instid0(VALU_DEP_1) | instid1(SALU_CYCLE_1)
	v_fma_f64 v[83:84], v[22:23], s[46:47], s[0:1]
	s_mov_b32 s0, 0x623fde64
	s_mov_b32 s1, 0x3ec71dee
	s_delay_alu instid0(VALU_DEP_1) | instid1(SALU_CYCLE_1)
	;; [unrolled: 4-line block ×9, first 2 shown]
	v_fma_f64 v[83:84], v[22:23], v[83:84], s[0:1]
	v_cmp_nlt_f64_e64 s0, 0x40900000, v[18:19]
	v_cmp_ngt_f64_e64 s1, 0xc090cc00, v[18:19]
	s_delay_alu instid0(VALU_DEP_3) | instskip(NEXT) | instid1(VALU_DEP_1)
	v_fma_f64 v[83:84], v[22:23], v[83:84], 1.0
	v_fma_f64 v[20:21], v[22:23], v[83:84], 1.0
	s_delay_alu instid0(VALU_DEP_1) | instskip(NEXT) | instid1(VALU_DEP_1)
	v_ldexp_f64 v[20:21], v[20:21], v85
	v_cndmask_b32_e64 v21, 0x7ff00000, v21, s0
	s_and_b32 s0, s1, s0
	s_delay_alu instid0(VALU_DEP_2) | instid1(SALU_CYCLE_1)
	v_cndmask_b32_e64 v22, 0, v20, s0
	s_delay_alu instid0(VALU_DEP_2) | instskip(NEXT) | instid1(VALU_DEP_1)
	v_cndmask_b32_e64 v23, 0, v21, s1
	v_add_f64 v[36:37], v[36:37], v[22:23]
.LBB694_291:
	s_or_b32 exec_lo, exec_lo, s42
.LBB694_292:
	s_delay_alu instid0(SALU_CYCLE_1) | instskip(SKIP_2) | instid1(VALU_DEP_1)
	s_or_b32 exec_lo, exec_lo, s34
	v_mov_b32_e32 v18, 0
	v_mov_b32_e32 v19, 0
	v_dual_mov_b32 v21, v19 :: v_dual_mov_b32 v20, v18
	s_and_saveexec_b32 s34, s44
	s_cbranch_execz .LBB694_296
; %bb.293:
	global_load_u8 v20, v[4:5], off offset:1600
	s_waitcnt vmcnt(0)
	v_and_b32_e32 v20, 1, v20
	s_delay_alu instid0(VALU_DEP_1) | instskip(SKIP_2) | instid1(VALU_DEP_3)
	v_cmp_eq_u32_e64 s0, 1, v20
	v_mov_b32_e32 v20, 0
	v_mov_b32_e32 v21, 0
	s_xor_b32 s0, s0, -1
	s_delay_alu instid0(SALU_CYCLE_1)
	s_and_saveexec_b32 s42, s0
	s_cbranch_execz .LBB694_295
; %bb.294:
	v_add_f64 v[16:17], v[16:17], -v[38:39]
	s_mov_b32 s0, 0x652b82fe
	s_mov_b32 s1, 0x3ff71547
	;; [unrolled: 1-line block ×4, first 2 shown]
	s_delay_alu instid0(VALU_DEP_1) | instskip(SKIP_2) | instid1(VALU_DEP_1)
	v_mul_f64 v[20:21], v[16:17], s[0:1]
	s_mov_b32 s0, 0xfefa39ef
	s_mov_b32 s1, 0xbfe62e42
	v_rndne_f64_e32 v[20:21], v[20:21]
	s_delay_alu instid0(VALU_DEP_1) | instskip(SKIP_3) | instid1(VALU_DEP_2)
	v_fma_f64 v[83:84], v[20:21], s[0:1], v[16:17]
	s_mov_b32 s0, 0x3b39803f
	s_mov_b32 s1, 0xbc7abc9e
	v_cvt_i32_f64_e32 v87, v[20:21]
	v_fma_f64 v[83:84], v[20:21], s[0:1], v[83:84]
	s_mov_b32 s0, 0xfca7ab0c
	s_mov_b32 s1, 0x3e928af3
	s_delay_alu instid0(VALU_DEP_1) | instid1(SALU_CYCLE_1)
	v_fma_f64 v[85:86], v[83:84], s[44:45], s[0:1]
	s_mov_b32 s0, 0x623fde64
	s_mov_b32 s1, 0x3ec71dee
	s_delay_alu instid0(VALU_DEP_1) | instid1(SALU_CYCLE_1)
	;; [unrolled: 4-line block ×9, first 2 shown]
	v_fma_f64 v[85:86], v[83:84], v[85:86], s[0:1]
	v_cmp_nlt_f64_e64 s0, 0x40900000, v[16:17]
	v_cmp_ngt_f64_e64 s1, 0xc090cc00, v[16:17]
	s_delay_alu instid0(VALU_DEP_3) | instskip(NEXT) | instid1(VALU_DEP_1)
	v_fma_f64 v[85:86], v[83:84], v[85:86], 1.0
	v_fma_f64 v[20:21], v[83:84], v[85:86], 1.0
	s_delay_alu instid0(VALU_DEP_1) | instskip(NEXT) | instid1(VALU_DEP_1)
	v_ldexp_f64 v[20:21], v[20:21], v87
	v_cndmask_b32_e64 v21, 0x7ff00000, v21, s0
	s_and_b32 s0, s1, s0
	s_delay_alu instid0(VALU_DEP_2) | instid1(SALU_CYCLE_1)
	v_cndmask_b32_e64 v20, 0, v20, s0
	s_delay_alu instid0(VALU_DEP_2) | instskip(NEXT) | instid1(VALU_DEP_1)
	v_cndmask_b32_e64 v21, 0, v21, s1
	v_add_f64 v[36:37], v[36:37], v[20:21]
.LBB694_295:
	s_or_b32 exec_lo, exec_lo, s42
.LBB694_296:
	s_delay_alu instid0(SALU_CYCLE_1)
	s_or_b32 exec_lo, exec_lo, s34
	s_and_saveexec_b32 s34, s43
	s_cbranch_execz .LBB694_300
; %bb.297:
	global_load_u8 v16, v[4:5], off offset:1664
	v_mov_b32_e32 v18, 0
	s_waitcnt vmcnt(0)
	v_dual_mov_b32 v19, 0 :: v_dual_and_b32 v16, 1, v16
	s_delay_alu instid0(VALU_DEP_1) | instskip(NEXT) | instid1(VALU_DEP_1)
	v_cmp_eq_u32_e64 s0, 1, v16
	s_xor_b32 s0, s0, -1
	s_delay_alu instid0(SALU_CYCLE_1)
	s_and_saveexec_b32 s42, s0
	s_cbranch_execz .LBB694_299
; %bb.298:
	v_add_f64 v[14:15], v[14:15], -v[38:39]
	s_mov_b32 s0, 0x652b82fe
	s_mov_b32 s1, 0x3ff71547
	s_mov_b32 s44, 0x6a5dcb37
	s_mov_b32 s45, 0x3e5ade15
	s_delay_alu instid0(VALU_DEP_1) | instskip(SKIP_2) | instid1(VALU_DEP_1)
	v_mul_f64 v[16:17], v[14:15], s[0:1]
	s_mov_b32 s0, 0xfefa39ef
	s_mov_b32 s1, 0xbfe62e42
	v_rndne_f64_e32 v[16:17], v[16:17]
	s_delay_alu instid0(VALU_DEP_1) | instskip(SKIP_3) | instid1(VALU_DEP_2)
	v_fma_f64 v[18:19], v[16:17], s[0:1], v[14:15]
	s_mov_b32 s0, 0x3b39803f
	s_mov_b32 s1, 0xbc7abc9e
	v_cvt_i32_f64_e32 v85, v[16:17]
	v_fma_f64 v[18:19], v[16:17], s[0:1], v[18:19]
	s_mov_b32 s0, 0xfca7ab0c
	s_mov_b32 s1, 0x3e928af3
	s_delay_alu instid0(VALU_DEP_1) | instid1(SALU_CYCLE_1)
	v_fma_f64 v[83:84], v[18:19], s[44:45], s[0:1]
	s_mov_b32 s0, 0x623fde64
	s_mov_b32 s1, 0x3ec71dee
	s_delay_alu instid0(VALU_DEP_1) | instid1(SALU_CYCLE_1)
	;; [unrolled: 4-line block ×9, first 2 shown]
	v_fma_f64 v[83:84], v[18:19], v[83:84], s[0:1]
	v_cmp_nlt_f64_e64 s0, 0x40900000, v[14:15]
	v_cmp_ngt_f64_e64 s1, 0xc090cc00, v[14:15]
	s_delay_alu instid0(VALU_DEP_3) | instskip(NEXT) | instid1(VALU_DEP_1)
	v_fma_f64 v[83:84], v[18:19], v[83:84], 1.0
	v_fma_f64 v[16:17], v[18:19], v[83:84], 1.0
	s_delay_alu instid0(VALU_DEP_1) | instskip(NEXT) | instid1(VALU_DEP_1)
	v_ldexp_f64 v[16:17], v[16:17], v85
	v_cndmask_b32_e64 v17, 0x7ff00000, v17, s0
	s_and_b32 s0, s1, s0
	s_delay_alu instid0(VALU_DEP_2) | instid1(SALU_CYCLE_1)
	v_cndmask_b32_e64 v18, 0, v16, s0
	s_delay_alu instid0(VALU_DEP_2) | instskip(NEXT) | instid1(VALU_DEP_1)
	v_cndmask_b32_e64 v19, 0, v17, s1
	v_add_f64 v[36:37], v[36:37], v[18:19]
.LBB694_299:
	s_or_b32 exec_lo, exec_lo, s42
.LBB694_300:
	s_delay_alu instid0(SALU_CYCLE_1) | instskip(SKIP_2) | instid1(VALU_DEP_1)
	s_or_b32 exec_lo, exec_lo, s34
	v_mov_b32_e32 v14, 0
	v_mov_b32_e32 v15, 0
	v_dual_mov_b32 v17, v15 :: v_dual_mov_b32 v16, v14
	s_and_saveexec_b32 s34, s41
	s_cbranch_execz .LBB694_304
; %bb.301:
	global_load_u8 v16, v[4:5], off offset:1728
	s_waitcnt vmcnt(0)
	v_and_b32_e32 v16, 1, v16
	s_delay_alu instid0(VALU_DEP_1) | instskip(SKIP_2) | instid1(VALU_DEP_3)
	v_cmp_eq_u32_e64 s0, 1, v16
	v_mov_b32_e32 v16, 0
	v_mov_b32_e32 v17, 0
	s_xor_b32 s0, s0, -1
	s_delay_alu instid0(SALU_CYCLE_1)
	s_and_saveexec_b32 s41, s0
	s_cbranch_execz .LBB694_303
; %bb.302:
	v_add_f64 v[12:13], v[12:13], -v[38:39]
	s_mov_b32 s0, 0x652b82fe
	s_mov_b32 s1, 0x3ff71547
	;; [unrolled: 1-line block ×4, first 2 shown]
	s_delay_alu instid0(VALU_DEP_1) | instskip(SKIP_2) | instid1(VALU_DEP_1)
	v_mul_f64 v[16:17], v[12:13], s[0:1]
	s_mov_b32 s0, 0xfefa39ef
	s_mov_b32 s1, 0xbfe62e42
	v_rndne_f64_e32 v[16:17], v[16:17]
	s_delay_alu instid0(VALU_DEP_1) | instskip(SKIP_3) | instid1(VALU_DEP_2)
	v_fma_f64 v[83:84], v[16:17], s[0:1], v[12:13]
	s_mov_b32 s0, 0x3b39803f
	s_mov_b32 s1, 0xbc7abc9e
	v_cvt_i32_f64_e32 v87, v[16:17]
	v_fma_f64 v[83:84], v[16:17], s[0:1], v[83:84]
	s_mov_b32 s0, 0xfca7ab0c
	s_mov_b32 s1, 0x3e928af3
	s_delay_alu instid0(VALU_DEP_1) | instid1(SALU_CYCLE_1)
	v_fma_f64 v[85:86], v[83:84], s[42:43], s[0:1]
	s_mov_b32 s0, 0x623fde64
	s_mov_b32 s1, 0x3ec71dee
	s_delay_alu instid0(VALU_DEP_1) | instid1(SALU_CYCLE_1)
	;; [unrolled: 4-line block ×9, first 2 shown]
	v_fma_f64 v[85:86], v[83:84], v[85:86], s[0:1]
	v_cmp_nlt_f64_e64 s0, 0x40900000, v[12:13]
	v_cmp_ngt_f64_e64 s1, 0xc090cc00, v[12:13]
	s_delay_alu instid0(VALU_DEP_3) | instskip(NEXT) | instid1(VALU_DEP_1)
	v_fma_f64 v[85:86], v[83:84], v[85:86], 1.0
	v_fma_f64 v[16:17], v[83:84], v[85:86], 1.0
	s_delay_alu instid0(VALU_DEP_1) | instskip(NEXT) | instid1(VALU_DEP_1)
	v_ldexp_f64 v[16:17], v[16:17], v87
	v_cndmask_b32_e64 v17, 0x7ff00000, v17, s0
	s_and_b32 s0, s1, s0
	s_delay_alu instid0(VALU_DEP_2) | instid1(SALU_CYCLE_1)
	v_cndmask_b32_e64 v16, 0, v16, s0
	s_delay_alu instid0(VALU_DEP_2) | instskip(NEXT) | instid1(VALU_DEP_1)
	v_cndmask_b32_e64 v17, 0, v17, s1
	v_add_f64 v[36:37], v[36:37], v[16:17]
.LBB694_303:
	s_or_b32 exec_lo, exec_lo, s41
.LBB694_304:
	s_delay_alu instid0(SALU_CYCLE_1)
	s_or_b32 exec_lo, exec_lo, s34
	s_and_saveexec_b32 s34, s40
	s_cbranch_execz .LBB694_308
; %bb.305:
	global_load_u8 v12, v[4:5], off offset:1792
	v_mov_b32_e32 v14, 0
	s_waitcnt vmcnt(0)
	v_dual_mov_b32 v15, 0 :: v_dual_and_b32 v12, 1, v12
	s_delay_alu instid0(VALU_DEP_1) | instskip(NEXT) | instid1(VALU_DEP_1)
	v_cmp_eq_u32_e64 s0, 1, v12
	s_xor_b32 s0, s0, -1
	s_delay_alu instid0(SALU_CYCLE_1)
	s_and_saveexec_b32 s40, s0
	s_cbranch_execz .LBB694_307
; %bb.306:
	v_add_f64 v[10:11], v[10:11], -v[38:39]
	s_mov_b32 s0, 0x652b82fe
	s_mov_b32 s1, 0x3ff71547
	;; [unrolled: 1-line block ×4, first 2 shown]
	s_delay_alu instid0(VALU_DEP_1) | instskip(SKIP_2) | instid1(VALU_DEP_1)
	v_mul_f64 v[12:13], v[10:11], s[0:1]
	s_mov_b32 s0, 0xfefa39ef
	s_mov_b32 s1, 0xbfe62e42
	v_rndne_f64_e32 v[12:13], v[12:13]
	s_delay_alu instid0(VALU_DEP_1) | instskip(SKIP_3) | instid1(VALU_DEP_2)
	v_fma_f64 v[14:15], v[12:13], s[0:1], v[10:11]
	s_mov_b32 s0, 0x3b39803f
	s_mov_b32 s1, 0xbc7abc9e
	v_cvt_i32_f64_e32 v85, v[12:13]
	v_fma_f64 v[14:15], v[12:13], s[0:1], v[14:15]
	s_mov_b32 s0, 0xfca7ab0c
	s_mov_b32 s1, 0x3e928af3
	s_delay_alu instid0(VALU_DEP_1) | instid1(SALU_CYCLE_1)
	v_fma_f64 v[83:84], v[14:15], s[42:43], s[0:1]
	s_mov_b32 s0, 0x623fde64
	s_mov_b32 s1, 0x3ec71dee
	s_delay_alu instid0(VALU_DEP_1) | instid1(SALU_CYCLE_1)
	;; [unrolled: 4-line block ×9, first 2 shown]
	v_fma_f64 v[83:84], v[14:15], v[83:84], s[0:1]
	v_cmp_nlt_f64_e64 s0, 0x40900000, v[10:11]
	v_cmp_ngt_f64_e64 s1, 0xc090cc00, v[10:11]
	s_delay_alu instid0(VALU_DEP_3) | instskip(NEXT) | instid1(VALU_DEP_1)
	v_fma_f64 v[83:84], v[14:15], v[83:84], 1.0
	v_fma_f64 v[12:13], v[14:15], v[83:84], 1.0
	s_delay_alu instid0(VALU_DEP_1) | instskip(NEXT) | instid1(VALU_DEP_1)
	v_ldexp_f64 v[12:13], v[12:13], v85
	v_cndmask_b32_e64 v13, 0x7ff00000, v13, s0
	s_and_b32 s0, s1, s0
	s_delay_alu instid0(VALU_DEP_2) | instid1(SALU_CYCLE_1)
	v_cndmask_b32_e64 v14, 0, v12, s0
	s_delay_alu instid0(VALU_DEP_2) | instskip(NEXT) | instid1(VALU_DEP_1)
	v_cndmask_b32_e64 v15, 0, v13, s1
	v_add_f64 v[36:37], v[36:37], v[14:15]
.LBB694_307:
	s_or_b32 exec_lo, exec_lo, s40
.LBB694_308:
	s_delay_alu instid0(SALU_CYCLE_1) | instskip(SKIP_2) | instid1(VALU_DEP_1)
	s_or_b32 exec_lo, exec_lo, s34
	v_mov_b32_e32 v10, 0
	v_mov_b32_e32 v11, 0
	v_dual_mov_b32 v13, v11 :: v_dual_mov_b32 v12, v10
	s_and_saveexec_b32 s34, s39
	s_cbranch_execz .LBB694_312
; %bb.309:
	global_load_u8 v12, v[4:5], off offset:1856
	s_waitcnt vmcnt(0)
	v_and_b32_e32 v12, 1, v12
	s_delay_alu instid0(VALU_DEP_1) | instskip(SKIP_2) | instid1(VALU_DEP_3)
	v_cmp_eq_u32_e64 s0, 1, v12
	v_mov_b32_e32 v12, 0
	v_mov_b32_e32 v13, 0
	s_xor_b32 s0, s0, -1
	s_delay_alu instid0(SALU_CYCLE_1)
	s_and_saveexec_b32 s39, s0
	s_cbranch_execz .LBB694_311
; %bb.310:
	v_add_f64 v[8:9], v[8:9], -v[38:39]
	s_mov_b32 s0, 0x652b82fe
	s_mov_b32 s1, 0x3ff71547
	s_mov_b32 s40, 0x6a5dcb37
	s_mov_b32 s41, 0x3e5ade15
	s_delay_alu instid0(VALU_DEP_1) | instskip(SKIP_2) | instid1(VALU_DEP_1)
	v_mul_f64 v[12:13], v[8:9], s[0:1]
	s_mov_b32 s0, 0xfefa39ef
	s_mov_b32 s1, 0xbfe62e42
	v_rndne_f64_e32 v[12:13], v[12:13]
	s_delay_alu instid0(VALU_DEP_1) | instskip(SKIP_3) | instid1(VALU_DEP_2)
	v_fma_f64 v[83:84], v[12:13], s[0:1], v[8:9]
	s_mov_b32 s0, 0x3b39803f
	s_mov_b32 s1, 0xbc7abc9e
	v_cvt_i32_f64_e32 v87, v[12:13]
	v_fma_f64 v[83:84], v[12:13], s[0:1], v[83:84]
	s_mov_b32 s0, 0xfca7ab0c
	s_mov_b32 s1, 0x3e928af3
	s_delay_alu instid0(VALU_DEP_1) | instid1(SALU_CYCLE_1)
	v_fma_f64 v[85:86], v[83:84], s[40:41], s[0:1]
	s_mov_b32 s0, 0x623fde64
	s_mov_b32 s1, 0x3ec71dee
	s_delay_alu instid0(VALU_DEP_1) | instid1(SALU_CYCLE_1)
	;; [unrolled: 4-line block ×9, first 2 shown]
	v_fma_f64 v[85:86], v[83:84], v[85:86], s[0:1]
	v_cmp_nlt_f64_e64 s0, 0x40900000, v[8:9]
	v_cmp_ngt_f64_e64 s1, 0xc090cc00, v[8:9]
	s_delay_alu instid0(VALU_DEP_3) | instskip(NEXT) | instid1(VALU_DEP_1)
	v_fma_f64 v[85:86], v[83:84], v[85:86], 1.0
	v_fma_f64 v[12:13], v[83:84], v[85:86], 1.0
	s_delay_alu instid0(VALU_DEP_1) | instskip(NEXT) | instid1(VALU_DEP_1)
	v_ldexp_f64 v[12:13], v[12:13], v87
	v_cndmask_b32_e64 v13, 0x7ff00000, v13, s0
	s_and_b32 s0, s1, s0
	s_delay_alu instid0(VALU_DEP_2) | instid1(SALU_CYCLE_1)
	v_cndmask_b32_e64 v12, 0, v12, s0
	s_delay_alu instid0(VALU_DEP_2) | instskip(NEXT) | instid1(VALU_DEP_1)
	v_cndmask_b32_e64 v13, 0, v13, s1
	v_add_f64 v[36:37], v[36:37], v[12:13]
.LBB694_311:
	s_or_b32 exec_lo, exec_lo, s39
.LBB694_312:
	s_delay_alu instid0(SALU_CYCLE_1)
	s_or_b32 exec_lo, exec_lo, s34
	s_and_saveexec_b32 s34, s38
	s_cbranch_execz .LBB694_316
; %bb.313:
	global_load_u8 v8, v[4:5], off offset:1920
	v_mov_b32_e32 v10, 0
	s_waitcnt vmcnt(0)
	v_dual_mov_b32 v11, 0 :: v_dual_and_b32 v8, 1, v8
	s_delay_alu instid0(VALU_DEP_1) | instskip(NEXT) | instid1(VALU_DEP_1)
	v_cmp_eq_u32_e64 s0, 1, v8
	s_xor_b32 s0, s0, -1
	s_delay_alu instid0(SALU_CYCLE_1)
	s_and_saveexec_b32 s38, s0
	s_cbranch_execz .LBB694_315
; %bb.314:
	v_add_f64 v[6:7], v[6:7], -v[38:39]
	s_mov_b32 s0, 0x652b82fe
	s_mov_b32 s1, 0x3ff71547
	;; [unrolled: 1-line block ×4, first 2 shown]
	s_delay_alu instid0(VALU_DEP_1) | instskip(SKIP_2) | instid1(VALU_DEP_1)
	v_mul_f64 v[8:9], v[6:7], s[0:1]
	s_mov_b32 s0, 0xfefa39ef
	s_mov_b32 s1, 0xbfe62e42
	v_rndne_f64_e32 v[8:9], v[8:9]
	s_delay_alu instid0(VALU_DEP_1) | instskip(SKIP_3) | instid1(VALU_DEP_2)
	v_fma_f64 v[10:11], v[8:9], s[0:1], v[6:7]
	s_mov_b32 s0, 0x3b39803f
	s_mov_b32 s1, 0xbc7abc9e
	v_cvt_i32_f64_e32 v85, v[8:9]
	v_fma_f64 v[10:11], v[8:9], s[0:1], v[10:11]
	s_mov_b32 s0, 0xfca7ab0c
	s_mov_b32 s1, 0x3e928af3
	s_delay_alu instid0(VALU_DEP_1) | instid1(SALU_CYCLE_1)
	v_fma_f64 v[83:84], v[10:11], s[40:41], s[0:1]
	s_mov_b32 s0, 0x623fde64
	s_mov_b32 s1, 0x3ec71dee
	s_delay_alu instid0(VALU_DEP_1) | instid1(SALU_CYCLE_1)
	;; [unrolled: 4-line block ×9, first 2 shown]
	v_fma_f64 v[83:84], v[10:11], v[83:84], s[0:1]
	v_cmp_nlt_f64_e64 s0, 0x40900000, v[6:7]
	v_cmp_ngt_f64_e64 s1, 0xc090cc00, v[6:7]
	s_delay_alu instid0(VALU_DEP_3) | instskip(NEXT) | instid1(VALU_DEP_1)
	v_fma_f64 v[83:84], v[10:11], v[83:84], 1.0
	v_fma_f64 v[8:9], v[10:11], v[83:84], 1.0
	s_delay_alu instid0(VALU_DEP_1) | instskip(NEXT) | instid1(VALU_DEP_1)
	v_ldexp_f64 v[8:9], v[8:9], v85
	v_cndmask_b32_e64 v9, 0x7ff00000, v9, s0
	s_and_b32 s0, s1, s0
	s_delay_alu instid0(VALU_DEP_2) | instid1(SALU_CYCLE_1)
	v_cndmask_b32_e64 v10, 0, v8, s0
	s_delay_alu instid0(VALU_DEP_2) | instskip(NEXT) | instid1(VALU_DEP_1)
	v_cndmask_b32_e64 v11, 0, v9, s1
	v_add_f64 v[36:37], v[36:37], v[10:11]
.LBB694_315:
	s_or_b32 exec_lo, exec_lo, s38
.LBB694_316:
	s_delay_alu instid0(SALU_CYCLE_1)
	s_or_b32 exec_lo, exec_lo, s34
	v_mov_b32_e32 v6, 0
	v_mov_b32_e32 v7, 0
	s_and_saveexec_b32 s34, s35
	s_cbranch_execz .LBB694_320
; %bb.317:
	global_load_u8 v4, v[4:5], off offset:1984
	v_mov_b32_e32 v6, 0
	s_waitcnt vmcnt(0)
	v_dual_mov_b32 v7, 0 :: v_dual_and_b32 v4, 1, v4
	s_delay_alu instid0(VALU_DEP_1) | instskip(NEXT) | instid1(VALU_DEP_1)
	v_cmp_eq_u32_e64 s0, 1, v4
	s_xor_b32 s0, s0, -1
	s_delay_alu instid0(SALU_CYCLE_1)
	s_and_saveexec_b32 s35, s0
	s_cbranch_execz .LBB694_319
; %bb.318:
	v_add_f64 v[2:3], v[2:3], -v[38:39]
	s_mov_b32 s0, 0x652b82fe
	s_mov_b32 s1, 0x3ff71547
	;; [unrolled: 1-line block ×4, first 2 shown]
	s_delay_alu instid0(VALU_DEP_1) | instskip(SKIP_2) | instid1(VALU_DEP_1)
	v_mul_f64 v[4:5], v[2:3], s[0:1]
	s_mov_b32 s0, 0xfefa39ef
	s_mov_b32 s1, 0xbfe62e42
	v_rndne_f64_e32 v[4:5], v[4:5]
	s_delay_alu instid0(VALU_DEP_1) | instskip(SKIP_3) | instid1(VALU_DEP_2)
	v_fma_f64 v[6:7], v[4:5], s[0:1], v[2:3]
	s_mov_b32 s0, 0x3b39803f
	s_mov_b32 s1, 0xbc7abc9e
	v_cvt_i32_f64_e32 v38, v[4:5]
	v_fma_f64 v[6:7], v[4:5], s[0:1], v[6:7]
	s_mov_b32 s0, 0xfca7ab0c
	s_mov_b32 s1, 0x3e928af3
	s_delay_alu instid0(VALU_DEP_1) | instid1(SALU_CYCLE_1)
	v_fma_f64 v[8:9], v[6:7], s[38:39], s[0:1]
	s_mov_b32 s0, 0x623fde64
	s_mov_b32 s1, 0x3ec71dee
	s_delay_alu instid0(VALU_DEP_1) | instid1(SALU_CYCLE_1)
	;; [unrolled: 4-line block ×9, first 2 shown]
	v_fma_f64 v[8:9], v[6:7], v[8:9], s[0:1]
	v_cmp_nlt_f64_e64 s0, 0x40900000, v[2:3]
	v_cmp_ngt_f64_e64 s1, 0xc090cc00, v[2:3]
	s_delay_alu instid0(VALU_DEP_3) | instskip(NEXT) | instid1(VALU_DEP_1)
	v_fma_f64 v[8:9], v[6:7], v[8:9], 1.0
	v_fma_f64 v[4:5], v[6:7], v[8:9], 1.0
	s_delay_alu instid0(VALU_DEP_1) | instskip(NEXT) | instid1(VALU_DEP_1)
	v_ldexp_f64 v[4:5], v[4:5], v38
	v_cndmask_b32_e64 v5, 0x7ff00000, v5, s0
	s_and_b32 s0, s1, s0
	s_delay_alu instid0(VALU_DEP_2) | instid1(SALU_CYCLE_1)
	v_cndmask_b32_e64 v6, 0, v4, s0
	s_delay_alu instid0(VALU_DEP_2) | instskip(NEXT) | instid1(VALU_DEP_1)
	v_cndmask_b32_e64 v7, 0, v5, s1
	v_add_f64 v[36:37], v[36:37], v[6:7]
.LBB694_319:
	s_or_b32 exec_lo, exec_lo, s35
.LBB694_320:
	s_delay_alu instid0(SALU_CYCLE_1)
	s_or_b32 exec_lo, exec_lo, s34
	ds_bpermute_b32 v2, v77, v36
	ds_bpermute_b32 v3, v77, v37
	s_mov_b32 s1, exec_lo
	s_waitcnt lgkmcnt(0)
	v_add_f64 v[2:3], v[36:37], v[2:3]
	ds_bpermute_b32 v4, v78, v2
	ds_bpermute_b32 v5, v78, v3
	s_waitcnt lgkmcnt(0)
	v_add_f64 v[2:3], v[2:3], v[4:5]
	ds_bpermute_b32 v4, v79, v2
	ds_bpermute_b32 v5, v79, v3
	;; [unrolled: 4-line block ×5, first 2 shown]
	v_cmpx_lt_i32_e32 0, v76
	s_cbranch_execz .LBB694_354
; %bb.321:
	s_and_b32 exec_lo, exec_lo, vcc_lo
	s_cbranch_execz .LBB694_354
; %bb.322:
	s_waitcnt lgkmcnt(0)
	v_add_f64 v[2:3], v[2:3], v[4:5]
	s_delay_alu instid0(VALU_DEP_1) | instskip(SKIP_2) | instid1(VALU_DEP_3)
	v_div_scale_f64 v[4:5], null, v[2:3], v[2:3], v[32:33]
	v_div_scale_f64 v[38:39], vcc_lo, v[32:33], v[2:3], v[32:33]
	v_cmp_eq_f64_e64 s0, 0, v[2:3]
	v_rcp_f64_e32 v[8:9], v[4:5]
	s_waitcnt_depctr 0xfff
	v_fma_f64 v[36:37], -v[4:5], v[8:9], 1.0
	s_delay_alu instid0(VALU_DEP_1) | instskip(NEXT) | instid1(VALU_DEP_1)
	v_fma_f64 v[8:9], v[8:9], v[36:37], v[8:9]
	v_fma_f64 v[36:37], -v[4:5], v[8:9], 1.0
	s_delay_alu instid0(VALU_DEP_1) | instskip(NEXT) | instid1(VALU_DEP_1)
	v_fma_f64 v[8:9], v[8:9], v[36:37], v[8:9]
	v_mul_f64 v[36:37], v[38:39], v[8:9]
	s_delay_alu instid0(VALU_DEP_1) | instskip(NEXT) | instid1(VALU_DEP_1)
	v_fma_f64 v[4:5], -v[4:5], v[36:37], v[38:39]
	v_div_fmas_f64 v[4:5], v[4:5], v[8:9], v[36:37]
	v_add_co_u32 v0, vcc_lo, s36, v0
	v_add_co_ci_u32_e32 v1, vcc_lo, s37, v1, vcc_lo
	s_delay_alu instid0(VALU_DEP_3) | instskip(NEXT) | instid1(VALU_DEP_1)
	v_div_fixup_f64 v[4:5], v[4:5], v[2:3], v[32:33]
	v_cndmask_b32_e64 v5, v5, 0x7ff80000, s0
	s_delay_alu instid0(VALU_DEP_2)
	v_cndmask_b32_e64 v4, v4, 0, s0
	global_store_b64 v[0:1], v[4:5], off
	s_and_b32 exec_lo, exec_lo, s33
	s_cbranch_execz .LBB694_354
; %bb.323:
	v_div_scale_f64 v[4:5], null, v[2:3], v[2:3], v[40:41]
	v_div_scale_f64 v[36:37], vcc_lo, v[40:41], v[2:3], v[40:41]
	s_delay_alu instid0(VALU_DEP_2) | instskip(SKIP_2) | instid1(VALU_DEP_1)
	v_rcp_f64_e32 v[8:9], v[4:5]
	s_waitcnt_depctr 0xfff
	v_fma_f64 v[32:33], -v[4:5], v[8:9], 1.0
	v_fma_f64 v[8:9], v[8:9], v[32:33], v[8:9]
	s_delay_alu instid0(VALU_DEP_1) | instskip(NEXT) | instid1(VALU_DEP_1)
	v_fma_f64 v[32:33], -v[4:5], v[8:9], 1.0
	v_fma_f64 v[8:9], v[8:9], v[32:33], v[8:9]
	s_delay_alu instid0(VALU_DEP_1) | instskip(NEXT) | instid1(VALU_DEP_1)
	v_mul_f64 v[32:33], v[36:37], v[8:9]
	v_fma_f64 v[4:5], -v[4:5], v[32:33], v[36:37]
	s_delay_alu instid0(VALU_DEP_1) | instskip(NEXT) | instid1(VALU_DEP_1)
	v_div_fmas_f64 v[4:5], v[4:5], v[8:9], v[32:33]
	v_div_fixup_f64 v[4:5], v[4:5], v[2:3], v[40:41]
	s_delay_alu instid0(VALU_DEP_1) | instskip(NEXT) | instid1(VALU_DEP_2)
	v_cndmask_b32_e64 v5, v5, 0x7ff80000, s0
	v_cndmask_b32_e64 v4, v4, 0, s0
	global_store_b64 v[0:1], v[4:5], off offset:512
	s_and_b32 exec_lo, exec_lo, s31
	s_cbranch_execz .LBB694_354
; %bb.324:
	v_div_scale_f64 v[4:5], null, v[2:3], v[2:3], v[30:31]
	v_div_scale_f64 v[36:37], vcc_lo, v[30:31], v[2:3], v[30:31]
	s_delay_alu instid0(VALU_DEP_2) | instskip(SKIP_2) | instid1(VALU_DEP_1)
	v_rcp_f64_e32 v[8:9], v[4:5]
	s_waitcnt_depctr 0xfff
	v_fma_f64 v[32:33], -v[4:5], v[8:9], 1.0
	v_fma_f64 v[8:9], v[8:9], v[32:33], v[8:9]
	s_delay_alu instid0(VALU_DEP_1) | instskip(NEXT) | instid1(VALU_DEP_1)
	v_fma_f64 v[32:33], -v[4:5], v[8:9], 1.0
	v_fma_f64 v[8:9], v[8:9], v[32:33], v[8:9]
	s_delay_alu instid0(VALU_DEP_1) | instskip(NEXT) | instid1(VALU_DEP_1)
	v_mul_f64 v[32:33], v[36:37], v[8:9]
	v_fma_f64 v[4:5], -v[4:5], v[32:33], v[36:37]
	s_delay_alu instid0(VALU_DEP_1) | instskip(NEXT) | instid1(VALU_DEP_1)
	v_div_fmas_f64 v[4:5], v[4:5], v[8:9], v[32:33]
	v_div_fixup_f64 v[4:5], v[4:5], v[2:3], v[30:31]
	s_delay_alu instid0(VALU_DEP_1) | instskip(NEXT) | instid1(VALU_DEP_2)
	v_cndmask_b32_e64 v5, v5, 0x7ff80000, s0
	v_cndmask_b32_e64 v4, v4, 0, s0
	global_store_b64 v[0:1], v[4:5], off offset:1024
	;; [unrolled: 23-line block ×7, first 2 shown]
	s_and_b32 exec_lo, exec_lo, s25
	s_cbranch_execz .LBB694_354
; %bb.330:
	v_div_scale_f64 v[4:5], null, v[2:3], v[2:3], v[62:63]
	v_div_scale_f64 v[32:33], vcc_lo, v[62:63], v[2:3], v[62:63]
	s_delay_alu instid0(VALU_DEP_2) | instskip(SKIP_2) | instid1(VALU_DEP_1)
	v_rcp_f64_e32 v[8:9], v[4:5]
	s_waitcnt_depctr 0xfff
	v_fma_f64 v[30:31], -v[4:5], v[8:9], 1.0
	v_fma_f64 v[8:9], v[8:9], v[30:31], v[8:9]
	s_delay_alu instid0(VALU_DEP_1) | instskip(NEXT) | instid1(VALU_DEP_1)
	v_fma_f64 v[30:31], -v[4:5], v[8:9], 1.0
	v_fma_f64 v[8:9], v[8:9], v[30:31], v[8:9]
	s_delay_alu instid0(VALU_DEP_1) | instskip(NEXT) | instid1(VALU_DEP_1)
	v_mul_f64 v[30:31], v[32:33], v[8:9]
	v_fma_f64 v[4:5], -v[4:5], v[30:31], v[32:33]
	s_delay_alu instid0(VALU_DEP_1) | instskip(NEXT) | instid1(VALU_DEP_1)
	v_div_fmas_f64 v[4:5], v[4:5], v[8:9], v[30:31]
	v_div_fixup_f64 v[4:5], v[4:5], v[2:3], v[62:63]
	s_delay_alu instid0(VALU_DEP_1) | instskip(SKIP_1) | instid1(VALU_DEP_3)
	v_cndmask_b32_e64 v8, v4, 0, s0
	v_add_co_u32 v4, vcc_lo, 0x1000, v0
	v_cndmask_b32_e64 v9, v5, 0x7ff80000, s0
	v_add_co_ci_u32_e32 v5, vcc_lo, 0, v1, vcc_lo
	global_store_b64 v[4:5], v[8:9], off
	s_and_b32 exec_lo, exec_lo, s24
	s_cbranch_execz .LBB694_354
; %bb.331:
	v_div_scale_f64 v[8:9], null, v[2:3], v[2:3], v[72:73]
	v_div_scale_f64 v[36:37], vcc_lo, v[72:73], v[2:3], v[72:73]
	s_delay_alu instid0(VALU_DEP_2) | instskip(SKIP_2) | instid1(VALU_DEP_1)
	v_rcp_f64_e32 v[30:31], v[8:9]
	s_waitcnt_depctr 0xfff
	v_fma_f64 v[32:33], -v[8:9], v[30:31], 1.0
	v_fma_f64 v[30:31], v[30:31], v[32:33], v[30:31]
	s_delay_alu instid0(VALU_DEP_1) | instskip(NEXT) | instid1(VALU_DEP_1)
	v_fma_f64 v[32:33], -v[8:9], v[30:31], 1.0
	v_fma_f64 v[30:31], v[30:31], v[32:33], v[30:31]
	s_delay_alu instid0(VALU_DEP_1) | instskip(NEXT) | instid1(VALU_DEP_1)
	v_mul_f64 v[32:33], v[36:37], v[30:31]
	v_fma_f64 v[8:9], -v[8:9], v[32:33], v[36:37]
	s_delay_alu instid0(VALU_DEP_1) | instskip(NEXT) | instid1(VALU_DEP_1)
	v_div_fmas_f64 v[8:9], v[8:9], v[30:31], v[32:33]
	v_div_fixup_f64 v[8:9], v[8:9], v[2:3], v[72:73]
	s_delay_alu instid0(VALU_DEP_1) | instskip(NEXT) | instid1(VALU_DEP_2)
	v_cndmask_b32_e64 v9, v9, 0x7ff80000, s0
	v_cndmask_b32_e64 v8, v8, 0, s0
	global_store_b64 v[4:5], v[8:9], off offset:512
	s_and_b32 exec_lo, exec_lo, s23
	s_cbranch_execz .LBB694_354
; %bb.332:
	v_div_scale_f64 v[8:9], null, v[2:3], v[2:3], v[70:71]
	v_div_scale_f64 v[36:37], vcc_lo, v[70:71], v[2:3], v[70:71]
	s_delay_alu instid0(VALU_DEP_2) | instskip(SKIP_2) | instid1(VALU_DEP_1)
	v_rcp_f64_e32 v[30:31], v[8:9]
	s_waitcnt_depctr 0xfff
	v_fma_f64 v[32:33], -v[8:9], v[30:31], 1.0
	v_fma_f64 v[30:31], v[30:31], v[32:33], v[30:31]
	s_delay_alu instid0(VALU_DEP_1) | instskip(NEXT) | instid1(VALU_DEP_1)
	v_fma_f64 v[32:33], -v[8:9], v[30:31], 1.0
	v_fma_f64 v[30:31], v[30:31], v[32:33], v[30:31]
	s_delay_alu instid0(VALU_DEP_1) | instskip(NEXT) | instid1(VALU_DEP_1)
	v_mul_f64 v[32:33], v[36:37], v[30:31]
	v_fma_f64 v[8:9], -v[8:9], v[32:33], v[36:37]
	s_delay_alu instid0(VALU_DEP_1) | instskip(NEXT) | instid1(VALU_DEP_1)
	v_div_fmas_f64 v[8:9], v[8:9], v[30:31], v[32:33]
	v_div_fixup_f64 v[8:9], v[8:9], v[2:3], v[70:71]
	s_delay_alu instid0(VALU_DEP_1) | instskip(NEXT) | instid1(VALU_DEP_2)
	v_cndmask_b32_e64 v9, v9, 0x7ff80000, s0
	v_cndmask_b32_e64 v8, v8, 0, s0
	global_store_b64 v[4:5], v[8:9], off offset:1024
	;; [unrolled: 23-line block ×7, first 2 shown]
	s_and_b32 exec_lo, exec_lo, s17
	s_cbranch_execz .LBB694_354
; %bb.338:
	v_div_scale_f64 v[4:5], null, v[2:3], v[2:3], v[52:53]
	v_div_scale_f64 v[32:33], vcc_lo, v[52:53], v[2:3], v[52:53]
	s_delay_alu instid0(VALU_DEP_2) | instskip(SKIP_2) | instid1(VALU_DEP_1)
	v_rcp_f64_e32 v[8:9], v[4:5]
	s_waitcnt_depctr 0xfff
	v_fma_f64 v[30:31], -v[4:5], v[8:9], 1.0
	v_fma_f64 v[8:9], v[8:9], v[30:31], v[8:9]
	s_delay_alu instid0(VALU_DEP_1) | instskip(NEXT) | instid1(VALU_DEP_1)
	v_fma_f64 v[30:31], -v[4:5], v[8:9], 1.0
	v_fma_f64 v[8:9], v[8:9], v[30:31], v[8:9]
	s_delay_alu instid0(VALU_DEP_1) | instskip(NEXT) | instid1(VALU_DEP_1)
	v_mul_f64 v[30:31], v[32:33], v[8:9]
	v_fma_f64 v[4:5], -v[4:5], v[30:31], v[32:33]
	s_delay_alu instid0(VALU_DEP_1) | instskip(NEXT) | instid1(VALU_DEP_1)
	v_div_fmas_f64 v[4:5], v[4:5], v[8:9], v[30:31]
	v_div_fixup_f64 v[4:5], v[4:5], v[2:3], v[52:53]
	s_delay_alu instid0(VALU_DEP_1) | instskip(SKIP_1) | instid1(VALU_DEP_3)
	v_cndmask_b32_e64 v8, v4, 0, s0
	v_add_co_u32 v4, vcc_lo, 0x2000, v0
	v_cndmask_b32_e64 v9, v5, 0x7ff80000, s0
	v_add_co_ci_u32_e32 v5, vcc_lo, 0, v1, vcc_lo
	global_store_b64 v[4:5], v[8:9], off
	s_and_b32 exec_lo, exec_lo, s16
	s_cbranch_execz .LBB694_354
; %bb.339:
	v_div_scale_f64 v[8:9], null, v[2:3], v[2:3], v[50:51]
	v_div_scale_f64 v[36:37], vcc_lo, v[50:51], v[2:3], v[50:51]
	s_delay_alu instid0(VALU_DEP_2) | instskip(SKIP_2) | instid1(VALU_DEP_1)
	v_rcp_f64_e32 v[30:31], v[8:9]
	s_waitcnt_depctr 0xfff
	v_fma_f64 v[32:33], -v[8:9], v[30:31], 1.0
	v_fma_f64 v[30:31], v[30:31], v[32:33], v[30:31]
	s_delay_alu instid0(VALU_DEP_1) | instskip(NEXT) | instid1(VALU_DEP_1)
	v_fma_f64 v[32:33], -v[8:9], v[30:31], 1.0
	v_fma_f64 v[30:31], v[30:31], v[32:33], v[30:31]
	s_delay_alu instid0(VALU_DEP_1) | instskip(NEXT) | instid1(VALU_DEP_1)
	v_mul_f64 v[32:33], v[36:37], v[30:31]
	v_fma_f64 v[8:9], -v[8:9], v[32:33], v[36:37]
	s_delay_alu instid0(VALU_DEP_1) | instskip(NEXT) | instid1(VALU_DEP_1)
	v_div_fmas_f64 v[8:9], v[8:9], v[30:31], v[32:33]
	v_div_fixup_f64 v[8:9], v[8:9], v[2:3], v[50:51]
	s_delay_alu instid0(VALU_DEP_1) | instskip(NEXT) | instid1(VALU_DEP_2)
	v_cndmask_b32_e64 v9, v9, 0x7ff80000, s0
	v_cndmask_b32_e64 v8, v8, 0, s0
	global_store_b64 v[4:5], v[8:9], off offset:512
	s_and_b32 exec_lo, exec_lo, s15
	s_cbranch_execz .LBB694_354
; %bb.340:
	v_div_scale_f64 v[8:9], null, v[2:3], v[2:3], v[44:45]
	v_div_scale_f64 v[36:37], vcc_lo, v[44:45], v[2:3], v[44:45]
	s_delay_alu instid0(VALU_DEP_2) | instskip(SKIP_2) | instid1(VALU_DEP_1)
	v_rcp_f64_e32 v[30:31], v[8:9]
	s_waitcnt_depctr 0xfff
	v_fma_f64 v[32:33], -v[8:9], v[30:31], 1.0
	v_fma_f64 v[30:31], v[30:31], v[32:33], v[30:31]
	s_delay_alu instid0(VALU_DEP_1) | instskip(NEXT) | instid1(VALU_DEP_1)
	v_fma_f64 v[32:33], -v[8:9], v[30:31], 1.0
	v_fma_f64 v[30:31], v[30:31], v[32:33], v[30:31]
	s_delay_alu instid0(VALU_DEP_1) | instskip(NEXT) | instid1(VALU_DEP_1)
	v_mul_f64 v[32:33], v[36:37], v[30:31]
	v_fma_f64 v[8:9], -v[8:9], v[32:33], v[36:37]
	s_delay_alu instid0(VALU_DEP_1) | instskip(NEXT) | instid1(VALU_DEP_1)
	v_div_fmas_f64 v[8:9], v[8:9], v[30:31], v[32:33]
	v_div_fixup_f64 v[8:9], v[8:9], v[2:3], v[44:45]
	s_delay_alu instid0(VALU_DEP_1) | instskip(NEXT) | instid1(VALU_DEP_2)
	v_cndmask_b32_e64 v9, v9, 0x7ff80000, s0
	v_cndmask_b32_e64 v8, v8, 0, s0
	global_store_b64 v[4:5], v[8:9], off offset:1024
	;; [unrolled: 23-line block ×7, first 2 shown]
	s_and_b32 exec_lo, exec_lo, s9
	s_cbranch_execz .LBB694_354
; %bb.346:
	v_div_scale_f64 v[4:5], null, v[2:3], v[2:3], v[22:23]
	v_div_scale_f64 v[26:27], vcc_lo, v[22:23], v[2:3], v[22:23]
	s_delay_alu instid0(VALU_DEP_2) | instskip(SKIP_2) | instid1(VALU_DEP_1)
	v_rcp_f64_e32 v[8:9], v[4:5]
	s_waitcnt_depctr 0xfff
	v_fma_f64 v[24:25], -v[4:5], v[8:9], 1.0
	v_fma_f64 v[8:9], v[8:9], v[24:25], v[8:9]
	s_delay_alu instid0(VALU_DEP_1) | instskip(NEXT) | instid1(VALU_DEP_1)
	v_fma_f64 v[24:25], -v[4:5], v[8:9], 1.0
	v_fma_f64 v[8:9], v[8:9], v[24:25], v[8:9]
	s_delay_alu instid0(VALU_DEP_1) | instskip(NEXT) | instid1(VALU_DEP_1)
	v_mul_f64 v[24:25], v[26:27], v[8:9]
	v_fma_f64 v[4:5], -v[4:5], v[24:25], v[26:27]
	s_delay_alu instid0(VALU_DEP_1) | instskip(SKIP_2) | instid1(VALU_DEP_3)
	v_div_fmas_f64 v[4:5], v[4:5], v[8:9], v[24:25]
	v_add_co_u32 v0, vcc_lo, 0x3000, v0
	v_add_co_ci_u32_e32 v1, vcc_lo, 0, v1, vcc_lo
	v_div_fixup_f64 v[4:5], v[4:5], v[2:3], v[22:23]
	s_delay_alu instid0(VALU_DEP_1) | instskip(NEXT) | instid1(VALU_DEP_2)
	v_cndmask_b32_e64 v5, v5, 0x7ff80000, s0
	v_cndmask_b32_e64 v4, v4, 0, s0
	global_store_b64 v[0:1], v[4:5], off
	s_and_b32 exec_lo, exec_lo, s8
	s_cbranch_execz .LBB694_354
; %bb.347:
	v_div_scale_f64 v[4:5], null, v[2:3], v[2:3], v[20:21]
	v_div_scale_f64 v[24:25], vcc_lo, v[20:21], v[2:3], v[20:21]
	s_delay_alu instid0(VALU_DEP_2) | instskip(SKIP_2) | instid1(VALU_DEP_1)
	v_rcp_f64_e32 v[8:9], v[4:5]
	s_waitcnt_depctr 0xfff
	v_fma_f64 v[22:23], -v[4:5], v[8:9], 1.0
	v_fma_f64 v[8:9], v[8:9], v[22:23], v[8:9]
	s_delay_alu instid0(VALU_DEP_1) | instskip(NEXT) | instid1(VALU_DEP_1)
	v_fma_f64 v[22:23], -v[4:5], v[8:9], 1.0
	v_fma_f64 v[8:9], v[8:9], v[22:23], v[8:9]
	s_delay_alu instid0(VALU_DEP_1) | instskip(NEXT) | instid1(VALU_DEP_1)
	v_mul_f64 v[22:23], v[24:25], v[8:9]
	v_fma_f64 v[4:5], -v[4:5], v[22:23], v[24:25]
	s_delay_alu instid0(VALU_DEP_1) | instskip(NEXT) | instid1(VALU_DEP_1)
	v_div_fmas_f64 v[4:5], v[4:5], v[8:9], v[22:23]
	v_div_fixup_f64 v[4:5], v[4:5], v[2:3], v[20:21]
	s_delay_alu instid0(VALU_DEP_1) | instskip(NEXT) | instid1(VALU_DEP_2)
	v_cndmask_b32_e64 v5, v5, 0x7ff80000, s0
	v_cndmask_b32_e64 v4, v4, 0, s0
	global_store_b64 v[0:1], v[4:5], off offset:512
	s_and_b32 exec_lo, exec_lo, s7
	s_cbranch_execz .LBB694_354
; %bb.348:
	v_div_scale_f64 v[4:5], null, v[2:3], v[2:3], v[18:19]
	v_div_scale_f64 v[22:23], vcc_lo, v[18:19], v[2:3], v[18:19]
	s_delay_alu instid0(VALU_DEP_2) | instskip(SKIP_2) | instid1(VALU_DEP_1)
	v_rcp_f64_e32 v[8:9], v[4:5]
	s_waitcnt_depctr 0xfff
	v_fma_f64 v[20:21], -v[4:5], v[8:9], 1.0
	v_fma_f64 v[8:9], v[8:9], v[20:21], v[8:9]
	s_delay_alu instid0(VALU_DEP_1) | instskip(NEXT) | instid1(VALU_DEP_1)
	v_fma_f64 v[20:21], -v[4:5], v[8:9], 1.0
	v_fma_f64 v[8:9], v[8:9], v[20:21], v[8:9]
	s_delay_alu instid0(VALU_DEP_1) | instskip(NEXT) | instid1(VALU_DEP_1)
	v_mul_f64 v[20:21], v[22:23], v[8:9]
	v_fma_f64 v[4:5], -v[4:5], v[20:21], v[22:23]
	s_delay_alu instid0(VALU_DEP_1) | instskip(NEXT) | instid1(VALU_DEP_1)
	v_div_fmas_f64 v[4:5], v[4:5], v[8:9], v[20:21]
	v_div_fixup_f64 v[4:5], v[4:5], v[2:3], v[18:19]
	s_delay_alu instid0(VALU_DEP_1) | instskip(NEXT) | instid1(VALU_DEP_2)
	v_cndmask_b32_e64 v5, v5, 0x7ff80000, s0
	v_cndmask_b32_e64 v4, v4, 0, s0
	global_store_b64 v[0:1], v[4:5], off offset:1024
	;; [unrolled: 23-line block ×7, first 2 shown]
.LBB694_354:
	s_nop 0
	s_sendmsg sendmsg(MSG_DEALLOC_VGPRS)
	s_endpgm
	.section	.rodata,"a",@progbits
	.p2align	6, 0x0
	.amdhsa_kernel _ZN12_GLOBAL__N_120softmax_warp_forwardIdddLi11ELb0ELb1ELi64EEEvPT0_PKT_iiiPKbib
		.amdhsa_group_segment_fixed_size 0
		.amdhsa_private_segment_fixed_size 0
		.amdhsa_kernarg_size 304
		.amdhsa_user_sgpr_count 15
		.amdhsa_user_sgpr_dispatch_ptr 0
		.amdhsa_user_sgpr_queue_ptr 0
		.amdhsa_user_sgpr_kernarg_segment_ptr 1
		.amdhsa_user_sgpr_dispatch_id 0
		.amdhsa_user_sgpr_private_segment_size 0
		.amdhsa_wavefront_size32 1
		.amdhsa_uses_dynamic_stack 0
		.amdhsa_enable_private_segment 0
		.amdhsa_system_sgpr_workgroup_id_x 1
		.amdhsa_system_sgpr_workgroup_id_y 0
		.amdhsa_system_sgpr_workgroup_id_z 0
		.amdhsa_system_sgpr_workgroup_info 0
		.amdhsa_system_vgpr_workitem_id 1
		.amdhsa_next_free_vgpr 88
		.amdhsa_next_free_sgpr 72
		.amdhsa_reserve_vcc 1
		.amdhsa_float_round_mode_32 0
		.amdhsa_float_round_mode_16_64 0
		.amdhsa_float_denorm_mode_32 3
		.amdhsa_float_denorm_mode_16_64 3
		.amdhsa_dx10_clamp 1
		.amdhsa_ieee_mode 1
		.amdhsa_fp16_overflow 0
		.amdhsa_workgroup_processor_mode 1
		.amdhsa_memory_ordered 1
		.amdhsa_forward_progress 0
		.amdhsa_shared_vgpr_count 0
		.amdhsa_exception_fp_ieee_invalid_op 0
		.amdhsa_exception_fp_denorm_src 0
		.amdhsa_exception_fp_ieee_div_zero 0
		.amdhsa_exception_fp_ieee_overflow 0
		.amdhsa_exception_fp_ieee_underflow 0
		.amdhsa_exception_fp_ieee_inexact 0
		.amdhsa_exception_int_div_zero 0
	.end_amdhsa_kernel
	.section	.text._ZN12_GLOBAL__N_120softmax_warp_forwardIdddLi11ELb0ELb1ELi64EEEvPT0_PKT_iiiPKbib,"axG",@progbits,_ZN12_GLOBAL__N_120softmax_warp_forwardIdddLi11ELb0ELb1ELi64EEEvPT0_PKT_iiiPKbib,comdat
.Lfunc_end694:
	.size	_ZN12_GLOBAL__N_120softmax_warp_forwardIdddLi11ELb0ELb1ELi64EEEvPT0_PKT_iiiPKbib, .Lfunc_end694-_ZN12_GLOBAL__N_120softmax_warp_forwardIdddLi11ELb0ELb1ELi64EEEvPT0_PKT_iiiPKbib
                                        ; -- End function
	.section	.AMDGPU.csdata,"",@progbits
; Kernel info:
; codeLenInByte = 29396
; NumSgprs: 74
; NumVgprs: 88
; ScratchSize: 0
; MemoryBound: 0
; FloatMode: 240
; IeeeMode: 1
; LDSByteSize: 0 bytes/workgroup (compile time only)
; SGPRBlocks: 9
; VGPRBlocks: 10
; NumSGPRsForWavesPerEU: 74
; NumVGPRsForWavesPerEU: 88
; Occupancy: 16
; WaveLimiterHint : 0
; COMPUTE_PGM_RSRC2:SCRATCH_EN: 0
; COMPUTE_PGM_RSRC2:USER_SGPR: 15
; COMPUTE_PGM_RSRC2:TRAP_HANDLER: 0
; COMPUTE_PGM_RSRC2:TGID_X_EN: 1
; COMPUTE_PGM_RSRC2:TGID_Y_EN: 0
; COMPUTE_PGM_RSRC2:TGID_Z_EN: 0
; COMPUTE_PGM_RSRC2:TIDIG_COMP_CNT: 1
	.section	.text._ZN12_GLOBAL__N_120softmax_warp_forwardIdddLi11ELb0ELb1ELi32EEEvPT0_PKT_iiiPKbib,"axG",@progbits,_ZN12_GLOBAL__N_120softmax_warp_forwardIdddLi11ELb0ELb1ELi32EEEvPT0_PKT_iiiPKbib,comdat
	.globl	_ZN12_GLOBAL__N_120softmax_warp_forwardIdddLi11ELb0ELb1ELi32EEEvPT0_PKT_iiiPKbib ; -- Begin function _ZN12_GLOBAL__N_120softmax_warp_forwardIdddLi11ELb0ELb1ELi32EEEvPT0_PKT_iiiPKbib
	.p2align	8
	.type	_ZN12_GLOBAL__N_120softmax_warp_forwardIdddLi11ELb0ELb1ELi32EEEvPT0_PKT_iiiPKbib,@function
_ZN12_GLOBAL__N_120softmax_warp_forwardIdddLi11ELb0ELb1ELi32EEEvPT0_PKT_iiiPKbib: ; @_ZN12_GLOBAL__N_120softmax_warp_forwardIdddLi11ELb0ELb1ELi32EEEvPT0_PKT_iiiPKbib
; %bb.0:
	s_clause 0x1
	s_load_b32 s2, s[0:1], 0x3c
	s_load_b128 s[72:75], s[0:1], 0x10
	v_bfe_u32 v3, v0, 10, 10
	s_waitcnt lgkmcnt(0)
	s_lshr_b32 s2, s2, 16
	s_delay_alu instid0(VALU_DEP_1) | instid1(SALU_CYCLE_1)
	v_mad_u64_u32 v[1:2], null, s15, s2, v[3:4]
	s_load_b64 s[2:3], s[0:1], 0x28
	v_and_b32_e32 v4, 0x3ff, v0
	s_delay_alu instid0(VALU_DEP_2) | instskip(NEXT) | instid1(VALU_DEP_1)
	v_mul_lo_u32 v5, v1, s73
	v_add_nc_u32_e32 v2, v5, v4
	s_delay_alu instid0(VALU_DEP_1) | instskip(SKIP_2) | instid1(VALU_DEP_1)
	v_ashrrev_i32_e32 v3, 31, v2
	s_waitcnt lgkmcnt(0)
	s_bitcmp0_b32 s3, 0
	v_dual_mov_b32 v55, v3 :: v_dual_mov_b32 v54, v2
	s_cbranch_scc1 .LBB695_2
; %bb.1:
	s_abs_i32 s3, s2
	v_sub_nc_u32_e32 v7, 0, v5
	v_cvt_f32_u32_e32 v0, s3
	s_sub_i32 s4, 0, s3
	s_delay_alu instid0(VALU_DEP_2) | instskip(NEXT) | instid1(VALU_DEP_2)
	v_max_i32_e32 v7, v5, v7
	v_rcp_iflag_f32_e32 v0, v0
	v_xor_b32_e32 v5, s2, v5
	s_delay_alu instid0(VALU_DEP_1) | instskip(SKIP_2) | instid1(VALU_DEP_1)
	v_ashrrev_i32_e32 v5, 31, v5
	s_waitcnt_depctr 0xfff
	v_mul_f32_e32 v0, 0x4f7ffffe, v0
	v_cvt_u32_f32_e32 v0, v0
	s_delay_alu instid0(VALU_DEP_1) | instskip(NEXT) | instid1(VALU_DEP_1)
	v_mul_lo_u32 v6, s4, v0
	v_mul_hi_u32 v6, v0, v6
	s_delay_alu instid0(VALU_DEP_1) | instskip(NEXT) | instid1(VALU_DEP_1)
	v_add_nc_u32_e32 v0, v0, v6
	v_mul_hi_u32 v0, v7, v0
	s_delay_alu instid0(VALU_DEP_1) | instskip(NEXT) | instid1(VALU_DEP_1)
	v_mul_lo_u32 v6, v0, s3
	v_sub_nc_u32_e32 v6, v7, v6
	v_add_nc_u32_e32 v7, 1, v0
	s_delay_alu instid0(VALU_DEP_2) | instskip(SKIP_1) | instid1(VALU_DEP_3)
	v_subrev_nc_u32_e32 v8, s3, v6
	v_cmp_le_u32_e32 vcc_lo, s3, v6
	v_cndmask_b32_e32 v0, v0, v7, vcc_lo
	s_delay_alu instid0(VALU_DEP_3) | instskip(NEXT) | instid1(VALU_DEP_2)
	v_cndmask_b32_e32 v6, v6, v8, vcc_lo
	v_add_nc_u32_e32 v7, 1, v0
	s_delay_alu instid0(VALU_DEP_2) | instskip(NEXT) | instid1(VALU_DEP_2)
	v_cmp_le_u32_e32 vcc_lo, s3, v6
	v_cndmask_b32_e32 v0, v0, v7, vcc_lo
	s_delay_alu instid0(VALU_DEP_1) | instskip(NEXT) | instid1(VALU_DEP_1)
	v_xor_b32_e32 v0, v0, v5
	v_sub_nc_u32_e32 v0, v0, v5
	s_delay_alu instid0(VALU_DEP_1) | instskip(NEXT) | instid1(VALU_DEP_1)
	v_mad_u64_u32 v[54:55], null, v0, s73, v[4:5]
	v_ashrrev_i32_e32 v55, 31, v54
.LBB695_2:
	s_load_b128 s[4:7], s[0:1], 0x0
	v_sub_nc_u32_e32 v140, s72, v1
	v_lshlrev_b64 v[0:1], 3, v[2:3]
                                        ; implicit-def: $vgpr151 : SGPR spill to VGPR lane
	v_mov_b32_e32 v74, 0
	v_mov_b32_e32 v75, 0xfff00000
	v_cmp_gt_i32_e32 vcc_lo, s74, v4
	v_cmp_lt_i32_e64 s66, 0, v140
	s_delay_alu instid0(VALU_DEP_3) | instskip(NEXT) | instid1(VALU_DEP_2)
	v_dual_mov_b32 v66, v74 :: v_dual_mov_b32 v67, v75
	s_and_b32 s28, s66, vcc_lo
	s_waitcnt lgkmcnt(0)
	v_add_co_u32 v58, s2, s6, v0
	v_writelane_b32 v151, s4, 0
	v_add_co_ci_u32_e64 v59, s2, s7, v1, s2
	v_writelane_b32 v151, s5, 1
	v_writelane_b32 v151, s6, 2
	v_writelane_b32 v151, s7, 3
	s_and_saveexec_b32 s2, s28
	s_cbranch_execz .LBB695_4
; %bb.3:
	global_load_b64 v[66:67], v[58:59], off
.LBB695_4:
	s_or_b32 exec_lo, exec_lo, s2
	v_add_nc_u32_e32 v2, 32, v4
	s_delay_alu instid0(VALU_DEP_1) | instskip(NEXT) | instid1(VALU_DEP_1)
	v_cmp_gt_i32_e64 s65, s74, v2
	s_and_b32 s27, s66, s65
	s_delay_alu instid0(SALU_CYCLE_1)
	s_and_saveexec_b32 s2, s27
	s_cbranch_execz .LBB695_6
; %bb.5:
	global_load_b64 v[74:75], v[58:59], off offset:256
.LBB695_6:
	s_or_b32 exec_lo, exec_lo, s2
	v_add_nc_u32_e32 v2, 64, v4
	v_mov_b32_e32 v82, 0
	v_mov_b32_e32 v83, 0xfff00000
	s_delay_alu instid0(VALU_DEP_2) | instskip(NEXT) | instid1(VALU_DEP_4)
	v_mov_b32_e32 v72, v82
	v_cmp_gt_i32_e64 s64, s74, v2
	s_delay_alu instid0(VALU_DEP_3) | instskip(NEXT) | instid1(VALU_DEP_2)
	v_mov_b32_e32 v73, v83
	s_and_b32 s26, s66, s64
	s_delay_alu instid0(SALU_CYCLE_1)
	s_and_saveexec_b32 s2, s26
	s_cbranch_execz .LBB695_8
; %bb.7:
	global_load_b64 v[72:73], v[58:59], off offset:512
.LBB695_8:
	s_or_b32 exec_lo, exec_lo, s2
	v_add_nc_u32_e32 v2, 0x60, v4
	s_delay_alu instid0(VALU_DEP_1) | instskip(NEXT) | instid1(VALU_DEP_1)
	v_cmp_gt_i32_e64 s63, s74, v2
	s_and_b32 s25, s66, s63
	s_delay_alu instid0(SALU_CYCLE_1)
	s_and_saveexec_b32 s2, s25
	s_cbranch_execz .LBB695_10
; %bb.9:
	global_load_b64 v[82:83], v[58:59], off offset:768
.LBB695_10:
	s_or_b32 exec_lo, exec_lo, s2
	v_mov_b32_e32 v90, 0
	v_mov_b32_e32 v91, 0xfff00000
	v_add_nc_u32_e32 v2, 0x80, v4
	s_delay_alu instid0(VALU_DEP_2) | instskip(NEXT) | instid1(VALU_DEP_2)
	v_dual_mov_b32 v80, v90 :: v_dual_mov_b32 v81, v91
	v_cmp_gt_i32_e64 s62, s74, v2
	s_delay_alu instid0(VALU_DEP_1) | instskip(NEXT) | instid1(SALU_CYCLE_1)
	s_and_b32 s24, s66, s62
	s_and_saveexec_b32 s2, s24
	s_cbranch_execz .LBB695_12
; %bb.11:
	global_load_b64 v[80:81], v[58:59], off offset:1024
.LBB695_12:
	s_or_b32 exec_lo, exec_lo, s2
	v_add_nc_u32_e32 v2, 0xa0, v4
	s_delay_alu instid0(VALU_DEP_1) | instskip(NEXT) | instid1(VALU_DEP_1)
	v_cmp_gt_i32_e64 s61, s74, v2
	s_and_b32 s23, s66, s61
	s_delay_alu instid0(SALU_CYCLE_1)
	s_and_saveexec_b32 s2, s23
	s_cbranch_execz .LBB695_14
; %bb.13:
	global_load_b64 v[90:91], v[58:59], off offset:1280
.LBB695_14:
	s_or_b32 exec_lo, exec_lo, s2
	v_mov_b32_e32 v98, 0
	v_mov_b32_e32 v99, 0xfff00000
	v_add_nc_u32_e32 v2, 0xc0, v4
	s_delay_alu instid0(VALU_DEP_2) | instskip(NEXT) | instid1(VALU_DEP_2)
	v_dual_mov_b32 v88, v98 :: v_dual_mov_b32 v89, v99
	v_cmp_gt_i32_e64 s60, s74, v2
	s_delay_alu instid0(VALU_DEP_1) | instskip(NEXT) | instid1(SALU_CYCLE_1)
	s_and_b32 s22, s66, s60
	;; [unrolled: 25-line block ×7, first 2 shown]
	s_and_saveexec_b32 s3, s12
	s_cbranch_execz .LBB695_36
; %bb.35:
	v_add_co_u32 v2, s2, 0x1000, v58
	s_delay_alu instid0(VALU_DEP_1)
	v_add_co_ci_u32_e64 v3, s2, 0, v59, s2
	global_load_b64 v[128:129], v[2:3], off
.LBB695_36:
	s_or_b32 exec_lo, exec_lo, s3
	v_add_nc_u32_e32 v2, 0x220, v4
	s_delay_alu instid0(VALU_DEP_1) | instskip(NEXT) | instid1(VALU_DEP_1)
	v_cmp_gt_i32_e64 s49, s74, v2
	s_and_b32 s11, s66, s49
	s_delay_alu instid0(SALU_CYCLE_1)
	s_and_saveexec_b32 s3, s11
	s_cbranch_execz .LBB695_38
; %bb.37:
	v_add_co_u32 v2, s2, 0x1000, v58
	s_delay_alu instid0(VALU_DEP_1)
	v_add_co_ci_u32_e64 v3, s2, 0, v59, s2
	global_load_b64 v[138:139], v[2:3], off offset:256
.LBB695_38:
	s_or_b32 exec_lo, exec_lo, s3
	v_mov_b32_e32 v134, 0
	v_mov_b32_e32 v135, 0xfff00000
	s_delay_alu instid0(VALU_DEP_1) | instskip(NEXT) | instid1(VALU_DEP_1)
	v_dual_mov_b32 v137, v135 :: v_dual_add_nc_u32 v2, 0x240, v4
	v_cmp_gt_i32_e64 s48, s74, v2
	s_delay_alu instid0(VALU_DEP_4) | instskip(NEXT) | instid1(VALU_DEP_2)
	v_mov_b32_e32 v136, v134
	s_and_b32 s10, s66, s48
	s_delay_alu instid0(SALU_CYCLE_1)
	s_and_saveexec_b32 s3, s10
	s_cbranch_execz .LBB695_40
; %bb.39:
	v_add_co_u32 v2, s2, 0x1000, v58
	s_delay_alu instid0(VALU_DEP_1)
	v_add_co_ci_u32_e64 v3, s2, 0, v59, s2
	global_load_b64 v[136:137], v[2:3], off offset:512
.LBB695_40:
	s_or_b32 exec_lo, exec_lo, s3
	v_add_nc_u32_e32 v2, 0x260, v4
	s_delay_alu instid0(VALU_DEP_1) | instskip(NEXT) | instid1(VALU_DEP_1)
	v_cmp_gt_i32_e64 s47, s74, v2
	s_and_b32 s9, s66, s47
	s_delay_alu instid0(SALU_CYCLE_1)
	s_and_saveexec_b32 s3, s9
	s_cbranch_execz .LBB695_42
; %bb.41:
	v_add_co_u32 v2, s2, 0x1000, v58
	s_delay_alu instid0(VALU_DEP_1)
	v_add_co_ci_u32_e64 v3, s2, 0, v59, s2
	global_load_b64 v[134:135], v[2:3], off offset:768
.LBB695_42:
	s_or_b32 exec_lo, exec_lo, s3
	v_mov_b32_e32 v126, 0
	v_mov_b32_e32 v127, 0xfff00000
	s_delay_alu instid0(VALU_DEP_1) | instskip(NEXT) | instid1(VALU_DEP_1)
	v_dual_mov_b32 v133, v127 :: v_dual_add_nc_u32 v2, 0x280, v4
	v_cmp_gt_i32_e64 s46, s74, v2
	s_delay_alu instid0(VALU_DEP_4) | instskip(NEXT) | instid1(VALU_DEP_2)
	v_mov_b32_e32 v132, v126
	s_and_b32 s8, s66, s46
	s_delay_alu instid0(SALU_CYCLE_1)
	s_and_saveexec_b32 s3, s8
	s_cbranch_execz .LBB695_44
; %bb.43:
	v_add_co_u32 v2, s2, 0x1000, v58
	s_delay_alu instid0(VALU_DEP_1)
	v_add_co_ci_u32_e64 v3, s2, 0, v59, s2
	global_load_b64 v[132:133], v[2:3], off offset:1024
.LBB695_44:
	;; [unrolled: 32-line block ×5, first 2 shown]
	s_or_b32 exec_lo, exec_lo, s29
	v_add_nc_u32_e32 v2, 0x360, v4
	s_delay_alu instid0(VALU_DEP_1) | instskip(NEXT) | instid1(VALU_DEP_1)
	v_cmp_gt_i32_e64 s39, s74, v2
	s_and_b32 s68, s66, s39
	s_delay_alu instid0(SALU_CYCLE_1)
	s_and_saveexec_b32 s29, s68
	s_cbranch_execz .LBB695_58
; %bb.57:
	v_add_co_u32 v2, s2, 0x1000, v58
	s_delay_alu instid0(VALU_DEP_1)
	v_add_co_ci_u32_e64 v3, s2, 0, v59, s2
	global_load_b64 v[102:103], v[2:3], off offset:2816
.LBB695_58:
	s_or_b32 exec_lo, exec_lo, s29
	v_mov_b32_e32 v94, 0
	v_mov_b32_e32 v95, 0xfff00000
	s_delay_alu instid0(VALU_DEP_1) | instskip(NEXT) | instid1(VALU_DEP_1)
	v_dual_mov_b32 v101, v95 :: v_dual_add_nc_u32 v2, 0x380, v4
	v_cmp_gt_i32_e64 s38, s74, v2
	s_delay_alu instid0(VALU_DEP_4) | instskip(NEXT) | instid1(VALU_DEP_2)
	v_mov_b32_e32 v100, v94
	s_and_b32 vcc_hi, s66, s38
	s_delay_alu instid0(SALU_CYCLE_1)
	s_and_saveexec_b32 s29, vcc_hi
	s_cbranch_execz .LBB695_60
; %bb.59:
	v_add_co_u32 v2, s2, 0x1000, v58
	s_delay_alu instid0(VALU_DEP_1)
	v_add_co_ci_u32_e64 v3, s2, 0, v59, s2
	global_load_b64 v[100:101], v[2:3], off offset:3072
.LBB695_60:
	s_or_b32 exec_lo, exec_lo, s29
	v_add_nc_u32_e32 v2, 0x3a0, v4
	s_delay_alu instid0(VALU_DEP_1) | instskip(NEXT) | instid1(VALU_DEP_1)
	v_cmp_gt_i32_e64 s37, s74, v2
	s_and_b32 s104, s66, s37
	s_delay_alu instid0(SALU_CYCLE_1)
	s_and_saveexec_b32 s29, s104
	s_cbranch_execz .LBB695_62
; %bb.61:
	v_add_co_u32 v2, s2, 0x1000, v58
	s_delay_alu instid0(VALU_DEP_1)
	v_add_co_ci_u32_e64 v3, s2, 0, v59, s2
	global_load_b64 v[94:95], v[2:3], off offset:3328
.LBB695_62:
	s_or_b32 exec_lo, exec_lo, s29
	v_mov_b32_e32 v86, 0
	v_mov_b32_e32 v87, 0xfff00000
	s_delay_alu instid0(VALU_DEP_1) | instskip(NEXT) | instid1(VALU_DEP_1)
	v_dual_mov_b32 v93, v87 :: v_dual_add_nc_u32 v2, 0x3c0, v4
	v_cmp_gt_i32_e64 s36, s74, v2
	s_delay_alu instid0(VALU_DEP_4) | instskip(NEXT) | instid1(VALU_DEP_2)
	v_mov_b32_e32 v92, v86
	s_and_b32 s103, s66, s36
	s_delay_alu instid0(SALU_CYCLE_1)
	s_and_saveexec_b32 s29, s103
	s_cbranch_execz .LBB695_64
; %bb.63:
	v_add_co_u32 v2, s2, 0x1000, v58
	s_delay_alu instid0(VALU_DEP_1)
	v_add_co_ci_u32_e64 v3, s2, 0, v59, s2
	global_load_b64 v[92:93], v[2:3], off offset:3584
.LBB695_64:
	s_or_b32 exec_lo, exec_lo, s29
	v_add_nc_u32_e32 v2, 0x3e0, v4
	s_delay_alu instid0(VALU_DEP_1) | instskip(NEXT) | instid1(VALU_DEP_1)
	v_cmp_gt_i32_e64 s35, s74, v2
	s_and_b32 s102, s66, s35
	s_delay_alu instid0(SALU_CYCLE_1)
	s_and_saveexec_b32 s29, s102
	s_cbranch_execz .LBB695_66
; %bb.65:
	v_add_co_u32 v2, s2, 0x1000, v58
	s_delay_alu instid0(VALU_DEP_1)
	v_add_co_ci_u32_e64 v3, s2, 0, v59, s2
	global_load_b64 v[86:87], v[2:3], off offset:3840
.LBB695_66:
	s_or_b32 exec_lo, exec_lo, s29
	v_or_b32_e32 v2, 0x400, v4
	v_mov_b32_e32 v78, 0
	v_mov_b32_e32 v79, 0xfff00000
	s_delay_alu instid0(VALU_DEP_3) | instskip(NEXT) | instid1(VALU_DEP_2)
	v_cmp_gt_i32_e64 s34, s74, v2
	v_dual_mov_b32 v85, v79 :: v_dual_mov_b32 v84, v78
	s_delay_alu instid0(VALU_DEP_2) | instskip(NEXT) | instid1(SALU_CYCLE_1)
	s_and_b32 s101, s66, s34
	s_and_saveexec_b32 s29, s101
	s_cbranch_execz .LBB695_68
; %bb.67:
	v_add_co_u32 v2, s2, 0x2000, v58
	s_delay_alu instid0(VALU_DEP_1)
	v_add_co_ci_u32_e64 v3, s2, 0, v59, s2
	global_load_b64 v[84:85], v[2:3], off
.LBB695_68:
	s_or_b32 exec_lo, exec_lo, s29
	v_add_nc_u32_e32 v2, 0x420, v4
	s_delay_alu instid0(VALU_DEP_1) | instskip(NEXT) | instid1(VALU_DEP_1)
	v_cmp_gt_i32_e64 s33, s74, v2
	s_and_b32 s100, s66, s33
	s_delay_alu instid0(SALU_CYCLE_1)
	s_and_saveexec_b32 s29, s100
	s_cbranch_execz .LBB695_70
; %bb.69:
	v_add_co_u32 v2, s2, 0x2000, v58
	s_delay_alu instid0(VALU_DEP_1)
	v_add_co_ci_u32_e64 v3, s2, 0, v59, s2
	global_load_b64 v[78:79], v[2:3], off offset:256
.LBB695_70:
	s_or_b32 exec_lo, exec_lo, s29
	v_mov_b32_e32 v70, 0
	v_mov_b32_e32 v71, 0xfff00000
	s_delay_alu instid0(VALU_DEP_1) | instskip(NEXT) | instid1(VALU_DEP_1)
	v_dual_mov_b32 v77, v71 :: v_dual_add_nc_u32 v2, 0x440, v4
	v_cmp_gt_i32_e64 s2, s74, v2
	s_delay_alu instid0(VALU_DEP_4) | instskip(NEXT) | instid1(VALU_DEP_2)
	v_mov_b32_e32 v76, v70
	s_and_b32 s99, s66, s2
	v_writelane_b32 v151, s2, 4
	s_and_saveexec_b32 s29, s99
	s_cbranch_execz .LBB695_72
; %bb.71:
	v_add_co_u32 v2, s2, 0x2000, v58
	s_delay_alu instid0(VALU_DEP_1)
	v_add_co_ci_u32_e64 v3, s2, 0, v59, s2
	global_load_b64 v[76:77], v[2:3], off offset:512
.LBB695_72:
	s_or_b32 exec_lo, exec_lo, s29
	v_add_nc_u32_e32 v2, 0x460, v4
	s_delay_alu instid0(VALU_DEP_1) | instskip(NEXT) | instid1(VALU_DEP_1)
	v_cmp_gt_i32_e64 s2, s74, v2
	s_and_b32 s98, s66, s2
	v_writelane_b32 v151, s2, 5
	s_and_saveexec_b32 s29, s98
	s_cbranch_execz .LBB695_74
; %bb.73:
	v_add_co_u32 v2, s2, 0x2000, v58
	s_delay_alu instid0(VALU_DEP_1)
	v_add_co_ci_u32_e64 v3, s2, 0, v59, s2
	global_load_b64 v[70:71], v[2:3], off offset:768
.LBB695_74:
	s_or_b32 exec_lo, exec_lo, s29
	v_mov_b32_e32 v60, 0
	v_mov_b32_e32 v61, 0xfff00000
	s_delay_alu instid0(VALU_DEP_1) | instskip(NEXT) | instid1(VALU_DEP_1)
	v_dual_mov_b32 v69, v61 :: v_dual_add_nc_u32 v2, 0x480, v4
	v_cmp_gt_i32_e64 s29, s74, v2
	s_delay_alu instid0(VALU_DEP_4) | instskip(NEXT) | instid1(VALU_DEP_2)
	v_mov_b32_e32 v68, v60
	s_and_b32 s97, s66, s29
	s_delay_alu instid0(SALU_CYCLE_1)
	s_and_saveexec_b32 s67, s97
	s_cbranch_execz .LBB695_76
; %bb.75:
	v_add_co_u32 v2, s2, 0x2000, v58
	s_delay_alu instid0(VALU_DEP_1)
	v_add_co_ci_u32_e64 v3, s2, 0, v59, s2
	global_load_b64 v[68:69], v[2:3], off offset:1024
.LBB695_76:
	s_or_b32 exec_lo, exec_lo, s67
	v_add_nc_u32_e32 v2, 0x4a0, v4
	s_delay_alu instid0(VALU_DEP_1) | instskip(NEXT) | instid1(VALU_DEP_1)
	v_cmp_gt_i32_e64 s2, s74, v2
	s_and_b32 s96, s66, s2
	v_writelane_b32 v151, s2, 6
	s_and_saveexec_b32 s67, s96
	s_cbranch_execz .LBB695_78
; %bb.77:
	v_add_co_u32 v2, s2, 0x2000, v58
	s_delay_alu instid0(VALU_DEP_1)
	v_add_co_ci_u32_e64 v3, s2, 0, v59, s2
	global_load_b64 v[60:61], v[2:3], off offset:1280
.LBB695_78:
	s_or_b32 exec_lo, exec_lo, s67
	v_mov_b32_e32 v52, 0
	v_mov_b32_e32 v53, 0xfff00000
	s_delay_alu instid0(VALU_DEP_1) | instskip(NEXT) | instid1(VALU_DEP_1)
	v_dual_mov_b32 v57, v53 :: v_dual_add_nc_u32 v2, 0x4c0, v4
	v_cmp_gt_i32_e64 s2, s74, v2
	s_delay_alu instid0(VALU_DEP_4) | instskip(NEXT) | instid1(VALU_DEP_2)
	v_mov_b32_e32 v56, v52
	s_and_b32 s95, s66, s2
	v_writelane_b32 v151, s2, 7
	s_and_saveexec_b32 s67, s95
	s_cbranch_execz .LBB695_80
; %bb.79:
	v_add_co_u32 v2, s2, 0x2000, v58
	s_delay_alu instid0(VALU_DEP_1)
	v_add_co_ci_u32_e64 v3, s2, 0, v59, s2
	global_load_b64 v[56:57], v[2:3], off offset:1536
.LBB695_80:
	s_or_b32 exec_lo, exec_lo, s67
	v_add_nc_u32_e32 v2, 0x4e0, v4
	s_delay_alu instid0(VALU_DEP_1) | instskip(NEXT) | instid1(VALU_DEP_1)
	v_cmp_gt_i32_e64 s2, s74, v2
	s_and_b32 s94, s66, s2
	v_writelane_b32 v151, s2, 8
	s_and_saveexec_b32 s67, s94
	s_cbranch_execz .LBB695_82
; %bb.81:
	v_add_co_u32 v2, s2, 0x2000, v58
	s_delay_alu instid0(VALU_DEP_1)
	v_add_co_ci_u32_e64 v3, s2, 0, v59, s2
	global_load_b64 v[52:53], v[2:3], off offset:1792
.LBB695_82:
	s_or_b32 exec_lo, exec_lo, s67
	v_mov_b32_e32 v48, 0
	v_mov_b32_e32 v49, 0xfff00000
	s_delay_alu instid0(VALU_DEP_1) | instskip(NEXT) | instid1(VALU_DEP_1)
	v_dual_mov_b32 v51, v49 :: v_dual_add_nc_u32 v2, 0x500, v4
	v_cmp_gt_i32_e64 s2, s74, v2
	s_delay_alu instid0(VALU_DEP_4) | instskip(NEXT) | instid1(VALU_DEP_2)
	v_mov_b32_e32 v50, v48
	s_and_b32 s93, s66, s2
	v_writelane_b32 v151, s2, 9
	;; [unrolled: 32-line block ×6, first 2 shown]
	s_and_saveexec_b32 s67, s85
	s_cbranch_execz .LBB695_100
; %bb.99:
	v_add_co_u32 v2, s2, 0x3000, v58
	s_delay_alu instid0(VALU_DEP_1)
	v_add_co_ci_u32_e64 v3, s2, 0, v59, s2
	global_load_b64 v[34:35], v[2:3], off
.LBB695_100:
	s_or_b32 exec_lo, exec_lo, s67
	v_add_nc_u32_e32 v2, 0x620, v4
	s_delay_alu instid0(VALU_DEP_1) | instskip(NEXT) | instid1(VALU_DEP_1)
	v_cmp_gt_i32_e64 s2, s74, v2
	s_and_b32 s84, s66, s2
	v_writelane_b32 v151, s2, 18
	s_and_saveexec_b32 s67, s84
	s_cbranch_execz .LBB695_102
; %bb.101:
	v_add_co_u32 v2, s2, 0x3000, v58
	s_delay_alu instid0(VALU_DEP_1)
	v_add_co_ci_u32_e64 v3, s2, 0, v59, s2
	global_load_b64 v[32:33], v[2:3], off offset:256
.LBB695_102:
	s_or_b32 exec_lo, exec_lo, s67
	v_mov_b32_e32 v28, 0
	v_mov_b32_e32 v29, 0xfff00000
	s_delay_alu instid0(VALU_DEP_1) | instskip(NEXT) | instid1(VALU_DEP_1)
	v_dual_mov_b32 v31, v29 :: v_dual_add_nc_u32 v2, 0x640, v4
	v_cmp_gt_i32_e64 s2, s74, v2
	s_delay_alu instid0(VALU_DEP_4) | instskip(NEXT) | instid1(VALU_DEP_2)
	v_mov_b32_e32 v30, v28
	s_and_b32 s83, s66, s2
	v_writelane_b32 v151, s2, 19
	s_and_saveexec_b32 s67, s83
	s_cbranch_execz .LBB695_104
; %bb.103:
	v_add_co_u32 v2, s2, 0x3000, v58
	s_delay_alu instid0(VALU_DEP_1)
	v_add_co_ci_u32_e64 v3, s2, 0, v59, s2
	global_load_b64 v[30:31], v[2:3], off offset:512
.LBB695_104:
	s_or_b32 exec_lo, exec_lo, s67
	v_add_nc_u32_e32 v2, 0x660, v4
	s_delay_alu instid0(VALU_DEP_1) | instskip(NEXT) | instid1(VALU_DEP_1)
	v_cmp_gt_i32_e64 s2, s74, v2
	s_and_b32 s82, s66, s2
	v_writelane_b32 v151, s2, 20
	s_and_saveexec_b32 s67, s82
	s_cbranch_execz .LBB695_106
; %bb.105:
	v_add_co_u32 v2, s2, 0x3000, v58
	s_delay_alu instid0(VALU_DEP_1)
	v_add_co_ci_u32_e64 v3, s2, 0, v59, s2
	global_load_b64 v[28:29], v[2:3], off offset:768
.LBB695_106:
	s_or_b32 exec_lo, exec_lo, s67
	v_mov_b32_e32 v24, 0
	v_mov_b32_e32 v25, 0xfff00000
	s_delay_alu instid0(VALU_DEP_1) | instskip(NEXT) | instid1(VALU_DEP_1)
	v_dual_mov_b32 v27, v25 :: v_dual_add_nc_u32 v2, 0x680, v4
	v_cmp_gt_i32_e64 s2, s74, v2
	s_delay_alu instid0(VALU_DEP_4) | instskip(NEXT) | instid1(VALU_DEP_2)
	v_mov_b32_e32 v26, v24
	s_and_b32 s81, s66, s2
	v_writelane_b32 v151, s2, 21
	s_and_saveexec_b32 s67, s81
	s_cbranch_execz .LBB695_108
; %bb.107:
	v_add_co_u32 v2, s2, 0x3000, v58
	s_delay_alu instid0(VALU_DEP_1)
	v_add_co_ci_u32_e64 v3, s2, 0, v59, s2
	global_load_b64 v[26:27], v[2:3], off offset:1024
.LBB695_108:
	;; [unrolled: 32-line block ×6, first 2 shown]
	s_or_b32 exec_lo, exec_lo, s67
	v_add_nc_u32_e32 v2, 0x7a0, v4
	s_delay_alu instid0(VALU_DEP_1) | instskip(NEXT) | instid1(VALU_DEP_1)
	v_cmp_gt_i32_e64 s2, s74, v2
	s_and_b32 s71, s66, s2
	v_writelane_b32 v151, s2, 30
	s_and_saveexec_b32 s67, s71
	s_cbranch_execz .LBB695_126
; %bb.125:
	v_add_co_u32 v2, s2, 0x3000, v58
	s_delay_alu instid0(VALU_DEP_1)
	v_add_co_ci_u32_e64 v3, s2, 0, v59, s2
	global_load_b64 v[8:9], v[2:3], off offset:3328
.LBB695_126:
	s_or_b32 exec_lo, exec_lo, s67
	v_dual_mov_b32 v2, 0 :: v_dual_add_nc_u32 v5, 0x7c0, v4
	v_mov_b32_e32 v3, 0xfff00000
	s_delay_alu instid0(VALU_DEP_2) | instskip(NEXT) | instid1(VALU_DEP_2)
	v_cmp_gt_i32_e64 s2, s74, v5
	v_dual_mov_b32 v7, v3 :: v_dual_mov_b32 v6, v2
	s_delay_alu instid0(VALU_DEP_2)
	s_and_b32 s70, s66, s2
	v_writelane_b32 v151, s2, 31
	s_and_saveexec_b32 s67, s70
	s_cbranch_execz .LBB695_128
; %bb.127:
	v_add_co_u32 v5, s2, 0x3000, v58
	s_delay_alu instid0(VALU_DEP_1)
	v_add_co_ci_u32_e64 v6, s2, 0, v59, s2
	global_load_b64 v[6:7], v[5:6], off offset:3584
.LBB695_128:
	s_or_b32 exec_lo, exec_lo, s67
	v_add_nc_u32_e32 v4, 0x7e0, v4
	s_delay_alu instid0(VALU_DEP_1) | instskip(NEXT) | instid1(VALU_DEP_1)
	v_cmp_gt_i32_e64 s2, s74, v4
	s_and_b32 s67, s66, s2
	s_delay_alu instid0(SALU_CYCLE_1)
	s_and_saveexec_b32 s74, s67
	s_cbranch_execz .LBB695_130
; %bb.129:
	v_add_co_u32 v2, s66, 0x3000, v58
	s_delay_alu instid0(VALU_DEP_1)
	v_add_co_ci_u32_e64 v3, s66, 0, v59, s66
	global_load_b64 v[2:3], v[2:3], off offset:3840
.LBB695_130:
	s_or_b32 exec_lo, exec_lo, s74
	s_load_b64 s[0:1], s[0:1], 0x20
	s_waitcnt lgkmcnt(0)
	v_add_co_u32 v4, s0, s0, v54
	s_delay_alu instid0(VALU_DEP_1)
	v_add_co_ci_u32_e64 v5, s0, s1, v55, s0
	s_mov_b32 s1, 0
	s_and_saveexec_b32 s66, s28
	s_cbranch_execz .LBB695_132
; %bb.131:
	global_load_u8 v54, v[4:5], off
	s_waitcnt vmcnt(0)
	v_and_b32_e32 v54, 1, v54
	s_delay_alu instid0(VALU_DEP_1) | instskip(NEXT) | instid1(VALU_DEP_1)
	v_cmp_eq_u32_e64 s0, 1, v54
	s_xor_b32 s0, s0, -1
	s_delay_alu instid0(SALU_CYCLE_1)
	s_and_b32 s1, s0, exec_lo
.LBB695_132:
	s_or_b32 exec_lo, exec_lo, s66
	s_waitcnt vmcnt(0)
	v_dual_mov_b32 v54, v66 :: v_dual_mov_b32 v55, v67
	s_and_saveexec_b32 s66, s27
	s_cbranch_execnz .LBB695_195
; %bb.133:
	s_or_b32 exec_lo, exec_lo, s66
	s_and_saveexec_b32 s66, s26
	s_cbranch_execnz .LBB695_198
.LBB695_134:
	s_or_b32 exec_lo, exec_lo, s66
	s_and_saveexec_b32 s66, s25
	s_cbranch_execnz .LBB695_201
.LBB695_135:
	s_or_b32 exec_lo, exec_lo, s66
	s_and_saveexec_b32 s66, s24
	s_cbranch_execnz .LBB695_204
.LBB695_136:
	s_or_b32 exec_lo, exec_lo, s66
	s_and_saveexec_b32 s66, s23
	s_cbranch_execnz .LBB695_207
.LBB695_137:
	s_or_b32 exec_lo, exec_lo, s66
	s_and_saveexec_b32 s66, s22
	s_cbranch_execnz .LBB695_210
.LBB695_138:
	s_or_b32 exec_lo, exec_lo, s66
	s_and_saveexec_b32 s66, s21
	s_cbranch_execnz .LBB695_213
.LBB695_139:
	s_or_b32 exec_lo, exec_lo, s66
	s_and_saveexec_b32 s66, s20
	s_cbranch_execnz .LBB695_216
.LBB695_140:
	s_or_b32 exec_lo, exec_lo, s66
	s_and_saveexec_b32 s66, s19
	s_cbranch_execnz .LBB695_219
.LBB695_141:
	s_or_b32 exec_lo, exec_lo, s66
	s_and_saveexec_b32 s66, s18
	s_cbranch_execnz .LBB695_222
.LBB695_142:
	s_or_b32 exec_lo, exec_lo, s66
	s_and_saveexec_b32 s66, s17
	s_cbranch_execnz .LBB695_225
.LBB695_143:
	s_or_b32 exec_lo, exec_lo, s66
	s_and_saveexec_b32 s66, s16
	s_cbranch_execnz .LBB695_228
.LBB695_144:
	s_or_b32 exec_lo, exec_lo, s66
	s_and_saveexec_b32 s66, s15
	s_cbranch_execnz .LBB695_231
.LBB695_145:
	s_or_b32 exec_lo, exec_lo, s66
	s_and_saveexec_b32 s66, s14
	s_cbranch_execnz .LBB695_234
.LBB695_146:
	s_or_b32 exec_lo, exec_lo, s66
	s_and_saveexec_b32 s66, s13
	s_cbranch_execnz .LBB695_237
.LBB695_147:
	s_or_b32 exec_lo, exec_lo, s66
	s_and_saveexec_b32 s66, s12
	s_cbranch_execnz .LBB695_240
.LBB695_148:
	s_or_b32 exec_lo, exec_lo, s66
	s_and_saveexec_b32 s66, s11
	s_cbranch_execnz .LBB695_243
.LBB695_149:
	s_or_b32 exec_lo, exec_lo, s66
	s_and_saveexec_b32 s66, s10
	s_cbranch_execnz .LBB695_246
.LBB695_150:
	s_or_b32 exec_lo, exec_lo, s66
	s_and_saveexec_b32 s66, s9
	s_cbranch_execnz .LBB695_249
.LBB695_151:
	s_or_b32 exec_lo, exec_lo, s66
	s_and_saveexec_b32 s66, s8
	s_cbranch_execnz .LBB695_252
.LBB695_152:
	s_or_b32 exec_lo, exec_lo, s66
	s_and_saveexec_b32 s66, s7
	s_cbranch_execnz .LBB695_255
.LBB695_153:
	s_or_b32 exec_lo, exec_lo, s66
	s_and_saveexec_b32 s66, s6
	s_cbranch_execnz .LBB695_258
.LBB695_154:
	s_or_b32 exec_lo, exec_lo, s66
	s_and_saveexec_b32 s66, s5
	s_cbranch_execnz .LBB695_261
.LBB695_155:
	s_or_b32 exec_lo, exec_lo, s66
	s_and_saveexec_b32 s66, s4
	s_cbranch_execnz .LBB695_264
.LBB695_156:
	s_or_b32 exec_lo, exec_lo, s66
	s_and_saveexec_b32 s66, s3
	s_cbranch_execnz .LBB695_267
.LBB695_157:
	s_or_b32 exec_lo, exec_lo, s66
	s_and_saveexec_b32 s66, s69
	s_cbranch_execnz .LBB695_270
.LBB695_158:
	s_or_b32 exec_lo, exec_lo, s66
	s_and_saveexec_b32 s66, s68
	s_cbranch_execnz .LBB695_273
.LBB695_159:
	s_or_b32 exec_lo, exec_lo, s66
	s_and_saveexec_b32 s66, vcc_hi
	s_cbranch_execnz .LBB695_276
.LBB695_160:
	s_or_b32 exec_lo, exec_lo, s66
	s_and_saveexec_b32 s66, s104
	s_cbranch_execnz .LBB695_279
.LBB695_161:
	s_or_b32 exec_lo, exec_lo, s66
	s_and_saveexec_b32 s66, s103
	s_cbranch_execnz .LBB695_282
.LBB695_162:
	s_or_b32 exec_lo, exec_lo, s66
	s_and_saveexec_b32 s66, s102
	s_cbranch_execnz .LBB695_285
.LBB695_163:
	s_or_b32 exec_lo, exec_lo, s66
	s_and_saveexec_b32 s66, s101
	s_cbranch_execnz .LBB695_288
.LBB695_164:
	s_or_b32 exec_lo, exec_lo, s66
	s_and_saveexec_b32 s66, s100
	s_cbranch_execnz .LBB695_291
.LBB695_165:
	s_or_b32 exec_lo, exec_lo, s66
	s_and_saveexec_b32 s66, s99
	s_cbranch_execnz .LBB695_294
.LBB695_166:
	s_or_b32 exec_lo, exec_lo, s66
	s_and_saveexec_b32 s66, s98
	s_cbranch_execnz .LBB695_297
.LBB695_167:
	s_or_b32 exec_lo, exec_lo, s66
	s_and_saveexec_b32 s66, s97
	s_cbranch_execnz .LBB695_300
.LBB695_168:
	s_or_b32 exec_lo, exec_lo, s66
	s_and_saveexec_b32 s66, s96
	s_cbranch_execnz .LBB695_303
.LBB695_169:
	s_or_b32 exec_lo, exec_lo, s66
	s_and_saveexec_b32 s66, s95
	s_cbranch_execnz .LBB695_306
.LBB695_170:
	s_or_b32 exec_lo, exec_lo, s66
	s_and_saveexec_b32 s66, s94
	s_cbranch_execnz .LBB695_309
.LBB695_171:
	s_or_b32 exec_lo, exec_lo, s66
	s_and_saveexec_b32 s66, s93
	s_cbranch_execnz .LBB695_312
.LBB695_172:
	s_or_b32 exec_lo, exec_lo, s66
	s_and_saveexec_b32 s66, s92
	s_cbranch_execnz .LBB695_315
.LBB695_173:
	s_or_b32 exec_lo, exec_lo, s66
	s_and_saveexec_b32 s66, s91
	s_cbranch_execnz .LBB695_318
.LBB695_174:
	s_or_b32 exec_lo, exec_lo, s66
	s_and_saveexec_b32 s66, s90
	s_cbranch_execnz .LBB695_321
.LBB695_175:
	s_or_b32 exec_lo, exec_lo, s66
	s_and_saveexec_b32 s66, s89
	s_cbranch_execnz .LBB695_324
.LBB695_176:
	s_or_b32 exec_lo, exec_lo, s66
	s_and_saveexec_b32 s66, s88
	s_cbranch_execnz .LBB695_327
.LBB695_177:
	s_or_b32 exec_lo, exec_lo, s66
	s_and_saveexec_b32 s66, s87
	s_cbranch_execnz .LBB695_330
.LBB695_178:
	s_or_b32 exec_lo, exec_lo, s66
	s_and_saveexec_b32 s66, s86
	s_cbranch_execnz .LBB695_333
.LBB695_179:
	s_or_b32 exec_lo, exec_lo, s66
	s_and_saveexec_b32 s66, s85
	s_cbranch_execnz .LBB695_336
.LBB695_180:
	s_or_b32 exec_lo, exec_lo, s66
	s_and_saveexec_b32 s66, s84
	s_cbranch_execnz .LBB695_339
.LBB695_181:
	s_or_b32 exec_lo, exec_lo, s66
	s_and_saveexec_b32 s66, s83
	s_cbranch_execnz .LBB695_342
.LBB695_182:
	s_or_b32 exec_lo, exec_lo, s66
	s_and_saveexec_b32 s66, s82
	s_cbranch_execnz .LBB695_345
.LBB695_183:
	s_or_b32 exec_lo, exec_lo, s66
	s_and_saveexec_b32 s66, s81
	s_cbranch_execnz .LBB695_348
.LBB695_184:
	s_or_b32 exec_lo, exec_lo, s66
	s_and_saveexec_b32 s66, s80
	s_cbranch_execnz .LBB695_351
.LBB695_185:
	s_or_b32 exec_lo, exec_lo, s66
	s_and_saveexec_b32 s66, s79
	s_cbranch_execnz .LBB695_354
.LBB695_186:
	s_or_b32 exec_lo, exec_lo, s66
	s_and_saveexec_b32 s66, s78
	s_cbranch_execnz .LBB695_357
.LBB695_187:
	s_or_b32 exec_lo, exec_lo, s66
	s_and_saveexec_b32 s66, s77
	s_cbranch_execnz .LBB695_360
.LBB695_188:
	s_or_b32 exec_lo, exec_lo, s66
	s_and_saveexec_b32 s66, s76
	s_cbranch_execnz .LBB695_363
.LBB695_189:
	s_or_b32 exec_lo, exec_lo, s66
	s_and_saveexec_b32 s66, s75
	s_cbranch_execnz .LBB695_366
.LBB695_190:
	s_or_b32 exec_lo, exec_lo, s66
	s_and_saveexec_b32 s66, s73
	s_cbranch_execnz .LBB695_369
.LBB695_191:
	s_or_b32 exec_lo, exec_lo, s66
	s_and_saveexec_b32 s66, s72
	s_cbranch_execnz .LBB695_372
.LBB695_192:
	s_or_b32 exec_lo, exec_lo, s66
	s_and_saveexec_b32 s66, s71
	s_cbranch_execnz .LBB695_375
.LBB695_193:
	s_or_b32 exec_lo, exec_lo, s66
	s_and_saveexec_b32 s66, s70
	s_cbranch_execnz .LBB695_378
.LBB695_194:
	s_or_b32 exec_lo, exec_lo, s66
	s_and_saveexec_b32 s66, s67
	s_cbranch_execnz .LBB695_381
	s_branch .LBB695_384
.LBB695_195:
	global_load_u8 v54, v[4:5], off offset:32
	s_waitcnt vmcnt(0)
	v_and_b32_e32 v54, 1, v54
	s_delay_alu instid0(VALU_DEP_1) | instskip(SKIP_1) | instid1(VALU_DEP_2)
	v_cmp_eq_u32_e64 s0, 1, v54
	v_dual_mov_b32 v54, v66 :: v_dual_mov_b32 v55, v67
	s_xor_b32 s30, s0, -1
	s_mov_b32 s0, s1
	s_and_saveexec_b32 s74, s30
; %bb.196:
	v_cmp_gt_f64_e64 s0, v[66:67], v[74:75]
	s_delay_alu instid0(VALU_DEP_1) | instskip(NEXT) | instid1(SALU_CYCLE_1)
	s_and_b32 s0, s1, s0
	v_cndmask_b32_e64 v55, v75, v67, s0
	v_cndmask_b32_e64 v54, v74, v66, s0
	s_or_b32 s0, s1, exec_lo
; %bb.197:
	s_or_b32 exec_lo, exec_lo, s74
	s_delay_alu instid0(SALU_CYCLE_1) | instskip(SKIP_1) | instid1(SALU_CYCLE_1)
	s_and_not1_b32 s1, s1, exec_lo
	s_and_b32 s0, s0, exec_lo
	s_or_b32 s1, s1, s0
	s_or_b32 exec_lo, exec_lo, s66
	s_and_saveexec_b32 s66, s26
	s_cbranch_execz .LBB695_134
.LBB695_198:
	global_load_u8 v58, v[4:5], off offset:64
	s_waitcnt vmcnt(0)
	v_and_b32_e32 v58, 1, v58
	s_delay_alu instid0(VALU_DEP_1) | instskip(NEXT) | instid1(VALU_DEP_1)
	v_cmp_eq_u32_e64 s0, 1, v58
	s_xor_b32 s30, s0, -1
	s_mov_b32 s0, s1
	s_and_saveexec_b32 s74, s30
; %bb.199:
	v_cmp_gt_f64_e64 s0, v[54:55], v[72:73]
	s_delay_alu instid0(VALU_DEP_1) | instskip(NEXT) | instid1(SALU_CYCLE_1)
	s_and_b32 s0, s1, s0
	v_cndmask_b32_e64 v55, v73, v55, s0
	v_cndmask_b32_e64 v54, v72, v54, s0
	s_or_b32 s0, s1, exec_lo
; %bb.200:
	s_or_b32 exec_lo, exec_lo, s74
	s_delay_alu instid0(SALU_CYCLE_1) | instskip(SKIP_1) | instid1(SALU_CYCLE_1)
	s_and_not1_b32 s1, s1, exec_lo
	s_and_b32 s0, s0, exec_lo
	s_or_b32 s1, s1, s0
	s_or_b32 exec_lo, exec_lo, s66
	s_and_saveexec_b32 s66, s25
	s_cbranch_execz .LBB695_135
.LBB695_201:
	global_load_u8 v58, v[4:5], off offset:96
	s_waitcnt vmcnt(0)
	v_and_b32_e32 v58, 1, v58
	s_delay_alu instid0(VALU_DEP_1) | instskip(NEXT) | instid1(VALU_DEP_1)
	v_cmp_eq_u32_e64 s0, 1, v58
	s_xor_b32 s30, s0, -1
	s_mov_b32 s0, s1
	s_and_saveexec_b32 s74, s30
; %bb.202:
	v_cmp_gt_f64_e64 s0, v[54:55], v[82:83]
	s_delay_alu instid0(VALU_DEP_1) | instskip(NEXT) | instid1(SALU_CYCLE_1)
	s_and_b32 s0, s1, s0
	v_cndmask_b32_e64 v55, v83, v55, s0
	v_cndmask_b32_e64 v54, v82, v54, s0
	s_or_b32 s0, s1, exec_lo
; %bb.203:
	s_or_b32 exec_lo, exec_lo, s74
	s_delay_alu instid0(SALU_CYCLE_1) | instskip(SKIP_1) | instid1(SALU_CYCLE_1)
	s_and_not1_b32 s1, s1, exec_lo
	s_and_b32 s0, s0, exec_lo
	s_or_b32 s1, s1, s0
	s_or_b32 exec_lo, exec_lo, s66
	s_and_saveexec_b32 s66, s24
	s_cbranch_execz .LBB695_136
.LBB695_204:
	global_load_u8 v58, v[4:5], off offset:128
	s_waitcnt vmcnt(0)
	v_and_b32_e32 v58, 1, v58
	s_delay_alu instid0(VALU_DEP_1) | instskip(NEXT) | instid1(VALU_DEP_1)
	v_cmp_eq_u32_e64 s0, 1, v58
	s_xor_b32 s30, s0, -1
	s_mov_b32 s0, s1
	s_and_saveexec_b32 s74, s30
; %bb.205:
	v_cmp_gt_f64_e64 s0, v[54:55], v[80:81]
	s_delay_alu instid0(VALU_DEP_1) | instskip(NEXT) | instid1(SALU_CYCLE_1)
	s_and_b32 s0, s1, s0
	v_cndmask_b32_e64 v55, v81, v55, s0
	v_cndmask_b32_e64 v54, v80, v54, s0
	s_or_b32 s0, s1, exec_lo
; %bb.206:
	s_or_b32 exec_lo, exec_lo, s74
	s_delay_alu instid0(SALU_CYCLE_1) | instskip(SKIP_1) | instid1(SALU_CYCLE_1)
	s_and_not1_b32 s1, s1, exec_lo
	s_and_b32 s0, s0, exec_lo
	s_or_b32 s1, s1, s0
	s_or_b32 exec_lo, exec_lo, s66
	s_and_saveexec_b32 s66, s23
	s_cbranch_execz .LBB695_137
.LBB695_207:
	global_load_u8 v58, v[4:5], off offset:160
	s_waitcnt vmcnt(0)
	v_and_b32_e32 v58, 1, v58
	s_delay_alu instid0(VALU_DEP_1) | instskip(NEXT) | instid1(VALU_DEP_1)
	v_cmp_eq_u32_e64 s0, 1, v58
	s_xor_b32 s30, s0, -1
	s_mov_b32 s0, s1
	s_and_saveexec_b32 s74, s30
; %bb.208:
	v_cmp_gt_f64_e64 s0, v[54:55], v[90:91]
	s_delay_alu instid0(VALU_DEP_1) | instskip(NEXT) | instid1(SALU_CYCLE_1)
	s_and_b32 s0, s1, s0
	v_cndmask_b32_e64 v55, v91, v55, s0
	v_cndmask_b32_e64 v54, v90, v54, s0
	s_or_b32 s0, s1, exec_lo
; %bb.209:
	s_or_b32 exec_lo, exec_lo, s74
	s_delay_alu instid0(SALU_CYCLE_1) | instskip(SKIP_1) | instid1(SALU_CYCLE_1)
	s_and_not1_b32 s1, s1, exec_lo
	s_and_b32 s0, s0, exec_lo
	s_or_b32 s1, s1, s0
	s_or_b32 exec_lo, exec_lo, s66
	s_and_saveexec_b32 s66, s22
	s_cbranch_execz .LBB695_138
.LBB695_210:
	global_load_u8 v58, v[4:5], off offset:192
	s_waitcnt vmcnt(0)
	v_and_b32_e32 v58, 1, v58
	s_delay_alu instid0(VALU_DEP_1) | instskip(NEXT) | instid1(VALU_DEP_1)
	v_cmp_eq_u32_e64 s0, 1, v58
	s_xor_b32 s30, s0, -1
	s_mov_b32 s0, s1
	s_and_saveexec_b32 s74, s30
; %bb.211:
	v_cmp_gt_f64_e64 s0, v[54:55], v[88:89]
	s_delay_alu instid0(VALU_DEP_1) | instskip(NEXT) | instid1(SALU_CYCLE_1)
	s_and_b32 s0, s1, s0
	v_cndmask_b32_e64 v55, v89, v55, s0
	v_cndmask_b32_e64 v54, v88, v54, s0
	s_or_b32 s0, s1, exec_lo
; %bb.212:
	s_or_b32 exec_lo, exec_lo, s74
	s_delay_alu instid0(SALU_CYCLE_1) | instskip(SKIP_1) | instid1(SALU_CYCLE_1)
	s_and_not1_b32 s1, s1, exec_lo
	s_and_b32 s0, s0, exec_lo
	s_or_b32 s1, s1, s0
	s_or_b32 exec_lo, exec_lo, s66
	s_and_saveexec_b32 s66, s21
	s_cbranch_execz .LBB695_139
.LBB695_213:
	global_load_u8 v58, v[4:5], off offset:224
	s_waitcnt vmcnt(0)
	v_and_b32_e32 v58, 1, v58
	s_delay_alu instid0(VALU_DEP_1) | instskip(NEXT) | instid1(VALU_DEP_1)
	v_cmp_eq_u32_e64 s0, 1, v58
	s_xor_b32 s30, s0, -1
	s_mov_b32 s0, s1
	s_and_saveexec_b32 s74, s30
; %bb.214:
	v_cmp_gt_f64_e64 s0, v[54:55], v[98:99]
	s_delay_alu instid0(VALU_DEP_1) | instskip(NEXT) | instid1(SALU_CYCLE_1)
	s_and_b32 s0, s1, s0
	v_cndmask_b32_e64 v55, v99, v55, s0
	v_cndmask_b32_e64 v54, v98, v54, s0
	s_or_b32 s0, s1, exec_lo
; %bb.215:
	s_or_b32 exec_lo, exec_lo, s74
	s_delay_alu instid0(SALU_CYCLE_1) | instskip(SKIP_1) | instid1(SALU_CYCLE_1)
	s_and_not1_b32 s1, s1, exec_lo
	s_and_b32 s0, s0, exec_lo
	s_or_b32 s1, s1, s0
	s_or_b32 exec_lo, exec_lo, s66
	s_and_saveexec_b32 s66, s20
	s_cbranch_execz .LBB695_140
.LBB695_216:
	global_load_u8 v58, v[4:5], off offset:256
	s_waitcnt vmcnt(0)
	v_and_b32_e32 v58, 1, v58
	s_delay_alu instid0(VALU_DEP_1) | instskip(NEXT) | instid1(VALU_DEP_1)
	v_cmp_eq_u32_e64 s0, 1, v58
	s_xor_b32 s30, s0, -1
	s_mov_b32 s0, s1
	s_and_saveexec_b32 s74, s30
; %bb.217:
	v_cmp_gt_f64_e64 s0, v[54:55], v[96:97]
	s_delay_alu instid0(VALU_DEP_1) | instskip(NEXT) | instid1(SALU_CYCLE_1)
	s_and_b32 s0, s1, s0
	v_cndmask_b32_e64 v55, v97, v55, s0
	v_cndmask_b32_e64 v54, v96, v54, s0
	s_or_b32 s0, s1, exec_lo
; %bb.218:
	s_or_b32 exec_lo, exec_lo, s74
	s_delay_alu instid0(SALU_CYCLE_1) | instskip(SKIP_1) | instid1(SALU_CYCLE_1)
	s_and_not1_b32 s1, s1, exec_lo
	s_and_b32 s0, s0, exec_lo
	s_or_b32 s1, s1, s0
	s_or_b32 exec_lo, exec_lo, s66
	s_and_saveexec_b32 s66, s19
	s_cbranch_execz .LBB695_141
.LBB695_219:
	global_load_u8 v58, v[4:5], off offset:288
	s_waitcnt vmcnt(0)
	v_and_b32_e32 v58, 1, v58
	s_delay_alu instid0(VALU_DEP_1) | instskip(NEXT) | instid1(VALU_DEP_1)
	v_cmp_eq_u32_e64 s0, 1, v58
	s_xor_b32 s30, s0, -1
	s_mov_b32 s0, s1
	s_and_saveexec_b32 s74, s30
; %bb.220:
	v_cmp_gt_f64_e64 s0, v[54:55], v[106:107]
	s_delay_alu instid0(VALU_DEP_1) | instskip(NEXT) | instid1(SALU_CYCLE_1)
	s_and_b32 s0, s1, s0
	v_cndmask_b32_e64 v55, v107, v55, s0
	v_cndmask_b32_e64 v54, v106, v54, s0
	s_or_b32 s0, s1, exec_lo
; %bb.221:
	s_or_b32 exec_lo, exec_lo, s74
	s_delay_alu instid0(SALU_CYCLE_1) | instskip(SKIP_1) | instid1(SALU_CYCLE_1)
	s_and_not1_b32 s1, s1, exec_lo
	s_and_b32 s0, s0, exec_lo
	s_or_b32 s1, s1, s0
	s_or_b32 exec_lo, exec_lo, s66
	s_and_saveexec_b32 s66, s18
	s_cbranch_execz .LBB695_142
.LBB695_222:
	global_load_u8 v58, v[4:5], off offset:320
	s_waitcnt vmcnt(0)
	v_and_b32_e32 v58, 1, v58
	s_delay_alu instid0(VALU_DEP_1) | instskip(NEXT) | instid1(VALU_DEP_1)
	v_cmp_eq_u32_e64 s0, 1, v58
	s_xor_b32 s30, s0, -1
	s_mov_b32 s0, s1
	s_and_saveexec_b32 s74, s30
; %bb.223:
	v_cmp_gt_f64_e64 s0, v[54:55], v[104:105]
	s_delay_alu instid0(VALU_DEP_1) | instskip(NEXT) | instid1(SALU_CYCLE_1)
	s_and_b32 s0, s1, s0
	v_cndmask_b32_e64 v55, v105, v55, s0
	v_cndmask_b32_e64 v54, v104, v54, s0
	s_or_b32 s0, s1, exec_lo
; %bb.224:
	s_or_b32 exec_lo, exec_lo, s74
	s_delay_alu instid0(SALU_CYCLE_1) | instskip(SKIP_1) | instid1(SALU_CYCLE_1)
	s_and_not1_b32 s1, s1, exec_lo
	s_and_b32 s0, s0, exec_lo
	s_or_b32 s1, s1, s0
	s_or_b32 exec_lo, exec_lo, s66
	s_and_saveexec_b32 s66, s17
	s_cbranch_execz .LBB695_143
.LBB695_225:
	global_load_u8 v58, v[4:5], off offset:352
	s_waitcnt vmcnt(0)
	v_and_b32_e32 v58, 1, v58
	s_delay_alu instid0(VALU_DEP_1) | instskip(NEXT) | instid1(VALU_DEP_1)
	v_cmp_eq_u32_e64 s0, 1, v58
	s_xor_b32 s30, s0, -1
	s_mov_b32 s0, s1
	s_and_saveexec_b32 s74, s30
; %bb.226:
	v_cmp_gt_f64_e64 s0, v[54:55], v[114:115]
	s_delay_alu instid0(VALU_DEP_1) | instskip(NEXT) | instid1(SALU_CYCLE_1)
	s_and_b32 s0, s1, s0
	v_cndmask_b32_e64 v55, v115, v55, s0
	v_cndmask_b32_e64 v54, v114, v54, s0
	s_or_b32 s0, s1, exec_lo
; %bb.227:
	s_or_b32 exec_lo, exec_lo, s74
	s_delay_alu instid0(SALU_CYCLE_1) | instskip(SKIP_1) | instid1(SALU_CYCLE_1)
	s_and_not1_b32 s1, s1, exec_lo
	s_and_b32 s0, s0, exec_lo
	s_or_b32 s1, s1, s0
	s_or_b32 exec_lo, exec_lo, s66
	s_and_saveexec_b32 s66, s16
	s_cbranch_execz .LBB695_144
.LBB695_228:
	global_load_u8 v58, v[4:5], off offset:384
	s_waitcnt vmcnt(0)
	v_and_b32_e32 v58, 1, v58
	s_delay_alu instid0(VALU_DEP_1) | instskip(NEXT) | instid1(VALU_DEP_1)
	v_cmp_eq_u32_e64 s0, 1, v58
	s_xor_b32 s30, s0, -1
	s_mov_b32 s0, s1
	s_and_saveexec_b32 s74, s30
; %bb.229:
	v_cmp_gt_f64_e64 s0, v[54:55], v[112:113]
	s_delay_alu instid0(VALU_DEP_1) | instskip(NEXT) | instid1(SALU_CYCLE_1)
	s_and_b32 s0, s1, s0
	v_cndmask_b32_e64 v55, v113, v55, s0
	v_cndmask_b32_e64 v54, v112, v54, s0
	s_or_b32 s0, s1, exec_lo
; %bb.230:
	s_or_b32 exec_lo, exec_lo, s74
	s_delay_alu instid0(SALU_CYCLE_1) | instskip(SKIP_1) | instid1(SALU_CYCLE_1)
	s_and_not1_b32 s1, s1, exec_lo
	s_and_b32 s0, s0, exec_lo
	s_or_b32 s1, s1, s0
	s_or_b32 exec_lo, exec_lo, s66
	s_and_saveexec_b32 s66, s15
	s_cbranch_execz .LBB695_145
.LBB695_231:
	global_load_u8 v58, v[4:5], off offset:416
	s_waitcnt vmcnt(0)
	v_and_b32_e32 v58, 1, v58
	s_delay_alu instid0(VALU_DEP_1) | instskip(NEXT) | instid1(VALU_DEP_1)
	v_cmp_eq_u32_e64 s0, 1, v58
	s_xor_b32 s30, s0, -1
	s_mov_b32 s0, s1
	s_and_saveexec_b32 s74, s30
; %bb.232:
	v_cmp_gt_f64_e64 s0, v[54:55], v[122:123]
	s_delay_alu instid0(VALU_DEP_1) | instskip(NEXT) | instid1(SALU_CYCLE_1)
	s_and_b32 s0, s1, s0
	v_cndmask_b32_e64 v55, v123, v55, s0
	v_cndmask_b32_e64 v54, v122, v54, s0
	s_or_b32 s0, s1, exec_lo
; %bb.233:
	s_or_b32 exec_lo, exec_lo, s74
	s_delay_alu instid0(SALU_CYCLE_1) | instskip(SKIP_1) | instid1(SALU_CYCLE_1)
	s_and_not1_b32 s1, s1, exec_lo
	s_and_b32 s0, s0, exec_lo
	s_or_b32 s1, s1, s0
	s_or_b32 exec_lo, exec_lo, s66
	s_and_saveexec_b32 s66, s14
	s_cbranch_execz .LBB695_146
.LBB695_234:
	global_load_u8 v58, v[4:5], off offset:448
	s_waitcnt vmcnt(0)
	v_and_b32_e32 v58, 1, v58
	s_delay_alu instid0(VALU_DEP_1) | instskip(NEXT) | instid1(VALU_DEP_1)
	v_cmp_eq_u32_e64 s0, 1, v58
	s_xor_b32 s30, s0, -1
	s_mov_b32 s0, s1
	s_and_saveexec_b32 s74, s30
; %bb.235:
	v_cmp_gt_f64_e64 s0, v[54:55], v[120:121]
	s_delay_alu instid0(VALU_DEP_1) | instskip(NEXT) | instid1(SALU_CYCLE_1)
	s_and_b32 s0, s1, s0
	v_cndmask_b32_e64 v55, v121, v55, s0
	v_cndmask_b32_e64 v54, v120, v54, s0
	s_or_b32 s0, s1, exec_lo
; %bb.236:
	s_or_b32 exec_lo, exec_lo, s74
	s_delay_alu instid0(SALU_CYCLE_1) | instskip(SKIP_1) | instid1(SALU_CYCLE_1)
	s_and_not1_b32 s1, s1, exec_lo
	s_and_b32 s0, s0, exec_lo
	s_or_b32 s1, s1, s0
	s_or_b32 exec_lo, exec_lo, s66
	s_and_saveexec_b32 s66, s13
	s_cbranch_execz .LBB695_147
.LBB695_237:
	global_load_u8 v58, v[4:5], off offset:480
	s_waitcnt vmcnt(0)
	v_and_b32_e32 v58, 1, v58
	s_delay_alu instid0(VALU_DEP_1) | instskip(NEXT) | instid1(VALU_DEP_1)
	v_cmp_eq_u32_e64 s0, 1, v58
	s_xor_b32 s30, s0, -1
	s_mov_b32 s0, s1
	s_and_saveexec_b32 s74, s30
; %bb.238:
	v_cmp_gt_f64_e64 s0, v[54:55], v[130:131]
	s_delay_alu instid0(VALU_DEP_1) | instskip(NEXT) | instid1(SALU_CYCLE_1)
	s_and_b32 s0, s1, s0
	v_cndmask_b32_e64 v55, v131, v55, s0
	v_cndmask_b32_e64 v54, v130, v54, s0
	s_or_b32 s0, s1, exec_lo
; %bb.239:
	s_or_b32 exec_lo, exec_lo, s74
	s_delay_alu instid0(SALU_CYCLE_1) | instskip(SKIP_1) | instid1(SALU_CYCLE_1)
	s_and_not1_b32 s1, s1, exec_lo
	s_and_b32 s0, s0, exec_lo
	s_or_b32 s1, s1, s0
	s_or_b32 exec_lo, exec_lo, s66
	s_and_saveexec_b32 s66, s12
	s_cbranch_execz .LBB695_148
.LBB695_240:
	global_load_u8 v58, v[4:5], off offset:512
	s_waitcnt vmcnt(0)
	v_and_b32_e32 v58, 1, v58
	s_delay_alu instid0(VALU_DEP_1) | instskip(NEXT) | instid1(VALU_DEP_1)
	v_cmp_eq_u32_e64 s0, 1, v58
	s_xor_b32 s30, s0, -1
	s_mov_b32 s0, s1
	s_and_saveexec_b32 s74, s30
; %bb.241:
	v_cmp_gt_f64_e64 s0, v[54:55], v[128:129]
	s_delay_alu instid0(VALU_DEP_1) | instskip(NEXT) | instid1(SALU_CYCLE_1)
	s_and_b32 s0, s1, s0
	v_cndmask_b32_e64 v55, v129, v55, s0
	v_cndmask_b32_e64 v54, v128, v54, s0
	s_or_b32 s0, s1, exec_lo
; %bb.242:
	s_or_b32 exec_lo, exec_lo, s74
	s_delay_alu instid0(SALU_CYCLE_1) | instskip(SKIP_1) | instid1(SALU_CYCLE_1)
	s_and_not1_b32 s1, s1, exec_lo
	s_and_b32 s0, s0, exec_lo
	s_or_b32 s1, s1, s0
	s_or_b32 exec_lo, exec_lo, s66
	s_and_saveexec_b32 s66, s11
	s_cbranch_execz .LBB695_149
.LBB695_243:
	global_load_u8 v58, v[4:5], off offset:544
	s_waitcnt vmcnt(0)
	v_and_b32_e32 v58, 1, v58
	s_delay_alu instid0(VALU_DEP_1) | instskip(NEXT) | instid1(VALU_DEP_1)
	v_cmp_eq_u32_e64 s0, 1, v58
	s_xor_b32 s30, s0, -1
	s_mov_b32 s0, s1
	s_and_saveexec_b32 s74, s30
; %bb.244:
	v_cmp_gt_f64_e64 s0, v[54:55], v[138:139]
	s_delay_alu instid0(VALU_DEP_1) | instskip(NEXT) | instid1(SALU_CYCLE_1)
	s_and_b32 s0, s1, s0
	v_cndmask_b32_e64 v55, v139, v55, s0
	v_cndmask_b32_e64 v54, v138, v54, s0
	s_or_b32 s0, s1, exec_lo
; %bb.245:
	s_or_b32 exec_lo, exec_lo, s74
	s_delay_alu instid0(SALU_CYCLE_1) | instskip(SKIP_1) | instid1(SALU_CYCLE_1)
	s_and_not1_b32 s1, s1, exec_lo
	s_and_b32 s0, s0, exec_lo
	s_or_b32 s1, s1, s0
	s_or_b32 exec_lo, exec_lo, s66
	s_and_saveexec_b32 s66, s10
	s_cbranch_execz .LBB695_150
.LBB695_246:
	global_load_u8 v58, v[4:5], off offset:576
	s_waitcnt vmcnt(0)
	v_and_b32_e32 v58, 1, v58
	s_delay_alu instid0(VALU_DEP_1) | instskip(NEXT) | instid1(VALU_DEP_1)
	v_cmp_eq_u32_e64 s0, 1, v58
	s_xor_b32 s30, s0, -1
	s_mov_b32 s0, s1
	s_and_saveexec_b32 s74, s30
; %bb.247:
	v_cmp_gt_f64_e64 s0, v[54:55], v[136:137]
	s_delay_alu instid0(VALU_DEP_1) | instskip(NEXT) | instid1(SALU_CYCLE_1)
	s_and_b32 s0, s1, s0
	v_cndmask_b32_e64 v55, v137, v55, s0
	v_cndmask_b32_e64 v54, v136, v54, s0
	s_or_b32 s0, s1, exec_lo
; %bb.248:
	s_or_b32 exec_lo, exec_lo, s74
	s_delay_alu instid0(SALU_CYCLE_1) | instskip(SKIP_1) | instid1(SALU_CYCLE_1)
	s_and_not1_b32 s1, s1, exec_lo
	s_and_b32 s0, s0, exec_lo
	s_or_b32 s1, s1, s0
	s_or_b32 exec_lo, exec_lo, s66
	s_and_saveexec_b32 s66, s9
	s_cbranch_execz .LBB695_151
.LBB695_249:
	global_load_u8 v58, v[4:5], off offset:608
	s_waitcnt vmcnt(0)
	v_and_b32_e32 v58, 1, v58
	s_delay_alu instid0(VALU_DEP_1) | instskip(NEXT) | instid1(VALU_DEP_1)
	v_cmp_eq_u32_e64 s0, 1, v58
	s_xor_b32 s30, s0, -1
	s_mov_b32 s0, s1
	s_and_saveexec_b32 s74, s30
; %bb.250:
	v_cmp_gt_f64_e64 s0, v[54:55], v[134:135]
	s_delay_alu instid0(VALU_DEP_1) | instskip(NEXT) | instid1(SALU_CYCLE_1)
	s_and_b32 s0, s1, s0
	v_cndmask_b32_e64 v55, v135, v55, s0
	v_cndmask_b32_e64 v54, v134, v54, s0
	s_or_b32 s0, s1, exec_lo
; %bb.251:
	s_or_b32 exec_lo, exec_lo, s74
	s_delay_alu instid0(SALU_CYCLE_1) | instskip(SKIP_1) | instid1(SALU_CYCLE_1)
	s_and_not1_b32 s1, s1, exec_lo
	s_and_b32 s0, s0, exec_lo
	s_or_b32 s1, s1, s0
	s_or_b32 exec_lo, exec_lo, s66
	s_and_saveexec_b32 s66, s8
	s_cbranch_execz .LBB695_152
.LBB695_252:
	global_load_u8 v58, v[4:5], off offset:640
	s_waitcnt vmcnt(0)
	v_and_b32_e32 v58, 1, v58
	s_delay_alu instid0(VALU_DEP_1) | instskip(NEXT) | instid1(VALU_DEP_1)
	v_cmp_eq_u32_e64 s0, 1, v58
	s_xor_b32 s30, s0, -1
	s_mov_b32 s0, s1
	s_and_saveexec_b32 s74, s30
; %bb.253:
	v_cmp_gt_f64_e64 s0, v[54:55], v[132:133]
	s_delay_alu instid0(VALU_DEP_1) | instskip(NEXT) | instid1(SALU_CYCLE_1)
	s_and_b32 s0, s1, s0
	v_cndmask_b32_e64 v55, v133, v55, s0
	v_cndmask_b32_e64 v54, v132, v54, s0
	s_or_b32 s0, s1, exec_lo
; %bb.254:
	s_or_b32 exec_lo, exec_lo, s74
	s_delay_alu instid0(SALU_CYCLE_1) | instskip(SKIP_1) | instid1(SALU_CYCLE_1)
	s_and_not1_b32 s1, s1, exec_lo
	s_and_b32 s0, s0, exec_lo
	s_or_b32 s1, s1, s0
	s_or_b32 exec_lo, exec_lo, s66
	s_and_saveexec_b32 s66, s7
	s_cbranch_execz .LBB695_153
.LBB695_255:
	global_load_u8 v58, v[4:5], off offset:672
	s_waitcnt vmcnt(0)
	v_and_b32_e32 v58, 1, v58
	s_delay_alu instid0(VALU_DEP_1) | instskip(NEXT) | instid1(VALU_DEP_1)
	v_cmp_eq_u32_e64 s0, 1, v58
	s_xor_b32 s30, s0, -1
	s_mov_b32 s0, s1
	s_and_saveexec_b32 s74, s30
; %bb.256:
	v_cmp_gt_f64_e64 s0, v[54:55], v[126:127]
	s_delay_alu instid0(VALU_DEP_1) | instskip(NEXT) | instid1(SALU_CYCLE_1)
	s_and_b32 s0, s1, s0
	v_cndmask_b32_e64 v55, v127, v55, s0
	v_cndmask_b32_e64 v54, v126, v54, s0
	s_or_b32 s0, s1, exec_lo
; %bb.257:
	s_or_b32 exec_lo, exec_lo, s74
	s_delay_alu instid0(SALU_CYCLE_1) | instskip(SKIP_1) | instid1(SALU_CYCLE_1)
	s_and_not1_b32 s1, s1, exec_lo
	s_and_b32 s0, s0, exec_lo
	s_or_b32 s1, s1, s0
	s_or_b32 exec_lo, exec_lo, s66
	s_and_saveexec_b32 s66, s6
	s_cbranch_execz .LBB695_154
.LBB695_258:
	global_load_u8 v58, v[4:5], off offset:704
	s_waitcnt vmcnt(0)
	v_and_b32_e32 v58, 1, v58
	s_delay_alu instid0(VALU_DEP_1) | instskip(NEXT) | instid1(VALU_DEP_1)
	v_cmp_eq_u32_e64 s0, 1, v58
	s_xor_b32 s30, s0, -1
	s_mov_b32 s0, s1
	s_and_saveexec_b32 s74, s30
; %bb.259:
	v_cmp_gt_f64_e64 s0, v[54:55], v[124:125]
	s_delay_alu instid0(VALU_DEP_1) | instskip(NEXT) | instid1(SALU_CYCLE_1)
	s_and_b32 s0, s1, s0
	v_cndmask_b32_e64 v55, v125, v55, s0
	v_cndmask_b32_e64 v54, v124, v54, s0
	s_or_b32 s0, s1, exec_lo
; %bb.260:
	s_or_b32 exec_lo, exec_lo, s74
	s_delay_alu instid0(SALU_CYCLE_1) | instskip(SKIP_1) | instid1(SALU_CYCLE_1)
	s_and_not1_b32 s1, s1, exec_lo
	s_and_b32 s0, s0, exec_lo
	s_or_b32 s1, s1, s0
	s_or_b32 exec_lo, exec_lo, s66
	s_and_saveexec_b32 s66, s5
	s_cbranch_execz .LBB695_155
.LBB695_261:
	global_load_u8 v58, v[4:5], off offset:736
	s_waitcnt vmcnt(0)
	v_and_b32_e32 v58, 1, v58
	s_delay_alu instid0(VALU_DEP_1) | instskip(NEXT) | instid1(VALU_DEP_1)
	v_cmp_eq_u32_e64 s0, 1, v58
	s_xor_b32 s30, s0, -1
	s_mov_b32 s0, s1
	s_and_saveexec_b32 s74, s30
; %bb.262:
	v_cmp_gt_f64_e64 s0, v[54:55], v[118:119]
	s_delay_alu instid0(VALU_DEP_1) | instskip(NEXT) | instid1(SALU_CYCLE_1)
	s_and_b32 s0, s1, s0
	v_cndmask_b32_e64 v55, v119, v55, s0
	v_cndmask_b32_e64 v54, v118, v54, s0
	s_or_b32 s0, s1, exec_lo
; %bb.263:
	s_or_b32 exec_lo, exec_lo, s74
	s_delay_alu instid0(SALU_CYCLE_1) | instskip(SKIP_1) | instid1(SALU_CYCLE_1)
	s_and_not1_b32 s1, s1, exec_lo
	s_and_b32 s0, s0, exec_lo
	s_or_b32 s1, s1, s0
	s_or_b32 exec_lo, exec_lo, s66
	s_and_saveexec_b32 s66, s4
	s_cbranch_execz .LBB695_156
.LBB695_264:
	global_load_u8 v58, v[4:5], off offset:768
	s_waitcnt vmcnt(0)
	v_and_b32_e32 v58, 1, v58
	s_delay_alu instid0(VALU_DEP_1) | instskip(NEXT) | instid1(VALU_DEP_1)
	v_cmp_eq_u32_e64 s0, 1, v58
	s_xor_b32 s30, s0, -1
	s_mov_b32 s0, s1
	s_and_saveexec_b32 s74, s30
; %bb.265:
	v_cmp_gt_f64_e64 s0, v[54:55], v[116:117]
	s_delay_alu instid0(VALU_DEP_1) | instskip(NEXT) | instid1(SALU_CYCLE_1)
	s_and_b32 s0, s1, s0
	v_cndmask_b32_e64 v55, v117, v55, s0
	v_cndmask_b32_e64 v54, v116, v54, s0
	s_or_b32 s0, s1, exec_lo
; %bb.266:
	s_or_b32 exec_lo, exec_lo, s74
	s_delay_alu instid0(SALU_CYCLE_1) | instskip(SKIP_1) | instid1(SALU_CYCLE_1)
	s_and_not1_b32 s1, s1, exec_lo
	s_and_b32 s0, s0, exec_lo
	s_or_b32 s1, s1, s0
	s_or_b32 exec_lo, exec_lo, s66
	s_and_saveexec_b32 s66, s3
	s_cbranch_execz .LBB695_157
.LBB695_267:
	global_load_u8 v58, v[4:5], off offset:800
	s_waitcnt vmcnt(0)
	v_and_b32_e32 v58, 1, v58
	s_delay_alu instid0(VALU_DEP_1) | instskip(NEXT) | instid1(VALU_DEP_1)
	v_cmp_eq_u32_e64 s0, 1, v58
	s_xor_b32 s30, s0, -1
	s_mov_b32 s0, s1
	s_and_saveexec_b32 s74, s30
; %bb.268:
	v_cmp_gt_f64_e64 s0, v[54:55], v[110:111]
	s_delay_alu instid0(VALU_DEP_1) | instskip(NEXT) | instid1(SALU_CYCLE_1)
	s_and_b32 s0, s1, s0
	v_cndmask_b32_e64 v55, v111, v55, s0
	v_cndmask_b32_e64 v54, v110, v54, s0
	s_or_b32 s0, s1, exec_lo
; %bb.269:
	s_or_b32 exec_lo, exec_lo, s74
	s_delay_alu instid0(SALU_CYCLE_1) | instskip(SKIP_1) | instid1(SALU_CYCLE_1)
	s_and_not1_b32 s1, s1, exec_lo
	s_and_b32 s0, s0, exec_lo
	s_or_b32 s1, s1, s0
	s_or_b32 exec_lo, exec_lo, s66
	s_and_saveexec_b32 s66, s69
	s_cbranch_execz .LBB695_158
.LBB695_270:
	global_load_u8 v58, v[4:5], off offset:832
	s_waitcnt vmcnt(0)
	v_and_b32_e32 v58, 1, v58
	s_delay_alu instid0(VALU_DEP_1) | instskip(NEXT) | instid1(VALU_DEP_1)
	v_cmp_eq_u32_e64 s0, 1, v58
	s_xor_b32 s30, s0, -1
	s_mov_b32 s0, s1
	s_and_saveexec_b32 s74, s30
; %bb.271:
	v_cmp_gt_f64_e64 s0, v[54:55], v[108:109]
	s_delay_alu instid0(VALU_DEP_1) | instskip(NEXT) | instid1(SALU_CYCLE_1)
	s_and_b32 s0, s1, s0
	v_cndmask_b32_e64 v55, v109, v55, s0
	v_cndmask_b32_e64 v54, v108, v54, s0
	s_or_b32 s0, s1, exec_lo
; %bb.272:
	s_or_b32 exec_lo, exec_lo, s74
	s_delay_alu instid0(SALU_CYCLE_1) | instskip(SKIP_1) | instid1(SALU_CYCLE_1)
	s_and_not1_b32 s1, s1, exec_lo
	s_and_b32 s0, s0, exec_lo
	s_or_b32 s1, s1, s0
	s_or_b32 exec_lo, exec_lo, s66
	s_and_saveexec_b32 s66, s68
	s_cbranch_execz .LBB695_159
.LBB695_273:
	global_load_u8 v58, v[4:5], off offset:864
	s_waitcnt vmcnt(0)
	v_and_b32_e32 v58, 1, v58
	s_delay_alu instid0(VALU_DEP_1) | instskip(NEXT) | instid1(VALU_DEP_1)
	v_cmp_eq_u32_e64 s0, 1, v58
	s_xor_b32 s30, s0, -1
	s_mov_b32 s0, s1
	s_and_saveexec_b32 s74, s30
; %bb.274:
	v_cmp_gt_f64_e64 s0, v[54:55], v[102:103]
	s_delay_alu instid0(VALU_DEP_1) | instskip(NEXT) | instid1(SALU_CYCLE_1)
	s_and_b32 s0, s1, s0
	v_cndmask_b32_e64 v55, v103, v55, s0
	v_cndmask_b32_e64 v54, v102, v54, s0
	s_or_b32 s0, s1, exec_lo
; %bb.275:
	s_or_b32 exec_lo, exec_lo, s74
	s_delay_alu instid0(SALU_CYCLE_1) | instskip(SKIP_1) | instid1(SALU_CYCLE_1)
	s_and_not1_b32 s1, s1, exec_lo
	s_and_b32 s0, s0, exec_lo
	s_or_b32 s1, s1, s0
	s_or_b32 exec_lo, exec_lo, s66
	s_and_saveexec_b32 s66, vcc_hi
	s_cbranch_execz .LBB695_160
.LBB695_276:
	global_load_u8 v58, v[4:5], off offset:896
	s_waitcnt vmcnt(0)
	v_and_b32_e32 v58, 1, v58
	s_delay_alu instid0(VALU_DEP_1) | instskip(NEXT) | instid1(VALU_DEP_1)
	v_cmp_eq_u32_e64 s0, 1, v58
	s_xor_b32 s30, s0, -1
	s_mov_b32 s0, s1
	s_and_saveexec_b32 s74, s30
; %bb.277:
	v_cmp_gt_f64_e64 s0, v[54:55], v[100:101]
	s_delay_alu instid0(VALU_DEP_1) | instskip(NEXT) | instid1(SALU_CYCLE_1)
	s_and_b32 s0, s1, s0
	v_cndmask_b32_e64 v55, v101, v55, s0
	v_cndmask_b32_e64 v54, v100, v54, s0
	s_or_b32 s0, s1, exec_lo
; %bb.278:
	s_or_b32 exec_lo, exec_lo, s74
	s_delay_alu instid0(SALU_CYCLE_1) | instskip(SKIP_1) | instid1(SALU_CYCLE_1)
	s_and_not1_b32 s1, s1, exec_lo
	s_and_b32 s0, s0, exec_lo
	s_or_b32 s1, s1, s0
	s_or_b32 exec_lo, exec_lo, s66
	s_and_saveexec_b32 s66, s104
	s_cbranch_execz .LBB695_161
.LBB695_279:
	global_load_u8 v58, v[4:5], off offset:928
	s_waitcnt vmcnt(0)
	v_and_b32_e32 v58, 1, v58
	s_delay_alu instid0(VALU_DEP_1) | instskip(NEXT) | instid1(VALU_DEP_1)
	v_cmp_eq_u32_e64 s0, 1, v58
	s_xor_b32 s30, s0, -1
	s_mov_b32 s0, s1
	s_and_saveexec_b32 s74, s30
; %bb.280:
	v_cmp_gt_f64_e64 s0, v[54:55], v[94:95]
	s_delay_alu instid0(VALU_DEP_1) | instskip(NEXT) | instid1(SALU_CYCLE_1)
	s_and_b32 s0, s1, s0
	v_cndmask_b32_e64 v55, v95, v55, s0
	v_cndmask_b32_e64 v54, v94, v54, s0
	s_or_b32 s0, s1, exec_lo
; %bb.281:
	s_or_b32 exec_lo, exec_lo, s74
	s_delay_alu instid0(SALU_CYCLE_1) | instskip(SKIP_1) | instid1(SALU_CYCLE_1)
	s_and_not1_b32 s1, s1, exec_lo
	s_and_b32 s0, s0, exec_lo
	s_or_b32 s1, s1, s0
	s_or_b32 exec_lo, exec_lo, s66
	s_and_saveexec_b32 s66, s103
	s_cbranch_execz .LBB695_162
.LBB695_282:
	global_load_u8 v58, v[4:5], off offset:960
	s_waitcnt vmcnt(0)
	v_and_b32_e32 v58, 1, v58
	s_delay_alu instid0(VALU_DEP_1) | instskip(NEXT) | instid1(VALU_DEP_1)
	v_cmp_eq_u32_e64 s0, 1, v58
	s_xor_b32 s30, s0, -1
	s_mov_b32 s0, s1
	s_and_saveexec_b32 s74, s30
; %bb.283:
	v_cmp_gt_f64_e64 s0, v[54:55], v[92:93]
	s_delay_alu instid0(VALU_DEP_1) | instskip(NEXT) | instid1(SALU_CYCLE_1)
	s_and_b32 s0, s1, s0
	v_cndmask_b32_e64 v55, v93, v55, s0
	v_cndmask_b32_e64 v54, v92, v54, s0
	s_or_b32 s0, s1, exec_lo
; %bb.284:
	s_or_b32 exec_lo, exec_lo, s74
	s_delay_alu instid0(SALU_CYCLE_1) | instskip(SKIP_1) | instid1(SALU_CYCLE_1)
	s_and_not1_b32 s1, s1, exec_lo
	s_and_b32 s0, s0, exec_lo
	s_or_b32 s1, s1, s0
	s_or_b32 exec_lo, exec_lo, s66
	s_and_saveexec_b32 s66, s102
	s_cbranch_execz .LBB695_163
.LBB695_285:
	global_load_u8 v58, v[4:5], off offset:992
	s_waitcnt vmcnt(0)
	v_and_b32_e32 v58, 1, v58
	s_delay_alu instid0(VALU_DEP_1) | instskip(NEXT) | instid1(VALU_DEP_1)
	v_cmp_eq_u32_e64 s0, 1, v58
	s_xor_b32 s30, s0, -1
	s_mov_b32 s0, s1
	s_and_saveexec_b32 s74, s30
; %bb.286:
	v_cmp_gt_f64_e64 s0, v[54:55], v[86:87]
	s_delay_alu instid0(VALU_DEP_1) | instskip(NEXT) | instid1(SALU_CYCLE_1)
	s_and_b32 s0, s1, s0
	v_cndmask_b32_e64 v55, v87, v55, s0
	v_cndmask_b32_e64 v54, v86, v54, s0
	s_or_b32 s0, s1, exec_lo
; %bb.287:
	s_or_b32 exec_lo, exec_lo, s74
	s_delay_alu instid0(SALU_CYCLE_1) | instskip(SKIP_1) | instid1(SALU_CYCLE_1)
	s_and_not1_b32 s1, s1, exec_lo
	s_and_b32 s0, s0, exec_lo
	s_or_b32 s1, s1, s0
	s_or_b32 exec_lo, exec_lo, s66
	s_and_saveexec_b32 s66, s101
	s_cbranch_execz .LBB695_164
.LBB695_288:
	global_load_u8 v58, v[4:5], off offset:1024
	s_waitcnt vmcnt(0)
	v_and_b32_e32 v58, 1, v58
	s_delay_alu instid0(VALU_DEP_1) | instskip(NEXT) | instid1(VALU_DEP_1)
	v_cmp_eq_u32_e64 s0, 1, v58
	s_xor_b32 s30, s0, -1
	s_mov_b32 s0, s1
	s_and_saveexec_b32 s74, s30
; %bb.289:
	v_cmp_gt_f64_e64 s0, v[54:55], v[84:85]
	s_delay_alu instid0(VALU_DEP_1) | instskip(NEXT) | instid1(SALU_CYCLE_1)
	s_and_b32 s0, s1, s0
	v_cndmask_b32_e64 v55, v85, v55, s0
	v_cndmask_b32_e64 v54, v84, v54, s0
	s_or_b32 s0, s1, exec_lo
; %bb.290:
	s_or_b32 exec_lo, exec_lo, s74
	s_delay_alu instid0(SALU_CYCLE_1) | instskip(SKIP_1) | instid1(SALU_CYCLE_1)
	s_and_not1_b32 s1, s1, exec_lo
	s_and_b32 s0, s0, exec_lo
	s_or_b32 s1, s1, s0
	s_or_b32 exec_lo, exec_lo, s66
	s_and_saveexec_b32 s66, s100
	s_cbranch_execz .LBB695_165
.LBB695_291:
	global_load_u8 v58, v[4:5], off offset:1056
	s_waitcnt vmcnt(0)
	v_and_b32_e32 v58, 1, v58
	s_delay_alu instid0(VALU_DEP_1) | instskip(NEXT) | instid1(VALU_DEP_1)
	v_cmp_eq_u32_e64 s0, 1, v58
	s_xor_b32 s30, s0, -1
	s_mov_b32 s0, s1
	s_and_saveexec_b32 s74, s30
; %bb.292:
	v_cmp_gt_f64_e64 s0, v[54:55], v[78:79]
	s_delay_alu instid0(VALU_DEP_1) | instskip(NEXT) | instid1(SALU_CYCLE_1)
	s_and_b32 s0, s1, s0
	v_cndmask_b32_e64 v55, v79, v55, s0
	v_cndmask_b32_e64 v54, v78, v54, s0
	s_or_b32 s0, s1, exec_lo
; %bb.293:
	s_or_b32 exec_lo, exec_lo, s74
	s_delay_alu instid0(SALU_CYCLE_1) | instskip(SKIP_1) | instid1(SALU_CYCLE_1)
	s_and_not1_b32 s1, s1, exec_lo
	s_and_b32 s0, s0, exec_lo
	s_or_b32 s1, s1, s0
	s_or_b32 exec_lo, exec_lo, s66
	s_and_saveexec_b32 s66, s99
	s_cbranch_execz .LBB695_166
.LBB695_294:
	global_load_u8 v58, v[4:5], off offset:1088
	s_waitcnt vmcnt(0)
	v_and_b32_e32 v58, 1, v58
	s_delay_alu instid0(VALU_DEP_1) | instskip(NEXT) | instid1(VALU_DEP_1)
	v_cmp_eq_u32_e64 s0, 1, v58
	s_xor_b32 s30, s0, -1
	s_mov_b32 s0, s1
	s_and_saveexec_b32 s74, s30
; %bb.295:
	v_cmp_gt_f64_e64 s0, v[54:55], v[76:77]
	s_delay_alu instid0(VALU_DEP_1) | instskip(NEXT) | instid1(SALU_CYCLE_1)
	s_and_b32 s0, s1, s0
	v_cndmask_b32_e64 v55, v77, v55, s0
	v_cndmask_b32_e64 v54, v76, v54, s0
	s_or_b32 s0, s1, exec_lo
; %bb.296:
	s_or_b32 exec_lo, exec_lo, s74
	s_delay_alu instid0(SALU_CYCLE_1) | instskip(SKIP_1) | instid1(SALU_CYCLE_1)
	s_and_not1_b32 s1, s1, exec_lo
	s_and_b32 s0, s0, exec_lo
	s_or_b32 s1, s1, s0
	s_or_b32 exec_lo, exec_lo, s66
	s_and_saveexec_b32 s66, s98
	s_cbranch_execz .LBB695_167
.LBB695_297:
	global_load_u8 v58, v[4:5], off offset:1120
	s_waitcnt vmcnt(0)
	v_and_b32_e32 v58, 1, v58
	s_delay_alu instid0(VALU_DEP_1) | instskip(NEXT) | instid1(VALU_DEP_1)
	v_cmp_eq_u32_e64 s0, 1, v58
	s_xor_b32 s30, s0, -1
	s_mov_b32 s0, s1
	s_and_saveexec_b32 s74, s30
; %bb.298:
	v_cmp_gt_f64_e64 s0, v[54:55], v[70:71]
	s_delay_alu instid0(VALU_DEP_1) | instskip(NEXT) | instid1(SALU_CYCLE_1)
	s_and_b32 s0, s1, s0
	v_cndmask_b32_e64 v55, v71, v55, s0
	v_cndmask_b32_e64 v54, v70, v54, s0
	s_or_b32 s0, s1, exec_lo
; %bb.299:
	s_or_b32 exec_lo, exec_lo, s74
	s_delay_alu instid0(SALU_CYCLE_1) | instskip(SKIP_1) | instid1(SALU_CYCLE_1)
	s_and_not1_b32 s1, s1, exec_lo
	s_and_b32 s0, s0, exec_lo
	s_or_b32 s1, s1, s0
	s_or_b32 exec_lo, exec_lo, s66
	s_and_saveexec_b32 s66, s97
	s_cbranch_execz .LBB695_168
.LBB695_300:
	global_load_u8 v58, v[4:5], off offset:1152
	s_waitcnt vmcnt(0)
	v_and_b32_e32 v58, 1, v58
	s_delay_alu instid0(VALU_DEP_1) | instskip(NEXT) | instid1(VALU_DEP_1)
	v_cmp_eq_u32_e64 s0, 1, v58
	s_xor_b32 s30, s0, -1
	s_mov_b32 s0, s1
	s_and_saveexec_b32 s74, s30
; %bb.301:
	v_cmp_gt_f64_e64 s0, v[54:55], v[68:69]
	s_delay_alu instid0(VALU_DEP_1) | instskip(NEXT) | instid1(SALU_CYCLE_1)
	s_and_b32 s0, s1, s0
	v_cndmask_b32_e64 v55, v69, v55, s0
	v_cndmask_b32_e64 v54, v68, v54, s0
	s_or_b32 s0, s1, exec_lo
; %bb.302:
	s_or_b32 exec_lo, exec_lo, s74
	s_delay_alu instid0(SALU_CYCLE_1) | instskip(SKIP_1) | instid1(SALU_CYCLE_1)
	s_and_not1_b32 s1, s1, exec_lo
	s_and_b32 s0, s0, exec_lo
	s_or_b32 s1, s1, s0
	s_or_b32 exec_lo, exec_lo, s66
	s_and_saveexec_b32 s66, s96
	s_cbranch_execz .LBB695_169
.LBB695_303:
	global_load_u8 v58, v[4:5], off offset:1184
	s_waitcnt vmcnt(0)
	v_and_b32_e32 v58, 1, v58
	s_delay_alu instid0(VALU_DEP_1) | instskip(NEXT) | instid1(VALU_DEP_1)
	v_cmp_eq_u32_e64 s0, 1, v58
	s_xor_b32 s30, s0, -1
	s_mov_b32 s0, s1
	s_and_saveexec_b32 s74, s30
; %bb.304:
	v_cmp_gt_f64_e64 s0, v[54:55], v[60:61]
	s_delay_alu instid0(VALU_DEP_1) | instskip(NEXT) | instid1(SALU_CYCLE_1)
	s_and_b32 s0, s1, s0
	v_cndmask_b32_e64 v55, v61, v55, s0
	v_cndmask_b32_e64 v54, v60, v54, s0
	s_or_b32 s0, s1, exec_lo
; %bb.305:
	s_or_b32 exec_lo, exec_lo, s74
	s_delay_alu instid0(SALU_CYCLE_1) | instskip(SKIP_1) | instid1(SALU_CYCLE_1)
	s_and_not1_b32 s1, s1, exec_lo
	s_and_b32 s0, s0, exec_lo
	s_or_b32 s1, s1, s0
	s_or_b32 exec_lo, exec_lo, s66
	s_and_saveexec_b32 s66, s95
	s_cbranch_execz .LBB695_170
.LBB695_306:
	global_load_u8 v58, v[4:5], off offset:1216
	s_waitcnt vmcnt(0)
	v_and_b32_e32 v58, 1, v58
	s_delay_alu instid0(VALU_DEP_1) | instskip(NEXT) | instid1(VALU_DEP_1)
	v_cmp_eq_u32_e64 s0, 1, v58
	s_xor_b32 s30, s0, -1
	s_mov_b32 s0, s1
	s_and_saveexec_b32 s74, s30
; %bb.307:
	v_cmp_gt_f64_e64 s0, v[54:55], v[56:57]
	s_delay_alu instid0(VALU_DEP_1) | instskip(NEXT) | instid1(SALU_CYCLE_1)
	s_and_b32 s0, s1, s0
	v_cndmask_b32_e64 v55, v57, v55, s0
	v_cndmask_b32_e64 v54, v56, v54, s0
	s_or_b32 s0, s1, exec_lo
; %bb.308:
	s_or_b32 exec_lo, exec_lo, s74
	s_delay_alu instid0(SALU_CYCLE_1) | instskip(SKIP_1) | instid1(SALU_CYCLE_1)
	s_and_not1_b32 s1, s1, exec_lo
	s_and_b32 s0, s0, exec_lo
	s_or_b32 s1, s1, s0
	s_or_b32 exec_lo, exec_lo, s66
	s_and_saveexec_b32 s66, s94
	s_cbranch_execz .LBB695_171
.LBB695_309:
	global_load_u8 v58, v[4:5], off offset:1248
	s_waitcnt vmcnt(0)
	v_and_b32_e32 v58, 1, v58
	s_delay_alu instid0(VALU_DEP_1) | instskip(NEXT) | instid1(VALU_DEP_1)
	v_cmp_eq_u32_e64 s0, 1, v58
	s_xor_b32 s30, s0, -1
	s_mov_b32 s0, s1
	s_and_saveexec_b32 s74, s30
; %bb.310:
	v_cmp_gt_f64_e64 s0, v[54:55], v[52:53]
	s_delay_alu instid0(VALU_DEP_1) | instskip(NEXT) | instid1(SALU_CYCLE_1)
	s_and_b32 s0, s1, s0
	v_cndmask_b32_e64 v55, v53, v55, s0
	v_cndmask_b32_e64 v54, v52, v54, s0
	s_or_b32 s0, s1, exec_lo
; %bb.311:
	s_or_b32 exec_lo, exec_lo, s74
	s_delay_alu instid0(SALU_CYCLE_1) | instskip(SKIP_1) | instid1(SALU_CYCLE_1)
	s_and_not1_b32 s1, s1, exec_lo
	s_and_b32 s0, s0, exec_lo
	s_or_b32 s1, s1, s0
	s_or_b32 exec_lo, exec_lo, s66
	s_and_saveexec_b32 s66, s93
	s_cbranch_execz .LBB695_172
.LBB695_312:
	global_load_u8 v58, v[4:5], off offset:1280
	s_waitcnt vmcnt(0)
	v_and_b32_e32 v58, 1, v58
	s_delay_alu instid0(VALU_DEP_1) | instskip(NEXT) | instid1(VALU_DEP_1)
	v_cmp_eq_u32_e64 s0, 1, v58
	s_xor_b32 s30, s0, -1
	s_mov_b32 s0, s1
	s_and_saveexec_b32 s74, s30
; %bb.313:
	v_cmp_gt_f64_e64 s0, v[54:55], v[50:51]
	s_delay_alu instid0(VALU_DEP_1) | instskip(NEXT) | instid1(SALU_CYCLE_1)
	s_and_b32 s0, s1, s0
	v_cndmask_b32_e64 v55, v51, v55, s0
	v_cndmask_b32_e64 v54, v50, v54, s0
	s_or_b32 s0, s1, exec_lo
; %bb.314:
	s_or_b32 exec_lo, exec_lo, s74
	s_delay_alu instid0(SALU_CYCLE_1) | instskip(SKIP_1) | instid1(SALU_CYCLE_1)
	s_and_not1_b32 s1, s1, exec_lo
	s_and_b32 s0, s0, exec_lo
	s_or_b32 s1, s1, s0
	s_or_b32 exec_lo, exec_lo, s66
	s_and_saveexec_b32 s66, s92
	s_cbranch_execz .LBB695_173
.LBB695_315:
	global_load_u8 v58, v[4:5], off offset:1312
	s_waitcnt vmcnt(0)
	v_and_b32_e32 v58, 1, v58
	s_delay_alu instid0(VALU_DEP_1) | instskip(NEXT) | instid1(VALU_DEP_1)
	v_cmp_eq_u32_e64 s0, 1, v58
	s_xor_b32 s30, s0, -1
	s_mov_b32 s0, s1
	s_and_saveexec_b32 s74, s30
; %bb.316:
	v_cmp_gt_f64_e64 s0, v[54:55], v[48:49]
	s_delay_alu instid0(VALU_DEP_1) | instskip(NEXT) | instid1(SALU_CYCLE_1)
	s_and_b32 s0, s1, s0
	v_cndmask_b32_e64 v55, v49, v55, s0
	v_cndmask_b32_e64 v54, v48, v54, s0
	s_or_b32 s0, s1, exec_lo
; %bb.317:
	s_or_b32 exec_lo, exec_lo, s74
	s_delay_alu instid0(SALU_CYCLE_1) | instskip(SKIP_1) | instid1(SALU_CYCLE_1)
	s_and_not1_b32 s1, s1, exec_lo
	s_and_b32 s0, s0, exec_lo
	s_or_b32 s1, s1, s0
	s_or_b32 exec_lo, exec_lo, s66
	s_and_saveexec_b32 s66, s91
	s_cbranch_execz .LBB695_174
.LBB695_318:
	global_load_u8 v58, v[4:5], off offset:1344
	s_waitcnt vmcnt(0)
	v_and_b32_e32 v58, 1, v58
	s_delay_alu instid0(VALU_DEP_1) | instskip(NEXT) | instid1(VALU_DEP_1)
	v_cmp_eq_u32_e64 s0, 1, v58
	s_xor_b32 s30, s0, -1
	s_mov_b32 s0, s1
	s_and_saveexec_b32 s74, s30
; %bb.319:
	v_cmp_gt_f64_e64 s0, v[54:55], v[46:47]
	s_delay_alu instid0(VALU_DEP_1) | instskip(NEXT) | instid1(SALU_CYCLE_1)
	s_and_b32 s0, s1, s0
	v_cndmask_b32_e64 v55, v47, v55, s0
	v_cndmask_b32_e64 v54, v46, v54, s0
	s_or_b32 s0, s1, exec_lo
; %bb.320:
	s_or_b32 exec_lo, exec_lo, s74
	s_delay_alu instid0(SALU_CYCLE_1) | instskip(SKIP_1) | instid1(SALU_CYCLE_1)
	s_and_not1_b32 s1, s1, exec_lo
	s_and_b32 s0, s0, exec_lo
	s_or_b32 s1, s1, s0
	s_or_b32 exec_lo, exec_lo, s66
	s_and_saveexec_b32 s66, s90
	s_cbranch_execz .LBB695_175
.LBB695_321:
	global_load_u8 v58, v[4:5], off offset:1376
	s_waitcnt vmcnt(0)
	v_and_b32_e32 v58, 1, v58
	s_delay_alu instid0(VALU_DEP_1) | instskip(NEXT) | instid1(VALU_DEP_1)
	v_cmp_eq_u32_e64 s0, 1, v58
	s_xor_b32 s30, s0, -1
	s_mov_b32 s0, s1
	s_and_saveexec_b32 s74, s30
; %bb.322:
	v_cmp_gt_f64_e64 s0, v[54:55], v[44:45]
	s_delay_alu instid0(VALU_DEP_1) | instskip(NEXT) | instid1(SALU_CYCLE_1)
	s_and_b32 s0, s1, s0
	v_cndmask_b32_e64 v55, v45, v55, s0
	v_cndmask_b32_e64 v54, v44, v54, s0
	s_or_b32 s0, s1, exec_lo
; %bb.323:
	s_or_b32 exec_lo, exec_lo, s74
	s_delay_alu instid0(SALU_CYCLE_1) | instskip(SKIP_1) | instid1(SALU_CYCLE_1)
	s_and_not1_b32 s1, s1, exec_lo
	s_and_b32 s0, s0, exec_lo
	s_or_b32 s1, s1, s0
	s_or_b32 exec_lo, exec_lo, s66
	s_and_saveexec_b32 s66, s89
	s_cbranch_execz .LBB695_176
.LBB695_324:
	global_load_u8 v58, v[4:5], off offset:1408
	s_waitcnt vmcnt(0)
	v_and_b32_e32 v58, 1, v58
	s_delay_alu instid0(VALU_DEP_1) | instskip(NEXT) | instid1(VALU_DEP_1)
	v_cmp_eq_u32_e64 s0, 1, v58
	s_xor_b32 s30, s0, -1
	s_mov_b32 s0, s1
	s_and_saveexec_b32 s74, s30
; %bb.325:
	v_cmp_gt_f64_e64 s0, v[54:55], v[42:43]
	s_delay_alu instid0(VALU_DEP_1) | instskip(NEXT) | instid1(SALU_CYCLE_1)
	s_and_b32 s0, s1, s0
	v_cndmask_b32_e64 v55, v43, v55, s0
	v_cndmask_b32_e64 v54, v42, v54, s0
	s_or_b32 s0, s1, exec_lo
; %bb.326:
	s_or_b32 exec_lo, exec_lo, s74
	s_delay_alu instid0(SALU_CYCLE_1) | instskip(SKIP_1) | instid1(SALU_CYCLE_1)
	s_and_not1_b32 s1, s1, exec_lo
	s_and_b32 s0, s0, exec_lo
	s_or_b32 s1, s1, s0
	s_or_b32 exec_lo, exec_lo, s66
	s_and_saveexec_b32 s66, s88
	s_cbranch_execz .LBB695_177
.LBB695_327:
	global_load_u8 v58, v[4:5], off offset:1440
	s_waitcnt vmcnt(0)
	v_and_b32_e32 v58, 1, v58
	s_delay_alu instid0(VALU_DEP_1) | instskip(NEXT) | instid1(VALU_DEP_1)
	v_cmp_eq_u32_e64 s0, 1, v58
	s_xor_b32 s30, s0, -1
	s_mov_b32 s0, s1
	s_and_saveexec_b32 s74, s30
; %bb.328:
	v_cmp_gt_f64_e64 s0, v[54:55], v[40:41]
	s_delay_alu instid0(VALU_DEP_1) | instskip(NEXT) | instid1(SALU_CYCLE_1)
	s_and_b32 s0, s1, s0
	v_cndmask_b32_e64 v55, v41, v55, s0
	v_cndmask_b32_e64 v54, v40, v54, s0
	s_or_b32 s0, s1, exec_lo
; %bb.329:
	s_or_b32 exec_lo, exec_lo, s74
	s_delay_alu instid0(SALU_CYCLE_1) | instskip(SKIP_1) | instid1(SALU_CYCLE_1)
	s_and_not1_b32 s1, s1, exec_lo
	s_and_b32 s0, s0, exec_lo
	s_or_b32 s1, s1, s0
	s_or_b32 exec_lo, exec_lo, s66
	s_and_saveexec_b32 s66, s87
	s_cbranch_execz .LBB695_178
.LBB695_330:
	global_load_u8 v58, v[4:5], off offset:1472
	s_waitcnt vmcnt(0)
	v_and_b32_e32 v58, 1, v58
	s_delay_alu instid0(VALU_DEP_1) | instskip(NEXT) | instid1(VALU_DEP_1)
	v_cmp_eq_u32_e64 s0, 1, v58
	s_xor_b32 s30, s0, -1
	s_mov_b32 s0, s1
	s_and_saveexec_b32 s74, s30
; %bb.331:
	v_cmp_gt_f64_e64 s0, v[54:55], v[38:39]
	s_delay_alu instid0(VALU_DEP_1) | instskip(NEXT) | instid1(SALU_CYCLE_1)
	s_and_b32 s0, s1, s0
	v_cndmask_b32_e64 v55, v39, v55, s0
	v_cndmask_b32_e64 v54, v38, v54, s0
	s_or_b32 s0, s1, exec_lo
; %bb.332:
	s_or_b32 exec_lo, exec_lo, s74
	s_delay_alu instid0(SALU_CYCLE_1) | instskip(SKIP_1) | instid1(SALU_CYCLE_1)
	s_and_not1_b32 s1, s1, exec_lo
	s_and_b32 s0, s0, exec_lo
	s_or_b32 s1, s1, s0
	s_or_b32 exec_lo, exec_lo, s66
	s_and_saveexec_b32 s66, s86
	s_cbranch_execz .LBB695_179
.LBB695_333:
	global_load_u8 v58, v[4:5], off offset:1504
	s_waitcnt vmcnt(0)
	v_and_b32_e32 v58, 1, v58
	s_delay_alu instid0(VALU_DEP_1) | instskip(NEXT) | instid1(VALU_DEP_1)
	v_cmp_eq_u32_e64 s0, 1, v58
	s_xor_b32 s30, s0, -1
	s_mov_b32 s0, s1
	s_and_saveexec_b32 s74, s30
; %bb.334:
	v_cmp_gt_f64_e64 s0, v[54:55], v[36:37]
	s_delay_alu instid0(VALU_DEP_1) | instskip(NEXT) | instid1(SALU_CYCLE_1)
	s_and_b32 s0, s1, s0
	v_cndmask_b32_e64 v55, v37, v55, s0
	v_cndmask_b32_e64 v54, v36, v54, s0
	s_or_b32 s0, s1, exec_lo
; %bb.335:
	s_or_b32 exec_lo, exec_lo, s74
	s_delay_alu instid0(SALU_CYCLE_1) | instskip(SKIP_1) | instid1(SALU_CYCLE_1)
	s_and_not1_b32 s1, s1, exec_lo
	s_and_b32 s0, s0, exec_lo
	s_or_b32 s1, s1, s0
	s_or_b32 exec_lo, exec_lo, s66
	s_and_saveexec_b32 s66, s85
	s_cbranch_execz .LBB695_180
.LBB695_336:
	global_load_u8 v58, v[4:5], off offset:1536
	s_waitcnt vmcnt(0)
	v_and_b32_e32 v58, 1, v58
	s_delay_alu instid0(VALU_DEP_1) | instskip(NEXT) | instid1(VALU_DEP_1)
	v_cmp_eq_u32_e64 s0, 1, v58
	s_xor_b32 s30, s0, -1
	s_mov_b32 s0, s1
	s_and_saveexec_b32 s74, s30
; %bb.337:
	v_cmp_gt_f64_e64 s0, v[54:55], v[34:35]
	s_delay_alu instid0(VALU_DEP_1) | instskip(NEXT) | instid1(SALU_CYCLE_1)
	s_and_b32 s0, s1, s0
	v_cndmask_b32_e64 v55, v35, v55, s0
	v_cndmask_b32_e64 v54, v34, v54, s0
	s_or_b32 s0, s1, exec_lo
; %bb.338:
	s_or_b32 exec_lo, exec_lo, s74
	s_delay_alu instid0(SALU_CYCLE_1) | instskip(SKIP_1) | instid1(SALU_CYCLE_1)
	s_and_not1_b32 s1, s1, exec_lo
	s_and_b32 s0, s0, exec_lo
	s_or_b32 s1, s1, s0
	s_or_b32 exec_lo, exec_lo, s66
	s_and_saveexec_b32 s66, s84
	s_cbranch_execz .LBB695_181
.LBB695_339:
	global_load_u8 v58, v[4:5], off offset:1568
	s_waitcnt vmcnt(0)
	v_and_b32_e32 v58, 1, v58
	s_delay_alu instid0(VALU_DEP_1) | instskip(NEXT) | instid1(VALU_DEP_1)
	v_cmp_eq_u32_e64 s0, 1, v58
	s_xor_b32 s30, s0, -1
	s_mov_b32 s0, s1
	s_and_saveexec_b32 s74, s30
; %bb.340:
	v_cmp_gt_f64_e64 s0, v[54:55], v[32:33]
	s_delay_alu instid0(VALU_DEP_1) | instskip(NEXT) | instid1(SALU_CYCLE_1)
	s_and_b32 s0, s1, s0
	v_cndmask_b32_e64 v55, v33, v55, s0
	v_cndmask_b32_e64 v54, v32, v54, s0
	s_or_b32 s0, s1, exec_lo
; %bb.341:
	s_or_b32 exec_lo, exec_lo, s74
	s_delay_alu instid0(SALU_CYCLE_1) | instskip(SKIP_1) | instid1(SALU_CYCLE_1)
	s_and_not1_b32 s1, s1, exec_lo
	s_and_b32 s0, s0, exec_lo
	s_or_b32 s1, s1, s0
	s_or_b32 exec_lo, exec_lo, s66
	s_and_saveexec_b32 s66, s83
	s_cbranch_execz .LBB695_182
.LBB695_342:
	global_load_u8 v58, v[4:5], off offset:1600
	s_waitcnt vmcnt(0)
	v_and_b32_e32 v58, 1, v58
	s_delay_alu instid0(VALU_DEP_1) | instskip(NEXT) | instid1(VALU_DEP_1)
	v_cmp_eq_u32_e64 s0, 1, v58
	s_xor_b32 s30, s0, -1
	s_mov_b32 s0, s1
	s_and_saveexec_b32 s74, s30
; %bb.343:
	v_cmp_gt_f64_e64 s0, v[54:55], v[30:31]
	s_delay_alu instid0(VALU_DEP_1) | instskip(NEXT) | instid1(SALU_CYCLE_1)
	s_and_b32 s0, s1, s0
	v_cndmask_b32_e64 v55, v31, v55, s0
	v_cndmask_b32_e64 v54, v30, v54, s0
	s_or_b32 s0, s1, exec_lo
; %bb.344:
	s_or_b32 exec_lo, exec_lo, s74
	s_delay_alu instid0(SALU_CYCLE_1) | instskip(SKIP_1) | instid1(SALU_CYCLE_1)
	s_and_not1_b32 s1, s1, exec_lo
	s_and_b32 s0, s0, exec_lo
	s_or_b32 s1, s1, s0
	s_or_b32 exec_lo, exec_lo, s66
	s_and_saveexec_b32 s66, s82
	s_cbranch_execz .LBB695_183
.LBB695_345:
	global_load_u8 v58, v[4:5], off offset:1632
	s_waitcnt vmcnt(0)
	v_and_b32_e32 v58, 1, v58
	s_delay_alu instid0(VALU_DEP_1) | instskip(NEXT) | instid1(VALU_DEP_1)
	v_cmp_eq_u32_e64 s0, 1, v58
	s_xor_b32 s30, s0, -1
	s_mov_b32 s0, s1
	s_and_saveexec_b32 s74, s30
; %bb.346:
	v_cmp_gt_f64_e64 s0, v[54:55], v[28:29]
	s_delay_alu instid0(VALU_DEP_1) | instskip(NEXT) | instid1(SALU_CYCLE_1)
	s_and_b32 s0, s1, s0
	v_cndmask_b32_e64 v55, v29, v55, s0
	v_cndmask_b32_e64 v54, v28, v54, s0
	s_or_b32 s0, s1, exec_lo
; %bb.347:
	s_or_b32 exec_lo, exec_lo, s74
	s_delay_alu instid0(SALU_CYCLE_1) | instskip(SKIP_1) | instid1(SALU_CYCLE_1)
	s_and_not1_b32 s1, s1, exec_lo
	s_and_b32 s0, s0, exec_lo
	s_or_b32 s1, s1, s0
	s_or_b32 exec_lo, exec_lo, s66
	s_and_saveexec_b32 s66, s81
	s_cbranch_execz .LBB695_184
.LBB695_348:
	global_load_u8 v58, v[4:5], off offset:1664
	s_waitcnt vmcnt(0)
	v_and_b32_e32 v58, 1, v58
	s_delay_alu instid0(VALU_DEP_1) | instskip(NEXT) | instid1(VALU_DEP_1)
	v_cmp_eq_u32_e64 s0, 1, v58
	s_xor_b32 s30, s0, -1
	s_mov_b32 s0, s1
	s_and_saveexec_b32 s74, s30
; %bb.349:
	v_cmp_gt_f64_e64 s0, v[54:55], v[26:27]
	s_delay_alu instid0(VALU_DEP_1) | instskip(NEXT) | instid1(SALU_CYCLE_1)
	s_and_b32 s0, s1, s0
	v_cndmask_b32_e64 v55, v27, v55, s0
	v_cndmask_b32_e64 v54, v26, v54, s0
	s_or_b32 s0, s1, exec_lo
; %bb.350:
	s_or_b32 exec_lo, exec_lo, s74
	s_delay_alu instid0(SALU_CYCLE_1) | instskip(SKIP_1) | instid1(SALU_CYCLE_1)
	s_and_not1_b32 s1, s1, exec_lo
	s_and_b32 s0, s0, exec_lo
	s_or_b32 s1, s1, s0
	s_or_b32 exec_lo, exec_lo, s66
	s_and_saveexec_b32 s66, s80
	s_cbranch_execz .LBB695_185
.LBB695_351:
	global_load_u8 v58, v[4:5], off offset:1696
	s_waitcnt vmcnt(0)
	v_and_b32_e32 v58, 1, v58
	s_delay_alu instid0(VALU_DEP_1) | instskip(NEXT) | instid1(VALU_DEP_1)
	v_cmp_eq_u32_e64 s0, 1, v58
	s_xor_b32 s30, s0, -1
	s_mov_b32 s0, s1
	s_and_saveexec_b32 s74, s30
; %bb.352:
	v_cmp_gt_f64_e64 s0, v[54:55], v[24:25]
	s_delay_alu instid0(VALU_DEP_1) | instskip(NEXT) | instid1(SALU_CYCLE_1)
	s_and_b32 s0, s1, s0
	v_cndmask_b32_e64 v55, v25, v55, s0
	v_cndmask_b32_e64 v54, v24, v54, s0
	s_or_b32 s0, s1, exec_lo
; %bb.353:
	s_or_b32 exec_lo, exec_lo, s74
	s_delay_alu instid0(SALU_CYCLE_1) | instskip(SKIP_1) | instid1(SALU_CYCLE_1)
	s_and_not1_b32 s1, s1, exec_lo
	s_and_b32 s0, s0, exec_lo
	s_or_b32 s1, s1, s0
	s_or_b32 exec_lo, exec_lo, s66
	s_and_saveexec_b32 s66, s79
	s_cbranch_execz .LBB695_186
.LBB695_354:
	global_load_u8 v58, v[4:5], off offset:1728
	s_waitcnt vmcnt(0)
	v_and_b32_e32 v58, 1, v58
	s_delay_alu instid0(VALU_DEP_1) | instskip(NEXT) | instid1(VALU_DEP_1)
	v_cmp_eq_u32_e64 s0, 1, v58
	s_xor_b32 s30, s0, -1
	s_mov_b32 s0, s1
	s_and_saveexec_b32 s74, s30
; %bb.355:
	v_cmp_gt_f64_e64 s0, v[54:55], v[22:23]
	s_delay_alu instid0(VALU_DEP_1) | instskip(NEXT) | instid1(SALU_CYCLE_1)
	s_and_b32 s0, s1, s0
	v_cndmask_b32_e64 v55, v23, v55, s0
	v_cndmask_b32_e64 v54, v22, v54, s0
	s_or_b32 s0, s1, exec_lo
; %bb.356:
	s_or_b32 exec_lo, exec_lo, s74
	s_delay_alu instid0(SALU_CYCLE_1) | instskip(SKIP_1) | instid1(SALU_CYCLE_1)
	s_and_not1_b32 s1, s1, exec_lo
	s_and_b32 s0, s0, exec_lo
	s_or_b32 s1, s1, s0
	s_or_b32 exec_lo, exec_lo, s66
	s_and_saveexec_b32 s66, s78
	s_cbranch_execz .LBB695_187
.LBB695_357:
	global_load_u8 v58, v[4:5], off offset:1760
	s_waitcnt vmcnt(0)
	v_and_b32_e32 v58, 1, v58
	s_delay_alu instid0(VALU_DEP_1) | instskip(NEXT) | instid1(VALU_DEP_1)
	v_cmp_eq_u32_e64 s0, 1, v58
	s_xor_b32 s30, s0, -1
	s_mov_b32 s0, s1
	s_and_saveexec_b32 s74, s30
; %bb.358:
	v_cmp_gt_f64_e64 s0, v[54:55], v[20:21]
	s_delay_alu instid0(VALU_DEP_1) | instskip(NEXT) | instid1(SALU_CYCLE_1)
	s_and_b32 s0, s1, s0
	v_cndmask_b32_e64 v55, v21, v55, s0
	v_cndmask_b32_e64 v54, v20, v54, s0
	s_or_b32 s0, s1, exec_lo
; %bb.359:
	s_or_b32 exec_lo, exec_lo, s74
	s_delay_alu instid0(SALU_CYCLE_1) | instskip(SKIP_1) | instid1(SALU_CYCLE_1)
	s_and_not1_b32 s1, s1, exec_lo
	s_and_b32 s0, s0, exec_lo
	s_or_b32 s1, s1, s0
	s_or_b32 exec_lo, exec_lo, s66
	s_and_saveexec_b32 s66, s77
	s_cbranch_execz .LBB695_188
.LBB695_360:
	global_load_u8 v58, v[4:5], off offset:1792
	s_waitcnt vmcnt(0)
	v_and_b32_e32 v58, 1, v58
	s_delay_alu instid0(VALU_DEP_1) | instskip(NEXT) | instid1(VALU_DEP_1)
	v_cmp_eq_u32_e64 s0, 1, v58
	s_xor_b32 s30, s0, -1
	s_mov_b32 s0, s1
	s_and_saveexec_b32 s74, s30
; %bb.361:
	v_cmp_gt_f64_e64 s0, v[54:55], v[18:19]
	s_delay_alu instid0(VALU_DEP_1) | instskip(NEXT) | instid1(SALU_CYCLE_1)
	s_and_b32 s0, s1, s0
	v_cndmask_b32_e64 v55, v19, v55, s0
	v_cndmask_b32_e64 v54, v18, v54, s0
	s_or_b32 s0, s1, exec_lo
; %bb.362:
	s_or_b32 exec_lo, exec_lo, s74
	s_delay_alu instid0(SALU_CYCLE_1) | instskip(SKIP_1) | instid1(SALU_CYCLE_1)
	s_and_not1_b32 s1, s1, exec_lo
	s_and_b32 s0, s0, exec_lo
	s_or_b32 s1, s1, s0
	s_or_b32 exec_lo, exec_lo, s66
	s_and_saveexec_b32 s66, s76
	s_cbranch_execz .LBB695_189
.LBB695_363:
	global_load_u8 v58, v[4:5], off offset:1824
	s_waitcnt vmcnt(0)
	v_and_b32_e32 v58, 1, v58
	s_delay_alu instid0(VALU_DEP_1) | instskip(NEXT) | instid1(VALU_DEP_1)
	v_cmp_eq_u32_e64 s0, 1, v58
	s_xor_b32 s30, s0, -1
	s_mov_b32 s0, s1
	s_and_saveexec_b32 s74, s30
; %bb.364:
	v_cmp_gt_f64_e64 s0, v[54:55], v[16:17]
	s_delay_alu instid0(VALU_DEP_1) | instskip(NEXT) | instid1(SALU_CYCLE_1)
	s_and_b32 s0, s1, s0
	v_cndmask_b32_e64 v55, v17, v55, s0
	v_cndmask_b32_e64 v54, v16, v54, s0
	s_or_b32 s0, s1, exec_lo
; %bb.365:
	s_or_b32 exec_lo, exec_lo, s74
	s_delay_alu instid0(SALU_CYCLE_1) | instskip(SKIP_1) | instid1(SALU_CYCLE_1)
	s_and_not1_b32 s1, s1, exec_lo
	s_and_b32 s0, s0, exec_lo
	s_or_b32 s1, s1, s0
	s_or_b32 exec_lo, exec_lo, s66
	s_and_saveexec_b32 s66, s75
	s_cbranch_execz .LBB695_190
.LBB695_366:
	global_load_u8 v58, v[4:5], off offset:1856
	s_waitcnt vmcnt(0)
	v_and_b32_e32 v58, 1, v58
	s_delay_alu instid0(VALU_DEP_1) | instskip(NEXT) | instid1(VALU_DEP_1)
	v_cmp_eq_u32_e64 s0, 1, v58
	s_xor_b32 s30, s0, -1
	s_mov_b32 s0, s1
	s_and_saveexec_b32 s74, s30
; %bb.367:
	v_cmp_gt_f64_e64 s0, v[54:55], v[14:15]
	s_delay_alu instid0(VALU_DEP_1) | instskip(NEXT) | instid1(SALU_CYCLE_1)
	s_and_b32 s0, s1, s0
	v_cndmask_b32_e64 v55, v15, v55, s0
	v_cndmask_b32_e64 v54, v14, v54, s0
	s_or_b32 s0, s1, exec_lo
; %bb.368:
	s_or_b32 exec_lo, exec_lo, s74
	s_delay_alu instid0(SALU_CYCLE_1) | instskip(SKIP_1) | instid1(SALU_CYCLE_1)
	s_and_not1_b32 s1, s1, exec_lo
	s_and_b32 s0, s0, exec_lo
	s_or_b32 s1, s1, s0
	s_or_b32 exec_lo, exec_lo, s66
	s_and_saveexec_b32 s66, s73
	s_cbranch_execz .LBB695_191
.LBB695_369:
	global_load_u8 v58, v[4:5], off offset:1888
	s_waitcnt vmcnt(0)
	v_and_b32_e32 v58, 1, v58
	s_delay_alu instid0(VALU_DEP_1) | instskip(NEXT) | instid1(VALU_DEP_1)
	v_cmp_eq_u32_e64 s0, 1, v58
	s_xor_b32 s30, s0, -1
	s_mov_b32 s0, s1
	s_and_saveexec_b32 s74, s30
; %bb.370:
	v_cmp_gt_f64_e64 s0, v[54:55], v[12:13]
	s_delay_alu instid0(VALU_DEP_1) | instskip(NEXT) | instid1(SALU_CYCLE_1)
	s_and_b32 s0, s1, s0
	v_cndmask_b32_e64 v55, v13, v55, s0
	v_cndmask_b32_e64 v54, v12, v54, s0
	s_or_b32 s0, s1, exec_lo
; %bb.371:
	s_or_b32 exec_lo, exec_lo, s74
	s_delay_alu instid0(SALU_CYCLE_1) | instskip(SKIP_1) | instid1(SALU_CYCLE_1)
	s_and_not1_b32 s1, s1, exec_lo
	s_and_b32 s0, s0, exec_lo
	s_or_b32 s1, s1, s0
	s_or_b32 exec_lo, exec_lo, s66
	s_and_saveexec_b32 s66, s72
	s_cbranch_execz .LBB695_192
.LBB695_372:
	global_load_u8 v58, v[4:5], off offset:1920
	s_waitcnt vmcnt(0)
	v_and_b32_e32 v58, 1, v58
	s_delay_alu instid0(VALU_DEP_1) | instskip(NEXT) | instid1(VALU_DEP_1)
	v_cmp_eq_u32_e64 s0, 1, v58
	s_xor_b32 s30, s0, -1
	s_mov_b32 s0, s1
	s_and_saveexec_b32 s74, s30
; %bb.373:
	v_cmp_gt_f64_e64 s0, v[54:55], v[10:11]
	s_delay_alu instid0(VALU_DEP_1) | instskip(NEXT) | instid1(SALU_CYCLE_1)
	s_and_b32 s0, s1, s0
	v_cndmask_b32_e64 v55, v11, v55, s0
	v_cndmask_b32_e64 v54, v10, v54, s0
	s_or_b32 s0, s1, exec_lo
; %bb.374:
	s_or_b32 exec_lo, exec_lo, s74
	s_delay_alu instid0(SALU_CYCLE_1) | instskip(SKIP_1) | instid1(SALU_CYCLE_1)
	s_and_not1_b32 s1, s1, exec_lo
	s_and_b32 s0, s0, exec_lo
	s_or_b32 s1, s1, s0
	s_or_b32 exec_lo, exec_lo, s66
	s_and_saveexec_b32 s66, s71
	s_cbranch_execz .LBB695_193
.LBB695_375:
	global_load_u8 v58, v[4:5], off offset:1952
	s_waitcnt vmcnt(0)
	v_and_b32_e32 v58, 1, v58
	s_delay_alu instid0(VALU_DEP_1) | instskip(NEXT) | instid1(VALU_DEP_1)
	v_cmp_eq_u32_e64 s0, 1, v58
	s_xor_b32 s30, s0, -1
	s_mov_b32 s0, s1
	s_and_saveexec_b32 s74, s30
; %bb.376:
	v_cmp_gt_f64_e64 s0, v[54:55], v[8:9]
	s_delay_alu instid0(VALU_DEP_1) | instskip(NEXT) | instid1(SALU_CYCLE_1)
	s_and_b32 s0, s1, s0
	v_cndmask_b32_e64 v55, v9, v55, s0
	v_cndmask_b32_e64 v54, v8, v54, s0
	s_or_b32 s0, s1, exec_lo
; %bb.377:
	s_or_b32 exec_lo, exec_lo, s74
	s_delay_alu instid0(SALU_CYCLE_1) | instskip(SKIP_1) | instid1(SALU_CYCLE_1)
	s_and_not1_b32 s1, s1, exec_lo
	s_and_b32 s0, s0, exec_lo
	s_or_b32 s1, s1, s0
	s_or_b32 exec_lo, exec_lo, s66
	s_and_saveexec_b32 s66, s70
	s_cbranch_execz .LBB695_194
.LBB695_378:
	global_load_u8 v58, v[4:5], off offset:1984
	s_waitcnt vmcnt(0)
	v_and_b32_e32 v58, 1, v58
	s_delay_alu instid0(VALU_DEP_1) | instskip(NEXT) | instid1(VALU_DEP_1)
	v_cmp_eq_u32_e64 s0, 1, v58
	s_xor_b32 s30, s0, -1
	s_mov_b32 s0, s1
	s_and_saveexec_b32 s74, s30
; %bb.379:
	v_cmp_gt_f64_e64 s0, v[54:55], v[6:7]
	s_delay_alu instid0(VALU_DEP_1) | instskip(NEXT) | instid1(SALU_CYCLE_1)
	s_and_b32 s0, s1, s0
	v_cndmask_b32_e64 v55, v7, v55, s0
	v_cndmask_b32_e64 v54, v6, v54, s0
	s_or_b32 s0, s1, exec_lo
; %bb.380:
	s_or_b32 exec_lo, exec_lo, s74
	s_delay_alu instid0(SALU_CYCLE_1) | instskip(SKIP_1) | instid1(SALU_CYCLE_1)
	s_and_not1_b32 s1, s1, exec_lo
	s_and_b32 s0, s0, exec_lo
	s_or_b32 s1, s1, s0
	s_or_b32 exec_lo, exec_lo, s66
	s_and_saveexec_b32 s66, s67
	s_cbranch_execz .LBB695_384
.LBB695_381:
	global_load_u8 v58, v[4:5], off offset:2016
	s_waitcnt vmcnt(0)
	v_and_b32_e32 v58, 1, v58
	s_delay_alu instid0(VALU_DEP_1) | instskip(NEXT) | instid1(VALU_DEP_1)
	v_cmp_eq_u32_e64 s0, 1, v58
	s_xor_b32 s30, s0, -1
	s_mov_b32 s0, s1
	s_and_saveexec_b32 s74, s30
; %bb.382:
	v_cmp_gt_f64_e64 s0, v[54:55], v[2:3]
	s_delay_alu instid0(VALU_DEP_1) | instskip(NEXT) | instid1(SALU_CYCLE_1)
	s_and_b32 s0, s1, s0
	v_cndmask_b32_e64 v55, v3, v55, s0
	v_cndmask_b32_e64 v54, v2, v54, s0
	s_or_b32 s0, s1, exec_lo
; %bb.383:
	s_or_b32 exec_lo, exec_lo, s74
	s_delay_alu instid0(SALU_CYCLE_1) | instskip(SKIP_1) | instid1(SALU_CYCLE_1)
	s_and_not1_b32 s1, s1, exec_lo
	s_and_b32 s0, s0, exec_lo
	s_or_b32 s1, s1, s0
.LBB695_384:
	s_or_b32 exec_lo, exec_lo, s66
	v_mbcnt_lo_u32_b32 v62, -1, 0
	v_cndmask_b32_e64 v54, 0, v54, s1
	v_cndmask_b32_e64 v55, 0xfff00000, v55, s1
	s_delay_alu instid0(VALU_DEP_3) | instskip(SKIP_1) | instid1(VALU_DEP_2)
	v_xor_b32_e32 v58, 16, v62
	v_xor_b32_e32 v63, 8, v62
	v_cmp_gt_i32_e64 s0, 32, v58
	s_delay_alu instid0(VALU_DEP_2) | instskip(NEXT) | instid1(VALU_DEP_2)
	v_cmp_gt_i32_e64 s1, 32, v63
	v_cndmask_b32_e64 v58, v62, v58, s0
	s_delay_alu instid0(VALU_DEP_2) | instskip(NEXT) | instid1(VALU_DEP_2)
	v_cndmask_b32_e64 v63, v62, v63, s1
	v_lshlrev_b32_e32 v141, 2, v58
	s_delay_alu instid0(VALU_DEP_2) | instskip(SKIP_4) | instid1(VALU_DEP_1)
	v_lshlrev_b32_e32 v142, 2, v63
	v_xor_b32_e32 v63, 4, v62
	ds_bpermute_b32 v58, v141, v54
	ds_bpermute_b32 v59, v141, v55
	v_cmp_gt_i32_e64 s1, 32, v63
	v_cndmask_b32_e64 v63, v62, v63, s1
	s_delay_alu instid0(VALU_DEP_1) | instskip(SKIP_1) | instid1(VALU_DEP_1)
	v_lshlrev_b32_e32 v143, 2, v63
	v_xor_b32_e32 v63, 2, v62
	v_cmp_gt_i32_e64 s1, 32, v63
	s_waitcnt lgkmcnt(0)
	v_cmp_lt_f64_e64 s0, v[54:55], v[58:59]
	s_delay_alu instid0(VALU_DEP_2) | instskip(NEXT) | instid1(VALU_DEP_1)
	v_cndmask_b32_e64 v63, v62, v63, s1
	v_lshlrev_b32_e32 v144, 2, v63
	v_xor_b32_e32 v63, 1, v62
	s_delay_alu instid0(VALU_DEP_1) | instskip(NEXT) | instid1(VALU_DEP_1)
	v_cmp_gt_i32_e64 s1, 32, v63
	v_cndmask_b32_e64 v62, v62, v63, s1
	s_delay_alu instid0(VALU_DEP_1)
	v_lshlrev_b32_e32 v145, 2, v62
	v_cndmask_b32_e64 v55, v55, v59, s0
	v_cndmask_b32_e64 v54, v54, v58, s0
	ds_bpermute_b32 v59, v142, v55
	ds_bpermute_b32 v58, v142, v54
	s_waitcnt lgkmcnt(0)
	v_cmp_lt_f64_e64 s0, v[54:55], v[58:59]
	s_delay_alu instid0(VALU_DEP_1)
	v_cndmask_b32_e64 v55, v55, v59, s0
	v_cndmask_b32_e64 v54, v54, v58, s0
	ds_bpermute_b32 v59, v143, v55
	ds_bpermute_b32 v58, v143, v54
	s_waitcnt lgkmcnt(0)
	v_cmp_lt_f64_e64 s0, v[54:55], v[58:59]
	s_delay_alu instid0(VALU_DEP_1)
	;; [unrolled: 7-line block ×3, first 2 shown]
	v_cndmask_b32_e64 v63, v55, v59, s0
	v_cndmask_b32_e64 v62, v54, v58, s0
	v_mov_b32_e32 v54, 0
	v_mov_b32_e32 v55, 0
	ds_bpermute_b32 v65, v145, v63
	ds_bpermute_b32 v64, v145, v62
	v_dual_mov_b32 v59, v55 :: v_dual_mov_b32 v58, v54
	s_waitcnt lgkmcnt(0)
	v_cmp_lt_f64_e64 s0, v[62:63], v[64:65]
	s_delay_alu instid0(VALU_DEP_1)
	v_cndmask_b32_e64 v65, v63, v65, s0
	v_cndmask_b32_e64 v64, v62, v64, s0
	v_dual_mov_b32 v63, v55 :: v_dual_mov_b32 v62, v54
	s_and_saveexec_b32 s66, s28
	s_cbranch_execz .LBB695_388
; %bb.385:
	global_load_u8 v58, v[4:5], off
	v_mov_b32_e32 v62, 0
	s_waitcnt vmcnt(0)
	v_dual_mov_b32 v63, 0 :: v_dual_and_b32 v58, 1, v58
	s_delay_alu instid0(VALU_DEP_1) | instskip(NEXT) | instid1(VALU_DEP_2)
	v_cmp_eq_u32_e64 s0, 1, v58
	v_dual_mov_b32 v58, v62 :: v_dual_mov_b32 v59, v63
	s_delay_alu instid0(VALU_DEP_2) | instskip(NEXT) | instid1(SALU_CYCLE_1)
	s_xor_b32 s0, s0, -1
	s_and_saveexec_b32 s28, s0
	s_cbranch_execz .LBB695_387
; %bb.386:
	v_add_f64 v[58:59], v[66:67], -v[64:65]
	s_mov_b32 s0, 0x652b82fe
	s_mov_b32 s1, 0x3ff71547
	;; [unrolled: 1-line block ×4, first 2 shown]
	s_delay_alu instid0(VALU_DEP_1) | instskip(SKIP_2) | instid1(VALU_DEP_1)
	v_mul_f64 v[62:63], v[58:59], s[0:1]
	s_mov_b32 s0, 0xfefa39ef
	s_mov_b32 s1, 0xbfe62e42
	v_rndne_f64_e32 v[62:63], v[62:63]
	s_delay_alu instid0(VALU_DEP_1) | instskip(SKIP_3) | instid1(VALU_DEP_2)
	v_fma_f64 v[66:67], v[62:63], s[0:1], v[58:59]
	s_mov_b32 s0, 0x3b39803f
	s_mov_b32 s1, 0xbc7abc9e
	v_cvt_i32_f64_e32 v148, v[62:63]
	v_fma_f64 v[66:67], v[62:63], s[0:1], v[66:67]
	s_mov_b32 s0, 0xfca7ab0c
	s_mov_b32 s1, 0x3e928af3
	s_delay_alu instid0(VALU_DEP_1) | instid1(SALU_CYCLE_1)
	v_fma_f64 v[146:147], v[66:67], s[30:31], s[0:1]
	s_mov_b32 s0, 0x623fde64
	s_mov_b32 s1, 0x3ec71dee
	s_delay_alu instid0(VALU_DEP_1) | instid1(SALU_CYCLE_1)
	;; [unrolled: 4-line block ×9, first 2 shown]
	v_fma_f64 v[146:147], v[66:67], v[146:147], s[0:1]
	v_cmp_nlt_f64_e64 s0, 0x40900000, v[58:59]
	v_cmp_ngt_f64_e64 s1, 0xc090cc00, v[58:59]
	s_delay_alu instid0(VALU_DEP_3) | instskip(NEXT) | instid1(VALU_DEP_1)
	v_fma_f64 v[146:147], v[66:67], v[146:147], 1.0
	v_fma_f64 v[62:63], v[66:67], v[146:147], 1.0
	s_delay_alu instid0(VALU_DEP_1) | instskip(NEXT) | instid1(VALU_DEP_1)
	v_ldexp_f64 v[62:63], v[62:63], v148
	v_cndmask_b32_e64 v63, 0x7ff00000, v63, s0
	s_and_b32 s0, s1, s0
	s_delay_alu instid0(VALU_DEP_2) | instid1(SALU_CYCLE_1)
	v_cndmask_b32_e64 v58, 0, v62, s0
	s_delay_alu instid0(VALU_DEP_2) | instskip(NEXT) | instid1(VALU_DEP_1)
	v_cndmask_b32_e64 v59, 0, v63, s1
	v_add_f64 v[62:63], v[58:59], 0
.LBB695_387:
	s_or_b32 exec_lo, exec_lo, s28
.LBB695_388:
	s_delay_alu instid0(SALU_CYCLE_1)
	s_or_b32 exec_lo, exec_lo, s66
	v_dual_mov_b32 v67, v55 :: v_dual_mov_b32 v66, v54
	s_and_saveexec_b32 s28, s27
	s_cbranch_execz .LBB695_392
; %bb.389:
	global_load_u8 v66, v[4:5], off offset:32
	s_waitcnt vmcnt(0)
	v_and_b32_e32 v66, 1, v66
	s_delay_alu instid0(VALU_DEP_1) | instskip(SKIP_2) | instid1(VALU_DEP_3)
	v_cmp_eq_u32_e64 s0, 1, v66
	v_mov_b32_e32 v66, 0
	v_mov_b32_e32 v67, 0
	s_xor_b32 s0, s0, -1
	s_delay_alu instid0(SALU_CYCLE_1)
	s_and_saveexec_b32 s27, s0
	s_cbranch_execz .LBB695_391
; %bb.390:
	v_add_f64 v[66:67], v[74:75], -v[64:65]
	s_mov_b32 s0, 0x652b82fe
	s_mov_b32 s1, 0x3ff71547
	;; [unrolled: 1-line block ×4, first 2 shown]
	s_delay_alu instid0(VALU_DEP_1) | instskip(SKIP_2) | instid1(VALU_DEP_1)
	v_mul_f64 v[74:75], v[66:67], s[0:1]
	s_mov_b32 s0, 0xfefa39ef
	s_mov_b32 s1, 0xbfe62e42
	v_rndne_f64_e32 v[74:75], v[74:75]
	s_delay_alu instid0(VALU_DEP_1) | instskip(SKIP_3) | instid1(VALU_DEP_2)
	v_fma_f64 v[146:147], v[74:75], s[0:1], v[66:67]
	s_mov_b32 s0, 0x3b39803f
	s_mov_b32 s1, 0xbc7abc9e
	v_cvt_i32_f64_e32 v150, v[74:75]
	v_fma_f64 v[146:147], v[74:75], s[0:1], v[146:147]
	s_mov_b32 s0, 0xfca7ab0c
	s_mov_b32 s1, 0x3e928af3
	s_delay_alu instid0(VALU_DEP_1) | instid1(SALU_CYCLE_1)
	v_fma_f64 v[148:149], v[146:147], s[30:31], s[0:1]
	s_mov_b32 s0, 0x623fde64
	s_mov_b32 s1, 0x3ec71dee
	s_delay_alu instid0(VALU_DEP_1) | instid1(SALU_CYCLE_1)
	;; [unrolled: 4-line block ×9, first 2 shown]
	v_fma_f64 v[148:149], v[146:147], v[148:149], s[0:1]
	v_cmp_nlt_f64_e64 s0, 0x40900000, v[66:67]
	v_cmp_ngt_f64_e64 s1, 0xc090cc00, v[66:67]
	s_delay_alu instid0(VALU_DEP_3) | instskip(NEXT) | instid1(VALU_DEP_1)
	v_fma_f64 v[148:149], v[146:147], v[148:149], 1.0
	v_fma_f64 v[74:75], v[146:147], v[148:149], 1.0
	s_delay_alu instid0(VALU_DEP_1) | instskip(NEXT) | instid1(VALU_DEP_1)
	v_ldexp_f64 v[74:75], v[74:75], v150
	v_cndmask_b32_e64 v75, 0x7ff00000, v75, s0
	s_and_b32 s0, s1, s0
	s_delay_alu instid0(VALU_DEP_2) | instid1(SALU_CYCLE_1)
	v_cndmask_b32_e64 v66, 0, v74, s0
	s_delay_alu instid0(VALU_DEP_2) | instskip(NEXT) | instid1(VALU_DEP_1)
	v_cndmask_b32_e64 v67, 0, v75, s1
	v_add_f64 v[62:63], v[62:63], v[66:67]
.LBB695_391:
	s_or_b32 exec_lo, exec_lo, s27
.LBB695_392:
	s_delay_alu instid0(SALU_CYCLE_1)
	s_or_b32 exec_lo, exec_lo, s28
	s_and_saveexec_b32 s27, s26
	s_cbranch_execz .LBB695_396
; %bb.393:
	global_load_u8 v54, v[4:5], off offset:64
	s_waitcnt vmcnt(0)
	v_and_b32_e32 v54, 1, v54
	s_delay_alu instid0(VALU_DEP_1) | instskip(SKIP_2) | instid1(VALU_DEP_3)
	v_cmp_eq_u32_e64 s0, 1, v54
	v_mov_b32_e32 v54, 0
	v_mov_b32_e32 v55, 0
	s_xor_b32 s0, s0, -1
	s_delay_alu instid0(SALU_CYCLE_1)
	s_and_saveexec_b32 s26, s0
	s_cbranch_execz .LBB695_395
; %bb.394:
	v_add_f64 v[54:55], v[72:73], -v[64:65]
	s_mov_b32 s0, 0x652b82fe
	s_mov_b32 s1, 0x3ff71547
	;; [unrolled: 1-line block ×4, first 2 shown]
	s_delay_alu instid0(VALU_DEP_1) | instskip(SKIP_2) | instid1(VALU_DEP_1)
	v_mul_f64 v[72:73], v[54:55], s[0:1]
	s_mov_b32 s0, 0xfefa39ef
	s_mov_b32 s1, 0xbfe62e42
	v_rndne_f64_e32 v[72:73], v[72:73]
	s_delay_alu instid0(VALU_DEP_1) | instskip(SKIP_3) | instid1(VALU_DEP_2)
	v_fma_f64 v[74:75], v[72:73], s[0:1], v[54:55]
	s_mov_b32 s0, 0x3b39803f
	s_mov_b32 s1, 0xbc7abc9e
	v_cvt_i32_f64_e32 v148, v[72:73]
	v_fma_f64 v[74:75], v[72:73], s[0:1], v[74:75]
	s_mov_b32 s0, 0xfca7ab0c
	s_mov_b32 s1, 0x3e928af3
	s_delay_alu instid0(VALU_DEP_1) | instid1(SALU_CYCLE_1)
	v_fma_f64 v[146:147], v[74:75], s[30:31], s[0:1]
	s_mov_b32 s0, 0x623fde64
	s_mov_b32 s1, 0x3ec71dee
	s_delay_alu instid0(VALU_DEP_1) | instid1(SALU_CYCLE_1)
	;; [unrolled: 4-line block ×9, first 2 shown]
	v_fma_f64 v[146:147], v[74:75], v[146:147], s[0:1]
	v_cmp_nlt_f64_e64 s0, 0x40900000, v[54:55]
	v_cmp_ngt_f64_e64 s1, 0xc090cc00, v[54:55]
	s_delay_alu instid0(VALU_DEP_3) | instskip(NEXT) | instid1(VALU_DEP_1)
	v_fma_f64 v[146:147], v[74:75], v[146:147], 1.0
	v_fma_f64 v[72:73], v[74:75], v[146:147], 1.0
	s_delay_alu instid0(VALU_DEP_1) | instskip(NEXT) | instid1(VALU_DEP_1)
	v_ldexp_f64 v[72:73], v[72:73], v148
	v_cndmask_b32_e64 v73, 0x7ff00000, v73, s0
	s_and_b32 s0, s1, s0
	s_delay_alu instid0(VALU_DEP_2) | instid1(SALU_CYCLE_1)
	v_cndmask_b32_e64 v54, 0, v72, s0
	s_delay_alu instid0(VALU_DEP_2) | instskip(NEXT) | instid1(VALU_DEP_1)
	v_cndmask_b32_e64 v55, 0, v73, s1
	v_add_f64 v[62:63], v[62:63], v[54:55]
.LBB695_395:
	s_or_b32 exec_lo, exec_lo, s26
.LBB695_396:
	s_delay_alu instid0(SALU_CYCLE_1) | instskip(SKIP_2) | instid1(VALU_DEP_1)
	s_or_b32 exec_lo, exec_lo, s27
	v_mov_b32_e32 v72, 0
	v_mov_b32_e32 v73, 0
	v_dual_mov_b32 v75, v73 :: v_dual_mov_b32 v74, v72
	s_and_saveexec_b32 s26, s25
	s_cbranch_execz .LBB695_400
; %bb.397:
	global_load_u8 v74, v[4:5], off offset:96
	s_waitcnt vmcnt(0)
	v_and_b32_e32 v74, 1, v74
	s_delay_alu instid0(VALU_DEP_1) | instskip(SKIP_2) | instid1(VALU_DEP_3)
	v_cmp_eq_u32_e64 s0, 1, v74
	v_mov_b32_e32 v74, 0
	v_mov_b32_e32 v75, 0
	s_xor_b32 s0, s0, -1
	s_delay_alu instid0(SALU_CYCLE_1)
	s_and_saveexec_b32 s25, s0
	s_cbranch_execz .LBB695_399
; %bb.398:
	v_add_f64 v[74:75], v[82:83], -v[64:65]
	s_mov_b32 s0, 0x652b82fe
	s_mov_b32 s1, 0x3ff71547
	;; [unrolled: 1-line block ×4, first 2 shown]
	s_delay_alu instid0(VALU_DEP_1) | instskip(SKIP_2) | instid1(VALU_DEP_1)
	v_mul_f64 v[82:83], v[74:75], s[0:1]
	s_mov_b32 s0, 0xfefa39ef
	s_mov_b32 s1, 0xbfe62e42
	v_rndne_f64_e32 v[82:83], v[82:83]
	s_delay_alu instid0(VALU_DEP_1) | instskip(SKIP_3) | instid1(VALU_DEP_2)
	v_fma_f64 v[146:147], v[82:83], s[0:1], v[74:75]
	s_mov_b32 s0, 0x3b39803f
	s_mov_b32 s1, 0xbc7abc9e
	v_cvt_i32_f64_e32 v150, v[82:83]
	v_fma_f64 v[146:147], v[82:83], s[0:1], v[146:147]
	s_mov_b32 s0, 0xfca7ab0c
	s_mov_b32 s1, 0x3e928af3
	s_delay_alu instid0(VALU_DEP_1) | instid1(SALU_CYCLE_1)
	v_fma_f64 v[148:149], v[146:147], s[30:31], s[0:1]
	s_mov_b32 s0, 0x623fde64
	s_mov_b32 s1, 0x3ec71dee
	s_delay_alu instid0(VALU_DEP_1) | instid1(SALU_CYCLE_1)
	;; [unrolled: 4-line block ×9, first 2 shown]
	v_fma_f64 v[148:149], v[146:147], v[148:149], s[0:1]
	v_cmp_nlt_f64_e64 s0, 0x40900000, v[74:75]
	v_cmp_ngt_f64_e64 s1, 0xc090cc00, v[74:75]
	s_delay_alu instid0(VALU_DEP_3) | instskip(NEXT) | instid1(VALU_DEP_1)
	v_fma_f64 v[148:149], v[146:147], v[148:149], 1.0
	v_fma_f64 v[82:83], v[146:147], v[148:149], 1.0
	s_delay_alu instid0(VALU_DEP_1) | instskip(NEXT) | instid1(VALU_DEP_1)
	v_ldexp_f64 v[82:83], v[82:83], v150
	v_cndmask_b32_e64 v83, 0x7ff00000, v83, s0
	s_and_b32 s0, s1, s0
	s_delay_alu instid0(VALU_DEP_2) | instid1(SALU_CYCLE_1)
	v_cndmask_b32_e64 v74, 0, v82, s0
	s_delay_alu instid0(VALU_DEP_2) | instskip(NEXT) | instid1(VALU_DEP_1)
	v_cndmask_b32_e64 v75, 0, v83, s1
	v_add_f64 v[62:63], v[62:63], v[74:75]
.LBB695_399:
	s_or_b32 exec_lo, exec_lo, s25
.LBB695_400:
	s_delay_alu instid0(SALU_CYCLE_1)
	s_or_b32 exec_lo, exec_lo, s26
	s_and_saveexec_b32 s25, s24
	s_cbranch_execz .LBB695_404
; %bb.401:
	global_load_u8 v72, v[4:5], off offset:128
	s_waitcnt vmcnt(0)
	v_and_b32_e32 v72, 1, v72
	s_delay_alu instid0(VALU_DEP_1) | instskip(SKIP_2) | instid1(VALU_DEP_3)
	v_cmp_eq_u32_e64 s0, 1, v72
	v_mov_b32_e32 v72, 0
	v_mov_b32_e32 v73, 0
	s_xor_b32 s0, s0, -1
	s_delay_alu instid0(SALU_CYCLE_1)
	s_and_saveexec_b32 s24, s0
	s_cbranch_execz .LBB695_403
; %bb.402:
	v_add_f64 v[72:73], v[80:81], -v[64:65]
	s_mov_b32 s0, 0x652b82fe
	s_mov_b32 s1, 0x3ff71547
	;; [unrolled: 1-line block ×4, first 2 shown]
	s_delay_alu instid0(VALU_DEP_1) | instskip(SKIP_2) | instid1(VALU_DEP_1)
	v_mul_f64 v[80:81], v[72:73], s[0:1]
	s_mov_b32 s0, 0xfefa39ef
	s_mov_b32 s1, 0xbfe62e42
	v_rndne_f64_e32 v[80:81], v[80:81]
	s_delay_alu instid0(VALU_DEP_1) | instskip(SKIP_3) | instid1(VALU_DEP_2)
	v_fma_f64 v[82:83], v[80:81], s[0:1], v[72:73]
	s_mov_b32 s0, 0x3b39803f
	s_mov_b32 s1, 0xbc7abc9e
	v_cvt_i32_f64_e32 v148, v[80:81]
	v_fma_f64 v[82:83], v[80:81], s[0:1], v[82:83]
	s_mov_b32 s0, 0xfca7ab0c
	s_mov_b32 s1, 0x3e928af3
	s_delay_alu instid0(VALU_DEP_1) | instid1(SALU_CYCLE_1)
	v_fma_f64 v[146:147], v[82:83], s[26:27], s[0:1]
	s_mov_b32 s0, 0x623fde64
	s_mov_b32 s1, 0x3ec71dee
	s_delay_alu instid0(VALU_DEP_1) | instid1(SALU_CYCLE_1)
	;; [unrolled: 4-line block ×9, first 2 shown]
	v_fma_f64 v[146:147], v[82:83], v[146:147], s[0:1]
	v_cmp_nlt_f64_e64 s0, 0x40900000, v[72:73]
	v_cmp_ngt_f64_e64 s1, 0xc090cc00, v[72:73]
	s_delay_alu instid0(VALU_DEP_3) | instskip(NEXT) | instid1(VALU_DEP_1)
	v_fma_f64 v[146:147], v[82:83], v[146:147], 1.0
	v_fma_f64 v[80:81], v[82:83], v[146:147], 1.0
	s_delay_alu instid0(VALU_DEP_1) | instskip(NEXT) | instid1(VALU_DEP_1)
	v_ldexp_f64 v[80:81], v[80:81], v148
	v_cndmask_b32_e64 v81, 0x7ff00000, v81, s0
	s_and_b32 s0, s1, s0
	s_delay_alu instid0(VALU_DEP_2) | instid1(SALU_CYCLE_1)
	v_cndmask_b32_e64 v72, 0, v80, s0
	s_delay_alu instid0(VALU_DEP_2) | instskip(NEXT) | instid1(VALU_DEP_1)
	v_cndmask_b32_e64 v73, 0, v81, s1
	v_add_f64 v[62:63], v[62:63], v[72:73]
.LBB695_403:
	s_or_b32 exec_lo, exec_lo, s24
.LBB695_404:
	s_delay_alu instid0(SALU_CYCLE_1) | instskip(SKIP_2) | instid1(VALU_DEP_1)
	s_or_b32 exec_lo, exec_lo, s25
	v_mov_b32_e32 v80, 0
	v_mov_b32_e32 v81, 0
	v_dual_mov_b32 v83, v81 :: v_dual_mov_b32 v82, v80
	s_and_saveexec_b32 s24, s23
	s_cbranch_execz .LBB695_408
; %bb.405:
	global_load_u8 v82, v[4:5], off offset:160
	s_waitcnt vmcnt(0)
	v_and_b32_e32 v82, 1, v82
	s_delay_alu instid0(VALU_DEP_1) | instskip(SKIP_2) | instid1(VALU_DEP_3)
	v_cmp_eq_u32_e64 s0, 1, v82
	v_mov_b32_e32 v82, 0
	v_mov_b32_e32 v83, 0
	s_xor_b32 s0, s0, -1
	s_delay_alu instid0(SALU_CYCLE_1)
	s_and_saveexec_b32 s23, s0
	s_cbranch_execz .LBB695_407
; %bb.406:
	v_add_f64 v[82:83], v[90:91], -v[64:65]
	s_mov_b32 s0, 0x652b82fe
	s_mov_b32 s1, 0x3ff71547
	;; [unrolled: 1-line block ×4, first 2 shown]
	s_delay_alu instid0(VALU_DEP_1) | instskip(SKIP_2) | instid1(VALU_DEP_1)
	v_mul_f64 v[90:91], v[82:83], s[0:1]
	s_mov_b32 s0, 0xfefa39ef
	s_mov_b32 s1, 0xbfe62e42
	v_rndne_f64_e32 v[90:91], v[90:91]
	s_delay_alu instid0(VALU_DEP_1) | instskip(SKIP_3) | instid1(VALU_DEP_2)
	v_fma_f64 v[146:147], v[90:91], s[0:1], v[82:83]
	s_mov_b32 s0, 0x3b39803f
	s_mov_b32 s1, 0xbc7abc9e
	v_cvt_i32_f64_e32 v150, v[90:91]
	v_fma_f64 v[146:147], v[90:91], s[0:1], v[146:147]
	s_mov_b32 s0, 0xfca7ab0c
	s_mov_b32 s1, 0x3e928af3
	s_delay_alu instid0(VALU_DEP_1) | instid1(SALU_CYCLE_1)
	v_fma_f64 v[148:149], v[146:147], s[26:27], s[0:1]
	s_mov_b32 s0, 0x623fde64
	s_mov_b32 s1, 0x3ec71dee
	s_delay_alu instid0(VALU_DEP_1) | instid1(SALU_CYCLE_1)
	;; [unrolled: 4-line block ×9, first 2 shown]
	v_fma_f64 v[148:149], v[146:147], v[148:149], s[0:1]
	v_cmp_nlt_f64_e64 s0, 0x40900000, v[82:83]
	v_cmp_ngt_f64_e64 s1, 0xc090cc00, v[82:83]
	s_delay_alu instid0(VALU_DEP_3) | instskip(NEXT) | instid1(VALU_DEP_1)
	v_fma_f64 v[148:149], v[146:147], v[148:149], 1.0
	v_fma_f64 v[90:91], v[146:147], v[148:149], 1.0
	s_delay_alu instid0(VALU_DEP_1) | instskip(NEXT) | instid1(VALU_DEP_1)
	v_ldexp_f64 v[90:91], v[90:91], v150
	v_cndmask_b32_e64 v91, 0x7ff00000, v91, s0
	s_and_b32 s0, s1, s0
	s_delay_alu instid0(VALU_DEP_2) | instid1(SALU_CYCLE_1)
	v_cndmask_b32_e64 v82, 0, v90, s0
	s_delay_alu instid0(VALU_DEP_2) | instskip(NEXT) | instid1(VALU_DEP_1)
	v_cndmask_b32_e64 v83, 0, v91, s1
	v_add_f64 v[62:63], v[62:63], v[82:83]
.LBB695_407:
	s_or_b32 exec_lo, exec_lo, s23
.LBB695_408:
	s_delay_alu instid0(SALU_CYCLE_1)
	s_or_b32 exec_lo, exec_lo, s24
	s_and_saveexec_b32 s23, s22
	s_cbranch_execz .LBB695_412
; %bb.409:
	global_load_u8 v80, v[4:5], off offset:192
	s_waitcnt vmcnt(0)
	v_and_b32_e32 v80, 1, v80
	s_delay_alu instid0(VALU_DEP_1) | instskip(SKIP_2) | instid1(VALU_DEP_3)
	v_cmp_eq_u32_e64 s0, 1, v80
	v_mov_b32_e32 v80, 0
	v_mov_b32_e32 v81, 0
	s_xor_b32 s0, s0, -1
	s_delay_alu instid0(SALU_CYCLE_1)
	s_and_saveexec_b32 s22, s0
	s_cbranch_execz .LBB695_411
; %bb.410:
	v_add_f64 v[80:81], v[88:89], -v[64:65]
	s_mov_b32 s0, 0x652b82fe
	s_mov_b32 s1, 0x3ff71547
	;; [unrolled: 1-line block ×4, first 2 shown]
	s_delay_alu instid0(VALU_DEP_1) | instskip(SKIP_2) | instid1(VALU_DEP_1)
	v_mul_f64 v[88:89], v[80:81], s[0:1]
	s_mov_b32 s0, 0xfefa39ef
	s_mov_b32 s1, 0xbfe62e42
	v_rndne_f64_e32 v[88:89], v[88:89]
	s_delay_alu instid0(VALU_DEP_1) | instskip(SKIP_3) | instid1(VALU_DEP_2)
	v_fma_f64 v[90:91], v[88:89], s[0:1], v[80:81]
	s_mov_b32 s0, 0x3b39803f
	s_mov_b32 s1, 0xbc7abc9e
	v_cvt_i32_f64_e32 v148, v[88:89]
	v_fma_f64 v[90:91], v[88:89], s[0:1], v[90:91]
	s_mov_b32 s0, 0xfca7ab0c
	s_mov_b32 s1, 0x3e928af3
	s_delay_alu instid0(VALU_DEP_1) | instid1(SALU_CYCLE_1)
	v_fma_f64 v[146:147], v[90:91], s[24:25], s[0:1]
	s_mov_b32 s0, 0x623fde64
	s_mov_b32 s1, 0x3ec71dee
	s_delay_alu instid0(VALU_DEP_1) | instid1(SALU_CYCLE_1)
	;; [unrolled: 4-line block ×9, first 2 shown]
	v_fma_f64 v[146:147], v[90:91], v[146:147], s[0:1]
	v_cmp_nlt_f64_e64 s0, 0x40900000, v[80:81]
	v_cmp_ngt_f64_e64 s1, 0xc090cc00, v[80:81]
	s_delay_alu instid0(VALU_DEP_3) | instskip(NEXT) | instid1(VALU_DEP_1)
	v_fma_f64 v[146:147], v[90:91], v[146:147], 1.0
	v_fma_f64 v[88:89], v[90:91], v[146:147], 1.0
	s_delay_alu instid0(VALU_DEP_1) | instskip(NEXT) | instid1(VALU_DEP_1)
	v_ldexp_f64 v[88:89], v[88:89], v148
	v_cndmask_b32_e64 v89, 0x7ff00000, v89, s0
	s_and_b32 s0, s1, s0
	s_delay_alu instid0(VALU_DEP_2) | instid1(SALU_CYCLE_1)
	v_cndmask_b32_e64 v80, 0, v88, s0
	s_delay_alu instid0(VALU_DEP_2) | instskip(NEXT) | instid1(VALU_DEP_1)
	v_cndmask_b32_e64 v81, 0, v89, s1
	v_add_f64 v[62:63], v[62:63], v[80:81]
.LBB695_411:
	s_or_b32 exec_lo, exec_lo, s22
.LBB695_412:
	s_delay_alu instid0(SALU_CYCLE_1) | instskip(SKIP_2) | instid1(VALU_DEP_1)
	s_or_b32 exec_lo, exec_lo, s23
	v_mov_b32_e32 v88, 0
	v_mov_b32_e32 v89, 0
	v_dual_mov_b32 v91, v89 :: v_dual_mov_b32 v90, v88
	s_and_saveexec_b32 s22, s21
	s_cbranch_execz .LBB695_416
; %bb.413:
	global_load_u8 v90, v[4:5], off offset:224
	s_waitcnt vmcnt(0)
	v_and_b32_e32 v90, 1, v90
	s_delay_alu instid0(VALU_DEP_1) | instskip(SKIP_2) | instid1(VALU_DEP_3)
	v_cmp_eq_u32_e64 s0, 1, v90
	v_mov_b32_e32 v90, 0
	v_mov_b32_e32 v91, 0
	s_xor_b32 s0, s0, -1
	s_delay_alu instid0(SALU_CYCLE_1)
	s_and_saveexec_b32 s21, s0
	s_cbranch_execz .LBB695_415
; %bb.414:
	v_add_f64 v[90:91], v[98:99], -v[64:65]
	s_mov_b32 s0, 0x652b82fe
	s_mov_b32 s1, 0x3ff71547
	;; [unrolled: 1-line block ×4, first 2 shown]
	s_delay_alu instid0(VALU_DEP_1) | instskip(SKIP_2) | instid1(VALU_DEP_1)
	v_mul_f64 v[98:99], v[90:91], s[0:1]
	s_mov_b32 s0, 0xfefa39ef
	s_mov_b32 s1, 0xbfe62e42
	v_rndne_f64_e32 v[98:99], v[98:99]
	s_delay_alu instid0(VALU_DEP_1) | instskip(SKIP_3) | instid1(VALU_DEP_2)
	v_fma_f64 v[146:147], v[98:99], s[0:1], v[90:91]
	s_mov_b32 s0, 0x3b39803f
	s_mov_b32 s1, 0xbc7abc9e
	v_cvt_i32_f64_e32 v150, v[98:99]
	v_fma_f64 v[146:147], v[98:99], s[0:1], v[146:147]
	s_mov_b32 s0, 0xfca7ab0c
	s_mov_b32 s1, 0x3e928af3
	s_delay_alu instid0(VALU_DEP_1) | instid1(SALU_CYCLE_1)
	v_fma_f64 v[148:149], v[146:147], s[24:25], s[0:1]
	s_mov_b32 s0, 0x623fde64
	s_mov_b32 s1, 0x3ec71dee
	s_delay_alu instid0(VALU_DEP_1) | instid1(SALU_CYCLE_1)
	;; [unrolled: 4-line block ×9, first 2 shown]
	v_fma_f64 v[148:149], v[146:147], v[148:149], s[0:1]
	v_cmp_nlt_f64_e64 s0, 0x40900000, v[90:91]
	v_cmp_ngt_f64_e64 s1, 0xc090cc00, v[90:91]
	s_delay_alu instid0(VALU_DEP_3) | instskip(NEXT) | instid1(VALU_DEP_1)
	v_fma_f64 v[148:149], v[146:147], v[148:149], 1.0
	v_fma_f64 v[98:99], v[146:147], v[148:149], 1.0
	s_delay_alu instid0(VALU_DEP_1) | instskip(NEXT) | instid1(VALU_DEP_1)
	v_ldexp_f64 v[98:99], v[98:99], v150
	v_cndmask_b32_e64 v99, 0x7ff00000, v99, s0
	s_and_b32 s0, s1, s0
	s_delay_alu instid0(VALU_DEP_2) | instid1(SALU_CYCLE_1)
	v_cndmask_b32_e64 v90, 0, v98, s0
	s_delay_alu instid0(VALU_DEP_2) | instskip(NEXT) | instid1(VALU_DEP_1)
	v_cndmask_b32_e64 v91, 0, v99, s1
	v_add_f64 v[62:63], v[62:63], v[90:91]
.LBB695_415:
	s_or_b32 exec_lo, exec_lo, s21
.LBB695_416:
	s_delay_alu instid0(SALU_CYCLE_1)
	s_or_b32 exec_lo, exec_lo, s22
	s_and_saveexec_b32 s21, s20
	s_cbranch_execz .LBB695_420
; %bb.417:
	global_load_u8 v88, v[4:5], off offset:256
	s_waitcnt vmcnt(0)
	v_and_b32_e32 v88, 1, v88
	s_delay_alu instid0(VALU_DEP_1) | instskip(SKIP_2) | instid1(VALU_DEP_3)
	v_cmp_eq_u32_e64 s0, 1, v88
	v_mov_b32_e32 v88, 0
	v_mov_b32_e32 v89, 0
	s_xor_b32 s0, s0, -1
	s_delay_alu instid0(SALU_CYCLE_1)
	s_and_saveexec_b32 s20, s0
	s_cbranch_execz .LBB695_419
; %bb.418:
	v_add_f64 v[88:89], v[96:97], -v[64:65]
	s_mov_b32 s0, 0x652b82fe
	s_mov_b32 s1, 0x3ff71547
	s_mov_b32 s22, 0x6a5dcb37
	s_mov_b32 s23, 0x3e5ade15
	s_delay_alu instid0(VALU_DEP_1) | instskip(SKIP_2) | instid1(VALU_DEP_1)
	v_mul_f64 v[96:97], v[88:89], s[0:1]
	s_mov_b32 s0, 0xfefa39ef
	s_mov_b32 s1, 0xbfe62e42
	v_rndne_f64_e32 v[96:97], v[96:97]
	s_delay_alu instid0(VALU_DEP_1) | instskip(SKIP_3) | instid1(VALU_DEP_2)
	v_fma_f64 v[98:99], v[96:97], s[0:1], v[88:89]
	s_mov_b32 s0, 0x3b39803f
	s_mov_b32 s1, 0xbc7abc9e
	v_cvt_i32_f64_e32 v148, v[96:97]
	v_fma_f64 v[98:99], v[96:97], s[0:1], v[98:99]
	s_mov_b32 s0, 0xfca7ab0c
	s_mov_b32 s1, 0x3e928af3
	s_delay_alu instid0(VALU_DEP_1) | instid1(SALU_CYCLE_1)
	v_fma_f64 v[146:147], v[98:99], s[22:23], s[0:1]
	s_mov_b32 s0, 0x623fde64
	s_mov_b32 s1, 0x3ec71dee
	s_delay_alu instid0(VALU_DEP_1) | instid1(SALU_CYCLE_1)
	;; [unrolled: 4-line block ×9, first 2 shown]
	v_fma_f64 v[146:147], v[98:99], v[146:147], s[0:1]
	v_cmp_nlt_f64_e64 s0, 0x40900000, v[88:89]
	v_cmp_ngt_f64_e64 s1, 0xc090cc00, v[88:89]
	s_delay_alu instid0(VALU_DEP_3) | instskip(NEXT) | instid1(VALU_DEP_1)
	v_fma_f64 v[146:147], v[98:99], v[146:147], 1.0
	v_fma_f64 v[96:97], v[98:99], v[146:147], 1.0
	s_delay_alu instid0(VALU_DEP_1) | instskip(NEXT) | instid1(VALU_DEP_1)
	v_ldexp_f64 v[96:97], v[96:97], v148
	v_cndmask_b32_e64 v97, 0x7ff00000, v97, s0
	s_and_b32 s0, s1, s0
	s_delay_alu instid0(VALU_DEP_2) | instid1(SALU_CYCLE_1)
	v_cndmask_b32_e64 v88, 0, v96, s0
	s_delay_alu instid0(VALU_DEP_2) | instskip(NEXT) | instid1(VALU_DEP_1)
	v_cndmask_b32_e64 v89, 0, v97, s1
	v_add_f64 v[62:63], v[62:63], v[88:89]
.LBB695_419:
	s_or_b32 exec_lo, exec_lo, s20
.LBB695_420:
	s_delay_alu instid0(SALU_CYCLE_1) | instskip(SKIP_2) | instid1(VALU_DEP_1)
	s_or_b32 exec_lo, exec_lo, s21
	v_mov_b32_e32 v96, 0
	v_mov_b32_e32 v97, 0
	v_dual_mov_b32 v99, v97 :: v_dual_mov_b32 v98, v96
	s_and_saveexec_b32 s20, s19
	s_cbranch_execz .LBB695_424
; %bb.421:
	global_load_u8 v98, v[4:5], off offset:288
	s_waitcnt vmcnt(0)
	v_and_b32_e32 v98, 1, v98
	s_delay_alu instid0(VALU_DEP_1) | instskip(SKIP_2) | instid1(VALU_DEP_3)
	v_cmp_eq_u32_e64 s0, 1, v98
	v_mov_b32_e32 v98, 0
	v_mov_b32_e32 v99, 0
	s_xor_b32 s0, s0, -1
	s_delay_alu instid0(SALU_CYCLE_1)
	s_and_saveexec_b32 s19, s0
	s_cbranch_execz .LBB695_423
; %bb.422:
	v_add_f64 v[98:99], v[106:107], -v[64:65]
	s_mov_b32 s0, 0x652b82fe
	s_mov_b32 s1, 0x3ff71547
	;; [unrolled: 1-line block ×4, first 2 shown]
	s_delay_alu instid0(VALU_DEP_1) | instskip(SKIP_2) | instid1(VALU_DEP_1)
	v_mul_f64 v[106:107], v[98:99], s[0:1]
	s_mov_b32 s0, 0xfefa39ef
	s_mov_b32 s1, 0xbfe62e42
	v_rndne_f64_e32 v[106:107], v[106:107]
	s_delay_alu instid0(VALU_DEP_1) | instskip(SKIP_3) | instid1(VALU_DEP_2)
	v_fma_f64 v[146:147], v[106:107], s[0:1], v[98:99]
	s_mov_b32 s0, 0x3b39803f
	s_mov_b32 s1, 0xbc7abc9e
	v_cvt_i32_f64_e32 v150, v[106:107]
	v_fma_f64 v[146:147], v[106:107], s[0:1], v[146:147]
	s_mov_b32 s0, 0xfca7ab0c
	s_mov_b32 s1, 0x3e928af3
	s_delay_alu instid0(VALU_DEP_1) | instid1(SALU_CYCLE_1)
	v_fma_f64 v[148:149], v[146:147], s[22:23], s[0:1]
	s_mov_b32 s0, 0x623fde64
	s_mov_b32 s1, 0x3ec71dee
	s_delay_alu instid0(VALU_DEP_1) | instid1(SALU_CYCLE_1)
	;; [unrolled: 4-line block ×9, first 2 shown]
	v_fma_f64 v[148:149], v[146:147], v[148:149], s[0:1]
	v_cmp_nlt_f64_e64 s0, 0x40900000, v[98:99]
	v_cmp_ngt_f64_e64 s1, 0xc090cc00, v[98:99]
	s_delay_alu instid0(VALU_DEP_3) | instskip(NEXT) | instid1(VALU_DEP_1)
	v_fma_f64 v[148:149], v[146:147], v[148:149], 1.0
	v_fma_f64 v[106:107], v[146:147], v[148:149], 1.0
	s_delay_alu instid0(VALU_DEP_1) | instskip(NEXT) | instid1(VALU_DEP_1)
	v_ldexp_f64 v[106:107], v[106:107], v150
	v_cndmask_b32_e64 v107, 0x7ff00000, v107, s0
	s_and_b32 s0, s1, s0
	s_delay_alu instid0(VALU_DEP_2) | instid1(SALU_CYCLE_1)
	v_cndmask_b32_e64 v98, 0, v106, s0
	s_delay_alu instid0(VALU_DEP_2) | instskip(NEXT) | instid1(VALU_DEP_1)
	v_cndmask_b32_e64 v99, 0, v107, s1
	v_add_f64 v[62:63], v[62:63], v[98:99]
.LBB695_423:
	s_or_b32 exec_lo, exec_lo, s19
.LBB695_424:
	s_delay_alu instid0(SALU_CYCLE_1)
	s_or_b32 exec_lo, exec_lo, s20
	s_and_saveexec_b32 s19, s18
	s_cbranch_execz .LBB695_428
; %bb.425:
	global_load_u8 v96, v[4:5], off offset:320
	s_waitcnt vmcnt(0)
	v_and_b32_e32 v96, 1, v96
	s_delay_alu instid0(VALU_DEP_1) | instskip(SKIP_2) | instid1(VALU_DEP_3)
	v_cmp_eq_u32_e64 s0, 1, v96
	v_mov_b32_e32 v96, 0
	v_mov_b32_e32 v97, 0
	s_xor_b32 s0, s0, -1
	s_delay_alu instid0(SALU_CYCLE_1)
	s_and_saveexec_b32 s18, s0
	s_cbranch_execz .LBB695_427
; %bb.426:
	v_add_f64 v[96:97], v[104:105], -v[64:65]
	s_mov_b32 s0, 0x652b82fe
	s_mov_b32 s1, 0x3ff71547
	;; [unrolled: 1-line block ×4, first 2 shown]
	s_delay_alu instid0(VALU_DEP_1) | instskip(SKIP_2) | instid1(VALU_DEP_1)
	v_mul_f64 v[104:105], v[96:97], s[0:1]
	s_mov_b32 s0, 0xfefa39ef
	s_mov_b32 s1, 0xbfe62e42
	v_rndne_f64_e32 v[104:105], v[104:105]
	s_delay_alu instid0(VALU_DEP_1) | instskip(SKIP_3) | instid1(VALU_DEP_2)
	v_fma_f64 v[106:107], v[104:105], s[0:1], v[96:97]
	s_mov_b32 s0, 0x3b39803f
	s_mov_b32 s1, 0xbc7abc9e
	v_cvt_i32_f64_e32 v148, v[104:105]
	v_fma_f64 v[106:107], v[104:105], s[0:1], v[106:107]
	s_mov_b32 s0, 0xfca7ab0c
	s_mov_b32 s1, 0x3e928af3
	s_delay_alu instid0(VALU_DEP_1) | instid1(SALU_CYCLE_1)
	v_fma_f64 v[146:147], v[106:107], s[20:21], s[0:1]
	s_mov_b32 s0, 0x623fde64
	s_mov_b32 s1, 0x3ec71dee
	s_delay_alu instid0(VALU_DEP_1) | instid1(SALU_CYCLE_1)
	;; [unrolled: 4-line block ×9, first 2 shown]
	v_fma_f64 v[146:147], v[106:107], v[146:147], s[0:1]
	v_cmp_nlt_f64_e64 s0, 0x40900000, v[96:97]
	v_cmp_ngt_f64_e64 s1, 0xc090cc00, v[96:97]
	s_delay_alu instid0(VALU_DEP_3) | instskip(NEXT) | instid1(VALU_DEP_1)
	v_fma_f64 v[146:147], v[106:107], v[146:147], 1.0
	v_fma_f64 v[104:105], v[106:107], v[146:147], 1.0
	s_delay_alu instid0(VALU_DEP_1) | instskip(NEXT) | instid1(VALU_DEP_1)
	v_ldexp_f64 v[104:105], v[104:105], v148
	v_cndmask_b32_e64 v105, 0x7ff00000, v105, s0
	s_and_b32 s0, s1, s0
	s_delay_alu instid0(VALU_DEP_2) | instid1(SALU_CYCLE_1)
	v_cndmask_b32_e64 v96, 0, v104, s0
	s_delay_alu instid0(VALU_DEP_2) | instskip(NEXT) | instid1(VALU_DEP_1)
	v_cndmask_b32_e64 v97, 0, v105, s1
	v_add_f64 v[62:63], v[62:63], v[96:97]
.LBB695_427:
	s_or_b32 exec_lo, exec_lo, s18
.LBB695_428:
	s_delay_alu instid0(SALU_CYCLE_1) | instskip(SKIP_2) | instid1(VALU_DEP_1)
	s_or_b32 exec_lo, exec_lo, s19
	v_mov_b32_e32 v104, 0
	v_mov_b32_e32 v105, 0
	v_dual_mov_b32 v107, v105 :: v_dual_mov_b32 v106, v104
	s_and_saveexec_b32 s18, s17
	s_cbranch_execz .LBB695_432
; %bb.429:
	global_load_u8 v106, v[4:5], off offset:352
	s_waitcnt vmcnt(0)
	v_and_b32_e32 v106, 1, v106
	s_delay_alu instid0(VALU_DEP_1) | instskip(SKIP_2) | instid1(VALU_DEP_3)
	v_cmp_eq_u32_e64 s0, 1, v106
	v_mov_b32_e32 v106, 0
	v_mov_b32_e32 v107, 0
	s_xor_b32 s0, s0, -1
	s_delay_alu instid0(SALU_CYCLE_1)
	s_and_saveexec_b32 s17, s0
	s_cbranch_execz .LBB695_431
; %bb.430:
	v_add_f64 v[106:107], v[114:115], -v[64:65]
	s_mov_b32 s0, 0x652b82fe
	s_mov_b32 s1, 0x3ff71547
	;; [unrolled: 1-line block ×4, first 2 shown]
	s_delay_alu instid0(VALU_DEP_1) | instskip(SKIP_2) | instid1(VALU_DEP_1)
	v_mul_f64 v[114:115], v[106:107], s[0:1]
	s_mov_b32 s0, 0xfefa39ef
	s_mov_b32 s1, 0xbfe62e42
	v_rndne_f64_e32 v[114:115], v[114:115]
	s_delay_alu instid0(VALU_DEP_1) | instskip(SKIP_3) | instid1(VALU_DEP_2)
	v_fma_f64 v[146:147], v[114:115], s[0:1], v[106:107]
	s_mov_b32 s0, 0x3b39803f
	s_mov_b32 s1, 0xbc7abc9e
	v_cvt_i32_f64_e32 v150, v[114:115]
	v_fma_f64 v[146:147], v[114:115], s[0:1], v[146:147]
	s_mov_b32 s0, 0xfca7ab0c
	s_mov_b32 s1, 0x3e928af3
	s_delay_alu instid0(VALU_DEP_1) | instid1(SALU_CYCLE_1)
	v_fma_f64 v[148:149], v[146:147], s[20:21], s[0:1]
	s_mov_b32 s0, 0x623fde64
	s_mov_b32 s1, 0x3ec71dee
	s_delay_alu instid0(VALU_DEP_1) | instid1(SALU_CYCLE_1)
	;; [unrolled: 4-line block ×9, first 2 shown]
	v_fma_f64 v[148:149], v[146:147], v[148:149], s[0:1]
	v_cmp_nlt_f64_e64 s0, 0x40900000, v[106:107]
	v_cmp_ngt_f64_e64 s1, 0xc090cc00, v[106:107]
	s_delay_alu instid0(VALU_DEP_3) | instskip(NEXT) | instid1(VALU_DEP_1)
	v_fma_f64 v[148:149], v[146:147], v[148:149], 1.0
	v_fma_f64 v[114:115], v[146:147], v[148:149], 1.0
	s_delay_alu instid0(VALU_DEP_1) | instskip(NEXT) | instid1(VALU_DEP_1)
	v_ldexp_f64 v[114:115], v[114:115], v150
	v_cndmask_b32_e64 v115, 0x7ff00000, v115, s0
	s_and_b32 s0, s1, s0
	s_delay_alu instid0(VALU_DEP_2) | instid1(SALU_CYCLE_1)
	v_cndmask_b32_e64 v106, 0, v114, s0
	s_delay_alu instid0(VALU_DEP_2) | instskip(NEXT) | instid1(VALU_DEP_1)
	v_cndmask_b32_e64 v107, 0, v115, s1
	v_add_f64 v[62:63], v[62:63], v[106:107]
.LBB695_431:
	s_or_b32 exec_lo, exec_lo, s17
.LBB695_432:
	s_delay_alu instid0(SALU_CYCLE_1)
	s_or_b32 exec_lo, exec_lo, s18
	s_and_saveexec_b32 s17, s16
	s_cbranch_execz .LBB695_436
; %bb.433:
	global_load_u8 v104, v[4:5], off offset:384
	s_waitcnt vmcnt(0)
	v_and_b32_e32 v104, 1, v104
	s_delay_alu instid0(VALU_DEP_1) | instskip(SKIP_2) | instid1(VALU_DEP_3)
	v_cmp_eq_u32_e64 s0, 1, v104
	v_mov_b32_e32 v104, 0
	v_mov_b32_e32 v105, 0
	s_xor_b32 s0, s0, -1
	s_delay_alu instid0(SALU_CYCLE_1)
	s_and_saveexec_b32 s16, s0
	s_cbranch_execz .LBB695_435
; %bb.434:
	v_add_f64 v[104:105], v[112:113], -v[64:65]
	s_mov_b32 s0, 0x652b82fe
	s_mov_b32 s1, 0x3ff71547
	;; [unrolled: 1-line block ×4, first 2 shown]
	s_delay_alu instid0(VALU_DEP_1) | instskip(SKIP_2) | instid1(VALU_DEP_1)
	v_mul_f64 v[112:113], v[104:105], s[0:1]
	s_mov_b32 s0, 0xfefa39ef
	s_mov_b32 s1, 0xbfe62e42
	v_rndne_f64_e32 v[112:113], v[112:113]
	s_delay_alu instid0(VALU_DEP_1) | instskip(SKIP_3) | instid1(VALU_DEP_2)
	v_fma_f64 v[114:115], v[112:113], s[0:1], v[104:105]
	s_mov_b32 s0, 0x3b39803f
	s_mov_b32 s1, 0xbc7abc9e
	v_cvt_i32_f64_e32 v148, v[112:113]
	v_fma_f64 v[114:115], v[112:113], s[0:1], v[114:115]
	s_mov_b32 s0, 0xfca7ab0c
	s_mov_b32 s1, 0x3e928af3
	s_delay_alu instid0(VALU_DEP_1) | instid1(SALU_CYCLE_1)
	v_fma_f64 v[146:147], v[114:115], s[18:19], s[0:1]
	s_mov_b32 s0, 0x623fde64
	s_mov_b32 s1, 0x3ec71dee
	s_delay_alu instid0(VALU_DEP_1) | instid1(SALU_CYCLE_1)
	;; [unrolled: 4-line block ×9, first 2 shown]
	v_fma_f64 v[146:147], v[114:115], v[146:147], s[0:1]
	v_cmp_nlt_f64_e64 s0, 0x40900000, v[104:105]
	v_cmp_ngt_f64_e64 s1, 0xc090cc00, v[104:105]
	s_delay_alu instid0(VALU_DEP_3) | instskip(NEXT) | instid1(VALU_DEP_1)
	v_fma_f64 v[146:147], v[114:115], v[146:147], 1.0
	v_fma_f64 v[112:113], v[114:115], v[146:147], 1.0
	s_delay_alu instid0(VALU_DEP_1) | instskip(NEXT) | instid1(VALU_DEP_1)
	v_ldexp_f64 v[112:113], v[112:113], v148
	v_cndmask_b32_e64 v113, 0x7ff00000, v113, s0
	s_and_b32 s0, s1, s0
	s_delay_alu instid0(VALU_DEP_2) | instid1(SALU_CYCLE_1)
	v_cndmask_b32_e64 v104, 0, v112, s0
	s_delay_alu instid0(VALU_DEP_2) | instskip(NEXT) | instid1(VALU_DEP_1)
	v_cndmask_b32_e64 v105, 0, v113, s1
	v_add_f64 v[62:63], v[62:63], v[104:105]
.LBB695_435:
	s_or_b32 exec_lo, exec_lo, s16
.LBB695_436:
	s_delay_alu instid0(SALU_CYCLE_1) | instskip(SKIP_2) | instid1(VALU_DEP_1)
	s_or_b32 exec_lo, exec_lo, s17
	v_mov_b32_e32 v112, 0
	v_mov_b32_e32 v113, 0
	v_dual_mov_b32 v115, v113 :: v_dual_mov_b32 v114, v112
	s_and_saveexec_b32 s16, s15
	s_cbranch_execz .LBB695_440
; %bb.437:
	global_load_u8 v114, v[4:5], off offset:416
	s_waitcnt vmcnt(0)
	v_and_b32_e32 v114, 1, v114
	s_delay_alu instid0(VALU_DEP_1) | instskip(SKIP_2) | instid1(VALU_DEP_3)
	v_cmp_eq_u32_e64 s0, 1, v114
	v_mov_b32_e32 v114, 0
	v_mov_b32_e32 v115, 0
	s_xor_b32 s0, s0, -1
	s_delay_alu instid0(SALU_CYCLE_1)
	s_and_saveexec_b32 s15, s0
	s_cbranch_execz .LBB695_439
; %bb.438:
	v_add_f64 v[114:115], v[122:123], -v[64:65]
	s_mov_b32 s0, 0x652b82fe
	s_mov_b32 s1, 0x3ff71547
	;; [unrolled: 1-line block ×4, first 2 shown]
	s_delay_alu instid0(VALU_DEP_1) | instskip(SKIP_2) | instid1(VALU_DEP_1)
	v_mul_f64 v[122:123], v[114:115], s[0:1]
	s_mov_b32 s0, 0xfefa39ef
	s_mov_b32 s1, 0xbfe62e42
	v_rndne_f64_e32 v[122:123], v[122:123]
	s_delay_alu instid0(VALU_DEP_1) | instskip(SKIP_3) | instid1(VALU_DEP_2)
	v_fma_f64 v[146:147], v[122:123], s[0:1], v[114:115]
	s_mov_b32 s0, 0x3b39803f
	s_mov_b32 s1, 0xbc7abc9e
	v_cvt_i32_f64_e32 v150, v[122:123]
	v_fma_f64 v[146:147], v[122:123], s[0:1], v[146:147]
	s_mov_b32 s0, 0xfca7ab0c
	s_mov_b32 s1, 0x3e928af3
	s_delay_alu instid0(VALU_DEP_1) | instid1(SALU_CYCLE_1)
	v_fma_f64 v[148:149], v[146:147], s[18:19], s[0:1]
	s_mov_b32 s0, 0x623fde64
	s_mov_b32 s1, 0x3ec71dee
	s_delay_alu instid0(VALU_DEP_1) | instid1(SALU_CYCLE_1)
	;; [unrolled: 4-line block ×9, first 2 shown]
	v_fma_f64 v[148:149], v[146:147], v[148:149], s[0:1]
	v_cmp_nlt_f64_e64 s0, 0x40900000, v[114:115]
	v_cmp_ngt_f64_e64 s1, 0xc090cc00, v[114:115]
	s_delay_alu instid0(VALU_DEP_3) | instskip(NEXT) | instid1(VALU_DEP_1)
	v_fma_f64 v[148:149], v[146:147], v[148:149], 1.0
	v_fma_f64 v[122:123], v[146:147], v[148:149], 1.0
	s_delay_alu instid0(VALU_DEP_1) | instskip(NEXT) | instid1(VALU_DEP_1)
	v_ldexp_f64 v[122:123], v[122:123], v150
	v_cndmask_b32_e64 v123, 0x7ff00000, v123, s0
	s_and_b32 s0, s1, s0
	s_delay_alu instid0(VALU_DEP_2) | instid1(SALU_CYCLE_1)
	v_cndmask_b32_e64 v114, 0, v122, s0
	s_delay_alu instid0(VALU_DEP_2) | instskip(NEXT) | instid1(VALU_DEP_1)
	v_cndmask_b32_e64 v115, 0, v123, s1
	v_add_f64 v[62:63], v[62:63], v[114:115]
.LBB695_439:
	s_or_b32 exec_lo, exec_lo, s15
.LBB695_440:
	s_delay_alu instid0(SALU_CYCLE_1)
	s_or_b32 exec_lo, exec_lo, s16
	s_and_saveexec_b32 s15, s14
	s_cbranch_execz .LBB695_444
; %bb.441:
	global_load_u8 v112, v[4:5], off offset:448
	s_waitcnt vmcnt(0)
	v_and_b32_e32 v112, 1, v112
	s_delay_alu instid0(VALU_DEP_1) | instskip(SKIP_2) | instid1(VALU_DEP_3)
	v_cmp_eq_u32_e64 s0, 1, v112
	v_mov_b32_e32 v112, 0
	v_mov_b32_e32 v113, 0
	s_xor_b32 s0, s0, -1
	s_delay_alu instid0(SALU_CYCLE_1)
	s_and_saveexec_b32 s14, s0
	s_cbranch_execz .LBB695_443
; %bb.442:
	v_add_f64 v[112:113], v[120:121], -v[64:65]
	s_mov_b32 s0, 0x652b82fe
	s_mov_b32 s1, 0x3ff71547
	;; [unrolled: 1-line block ×4, first 2 shown]
	s_delay_alu instid0(VALU_DEP_1) | instskip(SKIP_2) | instid1(VALU_DEP_1)
	v_mul_f64 v[120:121], v[112:113], s[0:1]
	s_mov_b32 s0, 0xfefa39ef
	s_mov_b32 s1, 0xbfe62e42
	v_rndne_f64_e32 v[120:121], v[120:121]
	s_delay_alu instid0(VALU_DEP_1) | instskip(SKIP_3) | instid1(VALU_DEP_2)
	v_fma_f64 v[122:123], v[120:121], s[0:1], v[112:113]
	s_mov_b32 s0, 0x3b39803f
	s_mov_b32 s1, 0xbc7abc9e
	v_cvt_i32_f64_e32 v148, v[120:121]
	v_fma_f64 v[122:123], v[120:121], s[0:1], v[122:123]
	s_mov_b32 s0, 0xfca7ab0c
	s_mov_b32 s1, 0x3e928af3
	s_delay_alu instid0(VALU_DEP_1) | instid1(SALU_CYCLE_1)
	v_fma_f64 v[146:147], v[122:123], s[16:17], s[0:1]
	s_mov_b32 s0, 0x623fde64
	s_mov_b32 s1, 0x3ec71dee
	s_delay_alu instid0(VALU_DEP_1) | instid1(SALU_CYCLE_1)
	;; [unrolled: 4-line block ×9, first 2 shown]
	v_fma_f64 v[146:147], v[122:123], v[146:147], s[0:1]
	v_cmp_nlt_f64_e64 s0, 0x40900000, v[112:113]
	v_cmp_ngt_f64_e64 s1, 0xc090cc00, v[112:113]
	s_delay_alu instid0(VALU_DEP_3) | instskip(NEXT) | instid1(VALU_DEP_1)
	v_fma_f64 v[146:147], v[122:123], v[146:147], 1.0
	v_fma_f64 v[120:121], v[122:123], v[146:147], 1.0
	s_delay_alu instid0(VALU_DEP_1) | instskip(NEXT) | instid1(VALU_DEP_1)
	v_ldexp_f64 v[120:121], v[120:121], v148
	v_cndmask_b32_e64 v121, 0x7ff00000, v121, s0
	s_and_b32 s0, s1, s0
	s_delay_alu instid0(VALU_DEP_2) | instid1(SALU_CYCLE_1)
	v_cndmask_b32_e64 v112, 0, v120, s0
	s_delay_alu instid0(VALU_DEP_2) | instskip(NEXT) | instid1(VALU_DEP_1)
	v_cndmask_b32_e64 v113, 0, v121, s1
	v_add_f64 v[62:63], v[62:63], v[112:113]
.LBB695_443:
	s_or_b32 exec_lo, exec_lo, s14
.LBB695_444:
	s_delay_alu instid0(SALU_CYCLE_1) | instskip(SKIP_2) | instid1(VALU_DEP_1)
	s_or_b32 exec_lo, exec_lo, s15
	v_mov_b32_e32 v120, 0
	v_mov_b32_e32 v121, 0
	v_dual_mov_b32 v123, v121 :: v_dual_mov_b32 v122, v120
	s_and_saveexec_b32 s14, s13
	s_cbranch_execz .LBB695_448
; %bb.445:
	global_load_u8 v122, v[4:5], off offset:480
	s_waitcnt vmcnt(0)
	v_and_b32_e32 v122, 1, v122
	s_delay_alu instid0(VALU_DEP_1) | instskip(SKIP_2) | instid1(VALU_DEP_3)
	v_cmp_eq_u32_e64 s0, 1, v122
	v_mov_b32_e32 v122, 0
	v_mov_b32_e32 v123, 0
	s_xor_b32 s0, s0, -1
	s_delay_alu instid0(SALU_CYCLE_1)
	s_and_saveexec_b32 s13, s0
	s_cbranch_execz .LBB695_447
; %bb.446:
	v_add_f64 v[122:123], v[130:131], -v[64:65]
	s_mov_b32 s0, 0x652b82fe
	s_mov_b32 s1, 0x3ff71547
	s_mov_b32 s16, 0x6a5dcb37
	s_mov_b32 s17, 0x3e5ade15
	s_delay_alu instid0(VALU_DEP_1) | instskip(SKIP_2) | instid1(VALU_DEP_1)
	v_mul_f64 v[130:131], v[122:123], s[0:1]
	s_mov_b32 s0, 0xfefa39ef
	s_mov_b32 s1, 0xbfe62e42
	v_rndne_f64_e32 v[130:131], v[130:131]
	s_delay_alu instid0(VALU_DEP_1) | instskip(SKIP_3) | instid1(VALU_DEP_2)
	v_fma_f64 v[146:147], v[130:131], s[0:1], v[122:123]
	s_mov_b32 s0, 0x3b39803f
	s_mov_b32 s1, 0xbc7abc9e
	v_cvt_i32_f64_e32 v150, v[130:131]
	v_fma_f64 v[146:147], v[130:131], s[0:1], v[146:147]
	s_mov_b32 s0, 0xfca7ab0c
	s_mov_b32 s1, 0x3e928af3
	s_delay_alu instid0(VALU_DEP_1) | instid1(SALU_CYCLE_1)
	v_fma_f64 v[148:149], v[146:147], s[16:17], s[0:1]
	s_mov_b32 s0, 0x623fde64
	s_mov_b32 s1, 0x3ec71dee
	s_delay_alu instid0(VALU_DEP_1) | instid1(SALU_CYCLE_1)
	;; [unrolled: 4-line block ×9, first 2 shown]
	v_fma_f64 v[148:149], v[146:147], v[148:149], s[0:1]
	v_cmp_nlt_f64_e64 s0, 0x40900000, v[122:123]
	v_cmp_ngt_f64_e64 s1, 0xc090cc00, v[122:123]
	s_delay_alu instid0(VALU_DEP_3) | instskip(NEXT) | instid1(VALU_DEP_1)
	v_fma_f64 v[148:149], v[146:147], v[148:149], 1.0
	v_fma_f64 v[130:131], v[146:147], v[148:149], 1.0
	s_delay_alu instid0(VALU_DEP_1) | instskip(NEXT) | instid1(VALU_DEP_1)
	v_ldexp_f64 v[130:131], v[130:131], v150
	v_cndmask_b32_e64 v131, 0x7ff00000, v131, s0
	s_and_b32 s0, s1, s0
	s_delay_alu instid0(VALU_DEP_2) | instid1(SALU_CYCLE_1)
	v_cndmask_b32_e64 v122, 0, v130, s0
	s_delay_alu instid0(VALU_DEP_2) | instskip(NEXT) | instid1(VALU_DEP_1)
	v_cndmask_b32_e64 v123, 0, v131, s1
	v_add_f64 v[62:63], v[62:63], v[122:123]
.LBB695_447:
	s_or_b32 exec_lo, exec_lo, s13
.LBB695_448:
	s_delay_alu instid0(SALU_CYCLE_1)
	s_or_b32 exec_lo, exec_lo, s14
	s_and_saveexec_b32 s13, s12
	s_cbranch_execz .LBB695_452
; %bb.449:
	global_load_u8 v120, v[4:5], off offset:512
	s_waitcnt vmcnt(0)
	v_and_b32_e32 v120, 1, v120
	s_delay_alu instid0(VALU_DEP_1) | instskip(SKIP_2) | instid1(VALU_DEP_3)
	v_cmp_eq_u32_e64 s0, 1, v120
	v_mov_b32_e32 v120, 0
	v_mov_b32_e32 v121, 0
	s_xor_b32 s0, s0, -1
	s_delay_alu instid0(SALU_CYCLE_1)
	s_and_saveexec_b32 s12, s0
	s_cbranch_execz .LBB695_451
; %bb.450:
	v_add_f64 v[120:121], v[128:129], -v[64:65]
	s_mov_b32 s0, 0x652b82fe
	s_mov_b32 s1, 0x3ff71547
	;; [unrolled: 1-line block ×4, first 2 shown]
	s_delay_alu instid0(VALU_DEP_1) | instskip(SKIP_2) | instid1(VALU_DEP_1)
	v_mul_f64 v[128:129], v[120:121], s[0:1]
	s_mov_b32 s0, 0xfefa39ef
	s_mov_b32 s1, 0xbfe62e42
	v_rndne_f64_e32 v[128:129], v[128:129]
	s_delay_alu instid0(VALU_DEP_1) | instskip(SKIP_3) | instid1(VALU_DEP_2)
	v_fma_f64 v[130:131], v[128:129], s[0:1], v[120:121]
	s_mov_b32 s0, 0x3b39803f
	s_mov_b32 s1, 0xbc7abc9e
	v_cvt_i32_f64_e32 v148, v[128:129]
	v_fma_f64 v[130:131], v[128:129], s[0:1], v[130:131]
	s_mov_b32 s0, 0xfca7ab0c
	s_mov_b32 s1, 0x3e928af3
	s_delay_alu instid0(VALU_DEP_1) | instid1(SALU_CYCLE_1)
	v_fma_f64 v[146:147], v[130:131], s[14:15], s[0:1]
	s_mov_b32 s0, 0x623fde64
	s_mov_b32 s1, 0x3ec71dee
	s_delay_alu instid0(VALU_DEP_1) | instid1(SALU_CYCLE_1)
	;; [unrolled: 4-line block ×9, first 2 shown]
	v_fma_f64 v[146:147], v[130:131], v[146:147], s[0:1]
	v_cmp_nlt_f64_e64 s0, 0x40900000, v[120:121]
	v_cmp_ngt_f64_e64 s1, 0xc090cc00, v[120:121]
	s_delay_alu instid0(VALU_DEP_3) | instskip(NEXT) | instid1(VALU_DEP_1)
	v_fma_f64 v[146:147], v[130:131], v[146:147], 1.0
	v_fma_f64 v[128:129], v[130:131], v[146:147], 1.0
	s_delay_alu instid0(VALU_DEP_1) | instskip(NEXT) | instid1(VALU_DEP_1)
	v_ldexp_f64 v[128:129], v[128:129], v148
	v_cndmask_b32_e64 v129, 0x7ff00000, v129, s0
	s_and_b32 s0, s1, s0
	s_delay_alu instid0(VALU_DEP_2) | instid1(SALU_CYCLE_1)
	v_cndmask_b32_e64 v120, 0, v128, s0
	s_delay_alu instid0(VALU_DEP_2) | instskip(NEXT) | instid1(VALU_DEP_1)
	v_cndmask_b32_e64 v121, 0, v129, s1
	v_add_f64 v[62:63], v[62:63], v[120:121]
.LBB695_451:
	s_or_b32 exec_lo, exec_lo, s12
.LBB695_452:
	s_delay_alu instid0(SALU_CYCLE_1) | instskip(SKIP_2) | instid1(VALU_DEP_1)
	s_or_b32 exec_lo, exec_lo, s13
	v_mov_b32_e32 v128, 0
	v_mov_b32_e32 v129, 0
	v_dual_mov_b32 v131, v129 :: v_dual_mov_b32 v130, v128
	s_and_saveexec_b32 s12, s11
	s_cbranch_execz .LBB695_456
; %bb.453:
	global_load_u8 v130, v[4:5], off offset:544
	s_waitcnt vmcnt(0)
	v_and_b32_e32 v130, 1, v130
	s_delay_alu instid0(VALU_DEP_1) | instskip(SKIP_2) | instid1(VALU_DEP_3)
	v_cmp_eq_u32_e64 s0, 1, v130
	v_mov_b32_e32 v130, 0
	v_mov_b32_e32 v131, 0
	s_xor_b32 s0, s0, -1
	s_delay_alu instid0(SALU_CYCLE_1)
	s_and_saveexec_b32 s11, s0
	s_cbranch_execz .LBB695_455
; %bb.454:
	v_add_f64 v[130:131], v[138:139], -v[64:65]
	s_mov_b32 s0, 0x652b82fe
	s_mov_b32 s1, 0x3ff71547
	;; [unrolled: 1-line block ×4, first 2 shown]
	s_delay_alu instid0(VALU_DEP_1) | instskip(SKIP_2) | instid1(VALU_DEP_1)
	v_mul_f64 v[138:139], v[130:131], s[0:1]
	s_mov_b32 s0, 0xfefa39ef
	s_mov_b32 s1, 0xbfe62e42
	v_rndne_f64_e32 v[138:139], v[138:139]
	s_delay_alu instid0(VALU_DEP_1) | instskip(SKIP_3) | instid1(VALU_DEP_2)
	v_fma_f64 v[146:147], v[138:139], s[0:1], v[130:131]
	s_mov_b32 s0, 0x3b39803f
	s_mov_b32 s1, 0xbc7abc9e
	v_cvt_i32_f64_e32 v150, v[138:139]
	v_fma_f64 v[146:147], v[138:139], s[0:1], v[146:147]
	s_mov_b32 s0, 0xfca7ab0c
	s_mov_b32 s1, 0x3e928af3
	s_delay_alu instid0(VALU_DEP_1) | instid1(SALU_CYCLE_1)
	v_fma_f64 v[148:149], v[146:147], s[14:15], s[0:1]
	s_mov_b32 s0, 0x623fde64
	s_mov_b32 s1, 0x3ec71dee
	s_delay_alu instid0(VALU_DEP_1) | instid1(SALU_CYCLE_1)
	;; [unrolled: 4-line block ×9, first 2 shown]
	v_fma_f64 v[148:149], v[146:147], v[148:149], s[0:1]
	v_cmp_nlt_f64_e64 s0, 0x40900000, v[130:131]
	v_cmp_ngt_f64_e64 s1, 0xc090cc00, v[130:131]
	s_delay_alu instid0(VALU_DEP_3) | instskip(NEXT) | instid1(VALU_DEP_1)
	v_fma_f64 v[148:149], v[146:147], v[148:149], 1.0
	v_fma_f64 v[138:139], v[146:147], v[148:149], 1.0
	s_delay_alu instid0(VALU_DEP_1) | instskip(NEXT) | instid1(VALU_DEP_1)
	v_ldexp_f64 v[138:139], v[138:139], v150
	v_cndmask_b32_e64 v139, 0x7ff00000, v139, s0
	s_and_b32 s0, s1, s0
	s_delay_alu instid0(VALU_DEP_2) | instid1(SALU_CYCLE_1)
	v_cndmask_b32_e64 v130, 0, v138, s0
	s_delay_alu instid0(VALU_DEP_2) | instskip(NEXT) | instid1(VALU_DEP_1)
	v_cndmask_b32_e64 v131, 0, v139, s1
	v_add_f64 v[62:63], v[62:63], v[130:131]
.LBB695_455:
	s_or_b32 exec_lo, exec_lo, s11
.LBB695_456:
	s_delay_alu instid0(SALU_CYCLE_1)
	s_or_b32 exec_lo, exec_lo, s12
	s_and_saveexec_b32 s11, s10
	s_cbranch_execz .LBB695_460
; %bb.457:
	global_load_u8 v128, v[4:5], off offset:576
	s_waitcnt vmcnt(0)
	v_and_b32_e32 v128, 1, v128
	s_delay_alu instid0(VALU_DEP_1) | instskip(SKIP_2) | instid1(VALU_DEP_3)
	v_cmp_eq_u32_e64 s0, 1, v128
	v_mov_b32_e32 v128, 0
	v_mov_b32_e32 v129, 0
	s_xor_b32 s0, s0, -1
	s_delay_alu instid0(SALU_CYCLE_1)
	s_and_saveexec_b32 s10, s0
	s_cbranch_execz .LBB695_459
; %bb.458:
	v_add_f64 v[128:129], v[136:137], -v[64:65]
	s_mov_b32 s0, 0x652b82fe
	s_mov_b32 s1, 0x3ff71547
	;; [unrolled: 1-line block ×4, first 2 shown]
	s_delay_alu instid0(VALU_DEP_1) | instskip(SKIP_2) | instid1(VALU_DEP_1)
	v_mul_f64 v[136:137], v[128:129], s[0:1]
	s_mov_b32 s0, 0xfefa39ef
	s_mov_b32 s1, 0xbfe62e42
	v_rndne_f64_e32 v[136:137], v[136:137]
	s_delay_alu instid0(VALU_DEP_1) | instskip(SKIP_3) | instid1(VALU_DEP_2)
	v_fma_f64 v[138:139], v[136:137], s[0:1], v[128:129]
	s_mov_b32 s0, 0x3b39803f
	s_mov_b32 s1, 0xbc7abc9e
	v_cvt_i32_f64_e32 v148, v[136:137]
	v_fma_f64 v[138:139], v[136:137], s[0:1], v[138:139]
	s_mov_b32 s0, 0xfca7ab0c
	s_mov_b32 s1, 0x3e928af3
	s_delay_alu instid0(VALU_DEP_1) | instid1(SALU_CYCLE_1)
	v_fma_f64 v[146:147], v[138:139], s[12:13], s[0:1]
	s_mov_b32 s0, 0x623fde64
	s_mov_b32 s1, 0x3ec71dee
	s_delay_alu instid0(VALU_DEP_1) | instid1(SALU_CYCLE_1)
	;; [unrolled: 4-line block ×9, first 2 shown]
	v_fma_f64 v[146:147], v[138:139], v[146:147], s[0:1]
	v_cmp_nlt_f64_e64 s0, 0x40900000, v[128:129]
	v_cmp_ngt_f64_e64 s1, 0xc090cc00, v[128:129]
	s_delay_alu instid0(VALU_DEP_3) | instskip(NEXT) | instid1(VALU_DEP_1)
	v_fma_f64 v[146:147], v[138:139], v[146:147], 1.0
	v_fma_f64 v[136:137], v[138:139], v[146:147], 1.0
	s_delay_alu instid0(VALU_DEP_1) | instskip(NEXT) | instid1(VALU_DEP_1)
	v_ldexp_f64 v[136:137], v[136:137], v148
	v_cndmask_b32_e64 v137, 0x7ff00000, v137, s0
	s_and_b32 s0, s1, s0
	s_delay_alu instid0(VALU_DEP_2) | instid1(SALU_CYCLE_1)
	v_cndmask_b32_e64 v128, 0, v136, s0
	s_delay_alu instid0(VALU_DEP_2) | instskip(NEXT) | instid1(VALU_DEP_1)
	v_cndmask_b32_e64 v129, 0, v137, s1
	v_add_f64 v[62:63], v[62:63], v[128:129]
.LBB695_459:
	s_or_b32 exec_lo, exec_lo, s10
.LBB695_460:
	s_delay_alu instid0(SALU_CYCLE_1) | instskip(SKIP_2) | instid1(VALU_DEP_1)
	s_or_b32 exec_lo, exec_lo, s11
	v_mov_b32_e32 v136, 0
	v_mov_b32_e32 v137, 0
	v_dual_mov_b32 v139, v137 :: v_dual_mov_b32 v138, v136
	s_and_saveexec_b32 s10, s9
	s_cbranch_execz .LBB695_464
; %bb.461:
	global_load_u8 v138, v[4:5], off offset:608
	s_waitcnt vmcnt(0)
	v_and_b32_e32 v138, 1, v138
	s_delay_alu instid0(VALU_DEP_1) | instskip(SKIP_2) | instid1(VALU_DEP_3)
	v_cmp_eq_u32_e64 s0, 1, v138
	v_mov_b32_e32 v138, 0
	v_mov_b32_e32 v139, 0
	s_xor_b32 s0, s0, -1
	s_delay_alu instid0(SALU_CYCLE_1)
	s_and_saveexec_b32 s9, s0
	s_cbranch_execz .LBB695_463
; %bb.462:
	v_add_f64 v[134:135], v[134:135], -v[64:65]
	s_mov_b32 s0, 0x652b82fe
	s_mov_b32 s1, 0x3ff71547
	;; [unrolled: 1-line block ×4, first 2 shown]
	s_delay_alu instid0(VALU_DEP_1) | instskip(SKIP_2) | instid1(VALU_DEP_1)
	v_mul_f64 v[138:139], v[134:135], s[0:1]
	s_mov_b32 s0, 0xfefa39ef
	s_mov_b32 s1, 0xbfe62e42
	v_rndne_f64_e32 v[138:139], v[138:139]
	s_delay_alu instid0(VALU_DEP_1) | instskip(SKIP_3) | instid1(VALU_DEP_2)
	v_fma_f64 v[146:147], v[138:139], s[0:1], v[134:135]
	s_mov_b32 s0, 0x3b39803f
	s_mov_b32 s1, 0xbc7abc9e
	v_cvt_i32_f64_e32 v150, v[138:139]
	v_fma_f64 v[146:147], v[138:139], s[0:1], v[146:147]
	s_mov_b32 s0, 0xfca7ab0c
	s_mov_b32 s1, 0x3e928af3
	s_delay_alu instid0(VALU_DEP_1) | instid1(SALU_CYCLE_1)
	v_fma_f64 v[148:149], v[146:147], s[12:13], s[0:1]
	s_mov_b32 s0, 0x623fde64
	s_mov_b32 s1, 0x3ec71dee
	s_delay_alu instid0(VALU_DEP_1) | instid1(SALU_CYCLE_1)
	v_fma_f64 v[148:149], v[146:147], v[148:149], s[0:1]
	s_mov_b32 s0, 0x7c89e6b0
	s_mov_b32 s1, 0x3efa0199
	s_delay_alu instid0(VALU_DEP_1) | instid1(SALU_CYCLE_1)
	v_fma_f64 v[148:149], v[146:147], v[148:149], s[0:1]
	s_mov_b32 s0, 0x14761f6e
	s_mov_b32 s1, 0x3f2a01a0
	s_delay_alu instid0(VALU_DEP_1) | instid1(SALU_CYCLE_1)
	v_fma_f64 v[148:149], v[146:147], v[148:149], s[0:1]
	s_mov_b32 s0, 0x1852b7b0
	s_mov_b32 s1, 0x3f56c16c
	s_delay_alu instid0(VALU_DEP_1) | instid1(SALU_CYCLE_1)
	v_fma_f64 v[148:149], v[146:147], v[148:149], s[0:1]
	s_mov_b32 s0, 0x11122322
	s_mov_b32 s1, 0x3f811111
	s_delay_alu instid0(VALU_DEP_1) | instid1(SALU_CYCLE_1)
	v_fma_f64 v[148:149], v[146:147], v[148:149], s[0:1]
	s_mov_b32 s0, 0x555502a1
	s_mov_b32 s1, 0x3fa55555
	s_delay_alu instid0(VALU_DEP_1) | instid1(SALU_CYCLE_1)
	v_fma_f64 v[148:149], v[146:147], v[148:149], s[0:1]
	s_mov_b32 s0, 0x55555511
	s_mov_b32 s1, 0x3fc55555
	s_delay_alu instid0(VALU_DEP_1) | instid1(SALU_CYCLE_1)
	v_fma_f64 v[148:149], v[146:147], v[148:149], s[0:1]
	s_mov_b32 s0, 11
	s_mov_b32 s1, 0x3fe00000
	s_delay_alu instid0(VALU_DEP_1) | instid1(SALU_CYCLE_1)
	v_fma_f64 v[148:149], v[146:147], v[148:149], s[0:1]
	v_cmp_nlt_f64_e64 s0, 0x40900000, v[134:135]
	v_cmp_ngt_f64_e64 s1, 0xc090cc00, v[134:135]
	s_delay_alu instid0(VALU_DEP_3) | instskip(NEXT) | instid1(VALU_DEP_1)
	v_fma_f64 v[148:149], v[146:147], v[148:149], 1.0
	v_fma_f64 v[138:139], v[146:147], v[148:149], 1.0
	s_delay_alu instid0(VALU_DEP_1) | instskip(NEXT) | instid1(VALU_DEP_1)
	v_ldexp_f64 v[138:139], v[138:139], v150
	v_cndmask_b32_e64 v139, 0x7ff00000, v139, s0
	s_and_b32 s0, s1, s0
	s_delay_alu instid0(VALU_DEP_2) | instid1(SALU_CYCLE_1)
	v_cndmask_b32_e64 v138, 0, v138, s0
	s_delay_alu instid0(VALU_DEP_2) | instskip(NEXT) | instid1(VALU_DEP_1)
	v_cndmask_b32_e64 v139, 0, v139, s1
	v_add_f64 v[62:63], v[62:63], v[138:139]
.LBB695_463:
	s_or_b32 exec_lo, exec_lo, s9
.LBB695_464:
	s_delay_alu instid0(SALU_CYCLE_1)
	s_or_b32 exec_lo, exec_lo, s10
	s_and_saveexec_b32 s9, s8
	s_cbranch_execz .LBB695_468
; %bb.465:
	global_load_u8 v134, v[4:5], off offset:640
	v_mov_b32_e32 v136, 0
	s_waitcnt vmcnt(0)
	v_dual_mov_b32 v137, 0 :: v_dual_and_b32 v134, 1, v134
	s_delay_alu instid0(VALU_DEP_1) | instskip(NEXT) | instid1(VALU_DEP_1)
	v_cmp_eq_u32_e64 s0, 1, v134
	s_xor_b32 s0, s0, -1
	s_delay_alu instid0(SALU_CYCLE_1)
	s_and_saveexec_b32 s8, s0
	s_cbranch_execz .LBB695_467
; %bb.466:
	v_add_f64 v[132:133], v[132:133], -v[64:65]
	s_mov_b32 s0, 0x652b82fe
	s_mov_b32 s1, 0x3ff71547
	;; [unrolled: 1-line block ×4, first 2 shown]
	s_delay_alu instid0(VALU_DEP_1) | instskip(SKIP_2) | instid1(VALU_DEP_1)
	v_mul_f64 v[134:135], v[132:133], s[0:1]
	s_mov_b32 s0, 0xfefa39ef
	s_mov_b32 s1, 0xbfe62e42
	v_rndne_f64_e32 v[134:135], v[134:135]
	s_delay_alu instid0(VALU_DEP_1) | instskip(SKIP_3) | instid1(VALU_DEP_2)
	v_fma_f64 v[136:137], v[134:135], s[0:1], v[132:133]
	s_mov_b32 s0, 0x3b39803f
	s_mov_b32 s1, 0xbc7abc9e
	v_cvt_i32_f64_e32 v148, v[134:135]
	v_fma_f64 v[136:137], v[134:135], s[0:1], v[136:137]
	s_mov_b32 s0, 0xfca7ab0c
	s_mov_b32 s1, 0x3e928af3
	s_delay_alu instid0(VALU_DEP_1) | instid1(SALU_CYCLE_1)
	v_fma_f64 v[146:147], v[136:137], s[10:11], s[0:1]
	s_mov_b32 s0, 0x623fde64
	s_mov_b32 s1, 0x3ec71dee
	s_delay_alu instid0(VALU_DEP_1) | instid1(SALU_CYCLE_1)
	;; [unrolled: 4-line block ×9, first 2 shown]
	v_fma_f64 v[146:147], v[136:137], v[146:147], s[0:1]
	v_cmp_nlt_f64_e64 s0, 0x40900000, v[132:133]
	v_cmp_ngt_f64_e64 s1, 0xc090cc00, v[132:133]
	s_delay_alu instid0(VALU_DEP_3) | instskip(NEXT) | instid1(VALU_DEP_1)
	v_fma_f64 v[146:147], v[136:137], v[146:147], 1.0
	v_fma_f64 v[134:135], v[136:137], v[146:147], 1.0
	s_delay_alu instid0(VALU_DEP_1) | instskip(NEXT) | instid1(VALU_DEP_1)
	v_ldexp_f64 v[134:135], v[134:135], v148
	v_cndmask_b32_e64 v135, 0x7ff00000, v135, s0
	s_and_b32 s0, s1, s0
	s_delay_alu instid0(VALU_DEP_2) | instid1(SALU_CYCLE_1)
	v_cndmask_b32_e64 v136, 0, v134, s0
	s_delay_alu instid0(VALU_DEP_2) | instskip(NEXT) | instid1(VALU_DEP_1)
	v_cndmask_b32_e64 v137, 0, v135, s1
	v_add_f64 v[62:63], v[62:63], v[136:137]
.LBB695_467:
	s_or_b32 exec_lo, exec_lo, s8
.LBB695_468:
	s_delay_alu instid0(SALU_CYCLE_1) | instskip(SKIP_2) | instid1(VALU_DEP_1)
	s_or_b32 exec_lo, exec_lo, s9
	v_mov_b32_e32 v132, 0
	v_mov_b32_e32 v133, 0
	v_dual_mov_b32 v135, v133 :: v_dual_mov_b32 v134, v132
	s_and_saveexec_b32 s8, s7
	s_cbranch_execz .LBB695_472
; %bb.469:
	global_load_u8 v134, v[4:5], off offset:672
	s_waitcnt vmcnt(0)
	v_and_b32_e32 v134, 1, v134
	s_delay_alu instid0(VALU_DEP_1) | instskip(SKIP_2) | instid1(VALU_DEP_3)
	v_cmp_eq_u32_e64 s0, 1, v134
	v_mov_b32_e32 v134, 0
	v_mov_b32_e32 v135, 0
	s_xor_b32 s0, s0, -1
	s_delay_alu instid0(SALU_CYCLE_1)
	s_and_saveexec_b32 s7, s0
	s_cbranch_execz .LBB695_471
; %bb.470:
	v_add_f64 v[126:127], v[126:127], -v[64:65]
	s_mov_b32 s0, 0x652b82fe
	s_mov_b32 s1, 0x3ff71547
	;; [unrolled: 1-line block ×4, first 2 shown]
	s_delay_alu instid0(VALU_DEP_1) | instskip(SKIP_2) | instid1(VALU_DEP_1)
	v_mul_f64 v[134:135], v[126:127], s[0:1]
	s_mov_b32 s0, 0xfefa39ef
	s_mov_b32 s1, 0xbfe62e42
	v_rndne_f64_e32 v[134:135], v[134:135]
	s_delay_alu instid0(VALU_DEP_1) | instskip(SKIP_3) | instid1(VALU_DEP_2)
	v_fma_f64 v[146:147], v[134:135], s[0:1], v[126:127]
	s_mov_b32 s0, 0x3b39803f
	s_mov_b32 s1, 0xbc7abc9e
	v_cvt_i32_f64_e32 v150, v[134:135]
	v_fma_f64 v[146:147], v[134:135], s[0:1], v[146:147]
	s_mov_b32 s0, 0xfca7ab0c
	s_mov_b32 s1, 0x3e928af3
	s_delay_alu instid0(VALU_DEP_1) | instid1(SALU_CYCLE_1)
	v_fma_f64 v[148:149], v[146:147], s[10:11], s[0:1]
	s_mov_b32 s0, 0x623fde64
	s_mov_b32 s1, 0x3ec71dee
	s_delay_alu instid0(VALU_DEP_1) | instid1(SALU_CYCLE_1)
	;; [unrolled: 4-line block ×9, first 2 shown]
	v_fma_f64 v[148:149], v[146:147], v[148:149], s[0:1]
	v_cmp_nlt_f64_e64 s0, 0x40900000, v[126:127]
	v_cmp_ngt_f64_e64 s1, 0xc090cc00, v[126:127]
	s_delay_alu instid0(VALU_DEP_3) | instskip(NEXT) | instid1(VALU_DEP_1)
	v_fma_f64 v[148:149], v[146:147], v[148:149], 1.0
	v_fma_f64 v[134:135], v[146:147], v[148:149], 1.0
	s_delay_alu instid0(VALU_DEP_1) | instskip(NEXT) | instid1(VALU_DEP_1)
	v_ldexp_f64 v[134:135], v[134:135], v150
	v_cndmask_b32_e64 v135, 0x7ff00000, v135, s0
	s_and_b32 s0, s1, s0
	s_delay_alu instid0(VALU_DEP_2) | instid1(SALU_CYCLE_1)
	v_cndmask_b32_e64 v134, 0, v134, s0
	s_delay_alu instid0(VALU_DEP_2) | instskip(NEXT) | instid1(VALU_DEP_1)
	v_cndmask_b32_e64 v135, 0, v135, s1
	v_add_f64 v[62:63], v[62:63], v[134:135]
.LBB695_471:
	s_or_b32 exec_lo, exec_lo, s7
.LBB695_472:
	s_delay_alu instid0(SALU_CYCLE_1)
	s_or_b32 exec_lo, exec_lo, s8
	s_and_saveexec_b32 s7, s6
	s_cbranch_execz .LBB695_476
; %bb.473:
	global_load_u8 v126, v[4:5], off offset:704
	v_mov_b32_e32 v132, 0
	s_waitcnt vmcnt(0)
	v_dual_mov_b32 v133, 0 :: v_dual_and_b32 v126, 1, v126
	s_delay_alu instid0(VALU_DEP_1) | instskip(NEXT) | instid1(VALU_DEP_1)
	v_cmp_eq_u32_e64 s0, 1, v126
	s_xor_b32 s0, s0, -1
	s_delay_alu instid0(SALU_CYCLE_1)
	s_and_saveexec_b32 s6, s0
	s_cbranch_execz .LBB695_475
; %bb.474:
	v_add_f64 v[124:125], v[124:125], -v[64:65]
	s_mov_b32 s0, 0x652b82fe
	s_mov_b32 s1, 0x3ff71547
	;; [unrolled: 1-line block ×4, first 2 shown]
	s_delay_alu instid0(VALU_DEP_1) | instskip(SKIP_2) | instid1(VALU_DEP_1)
	v_mul_f64 v[126:127], v[124:125], s[0:1]
	s_mov_b32 s0, 0xfefa39ef
	s_mov_b32 s1, 0xbfe62e42
	v_rndne_f64_e32 v[126:127], v[126:127]
	s_delay_alu instid0(VALU_DEP_1) | instskip(SKIP_3) | instid1(VALU_DEP_2)
	v_fma_f64 v[132:133], v[126:127], s[0:1], v[124:125]
	s_mov_b32 s0, 0x3b39803f
	s_mov_b32 s1, 0xbc7abc9e
	v_cvt_i32_f64_e32 v148, v[126:127]
	v_fma_f64 v[132:133], v[126:127], s[0:1], v[132:133]
	s_mov_b32 s0, 0xfca7ab0c
	s_mov_b32 s1, 0x3e928af3
	s_delay_alu instid0(VALU_DEP_1) | instid1(SALU_CYCLE_1)
	v_fma_f64 v[146:147], v[132:133], s[8:9], s[0:1]
	s_mov_b32 s0, 0x623fde64
	s_mov_b32 s1, 0x3ec71dee
	s_delay_alu instid0(VALU_DEP_1) | instid1(SALU_CYCLE_1)
	;; [unrolled: 4-line block ×9, first 2 shown]
	v_fma_f64 v[146:147], v[132:133], v[146:147], s[0:1]
	v_cmp_nlt_f64_e64 s0, 0x40900000, v[124:125]
	v_cmp_ngt_f64_e64 s1, 0xc090cc00, v[124:125]
	s_delay_alu instid0(VALU_DEP_3) | instskip(NEXT) | instid1(VALU_DEP_1)
	v_fma_f64 v[146:147], v[132:133], v[146:147], 1.0
	v_fma_f64 v[126:127], v[132:133], v[146:147], 1.0
	s_delay_alu instid0(VALU_DEP_1) | instskip(NEXT) | instid1(VALU_DEP_1)
	v_ldexp_f64 v[126:127], v[126:127], v148
	v_cndmask_b32_e64 v127, 0x7ff00000, v127, s0
	s_and_b32 s0, s1, s0
	s_delay_alu instid0(VALU_DEP_2) | instid1(SALU_CYCLE_1)
	v_cndmask_b32_e64 v132, 0, v126, s0
	s_delay_alu instid0(VALU_DEP_2) | instskip(NEXT) | instid1(VALU_DEP_1)
	v_cndmask_b32_e64 v133, 0, v127, s1
	v_add_f64 v[62:63], v[62:63], v[132:133]
.LBB695_475:
	s_or_b32 exec_lo, exec_lo, s6
.LBB695_476:
	s_delay_alu instid0(SALU_CYCLE_1) | instskip(SKIP_2) | instid1(VALU_DEP_1)
	s_or_b32 exec_lo, exec_lo, s7
	v_mov_b32_e32 v124, 0
	v_mov_b32_e32 v125, 0
	v_dual_mov_b32 v127, v125 :: v_dual_mov_b32 v126, v124
	s_and_saveexec_b32 s6, s5
	s_cbranch_execz .LBB695_480
; %bb.477:
	global_load_u8 v126, v[4:5], off offset:736
	s_waitcnt vmcnt(0)
	v_and_b32_e32 v126, 1, v126
	s_delay_alu instid0(VALU_DEP_1) | instskip(SKIP_2) | instid1(VALU_DEP_3)
	v_cmp_eq_u32_e64 s0, 1, v126
	v_mov_b32_e32 v126, 0
	v_mov_b32_e32 v127, 0
	s_xor_b32 s0, s0, -1
	s_delay_alu instid0(SALU_CYCLE_1)
	s_and_saveexec_b32 s5, s0
	s_cbranch_execz .LBB695_479
; %bb.478:
	v_add_f64 v[118:119], v[118:119], -v[64:65]
	s_mov_b32 s0, 0x652b82fe
	s_mov_b32 s1, 0x3ff71547
	;; [unrolled: 1-line block ×4, first 2 shown]
	s_delay_alu instid0(VALU_DEP_1) | instskip(SKIP_2) | instid1(VALU_DEP_1)
	v_mul_f64 v[126:127], v[118:119], s[0:1]
	s_mov_b32 s0, 0xfefa39ef
	s_mov_b32 s1, 0xbfe62e42
	v_rndne_f64_e32 v[126:127], v[126:127]
	s_delay_alu instid0(VALU_DEP_1) | instskip(SKIP_3) | instid1(VALU_DEP_2)
	v_fma_f64 v[146:147], v[126:127], s[0:1], v[118:119]
	s_mov_b32 s0, 0x3b39803f
	s_mov_b32 s1, 0xbc7abc9e
	v_cvt_i32_f64_e32 v150, v[126:127]
	v_fma_f64 v[146:147], v[126:127], s[0:1], v[146:147]
	s_mov_b32 s0, 0xfca7ab0c
	s_mov_b32 s1, 0x3e928af3
	s_delay_alu instid0(VALU_DEP_1) | instid1(SALU_CYCLE_1)
	v_fma_f64 v[148:149], v[146:147], s[8:9], s[0:1]
	s_mov_b32 s0, 0x623fde64
	s_mov_b32 s1, 0x3ec71dee
	s_delay_alu instid0(VALU_DEP_1) | instid1(SALU_CYCLE_1)
	;; [unrolled: 4-line block ×9, first 2 shown]
	v_fma_f64 v[148:149], v[146:147], v[148:149], s[0:1]
	v_cmp_nlt_f64_e64 s0, 0x40900000, v[118:119]
	v_cmp_ngt_f64_e64 s1, 0xc090cc00, v[118:119]
	s_delay_alu instid0(VALU_DEP_3) | instskip(NEXT) | instid1(VALU_DEP_1)
	v_fma_f64 v[148:149], v[146:147], v[148:149], 1.0
	v_fma_f64 v[126:127], v[146:147], v[148:149], 1.0
	s_delay_alu instid0(VALU_DEP_1) | instskip(NEXT) | instid1(VALU_DEP_1)
	v_ldexp_f64 v[126:127], v[126:127], v150
	v_cndmask_b32_e64 v127, 0x7ff00000, v127, s0
	s_and_b32 s0, s1, s0
	s_delay_alu instid0(VALU_DEP_2) | instid1(SALU_CYCLE_1)
	v_cndmask_b32_e64 v126, 0, v126, s0
	s_delay_alu instid0(VALU_DEP_2) | instskip(NEXT) | instid1(VALU_DEP_1)
	v_cndmask_b32_e64 v127, 0, v127, s1
	v_add_f64 v[62:63], v[62:63], v[126:127]
.LBB695_479:
	s_or_b32 exec_lo, exec_lo, s5
.LBB695_480:
	s_delay_alu instid0(SALU_CYCLE_1)
	s_or_b32 exec_lo, exec_lo, s6
	s_and_saveexec_b32 s5, s4
	s_cbranch_execz .LBB695_484
; %bb.481:
	global_load_u8 v118, v[4:5], off offset:768
	v_mov_b32_e32 v124, 0
	s_waitcnt vmcnt(0)
	v_dual_mov_b32 v125, 0 :: v_dual_and_b32 v118, 1, v118
	s_delay_alu instid0(VALU_DEP_1) | instskip(NEXT) | instid1(VALU_DEP_1)
	v_cmp_eq_u32_e64 s0, 1, v118
	s_xor_b32 s0, s0, -1
	s_delay_alu instid0(SALU_CYCLE_1)
	s_and_saveexec_b32 s4, s0
	s_cbranch_execz .LBB695_483
; %bb.482:
	v_add_f64 v[116:117], v[116:117], -v[64:65]
	s_mov_b32 s0, 0x652b82fe
	s_mov_b32 s1, 0x3ff71547
	;; [unrolled: 1-line block ×4, first 2 shown]
	s_delay_alu instid0(VALU_DEP_1) | instskip(SKIP_2) | instid1(VALU_DEP_1)
	v_mul_f64 v[118:119], v[116:117], s[0:1]
	s_mov_b32 s0, 0xfefa39ef
	s_mov_b32 s1, 0xbfe62e42
	v_rndne_f64_e32 v[118:119], v[118:119]
	s_delay_alu instid0(VALU_DEP_1) | instskip(SKIP_3) | instid1(VALU_DEP_2)
	v_fma_f64 v[124:125], v[118:119], s[0:1], v[116:117]
	s_mov_b32 s0, 0x3b39803f
	s_mov_b32 s1, 0xbc7abc9e
	v_cvt_i32_f64_e32 v148, v[118:119]
	v_fma_f64 v[124:125], v[118:119], s[0:1], v[124:125]
	s_mov_b32 s0, 0xfca7ab0c
	s_mov_b32 s1, 0x3e928af3
	s_delay_alu instid0(VALU_DEP_1) | instid1(SALU_CYCLE_1)
	v_fma_f64 v[146:147], v[124:125], s[6:7], s[0:1]
	s_mov_b32 s0, 0x623fde64
	s_mov_b32 s1, 0x3ec71dee
	s_delay_alu instid0(VALU_DEP_1) | instid1(SALU_CYCLE_1)
	;; [unrolled: 4-line block ×9, first 2 shown]
	v_fma_f64 v[146:147], v[124:125], v[146:147], s[0:1]
	v_cmp_nlt_f64_e64 s0, 0x40900000, v[116:117]
	v_cmp_ngt_f64_e64 s1, 0xc090cc00, v[116:117]
	s_delay_alu instid0(VALU_DEP_3) | instskip(NEXT) | instid1(VALU_DEP_1)
	v_fma_f64 v[146:147], v[124:125], v[146:147], 1.0
	v_fma_f64 v[118:119], v[124:125], v[146:147], 1.0
	s_delay_alu instid0(VALU_DEP_1) | instskip(NEXT) | instid1(VALU_DEP_1)
	v_ldexp_f64 v[118:119], v[118:119], v148
	v_cndmask_b32_e64 v119, 0x7ff00000, v119, s0
	s_and_b32 s0, s1, s0
	s_delay_alu instid0(VALU_DEP_2) | instid1(SALU_CYCLE_1)
	v_cndmask_b32_e64 v124, 0, v118, s0
	s_delay_alu instid0(VALU_DEP_2) | instskip(NEXT) | instid1(VALU_DEP_1)
	v_cndmask_b32_e64 v125, 0, v119, s1
	v_add_f64 v[62:63], v[62:63], v[124:125]
.LBB695_483:
	s_or_b32 exec_lo, exec_lo, s4
.LBB695_484:
	s_delay_alu instid0(SALU_CYCLE_1) | instskip(SKIP_2) | instid1(VALU_DEP_1)
	s_or_b32 exec_lo, exec_lo, s5
	v_mov_b32_e32 v116, 0
	v_mov_b32_e32 v117, 0
	v_dual_mov_b32 v119, v117 :: v_dual_mov_b32 v118, v116
	s_and_saveexec_b32 s4, s3
	s_cbranch_execz .LBB695_488
; %bb.485:
	global_load_u8 v118, v[4:5], off offset:800
	s_waitcnt vmcnt(0)
	v_and_b32_e32 v118, 1, v118
	s_delay_alu instid0(VALU_DEP_1) | instskip(SKIP_2) | instid1(VALU_DEP_3)
	v_cmp_eq_u32_e64 s0, 1, v118
	v_mov_b32_e32 v118, 0
	v_mov_b32_e32 v119, 0
	s_xor_b32 s0, s0, -1
	s_delay_alu instid0(SALU_CYCLE_1)
	s_and_saveexec_b32 s3, s0
	s_cbranch_execz .LBB695_487
; %bb.486:
	v_add_f64 v[110:111], v[110:111], -v[64:65]
	s_mov_b32 s0, 0x652b82fe
	s_mov_b32 s1, 0x3ff71547
	;; [unrolled: 1-line block ×4, first 2 shown]
	s_delay_alu instid0(VALU_DEP_1) | instskip(SKIP_2) | instid1(VALU_DEP_1)
	v_mul_f64 v[118:119], v[110:111], s[0:1]
	s_mov_b32 s0, 0xfefa39ef
	s_mov_b32 s1, 0xbfe62e42
	v_rndne_f64_e32 v[118:119], v[118:119]
	s_delay_alu instid0(VALU_DEP_1) | instskip(SKIP_3) | instid1(VALU_DEP_2)
	v_fma_f64 v[146:147], v[118:119], s[0:1], v[110:111]
	s_mov_b32 s0, 0x3b39803f
	s_mov_b32 s1, 0xbc7abc9e
	v_cvt_i32_f64_e32 v150, v[118:119]
	v_fma_f64 v[146:147], v[118:119], s[0:1], v[146:147]
	s_mov_b32 s0, 0xfca7ab0c
	s_mov_b32 s1, 0x3e928af3
	s_delay_alu instid0(VALU_DEP_1) | instid1(SALU_CYCLE_1)
	v_fma_f64 v[148:149], v[146:147], s[6:7], s[0:1]
	s_mov_b32 s0, 0x623fde64
	s_mov_b32 s1, 0x3ec71dee
	s_delay_alu instid0(VALU_DEP_1) | instid1(SALU_CYCLE_1)
	;; [unrolled: 4-line block ×9, first 2 shown]
	v_fma_f64 v[148:149], v[146:147], v[148:149], s[0:1]
	v_cmp_nlt_f64_e64 s0, 0x40900000, v[110:111]
	v_cmp_ngt_f64_e64 s1, 0xc090cc00, v[110:111]
	s_delay_alu instid0(VALU_DEP_3) | instskip(NEXT) | instid1(VALU_DEP_1)
	v_fma_f64 v[148:149], v[146:147], v[148:149], 1.0
	v_fma_f64 v[118:119], v[146:147], v[148:149], 1.0
	s_delay_alu instid0(VALU_DEP_1) | instskip(NEXT) | instid1(VALU_DEP_1)
	v_ldexp_f64 v[118:119], v[118:119], v150
	v_cndmask_b32_e64 v119, 0x7ff00000, v119, s0
	s_and_b32 s0, s1, s0
	s_delay_alu instid0(VALU_DEP_2) | instid1(SALU_CYCLE_1)
	v_cndmask_b32_e64 v118, 0, v118, s0
	s_delay_alu instid0(VALU_DEP_2) | instskip(NEXT) | instid1(VALU_DEP_1)
	v_cndmask_b32_e64 v119, 0, v119, s1
	v_add_f64 v[62:63], v[62:63], v[118:119]
.LBB695_487:
	s_or_b32 exec_lo, exec_lo, s3
.LBB695_488:
	s_delay_alu instid0(SALU_CYCLE_1)
	s_or_b32 exec_lo, exec_lo, s4
	s_and_saveexec_b32 s3, s69
	s_cbranch_execz .LBB695_492
; %bb.489:
	global_load_u8 v110, v[4:5], off offset:832
	v_mov_b32_e32 v116, 0
	s_waitcnt vmcnt(0)
	v_dual_mov_b32 v117, 0 :: v_dual_and_b32 v110, 1, v110
	s_delay_alu instid0(VALU_DEP_1) | instskip(NEXT) | instid1(VALU_DEP_1)
	v_cmp_eq_u32_e64 s0, 1, v110
	s_xor_b32 s0, s0, -1
	s_delay_alu instid0(SALU_CYCLE_1)
	s_and_saveexec_b32 s4, s0
	s_cbranch_execz .LBB695_491
; %bb.490:
	v_add_f64 v[108:109], v[108:109], -v[64:65]
	s_mov_b32 s0, 0x652b82fe
	s_mov_b32 s1, 0x3ff71547
	s_mov_b32 s6, 0x6a5dcb37
	s_mov_b32 s7, 0x3e5ade15
	s_delay_alu instid0(VALU_DEP_1) | instskip(SKIP_2) | instid1(VALU_DEP_1)
	v_mul_f64 v[110:111], v[108:109], s[0:1]
	s_mov_b32 s0, 0xfefa39ef
	s_mov_b32 s1, 0xbfe62e42
	v_rndne_f64_e32 v[110:111], v[110:111]
	s_delay_alu instid0(VALU_DEP_1) | instskip(SKIP_3) | instid1(VALU_DEP_2)
	v_fma_f64 v[116:117], v[110:111], s[0:1], v[108:109]
	s_mov_b32 s0, 0x3b39803f
	s_mov_b32 s1, 0xbc7abc9e
	v_cvt_i32_f64_e32 v148, v[110:111]
	v_fma_f64 v[116:117], v[110:111], s[0:1], v[116:117]
	s_mov_b32 s0, 0xfca7ab0c
	s_mov_b32 s1, 0x3e928af3
	s_delay_alu instid0(VALU_DEP_1) | instid1(SALU_CYCLE_1)
	v_fma_f64 v[146:147], v[116:117], s[6:7], s[0:1]
	s_mov_b32 s0, 0x623fde64
	s_mov_b32 s1, 0x3ec71dee
	s_delay_alu instid0(VALU_DEP_1) | instid1(SALU_CYCLE_1)
	;; [unrolled: 4-line block ×9, first 2 shown]
	v_fma_f64 v[146:147], v[116:117], v[146:147], s[0:1]
	v_cmp_nlt_f64_e64 s0, 0x40900000, v[108:109]
	v_cmp_ngt_f64_e64 s1, 0xc090cc00, v[108:109]
	s_delay_alu instid0(VALU_DEP_3) | instskip(NEXT) | instid1(VALU_DEP_1)
	v_fma_f64 v[146:147], v[116:117], v[146:147], 1.0
	v_fma_f64 v[110:111], v[116:117], v[146:147], 1.0
	s_delay_alu instid0(VALU_DEP_1) | instskip(NEXT) | instid1(VALU_DEP_1)
	v_ldexp_f64 v[110:111], v[110:111], v148
	v_cndmask_b32_e64 v111, 0x7ff00000, v111, s0
	s_and_b32 s0, s1, s0
	s_delay_alu instid0(VALU_DEP_2) | instid1(SALU_CYCLE_1)
	v_cndmask_b32_e64 v116, 0, v110, s0
	s_delay_alu instid0(VALU_DEP_2) | instskip(NEXT) | instid1(VALU_DEP_1)
	v_cndmask_b32_e64 v117, 0, v111, s1
	v_add_f64 v[62:63], v[62:63], v[116:117]
.LBB695_491:
	s_or_b32 exec_lo, exec_lo, s4
.LBB695_492:
	s_delay_alu instid0(SALU_CYCLE_1) | instskip(SKIP_2) | instid1(VALU_DEP_1)
	s_or_b32 exec_lo, exec_lo, s3
	v_mov_b32_e32 v108, 0
	v_mov_b32_e32 v109, 0
	v_dual_mov_b32 v111, v109 :: v_dual_mov_b32 v110, v108
	s_and_saveexec_b32 s3, s68
	s_cbranch_execz .LBB695_496
; %bb.493:
	global_load_u8 v110, v[4:5], off offset:864
	s_waitcnt vmcnt(0)
	v_and_b32_e32 v110, 1, v110
	s_delay_alu instid0(VALU_DEP_1) | instskip(SKIP_2) | instid1(VALU_DEP_3)
	v_cmp_eq_u32_e64 s0, 1, v110
	v_mov_b32_e32 v110, 0
	v_mov_b32_e32 v111, 0
	s_xor_b32 s0, s0, -1
	s_delay_alu instid0(SALU_CYCLE_1)
	s_and_saveexec_b32 s4, s0
	s_cbranch_execz .LBB695_495
; %bb.494:
	v_add_f64 v[102:103], v[102:103], -v[64:65]
	s_mov_b32 s0, 0x652b82fe
	s_mov_b32 s1, 0x3ff71547
	;; [unrolled: 1-line block ×4, first 2 shown]
	s_delay_alu instid0(VALU_DEP_1) | instskip(SKIP_2) | instid1(VALU_DEP_1)
	v_mul_f64 v[110:111], v[102:103], s[0:1]
	s_mov_b32 s0, 0xfefa39ef
	s_mov_b32 s1, 0xbfe62e42
	v_rndne_f64_e32 v[110:111], v[110:111]
	s_delay_alu instid0(VALU_DEP_1) | instskip(SKIP_3) | instid1(VALU_DEP_2)
	v_fma_f64 v[146:147], v[110:111], s[0:1], v[102:103]
	s_mov_b32 s0, 0x3b39803f
	s_mov_b32 s1, 0xbc7abc9e
	v_cvt_i32_f64_e32 v150, v[110:111]
	v_fma_f64 v[146:147], v[110:111], s[0:1], v[146:147]
	s_mov_b32 s0, 0xfca7ab0c
	s_mov_b32 s1, 0x3e928af3
	s_delay_alu instid0(VALU_DEP_1) | instid1(SALU_CYCLE_1)
	v_fma_f64 v[148:149], v[146:147], s[6:7], s[0:1]
	s_mov_b32 s0, 0x623fde64
	s_mov_b32 s1, 0x3ec71dee
	s_delay_alu instid0(VALU_DEP_1) | instid1(SALU_CYCLE_1)
	;; [unrolled: 4-line block ×9, first 2 shown]
	v_fma_f64 v[148:149], v[146:147], v[148:149], s[0:1]
	v_cmp_nlt_f64_e64 s0, 0x40900000, v[102:103]
	v_cmp_ngt_f64_e64 s1, 0xc090cc00, v[102:103]
	s_delay_alu instid0(VALU_DEP_3) | instskip(NEXT) | instid1(VALU_DEP_1)
	v_fma_f64 v[148:149], v[146:147], v[148:149], 1.0
	v_fma_f64 v[110:111], v[146:147], v[148:149], 1.0
	s_delay_alu instid0(VALU_DEP_1) | instskip(NEXT) | instid1(VALU_DEP_1)
	v_ldexp_f64 v[110:111], v[110:111], v150
	v_cndmask_b32_e64 v111, 0x7ff00000, v111, s0
	s_and_b32 s0, s1, s0
	s_delay_alu instid0(VALU_DEP_2) | instid1(SALU_CYCLE_1)
	v_cndmask_b32_e64 v110, 0, v110, s0
	s_delay_alu instid0(VALU_DEP_2) | instskip(NEXT) | instid1(VALU_DEP_1)
	v_cndmask_b32_e64 v111, 0, v111, s1
	v_add_f64 v[62:63], v[62:63], v[110:111]
.LBB695_495:
	s_or_b32 exec_lo, exec_lo, s4
.LBB695_496:
	s_delay_alu instid0(SALU_CYCLE_1)
	s_or_b32 exec_lo, exec_lo, s3
	s_and_saveexec_b32 s3, vcc_hi
	s_cbranch_execz .LBB695_500
; %bb.497:
	global_load_u8 v102, v[4:5], off offset:896
	v_mov_b32_e32 v108, 0
	s_waitcnt vmcnt(0)
	v_dual_mov_b32 v109, 0 :: v_dual_and_b32 v102, 1, v102
	s_delay_alu instid0(VALU_DEP_1) | instskip(NEXT) | instid1(VALU_DEP_1)
	v_cmp_eq_u32_e64 s0, 1, v102
	s_xor_b32 s0, s0, -1
	s_delay_alu instid0(SALU_CYCLE_1)
	s_and_saveexec_b32 s4, s0
	s_cbranch_execz .LBB695_499
; %bb.498:
	v_add_f64 v[100:101], v[100:101], -v[64:65]
	s_mov_b32 s0, 0x652b82fe
	s_mov_b32 s1, 0x3ff71547
	;; [unrolled: 1-line block ×4, first 2 shown]
	s_delay_alu instid0(VALU_DEP_1) | instskip(SKIP_2) | instid1(VALU_DEP_1)
	v_mul_f64 v[102:103], v[100:101], s[0:1]
	s_mov_b32 s0, 0xfefa39ef
	s_mov_b32 s1, 0xbfe62e42
	v_rndne_f64_e32 v[102:103], v[102:103]
	s_delay_alu instid0(VALU_DEP_1) | instskip(SKIP_3) | instid1(VALU_DEP_2)
	v_fma_f64 v[108:109], v[102:103], s[0:1], v[100:101]
	s_mov_b32 s0, 0x3b39803f
	s_mov_b32 s1, 0xbc7abc9e
	v_cvt_i32_f64_e32 v148, v[102:103]
	v_fma_f64 v[108:109], v[102:103], s[0:1], v[108:109]
	s_mov_b32 s0, 0xfca7ab0c
	s_mov_b32 s1, 0x3e928af3
	s_delay_alu instid0(VALU_DEP_1) | instid1(SALU_CYCLE_1)
	v_fma_f64 v[146:147], v[108:109], s[6:7], s[0:1]
	s_mov_b32 s0, 0x623fde64
	s_mov_b32 s1, 0x3ec71dee
	s_delay_alu instid0(VALU_DEP_1) | instid1(SALU_CYCLE_1)
	;; [unrolled: 4-line block ×9, first 2 shown]
	v_fma_f64 v[146:147], v[108:109], v[146:147], s[0:1]
	v_cmp_nlt_f64_e64 s0, 0x40900000, v[100:101]
	v_cmp_ngt_f64_e64 s1, 0xc090cc00, v[100:101]
	s_delay_alu instid0(VALU_DEP_3) | instskip(NEXT) | instid1(VALU_DEP_1)
	v_fma_f64 v[146:147], v[108:109], v[146:147], 1.0
	v_fma_f64 v[102:103], v[108:109], v[146:147], 1.0
	s_delay_alu instid0(VALU_DEP_1) | instskip(NEXT) | instid1(VALU_DEP_1)
	v_ldexp_f64 v[102:103], v[102:103], v148
	v_cndmask_b32_e64 v103, 0x7ff00000, v103, s0
	s_and_b32 s0, s1, s0
	s_delay_alu instid0(VALU_DEP_2) | instid1(SALU_CYCLE_1)
	v_cndmask_b32_e64 v108, 0, v102, s0
	s_delay_alu instid0(VALU_DEP_2) | instskip(NEXT) | instid1(VALU_DEP_1)
	v_cndmask_b32_e64 v109, 0, v103, s1
	v_add_f64 v[62:63], v[62:63], v[108:109]
.LBB695_499:
	s_or_b32 exec_lo, exec_lo, s4
.LBB695_500:
	s_delay_alu instid0(SALU_CYCLE_1) | instskip(SKIP_2) | instid1(VALU_DEP_1)
	s_or_b32 exec_lo, exec_lo, s3
	v_mov_b32_e32 v100, 0
	v_mov_b32_e32 v101, 0
	v_dual_mov_b32 v103, v101 :: v_dual_mov_b32 v102, v100
	s_and_saveexec_b32 s3, s104
	s_cbranch_execz .LBB695_504
; %bb.501:
	global_load_u8 v102, v[4:5], off offset:928
	s_waitcnt vmcnt(0)
	v_and_b32_e32 v102, 1, v102
	s_delay_alu instid0(VALU_DEP_1) | instskip(SKIP_2) | instid1(VALU_DEP_3)
	v_cmp_eq_u32_e64 s0, 1, v102
	v_mov_b32_e32 v102, 0
	v_mov_b32_e32 v103, 0
	s_xor_b32 s0, s0, -1
	s_delay_alu instid0(SALU_CYCLE_1)
	s_and_saveexec_b32 s4, s0
	s_cbranch_execz .LBB695_503
; %bb.502:
	v_add_f64 v[94:95], v[94:95], -v[64:65]
	s_mov_b32 s0, 0x652b82fe
	s_mov_b32 s1, 0x3ff71547
	;; [unrolled: 1-line block ×4, first 2 shown]
	s_delay_alu instid0(VALU_DEP_1) | instskip(SKIP_2) | instid1(VALU_DEP_1)
	v_mul_f64 v[102:103], v[94:95], s[0:1]
	s_mov_b32 s0, 0xfefa39ef
	s_mov_b32 s1, 0xbfe62e42
	v_rndne_f64_e32 v[102:103], v[102:103]
	s_delay_alu instid0(VALU_DEP_1) | instskip(SKIP_3) | instid1(VALU_DEP_2)
	v_fma_f64 v[146:147], v[102:103], s[0:1], v[94:95]
	s_mov_b32 s0, 0x3b39803f
	s_mov_b32 s1, 0xbc7abc9e
	v_cvt_i32_f64_e32 v150, v[102:103]
	v_fma_f64 v[146:147], v[102:103], s[0:1], v[146:147]
	s_mov_b32 s0, 0xfca7ab0c
	s_mov_b32 s1, 0x3e928af3
	s_delay_alu instid0(VALU_DEP_1) | instid1(SALU_CYCLE_1)
	v_fma_f64 v[148:149], v[146:147], s[6:7], s[0:1]
	s_mov_b32 s0, 0x623fde64
	s_mov_b32 s1, 0x3ec71dee
	s_delay_alu instid0(VALU_DEP_1) | instid1(SALU_CYCLE_1)
	;; [unrolled: 4-line block ×9, first 2 shown]
	v_fma_f64 v[148:149], v[146:147], v[148:149], s[0:1]
	v_cmp_nlt_f64_e64 s0, 0x40900000, v[94:95]
	v_cmp_ngt_f64_e64 s1, 0xc090cc00, v[94:95]
	s_delay_alu instid0(VALU_DEP_3) | instskip(NEXT) | instid1(VALU_DEP_1)
	v_fma_f64 v[148:149], v[146:147], v[148:149], 1.0
	v_fma_f64 v[102:103], v[146:147], v[148:149], 1.0
	s_delay_alu instid0(VALU_DEP_1) | instskip(NEXT) | instid1(VALU_DEP_1)
	v_ldexp_f64 v[102:103], v[102:103], v150
	v_cndmask_b32_e64 v103, 0x7ff00000, v103, s0
	s_and_b32 s0, s1, s0
	s_delay_alu instid0(VALU_DEP_2) | instid1(SALU_CYCLE_1)
	v_cndmask_b32_e64 v102, 0, v102, s0
	s_delay_alu instid0(VALU_DEP_2) | instskip(NEXT) | instid1(VALU_DEP_1)
	v_cndmask_b32_e64 v103, 0, v103, s1
	v_add_f64 v[62:63], v[62:63], v[102:103]
.LBB695_503:
	s_or_b32 exec_lo, exec_lo, s4
.LBB695_504:
	s_delay_alu instid0(SALU_CYCLE_1)
	s_or_b32 exec_lo, exec_lo, s3
	s_and_saveexec_b32 s3, s103
	s_cbranch_execz .LBB695_508
; %bb.505:
	global_load_u8 v94, v[4:5], off offset:960
	v_mov_b32_e32 v100, 0
	s_waitcnt vmcnt(0)
	v_dual_mov_b32 v101, 0 :: v_dual_and_b32 v94, 1, v94
	s_delay_alu instid0(VALU_DEP_1) | instskip(NEXT) | instid1(VALU_DEP_1)
	v_cmp_eq_u32_e64 s0, 1, v94
	s_xor_b32 s0, s0, -1
	s_delay_alu instid0(SALU_CYCLE_1)
	s_and_saveexec_b32 s4, s0
	s_cbranch_execz .LBB695_507
; %bb.506:
	v_add_f64 v[92:93], v[92:93], -v[64:65]
	s_mov_b32 s0, 0x652b82fe
	s_mov_b32 s1, 0x3ff71547
	;; [unrolled: 1-line block ×4, first 2 shown]
	s_delay_alu instid0(VALU_DEP_1) | instskip(SKIP_2) | instid1(VALU_DEP_1)
	v_mul_f64 v[94:95], v[92:93], s[0:1]
	s_mov_b32 s0, 0xfefa39ef
	s_mov_b32 s1, 0xbfe62e42
	v_rndne_f64_e32 v[94:95], v[94:95]
	s_delay_alu instid0(VALU_DEP_1) | instskip(SKIP_3) | instid1(VALU_DEP_2)
	v_fma_f64 v[100:101], v[94:95], s[0:1], v[92:93]
	s_mov_b32 s0, 0x3b39803f
	s_mov_b32 s1, 0xbc7abc9e
	v_cvt_i32_f64_e32 v148, v[94:95]
	v_fma_f64 v[100:101], v[94:95], s[0:1], v[100:101]
	s_mov_b32 s0, 0xfca7ab0c
	s_mov_b32 s1, 0x3e928af3
	s_delay_alu instid0(VALU_DEP_1) | instid1(SALU_CYCLE_1)
	v_fma_f64 v[146:147], v[100:101], s[6:7], s[0:1]
	s_mov_b32 s0, 0x623fde64
	s_mov_b32 s1, 0x3ec71dee
	s_delay_alu instid0(VALU_DEP_1) | instid1(SALU_CYCLE_1)
	;; [unrolled: 4-line block ×9, first 2 shown]
	v_fma_f64 v[146:147], v[100:101], v[146:147], s[0:1]
	v_cmp_nlt_f64_e64 s0, 0x40900000, v[92:93]
	v_cmp_ngt_f64_e64 s1, 0xc090cc00, v[92:93]
	s_delay_alu instid0(VALU_DEP_3) | instskip(NEXT) | instid1(VALU_DEP_1)
	v_fma_f64 v[146:147], v[100:101], v[146:147], 1.0
	v_fma_f64 v[94:95], v[100:101], v[146:147], 1.0
	s_delay_alu instid0(VALU_DEP_1) | instskip(NEXT) | instid1(VALU_DEP_1)
	v_ldexp_f64 v[94:95], v[94:95], v148
	v_cndmask_b32_e64 v95, 0x7ff00000, v95, s0
	s_and_b32 s0, s1, s0
	s_delay_alu instid0(VALU_DEP_2) | instid1(SALU_CYCLE_1)
	v_cndmask_b32_e64 v100, 0, v94, s0
	s_delay_alu instid0(VALU_DEP_2) | instskip(NEXT) | instid1(VALU_DEP_1)
	v_cndmask_b32_e64 v101, 0, v95, s1
	v_add_f64 v[62:63], v[62:63], v[100:101]
.LBB695_507:
	s_or_b32 exec_lo, exec_lo, s4
.LBB695_508:
	s_delay_alu instid0(SALU_CYCLE_1) | instskip(SKIP_2) | instid1(VALU_DEP_1)
	s_or_b32 exec_lo, exec_lo, s3
	v_mov_b32_e32 v92, 0
	v_mov_b32_e32 v93, 0
	v_dual_mov_b32 v95, v93 :: v_dual_mov_b32 v94, v92
	s_and_saveexec_b32 s3, s102
	s_cbranch_execz .LBB695_512
; %bb.509:
	global_load_u8 v94, v[4:5], off offset:992
	s_waitcnt vmcnt(0)
	v_and_b32_e32 v94, 1, v94
	s_delay_alu instid0(VALU_DEP_1) | instskip(SKIP_2) | instid1(VALU_DEP_3)
	v_cmp_eq_u32_e64 s0, 1, v94
	v_mov_b32_e32 v94, 0
	v_mov_b32_e32 v95, 0
	s_xor_b32 s0, s0, -1
	s_delay_alu instid0(SALU_CYCLE_1)
	s_and_saveexec_b32 s4, s0
	s_cbranch_execz .LBB695_511
; %bb.510:
	v_add_f64 v[86:87], v[86:87], -v[64:65]
	s_mov_b32 s0, 0x652b82fe
	s_mov_b32 s1, 0x3ff71547
	;; [unrolled: 1-line block ×4, first 2 shown]
	s_delay_alu instid0(VALU_DEP_1) | instskip(SKIP_2) | instid1(VALU_DEP_1)
	v_mul_f64 v[94:95], v[86:87], s[0:1]
	s_mov_b32 s0, 0xfefa39ef
	s_mov_b32 s1, 0xbfe62e42
	v_rndne_f64_e32 v[94:95], v[94:95]
	s_delay_alu instid0(VALU_DEP_1) | instskip(SKIP_3) | instid1(VALU_DEP_2)
	v_fma_f64 v[146:147], v[94:95], s[0:1], v[86:87]
	s_mov_b32 s0, 0x3b39803f
	s_mov_b32 s1, 0xbc7abc9e
	v_cvt_i32_f64_e32 v150, v[94:95]
	v_fma_f64 v[146:147], v[94:95], s[0:1], v[146:147]
	s_mov_b32 s0, 0xfca7ab0c
	s_mov_b32 s1, 0x3e928af3
	s_delay_alu instid0(VALU_DEP_1) | instid1(SALU_CYCLE_1)
	v_fma_f64 v[148:149], v[146:147], s[6:7], s[0:1]
	s_mov_b32 s0, 0x623fde64
	s_mov_b32 s1, 0x3ec71dee
	s_delay_alu instid0(VALU_DEP_1) | instid1(SALU_CYCLE_1)
	;; [unrolled: 4-line block ×9, first 2 shown]
	v_fma_f64 v[148:149], v[146:147], v[148:149], s[0:1]
	v_cmp_nlt_f64_e64 s0, 0x40900000, v[86:87]
	v_cmp_ngt_f64_e64 s1, 0xc090cc00, v[86:87]
	s_delay_alu instid0(VALU_DEP_3) | instskip(NEXT) | instid1(VALU_DEP_1)
	v_fma_f64 v[148:149], v[146:147], v[148:149], 1.0
	v_fma_f64 v[94:95], v[146:147], v[148:149], 1.0
	s_delay_alu instid0(VALU_DEP_1) | instskip(NEXT) | instid1(VALU_DEP_1)
	v_ldexp_f64 v[94:95], v[94:95], v150
	v_cndmask_b32_e64 v95, 0x7ff00000, v95, s0
	s_and_b32 s0, s1, s0
	s_delay_alu instid0(VALU_DEP_2) | instid1(SALU_CYCLE_1)
	v_cndmask_b32_e64 v94, 0, v94, s0
	s_delay_alu instid0(VALU_DEP_2) | instskip(NEXT) | instid1(VALU_DEP_1)
	v_cndmask_b32_e64 v95, 0, v95, s1
	v_add_f64 v[62:63], v[62:63], v[94:95]
.LBB695_511:
	s_or_b32 exec_lo, exec_lo, s4
.LBB695_512:
	s_delay_alu instid0(SALU_CYCLE_1)
	s_or_b32 exec_lo, exec_lo, s3
	s_and_saveexec_b32 s3, s101
	s_cbranch_execz .LBB695_516
; %bb.513:
	global_load_u8 v86, v[4:5], off offset:1024
	v_mov_b32_e32 v92, 0
	s_waitcnt vmcnt(0)
	v_dual_mov_b32 v93, 0 :: v_dual_and_b32 v86, 1, v86
	s_delay_alu instid0(VALU_DEP_1) | instskip(NEXT) | instid1(VALU_DEP_1)
	v_cmp_eq_u32_e64 s0, 1, v86
	s_xor_b32 s0, s0, -1
	s_delay_alu instid0(SALU_CYCLE_1)
	s_and_saveexec_b32 s4, s0
	s_cbranch_execz .LBB695_515
; %bb.514:
	v_add_f64 v[84:85], v[84:85], -v[64:65]
	s_mov_b32 s0, 0x652b82fe
	s_mov_b32 s1, 0x3ff71547
	;; [unrolled: 1-line block ×4, first 2 shown]
	s_delay_alu instid0(VALU_DEP_1) | instskip(SKIP_2) | instid1(VALU_DEP_1)
	v_mul_f64 v[86:87], v[84:85], s[0:1]
	s_mov_b32 s0, 0xfefa39ef
	s_mov_b32 s1, 0xbfe62e42
	v_rndne_f64_e32 v[86:87], v[86:87]
	s_delay_alu instid0(VALU_DEP_1) | instskip(SKIP_3) | instid1(VALU_DEP_2)
	v_fma_f64 v[92:93], v[86:87], s[0:1], v[84:85]
	s_mov_b32 s0, 0x3b39803f
	s_mov_b32 s1, 0xbc7abc9e
	v_cvt_i32_f64_e32 v148, v[86:87]
	v_fma_f64 v[92:93], v[86:87], s[0:1], v[92:93]
	s_mov_b32 s0, 0xfca7ab0c
	s_mov_b32 s1, 0x3e928af3
	s_delay_alu instid0(VALU_DEP_1) | instid1(SALU_CYCLE_1)
	v_fma_f64 v[146:147], v[92:93], s[6:7], s[0:1]
	s_mov_b32 s0, 0x623fde64
	s_mov_b32 s1, 0x3ec71dee
	s_delay_alu instid0(VALU_DEP_1) | instid1(SALU_CYCLE_1)
	v_fma_f64 v[146:147], v[92:93], v[146:147], s[0:1]
	s_mov_b32 s0, 0x7c89e6b0
	s_mov_b32 s1, 0x3efa0199
	s_delay_alu instid0(VALU_DEP_1) | instid1(SALU_CYCLE_1)
	v_fma_f64 v[146:147], v[92:93], v[146:147], s[0:1]
	s_mov_b32 s0, 0x14761f6e
	s_mov_b32 s1, 0x3f2a01a0
	s_delay_alu instid0(VALU_DEP_1) | instid1(SALU_CYCLE_1)
	v_fma_f64 v[146:147], v[92:93], v[146:147], s[0:1]
	s_mov_b32 s0, 0x1852b7b0
	s_mov_b32 s1, 0x3f56c16c
	s_delay_alu instid0(VALU_DEP_1) | instid1(SALU_CYCLE_1)
	v_fma_f64 v[146:147], v[92:93], v[146:147], s[0:1]
	s_mov_b32 s0, 0x11122322
	s_mov_b32 s1, 0x3f811111
	s_delay_alu instid0(VALU_DEP_1) | instid1(SALU_CYCLE_1)
	v_fma_f64 v[146:147], v[92:93], v[146:147], s[0:1]
	s_mov_b32 s0, 0x555502a1
	s_mov_b32 s1, 0x3fa55555
	s_delay_alu instid0(VALU_DEP_1) | instid1(SALU_CYCLE_1)
	v_fma_f64 v[146:147], v[92:93], v[146:147], s[0:1]
	s_mov_b32 s0, 0x55555511
	s_mov_b32 s1, 0x3fc55555
	s_delay_alu instid0(VALU_DEP_1) | instid1(SALU_CYCLE_1)
	v_fma_f64 v[146:147], v[92:93], v[146:147], s[0:1]
	s_mov_b32 s0, 11
	s_mov_b32 s1, 0x3fe00000
	s_delay_alu instid0(VALU_DEP_1) | instid1(SALU_CYCLE_1)
	v_fma_f64 v[146:147], v[92:93], v[146:147], s[0:1]
	v_cmp_nlt_f64_e64 s0, 0x40900000, v[84:85]
	v_cmp_ngt_f64_e64 s1, 0xc090cc00, v[84:85]
	s_delay_alu instid0(VALU_DEP_3) | instskip(NEXT) | instid1(VALU_DEP_1)
	v_fma_f64 v[146:147], v[92:93], v[146:147], 1.0
	v_fma_f64 v[86:87], v[92:93], v[146:147], 1.0
	s_delay_alu instid0(VALU_DEP_1) | instskip(NEXT) | instid1(VALU_DEP_1)
	v_ldexp_f64 v[86:87], v[86:87], v148
	v_cndmask_b32_e64 v87, 0x7ff00000, v87, s0
	s_and_b32 s0, s1, s0
	s_delay_alu instid0(VALU_DEP_2) | instid1(SALU_CYCLE_1)
	v_cndmask_b32_e64 v92, 0, v86, s0
	s_delay_alu instid0(VALU_DEP_2) | instskip(NEXT) | instid1(VALU_DEP_1)
	v_cndmask_b32_e64 v93, 0, v87, s1
	v_add_f64 v[62:63], v[62:63], v[92:93]
.LBB695_515:
	s_or_b32 exec_lo, exec_lo, s4
.LBB695_516:
	s_delay_alu instid0(SALU_CYCLE_1) | instskip(SKIP_2) | instid1(VALU_DEP_1)
	s_or_b32 exec_lo, exec_lo, s3
	v_mov_b32_e32 v84, 0
	v_mov_b32_e32 v85, 0
	v_dual_mov_b32 v87, v85 :: v_dual_mov_b32 v86, v84
	s_and_saveexec_b32 s3, s100
	s_cbranch_execz .LBB695_520
; %bb.517:
	global_load_u8 v86, v[4:5], off offset:1056
	s_waitcnt vmcnt(0)
	v_and_b32_e32 v86, 1, v86
	s_delay_alu instid0(VALU_DEP_1) | instskip(SKIP_2) | instid1(VALU_DEP_3)
	v_cmp_eq_u32_e64 s0, 1, v86
	v_mov_b32_e32 v86, 0
	v_mov_b32_e32 v87, 0
	s_xor_b32 s0, s0, -1
	s_delay_alu instid0(SALU_CYCLE_1)
	s_and_saveexec_b32 s4, s0
	s_cbranch_execz .LBB695_519
; %bb.518:
	v_add_f64 v[78:79], v[78:79], -v[64:65]
	s_mov_b32 s0, 0x652b82fe
	s_mov_b32 s1, 0x3ff71547
	;; [unrolled: 1-line block ×4, first 2 shown]
	s_delay_alu instid0(VALU_DEP_1) | instskip(SKIP_2) | instid1(VALU_DEP_1)
	v_mul_f64 v[86:87], v[78:79], s[0:1]
	s_mov_b32 s0, 0xfefa39ef
	s_mov_b32 s1, 0xbfe62e42
	v_rndne_f64_e32 v[86:87], v[86:87]
	s_delay_alu instid0(VALU_DEP_1) | instskip(SKIP_3) | instid1(VALU_DEP_2)
	v_fma_f64 v[146:147], v[86:87], s[0:1], v[78:79]
	s_mov_b32 s0, 0x3b39803f
	s_mov_b32 s1, 0xbc7abc9e
	v_cvt_i32_f64_e32 v150, v[86:87]
	v_fma_f64 v[146:147], v[86:87], s[0:1], v[146:147]
	s_mov_b32 s0, 0xfca7ab0c
	s_mov_b32 s1, 0x3e928af3
	s_delay_alu instid0(VALU_DEP_1) | instid1(SALU_CYCLE_1)
	v_fma_f64 v[148:149], v[146:147], s[6:7], s[0:1]
	s_mov_b32 s0, 0x623fde64
	s_mov_b32 s1, 0x3ec71dee
	s_delay_alu instid0(VALU_DEP_1) | instid1(SALU_CYCLE_1)
	;; [unrolled: 4-line block ×9, first 2 shown]
	v_fma_f64 v[148:149], v[146:147], v[148:149], s[0:1]
	v_cmp_nlt_f64_e64 s0, 0x40900000, v[78:79]
	v_cmp_ngt_f64_e64 s1, 0xc090cc00, v[78:79]
	s_delay_alu instid0(VALU_DEP_3) | instskip(NEXT) | instid1(VALU_DEP_1)
	v_fma_f64 v[148:149], v[146:147], v[148:149], 1.0
	v_fma_f64 v[86:87], v[146:147], v[148:149], 1.0
	s_delay_alu instid0(VALU_DEP_1) | instskip(NEXT) | instid1(VALU_DEP_1)
	v_ldexp_f64 v[86:87], v[86:87], v150
	v_cndmask_b32_e64 v87, 0x7ff00000, v87, s0
	s_and_b32 s0, s1, s0
	s_delay_alu instid0(VALU_DEP_2) | instid1(SALU_CYCLE_1)
	v_cndmask_b32_e64 v86, 0, v86, s0
	s_delay_alu instid0(VALU_DEP_2) | instskip(NEXT) | instid1(VALU_DEP_1)
	v_cndmask_b32_e64 v87, 0, v87, s1
	v_add_f64 v[62:63], v[62:63], v[86:87]
.LBB695_519:
	s_or_b32 exec_lo, exec_lo, s4
.LBB695_520:
	s_delay_alu instid0(SALU_CYCLE_1)
	s_or_b32 exec_lo, exec_lo, s3
	s_and_saveexec_b32 s3, s99
	s_cbranch_execz .LBB695_524
; %bb.521:
	global_load_u8 v78, v[4:5], off offset:1088
	v_mov_b32_e32 v84, 0
	s_waitcnt vmcnt(0)
	v_dual_mov_b32 v85, 0 :: v_dual_and_b32 v78, 1, v78
	s_delay_alu instid0(VALU_DEP_1) | instskip(NEXT) | instid1(VALU_DEP_1)
	v_cmp_eq_u32_e64 s0, 1, v78
	s_xor_b32 s0, s0, -1
	s_delay_alu instid0(SALU_CYCLE_1)
	s_and_saveexec_b32 s4, s0
	s_cbranch_execz .LBB695_523
; %bb.522:
	v_add_f64 v[76:77], v[76:77], -v[64:65]
	s_mov_b32 s0, 0x652b82fe
	s_mov_b32 s1, 0x3ff71547
	;; [unrolled: 1-line block ×4, first 2 shown]
	s_delay_alu instid0(VALU_DEP_1) | instskip(SKIP_2) | instid1(VALU_DEP_1)
	v_mul_f64 v[78:79], v[76:77], s[0:1]
	s_mov_b32 s0, 0xfefa39ef
	s_mov_b32 s1, 0xbfe62e42
	v_rndne_f64_e32 v[78:79], v[78:79]
	s_delay_alu instid0(VALU_DEP_1) | instskip(SKIP_3) | instid1(VALU_DEP_2)
	v_fma_f64 v[84:85], v[78:79], s[0:1], v[76:77]
	s_mov_b32 s0, 0x3b39803f
	s_mov_b32 s1, 0xbc7abc9e
	v_cvt_i32_f64_e32 v148, v[78:79]
	v_fma_f64 v[84:85], v[78:79], s[0:1], v[84:85]
	s_mov_b32 s0, 0xfca7ab0c
	s_mov_b32 s1, 0x3e928af3
	s_delay_alu instid0(VALU_DEP_1) | instid1(SALU_CYCLE_1)
	v_fma_f64 v[146:147], v[84:85], s[6:7], s[0:1]
	s_mov_b32 s0, 0x623fde64
	s_mov_b32 s1, 0x3ec71dee
	s_delay_alu instid0(VALU_DEP_1) | instid1(SALU_CYCLE_1)
	;; [unrolled: 4-line block ×9, first 2 shown]
	v_fma_f64 v[146:147], v[84:85], v[146:147], s[0:1]
	v_cmp_nlt_f64_e64 s0, 0x40900000, v[76:77]
	v_cmp_ngt_f64_e64 s1, 0xc090cc00, v[76:77]
	s_delay_alu instid0(VALU_DEP_3) | instskip(NEXT) | instid1(VALU_DEP_1)
	v_fma_f64 v[146:147], v[84:85], v[146:147], 1.0
	v_fma_f64 v[78:79], v[84:85], v[146:147], 1.0
	s_delay_alu instid0(VALU_DEP_1) | instskip(NEXT) | instid1(VALU_DEP_1)
	v_ldexp_f64 v[78:79], v[78:79], v148
	v_cndmask_b32_e64 v79, 0x7ff00000, v79, s0
	s_and_b32 s0, s1, s0
	s_delay_alu instid0(VALU_DEP_2) | instid1(SALU_CYCLE_1)
	v_cndmask_b32_e64 v84, 0, v78, s0
	s_delay_alu instid0(VALU_DEP_2) | instskip(NEXT) | instid1(VALU_DEP_1)
	v_cndmask_b32_e64 v85, 0, v79, s1
	v_add_f64 v[62:63], v[62:63], v[84:85]
.LBB695_523:
	s_or_b32 exec_lo, exec_lo, s4
.LBB695_524:
	s_delay_alu instid0(SALU_CYCLE_1) | instskip(SKIP_2) | instid1(VALU_DEP_1)
	s_or_b32 exec_lo, exec_lo, s3
	v_mov_b32_e32 v76, 0
	v_mov_b32_e32 v77, 0
	v_dual_mov_b32 v79, v77 :: v_dual_mov_b32 v78, v76
	s_and_saveexec_b32 s3, s98
	s_cbranch_execz .LBB695_528
; %bb.525:
	global_load_u8 v78, v[4:5], off offset:1120
	s_waitcnt vmcnt(0)
	v_and_b32_e32 v78, 1, v78
	s_delay_alu instid0(VALU_DEP_1) | instskip(SKIP_2) | instid1(VALU_DEP_3)
	v_cmp_eq_u32_e64 s0, 1, v78
	v_mov_b32_e32 v78, 0
	v_mov_b32_e32 v79, 0
	s_xor_b32 s0, s0, -1
	s_delay_alu instid0(SALU_CYCLE_1)
	s_and_saveexec_b32 s4, s0
	s_cbranch_execz .LBB695_527
; %bb.526:
	v_add_f64 v[70:71], v[70:71], -v[64:65]
	s_mov_b32 s0, 0x652b82fe
	s_mov_b32 s1, 0x3ff71547
	;; [unrolled: 1-line block ×4, first 2 shown]
	s_delay_alu instid0(VALU_DEP_1) | instskip(SKIP_2) | instid1(VALU_DEP_1)
	v_mul_f64 v[78:79], v[70:71], s[0:1]
	s_mov_b32 s0, 0xfefa39ef
	s_mov_b32 s1, 0xbfe62e42
	v_rndne_f64_e32 v[78:79], v[78:79]
	s_delay_alu instid0(VALU_DEP_1) | instskip(SKIP_3) | instid1(VALU_DEP_2)
	v_fma_f64 v[146:147], v[78:79], s[0:1], v[70:71]
	s_mov_b32 s0, 0x3b39803f
	s_mov_b32 s1, 0xbc7abc9e
	v_cvt_i32_f64_e32 v150, v[78:79]
	v_fma_f64 v[146:147], v[78:79], s[0:1], v[146:147]
	s_mov_b32 s0, 0xfca7ab0c
	s_mov_b32 s1, 0x3e928af3
	s_delay_alu instid0(VALU_DEP_1) | instid1(SALU_CYCLE_1)
	v_fma_f64 v[148:149], v[146:147], s[6:7], s[0:1]
	s_mov_b32 s0, 0x623fde64
	s_mov_b32 s1, 0x3ec71dee
	s_delay_alu instid0(VALU_DEP_1) | instid1(SALU_CYCLE_1)
	;; [unrolled: 4-line block ×9, first 2 shown]
	v_fma_f64 v[148:149], v[146:147], v[148:149], s[0:1]
	v_cmp_nlt_f64_e64 s0, 0x40900000, v[70:71]
	v_cmp_ngt_f64_e64 s1, 0xc090cc00, v[70:71]
	s_delay_alu instid0(VALU_DEP_3) | instskip(NEXT) | instid1(VALU_DEP_1)
	v_fma_f64 v[148:149], v[146:147], v[148:149], 1.0
	v_fma_f64 v[78:79], v[146:147], v[148:149], 1.0
	s_delay_alu instid0(VALU_DEP_1) | instskip(NEXT) | instid1(VALU_DEP_1)
	v_ldexp_f64 v[78:79], v[78:79], v150
	v_cndmask_b32_e64 v79, 0x7ff00000, v79, s0
	s_and_b32 s0, s1, s0
	s_delay_alu instid0(VALU_DEP_2) | instid1(SALU_CYCLE_1)
	v_cndmask_b32_e64 v78, 0, v78, s0
	s_delay_alu instid0(VALU_DEP_2) | instskip(NEXT) | instid1(VALU_DEP_1)
	v_cndmask_b32_e64 v79, 0, v79, s1
	v_add_f64 v[62:63], v[62:63], v[78:79]
.LBB695_527:
	s_or_b32 exec_lo, exec_lo, s4
.LBB695_528:
	s_delay_alu instid0(SALU_CYCLE_1)
	s_or_b32 exec_lo, exec_lo, s3
	s_and_saveexec_b32 s3, s97
	s_cbranch_execz .LBB695_532
; %bb.529:
	global_load_u8 v70, v[4:5], off offset:1152
	v_mov_b32_e32 v76, 0
	s_waitcnt vmcnt(0)
	v_dual_mov_b32 v77, 0 :: v_dual_and_b32 v70, 1, v70
	s_delay_alu instid0(VALU_DEP_1) | instskip(NEXT) | instid1(VALU_DEP_1)
	v_cmp_eq_u32_e64 s0, 1, v70
	s_xor_b32 s0, s0, -1
	s_delay_alu instid0(SALU_CYCLE_1)
	s_and_saveexec_b32 s4, s0
	s_cbranch_execz .LBB695_531
; %bb.530:
	v_add_f64 v[68:69], v[68:69], -v[64:65]
	s_mov_b32 s0, 0x652b82fe
	s_mov_b32 s1, 0x3ff71547
	;; [unrolled: 1-line block ×4, first 2 shown]
	s_delay_alu instid0(VALU_DEP_1) | instskip(SKIP_2) | instid1(VALU_DEP_1)
	v_mul_f64 v[70:71], v[68:69], s[0:1]
	s_mov_b32 s0, 0xfefa39ef
	s_mov_b32 s1, 0xbfe62e42
	v_rndne_f64_e32 v[70:71], v[70:71]
	s_delay_alu instid0(VALU_DEP_1) | instskip(SKIP_3) | instid1(VALU_DEP_2)
	v_fma_f64 v[76:77], v[70:71], s[0:1], v[68:69]
	s_mov_b32 s0, 0x3b39803f
	s_mov_b32 s1, 0xbc7abc9e
	v_cvt_i32_f64_e32 v148, v[70:71]
	v_fma_f64 v[76:77], v[70:71], s[0:1], v[76:77]
	s_mov_b32 s0, 0xfca7ab0c
	s_mov_b32 s1, 0x3e928af3
	s_delay_alu instid0(VALU_DEP_1) | instid1(SALU_CYCLE_1)
	v_fma_f64 v[146:147], v[76:77], s[6:7], s[0:1]
	s_mov_b32 s0, 0x623fde64
	s_mov_b32 s1, 0x3ec71dee
	s_delay_alu instid0(VALU_DEP_1) | instid1(SALU_CYCLE_1)
	;; [unrolled: 4-line block ×9, first 2 shown]
	v_fma_f64 v[146:147], v[76:77], v[146:147], s[0:1]
	v_cmp_nlt_f64_e64 s0, 0x40900000, v[68:69]
	v_cmp_ngt_f64_e64 s1, 0xc090cc00, v[68:69]
	s_delay_alu instid0(VALU_DEP_3) | instskip(NEXT) | instid1(VALU_DEP_1)
	v_fma_f64 v[146:147], v[76:77], v[146:147], 1.0
	v_fma_f64 v[70:71], v[76:77], v[146:147], 1.0
	s_delay_alu instid0(VALU_DEP_1) | instskip(NEXT) | instid1(VALU_DEP_1)
	v_ldexp_f64 v[70:71], v[70:71], v148
	v_cndmask_b32_e64 v71, 0x7ff00000, v71, s0
	s_and_b32 s0, s1, s0
	s_delay_alu instid0(VALU_DEP_2) | instid1(SALU_CYCLE_1)
	v_cndmask_b32_e64 v76, 0, v70, s0
	s_delay_alu instid0(VALU_DEP_2) | instskip(NEXT) | instid1(VALU_DEP_1)
	v_cndmask_b32_e64 v77, 0, v71, s1
	v_add_f64 v[62:63], v[62:63], v[76:77]
.LBB695_531:
	s_or_b32 exec_lo, exec_lo, s4
.LBB695_532:
	s_delay_alu instid0(SALU_CYCLE_1) | instskip(SKIP_2) | instid1(VALU_DEP_1)
	s_or_b32 exec_lo, exec_lo, s3
	v_mov_b32_e32 v68, 0
	v_mov_b32_e32 v69, 0
	v_dual_mov_b32 v71, v69 :: v_dual_mov_b32 v70, v68
	s_and_saveexec_b32 s3, s96
	s_cbranch_execz .LBB695_536
; %bb.533:
	global_load_u8 v70, v[4:5], off offset:1184
	s_waitcnt vmcnt(0)
	v_and_b32_e32 v70, 1, v70
	s_delay_alu instid0(VALU_DEP_1) | instskip(SKIP_2) | instid1(VALU_DEP_3)
	v_cmp_eq_u32_e64 s0, 1, v70
	v_mov_b32_e32 v70, 0
	v_mov_b32_e32 v71, 0
	s_xor_b32 s0, s0, -1
	s_delay_alu instid0(SALU_CYCLE_1)
	s_and_saveexec_b32 s4, s0
	s_cbranch_execz .LBB695_535
; %bb.534:
	v_add_f64 v[60:61], v[60:61], -v[64:65]
	s_mov_b32 s0, 0x652b82fe
	s_mov_b32 s1, 0x3ff71547
	;; [unrolled: 1-line block ×4, first 2 shown]
	s_delay_alu instid0(VALU_DEP_1) | instskip(SKIP_2) | instid1(VALU_DEP_1)
	v_mul_f64 v[70:71], v[60:61], s[0:1]
	s_mov_b32 s0, 0xfefa39ef
	s_mov_b32 s1, 0xbfe62e42
	v_rndne_f64_e32 v[70:71], v[70:71]
	s_delay_alu instid0(VALU_DEP_1) | instskip(SKIP_3) | instid1(VALU_DEP_2)
	v_fma_f64 v[146:147], v[70:71], s[0:1], v[60:61]
	s_mov_b32 s0, 0x3b39803f
	s_mov_b32 s1, 0xbc7abc9e
	v_cvt_i32_f64_e32 v150, v[70:71]
	v_fma_f64 v[146:147], v[70:71], s[0:1], v[146:147]
	s_mov_b32 s0, 0xfca7ab0c
	s_mov_b32 s1, 0x3e928af3
	s_delay_alu instid0(VALU_DEP_1) | instid1(SALU_CYCLE_1)
	v_fma_f64 v[148:149], v[146:147], s[6:7], s[0:1]
	s_mov_b32 s0, 0x623fde64
	s_mov_b32 s1, 0x3ec71dee
	s_delay_alu instid0(VALU_DEP_1) | instid1(SALU_CYCLE_1)
	;; [unrolled: 4-line block ×9, first 2 shown]
	v_fma_f64 v[148:149], v[146:147], v[148:149], s[0:1]
	v_cmp_nlt_f64_e64 s0, 0x40900000, v[60:61]
	v_cmp_ngt_f64_e64 s1, 0xc090cc00, v[60:61]
	s_delay_alu instid0(VALU_DEP_3) | instskip(NEXT) | instid1(VALU_DEP_1)
	v_fma_f64 v[148:149], v[146:147], v[148:149], 1.0
	v_fma_f64 v[70:71], v[146:147], v[148:149], 1.0
	s_delay_alu instid0(VALU_DEP_1) | instskip(NEXT) | instid1(VALU_DEP_1)
	v_ldexp_f64 v[70:71], v[70:71], v150
	v_cndmask_b32_e64 v71, 0x7ff00000, v71, s0
	s_and_b32 s0, s1, s0
	s_delay_alu instid0(VALU_DEP_2) | instid1(SALU_CYCLE_1)
	v_cndmask_b32_e64 v70, 0, v70, s0
	s_delay_alu instid0(VALU_DEP_2) | instskip(NEXT) | instid1(VALU_DEP_1)
	v_cndmask_b32_e64 v71, 0, v71, s1
	v_add_f64 v[62:63], v[62:63], v[70:71]
.LBB695_535:
	s_or_b32 exec_lo, exec_lo, s4
.LBB695_536:
	s_delay_alu instid0(SALU_CYCLE_1)
	s_or_b32 exec_lo, exec_lo, s3
	s_and_saveexec_b32 s3, s95
	s_cbranch_execz .LBB695_540
; %bb.537:
	global_load_u8 v60, v[4:5], off offset:1216
	v_mov_b32_e32 v68, 0
	s_waitcnt vmcnt(0)
	v_dual_mov_b32 v69, 0 :: v_dual_and_b32 v60, 1, v60
	s_delay_alu instid0(VALU_DEP_1) | instskip(NEXT) | instid1(VALU_DEP_1)
	v_cmp_eq_u32_e64 s0, 1, v60
	s_xor_b32 s0, s0, -1
	s_delay_alu instid0(SALU_CYCLE_1)
	s_and_saveexec_b32 s4, s0
	s_cbranch_execz .LBB695_539
; %bb.538:
	v_add_f64 v[56:57], v[56:57], -v[64:65]
	s_mov_b32 s0, 0x652b82fe
	s_mov_b32 s1, 0x3ff71547
	;; [unrolled: 1-line block ×4, first 2 shown]
	s_delay_alu instid0(VALU_DEP_1) | instskip(SKIP_2) | instid1(VALU_DEP_1)
	v_mul_f64 v[60:61], v[56:57], s[0:1]
	s_mov_b32 s0, 0xfefa39ef
	s_mov_b32 s1, 0xbfe62e42
	v_rndne_f64_e32 v[60:61], v[60:61]
	s_delay_alu instid0(VALU_DEP_1) | instskip(SKIP_3) | instid1(VALU_DEP_2)
	v_fma_f64 v[68:69], v[60:61], s[0:1], v[56:57]
	s_mov_b32 s0, 0x3b39803f
	s_mov_b32 s1, 0xbc7abc9e
	v_cvt_i32_f64_e32 v148, v[60:61]
	v_fma_f64 v[68:69], v[60:61], s[0:1], v[68:69]
	s_mov_b32 s0, 0xfca7ab0c
	s_mov_b32 s1, 0x3e928af3
	s_delay_alu instid0(VALU_DEP_1) | instid1(SALU_CYCLE_1)
	v_fma_f64 v[146:147], v[68:69], s[6:7], s[0:1]
	s_mov_b32 s0, 0x623fde64
	s_mov_b32 s1, 0x3ec71dee
	s_delay_alu instid0(VALU_DEP_1) | instid1(SALU_CYCLE_1)
	;; [unrolled: 4-line block ×9, first 2 shown]
	v_fma_f64 v[146:147], v[68:69], v[146:147], s[0:1]
	v_cmp_nlt_f64_e64 s0, 0x40900000, v[56:57]
	v_cmp_ngt_f64_e64 s1, 0xc090cc00, v[56:57]
	s_delay_alu instid0(VALU_DEP_3) | instskip(NEXT) | instid1(VALU_DEP_1)
	v_fma_f64 v[146:147], v[68:69], v[146:147], 1.0
	v_fma_f64 v[60:61], v[68:69], v[146:147], 1.0
	s_delay_alu instid0(VALU_DEP_1) | instskip(NEXT) | instid1(VALU_DEP_1)
	v_ldexp_f64 v[60:61], v[60:61], v148
	v_cndmask_b32_e64 v61, 0x7ff00000, v61, s0
	s_and_b32 s0, s1, s0
	s_delay_alu instid0(VALU_DEP_2) | instid1(SALU_CYCLE_1)
	v_cndmask_b32_e64 v68, 0, v60, s0
	s_delay_alu instid0(VALU_DEP_2) | instskip(NEXT) | instid1(VALU_DEP_1)
	v_cndmask_b32_e64 v69, 0, v61, s1
	v_add_f64 v[62:63], v[62:63], v[68:69]
.LBB695_539:
	s_or_b32 exec_lo, exec_lo, s4
.LBB695_540:
	s_delay_alu instid0(SALU_CYCLE_1) | instskip(SKIP_2) | instid1(VALU_DEP_1)
	s_or_b32 exec_lo, exec_lo, s3
	v_mov_b32_e32 v56, 0
	v_mov_b32_e32 v57, 0
	v_dual_mov_b32 v61, v57 :: v_dual_mov_b32 v60, v56
	s_and_saveexec_b32 s3, s94
	s_cbranch_execz .LBB695_544
; %bb.541:
	global_load_u8 v60, v[4:5], off offset:1248
	s_waitcnt vmcnt(0)
	v_and_b32_e32 v60, 1, v60
	s_delay_alu instid0(VALU_DEP_1) | instskip(SKIP_2) | instid1(VALU_DEP_3)
	v_cmp_eq_u32_e64 s0, 1, v60
	v_mov_b32_e32 v60, 0
	v_mov_b32_e32 v61, 0
	s_xor_b32 s0, s0, -1
	s_delay_alu instid0(SALU_CYCLE_1)
	s_and_saveexec_b32 s4, s0
	s_cbranch_execz .LBB695_543
; %bb.542:
	v_add_f64 v[52:53], v[52:53], -v[64:65]
	s_mov_b32 s0, 0x652b82fe
	s_mov_b32 s1, 0x3ff71547
	;; [unrolled: 1-line block ×4, first 2 shown]
	s_delay_alu instid0(VALU_DEP_1) | instskip(SKIP_2) | instid1(VALU_DEP_1)
	v_mul_f64 v[60:61], v[52:53], s[0:1]
	s_mov_b32 s0, 0xfefa39ef
	s_mov_b32 s1, 0xbfe62e42
	v_rndne_f64_e32 v[60:61], v[60:61]
	s_delay_alu instid0(VALU_DEP_1) | instskip(SKIP_3) | instid1(VALU_DEP_2)
	v_fma_f64 v[146:147], v[60:61], s[0:1], v[52:53]
	s_mov_b32 s0, 0x3b39803f
	s_mov_b32 s1, 0xbc7abc9e
	v_cvt_i32_f64_e32 v150, v[60:61]
	v_fma_f64 v[146:147], v[60:61], s[0:1], v[146:147]
	s_mov_b32 s0, 0xfca7ab0c
	s_mov_b32 s1, 0x3e928af3
	s_delay_alu instid0(VALU_DEP_1) | instid1(SALU_CYCLE_1)
	v_fma_f64 v[148:149], v[146:147], s[6:7], s[0:1]
	s_mov_b32 s0, 0x623fde64
	s_mov_b32 s1, 0x3ec71dee
	s_delay_alu instid0(VALU_DEP_1) | instid1(SALU_CYCLE_1)
	;; [unrolled: 4-line block ×9, first 2 shown]
	v_fma_f64 v[148:149], v[146:147], v[148:149], s[0:1]
	v_cmp_nlt_f64_e64 s0, 0x40900000, v[52:53]
	v_cmp_ngt_f64_e64 s1, 0xc090cc00, v[52:53]
	s_delay_alu instid0(VALU_DEP_3) | instskip(NEXT) | instid1(VALU_DEP_1)
	v_fma_f64 v[148:149], v[146:147], v[148:149], 1.0
	v_fma_f64 v[60:61], v[146:147], v[148:149], 1.0
	s_delay_alu instid0(VALU_DEP_1) | instskip(NEXT) | instid1(VALU_DEP_1)
	v_ldexp_f64 v[60:61], v[60:61], v150
	v_cndmask_b32_e64 v61, 0x7ff00000, v61, s0
	s_and_b32 s0, s1, s0
	s_delay_alu instid0(VALU_DEP_2) | instid1(SALU_CYCLE_1)
	v_cndmask_b32_e64 v60, 0, v60, s0
	s_delay_alu instid0(VALU_DEP_2) | instskip(NEXT) | instid1(VALU_DEP_1)
	v_cndmask_b32_e64 v61, 0, v61, s1
	v_add_f64 v[62:63], v[62:63], v[60:61]
.LBB695_543:
	s_or_b32 exec_lo, exec_lo, s4
.LBB695_544:
	s_delay_alu instid0(SALU_CYCLE_1)
	s_or_b32 exec_lo, exec_lo, s3
	s_and_saveexec_b32 s3, s93
	s_cbranch_execz .LBB695_548
; %bb.545:
	global_load_u8 v52, v[4:5], off offset:1280
	v_mov_b32_e32 v56, 0
	s_waitcnt vmcnt(0)
	v_dual_mov_b32 v57, 0 :: v_dual_and_b32 v52, 1, v52
	s_delay_alu instid0(VALU_DEP_1) | instskip(NEXT) | instid1(VALU_DEP_1)
	v_cmp_eq_u32_e64 s0, 1, v52
	s_xor_b32 s0, s0, -1
	s_delay_alu instid0(SALU_CYCLE_1)
	s_and_saveexec_b32 s4, s0
	s_cbranch_execz .LBB695_547
; %bb.546:
	v_add_f64 v[50:51], v[50:51], -v[64:65]
	s_mov_b32 s0, 0x652b82fe
	s_mov_b32 s1, 0x3ff71547
	;; [unrolled: 1-line block ×4, first 2 shown]
	s_delay_alu instid0(VALU_DEP_1) | instskip(SKIP_2) | instid1(VALU_DEP_1)
	v_mul_f64 v[52:53], v[50:51], s[0:1]
	s_mov_b32 s0, 0xfefa39ef
	s_mov_b32 s1, 0xbfe62e42
	v_rndne_f64_e32 v[52:53], v[52:53]
	s_delay_alu instid0(VALU_DEP_1) | instskip(SKIP_3) | instid1(VALU_DEP_2)
	v_fma_f64 v[56:57], v[52:53], s[0:1], v[50:51]
	s_mov_b32 s0, 0x3b39803f
	s_mov_b32 s1, 0xbc7abc9e
	v_cvt_i32_f64_e32 v148, v[52:53]
	v_fma_f64 v[56:57], v[52:53], s[0:1], v[56:57]
	s_mov_b32 s0, 0xfca7ab0c
	s_mov_b32 s1, 0x3e928af3
	s_delay_alu instid0(VALU_DEP_1) | instid1(SALU_CYCLE_1)
	v_fma_f64 v[146:147], v[56:57], s[6:7], s[0:1]
	s_mov_b32 s0, 0x623fde64
	s_mov_b32 s1, 0x3ec71dee
	s_delay_alu instid0(VALU_DEP_1) | instid1(SALU_CYCLE_1)
	;; [unrolled: 4-line block ×9, first 2 shown]
	v_fma_f64 v[146:147], v[56:57], v[146:147], s[0:1]
	v_cmp_nlt_f64_e64 s0, 0x40900000, v[50:51]
	v_cmp_ngt_f64_e64 s1, 0xc090cc00, v[50:51]
	s_delay_alu instid0(VALU_DEP_3) | instskip(NEXT) | instid1(VALU_DEP_1)
	v_fma_f64 v[146:147], v[56:57], v[146:147], 1.0
	v_fma_f64 v[52:53], v[56:57], v[146:147], 1.0
	s_delay_alu instid0(VALU_DEP_1) | instskip(NEXT) | instid1(VALU_DEP_1)
	v_ldexp_f64 v[52:53], v[52:53], v148
	v_cndmask_b32_e64 v53, 0x7ff00000, v53, s0
	s_and_b32 s0, s1, s0
	s_delay_alu instid0(VALU_DEP_2) | instid1(SALU_CYCLE_1)
	v_cndmask_b32_e64 v56, 0, v52, s0
	s_delay_alu instid0(VALU_DEP_2) | instskip(NEXT) | instid1(VALU_DEP_1)
	v_cndmask_b32_e64 v57, 0, v53, s1
	v_add_f64 v[62:63], v[62:63], v[56:57]
.LBB695_547:
	s_or_b32 exec_lo, exec_lo, s4
.LBB695_548:
	s_delay_alu instid0(SALU_CYCLE_1) | instskip(SKIP_2) | instid1(VALU_DEP_1)
	s_or_b32 exec_lo, exec_lo, s3
	v_mov_b32_e32 v50, 0
	v_mov_b32_e32 v51, 0
	v_dual_mov_b32 v53, v51 :: v_dual_mov_b32 v52, v50
	s_and_saveexec_b32 s3, s92
	s_cbranch_execz .LBB695_552
; %bb.549:
	global_load_u8 v52, v[4:5], off offset:1312
	s_waitcnt vmcnt(0)
	v_and_b32_e32 v52, 1, v52
	s_delay_alu instid0(VALU_DEP_1) | instskip(SKIP_2) | instid1(VALU_DEP_3)
	v_cmp_eq_u32_e64 s0, 1, v52
	v_mov_b32_e32 v52, 0
	v_mov_b32_e32 v53, 0
	s_xor_b32 s0, s0, -1
	s_delay_alu instid0(SALU_CYCLE_1)
	s_and_saveexec_b32 s4, s0
	s_cbranch_execz .LBB695_551
; %bb.550:
	v_add_f64 v[48:49], v[48:49], -v[64:65]
	s_mov_b32 s0, 0x652b82fe
	s_mov_b32 s1, 0x3ff71547
	;; [unrolled: 1-line block ×4, first 2 shown]
	s_delay_alu instid0(VALU_DEP_1) | instskip(SKIP_2) | instid1(VALU_DEP_1)
	v_mul_f64 v[52:53], v[48:49], s[0:1]
	s_mov_b32 s0, 0xfefa39ef
	s_mov_b32 s1, 0xbfe62e42
	v_rndne_f64_e32 v[52:53], v[52:53]
	s_delay_alu instid0(VALU_DEP_1) | instskip(SKIP_3) | instid1(VALU_DEP_2)
	v_fma_f64 v[146:147], v[52:53], s[0:1], v[48:49]
	s_mov_b32 s0, 0x3b39803f
	s_mov_b32 s1, 0xbc7abc9e
	v_cvt_i32_f64_e32 v150, v[52:53]
	v_fma_f64 v[146:147], v[52:53], s[0:1], v[146:147]
	s_mov_b32 s0, 0xfca7ab0c
	s_mov_b32 s1, 0x3e928af3
	s_delay_alu instid0(VALU_DEP_1) | instid1(SALU_CYCLE_1)
	v_fma_f64 v[148:149], v[146:147], s[6:7], s[0:1]
	s_mov_b32 s0, 0x623fde64
	s_mov_b32 s1, 0x3ec71dee
	s_delay_alu instid0(VALU_DEP_1) | instid1(SALU_CYCLE_1)
	;; [unrolled: 4-line block ×9, first 2 shown]
	v_fma_f64 v[148:149], v[146:147], v[148:149], s[0:1]
	v_cmp_nlt_f64_e64 s0, 0x40900000, v[48:49]
	v_cmp_ngt_f64_e64 s1, 0xc090cc00, v[48:49]
	s_delay_alu instid0(VALU_DEP_3) | instskip(NEXT) | instid1(VALU_DEP_1)
	v_fma_f64 v[148:149], v[146:147], v[148:149], 1.0
	v_fma_f64 v[52:53], v[146:147], v[148:149], 1.0
	s_delay_alu instid0(VALU_DEP_1) | instskip(NEXT) | instid1(VALU_DEP_1)
	v_ldexp_f64 v[52:53], v[52:53], v150
	v_cndmask_b32_e64 v53, 0x7ff00000, v53, s0
	s_and_b32 s0, s1, s0
	s_delay_alu instid0(VALU_DEP_2) | instid1(SALU_CYCLE_1)
	v_cndmask_b32_e64 v52, 0, v52, s0
	s_delay_alu instid0(VALU_DEP_2) | instskip(NEXT) | instid1(VALU_DEP_1)
	v_cndmask_b32_e64 v53, 0, v53, s1
	v_add_f64 v[62:63], v[62:63], v[52:53]
.LBB695_551:
	s_or_b32 exec_lo, exec_lo, s4
.LBB695_552:
	s_delay_alu instid0(SALU_CYCLE_1)
	s_or_b32 exec_lo, exec_lo, s3
	s_and_saveexec_b32 s3, s91
	s_cbranch_execz .LBB695_556
; %bb.553:
	global_load_u8 v48, v[4:5], off offset:1344
	v_mov_b32_e32 v50, 0
	s_waitcnt vmcnt(0)
	v_dual_mov_b32 v51, 0 :: v_dual_and_b32 v48, 1, v48
	s_delay_alu instid0(VALU_DEP_1) | instskip(NEXT) | instid1(VALU_DEP_1)
	v_cmp_eq_u32_e64 s0, 1, v48
	s_xor_b32 s0, s0, -1
	s_delay_alu instid0(SALU_CYCLE_1)
	s_and_saveexec_b32 s4, s0
	s_cbranch_execz .LBB695_555
; %bb.554:
	v_add_f64 v[46:47], v[46:47], -v[64:65]
	s_mov_b32 s0, 0x652b82fe
	s_mov_b32 s1, 0x3ff71547
	;; [unrolled: 1-line block ×4, first 2 shown]
	s_delay_alu instid0(VALU_DEP_1) | instskip(SKIP_2) | instid1(VALU_DEP_1)
	v_mul_f64 v[48:49], v[46:47], s[0:1]
	s_mov_b32 s0, 0xfefa39ef
	s_mov_b32 s1, 0xbfe62e42
	v_rndne_f64_e32 v[48:49], v[48:49]
	s_delay_alu instid0(VALU_DEP_1) | instskip(SKIP_3) | instid1(VALU_DEP_2)
	v_fma_f64 v[50:51], v[48:49], s[0:1], v[46:47]
	s_mov_b32 s0, 0x3b39803f
	s_mov_b32 s1, 0xbc7abc9e
	v_cvt_i32_f64_e32 v148, v[48:49]
	v_fma_f64 v[50:51], v[48:49], s[0:1], v[50:51]
	s_mov_b32 s0, 0xfca7ab0c
	s_mov_b32 s1, 0x3e928af3
	s_delay_alu instid0(VALU_DEP_1) | instid1(SALU_CYCLE_1)
	v_fma_f64 v[146:147], v[50:51], s[6:7], s[0:1]
	s_mov_b32 s0, 0x623fde64
	s_mov_b32 s1, 0x3ec71dee
	s_delay_alu instid0(VALU_DEP_1) | instid1(SALU_CYCLE_1)
	;; [unrolled: 4-line block ×9, first 2 shown]
	v_fma_f64 v[146:147], v[50:51], v[146:147], s[0:1]
	v_cmp_nlt_f64_e64 s0, 0x40900000, v[46:47]
	v_cmp_ngt_f64_e64 s1, 0xc090cc00, v[46:47]
	s_delay_alu instid0(VALU_DEP_3) | instskip(NEXT) | instid1(VALU_DEP_1)
	v_fma_f64 v[146:147], v[50:51], v[146:147], 1.0
	v_fma_f64 v[48:49], v[50:51], v[146:147], 1.0
	s_delay_alu instid0(VALU_DEP_1) | instskip(NEXT) | instid1(VALU_DEP_1)
	v_ldexp_f64 v[48:49], v[48:49], v148
	v_cndmask_b32_e64 v49, 0x7ff00000, v49, s0
	s_and_b32 s0, s1, s0
	s_delay_alu instid0(VALU_DEP_2) | instid1(SALU_CYCLE_1)
	v_cndmask_b32_e64 v50, 0, v48, s0
	s_delay_alu instid0(VALU_DEP_2) | instskip(NEXT) | instid1(VALU_DEP_1)
	v_cndmask_b32_e64 v51, 0, v49, s1
	v_add_f64 v[62:63], v[62:63], v[50:51]
.LBB695_555:
	s_or_b32 exec_lo, exec_lo, s4
.LBB695_556:
	s_delay_alu instid0(SALU_CYCLE_1) | instskip(SKIP_2) | instid1(VALU_DEP_1)
	s_or_b32 exec_lo, exec_lo, s3
	v_mov_b32_e32 v46, 0
	v_mov_b32_e32 v47, 0
	v_dual_mov_b32 v49, v47 :: v_dual_mov_b32 v48, v46
	s_and_saveexec_b32 s3, s90
	s_cbranch_execz .LBB695_560
; %bb.557:
	global_load_u8 v48, v[4:5], off offset:1376
	s_waitcnt vmcnt(0)
	v_and_b32_e32 v48, 1, v48
	s_delay_alu instid0(VALU_DEP_1) | instskip(SKIP_2) | instid1(VALU_DEP_3)
	v_cmp_eq_u32_e64 s0, 1, v48
	v_mov_b32_e32 v48, 0
	v_mov_b32_e32 v49, 0
	s_xor_b32 s0, s0, -1
	s_delay_alu instid0(SALU_CYCLE_1)
	s_and_saveexec_b32 s4, s0
	s_cbranch_execz .LBB695_559
; %bb.558:
	v_add_f64 v[44:45], v[44:45], -v[64:65]
	s_mov_b32 s0, 0x652b82fe
	s_mov_b32 s1, 0x3ff71547
	;; [unrolled: 1-line block ×4, first 2 shown]
	s_delay_alu instid0(VALU_DEP_1) | instskip(SKIP_2) | instid1(VALU_DEP_1)
	v_mul_f64 v[48:49], v[44:45], s[0:1]
	s_mov_b32 s0, 0xfefa39ef
	s_mov_b32 s1, 0xbfe62e42
	v_rndne_f64_e32 v[48:49], v[48:49]
	s_delay_alu instid0(VALU_DEP_1) | instskip(SKIP_3) | instid1(VALU_DEP_2)
	v_fma_f64 v[146:147], v[48:49], s[0:1], v[44:45]
	s_mov_b32 s0, 0x3b39803f
	s_mov_b32 s1, 0xbc7abc9e
	v_cvt_i32_f64_e32 v150, v[48:49]
	v_fma_f64 v[146:147], v[48:49], s[0:1], v[146:147]
	s_mov_b32 s0, 0xfca7ab0c
	s_mov_b32 s1, 0x3e928af3
	s_delay_alu instid0(VALU_DEP_1) | instid1(SALU_CYCLE_1)
	v_fma_f64 v[148:149], v[146:147], s[6:7], s[0:1]
	s_mov_b32 s0, 0x623fde64
	s_mov_b32 s1, 0x3ec71dee
	s_delay_alu instid0(VALU_DEP_1) | instid1(SALU_CYCLE_1)
	;; [unrolled: 4-line block ×9, first 2 shown]
	v_fma_f64 v[148:149], v[146:147], v[148:149], s[0:1]
	v_cmp_nlt_f64_e64 s0, 0x40900000, v[44:45]
	v_cmp_ngt_f64_e64 s1, 0xc090cc00, v[44:45]
	s_delay_alu instid0(VALU_DEP_3) | instskip(NEXT) | instid1(VALU_DEP_1)
	v_fma_f64 v[148:149], v[146:147], v[148:149], 1.0
	v_fma_f64 v[48:49], v[146:147], v[148:149], 1.0
	s_delay_alu instid0(VALU_DEP_1) | instskip(NEXT) | instid1(VALU_DEP_1)
	v_ldexp_f64 v[48:49], v[48:49], v150
	v_cndmask_b32_e64 v49, 0x7ff00000, v49, s0
	s_and_b32 s0, s1, s0
	s_delay_alu instid0(VALU_DEP_2) | instid1(SALU_CYCLE_1)
	v_cndmask_b32_e64 v48, 0, v48, s0
	s_delay_alu instid0(VALU_DEP_2) | instskip(NEXT) | instid1(VALU_DEP_1)
	v_cndmask_b32_e64 v49, 0, v49, s1
	v_add_f64 v[62:63], v[62:63], v[48:49]
.LBB695_559:
	s_or_b32 exec_lo, exec_lo, s4
.LBB695_560:
	s_delay_alu instid0(SALU_CYCLE_1)
	s_or_b32 exec_lo, exec_lo, s3
	s_and_saveexec_b32 s3, s89
	s_cbranch_execz .LBB695_564
; %bb.561:
	global_load_u8 v44, v[4:5], off offset:1408
	v_mov_b32_e32 v46, 0
	s_waitcnt vmcnt(0)
	v_dual_mov_b32 v47, 0 :: v_dual_and_b32 v44, 1, v44
	s_delay_alu instid0(VALU_DEP_1) | instskip(NEXT) | instid1(VALU_DEP_1)
	v_cmp_eq_u32_e64 s0, 1, v44
	s_xor_b32 s0, s0, -1
	s_delay_alu instid0(SALU_CYCLE_1)
	s_and_saveexec_b32 s4, s0
	s_cbranch_execz .LBB695_563
; %bb.562:
	v_add_f64 v[42:43], v[42:43], -v[64:65]
	s_mov_b32 s0, 0x652b82fe
	s_mov_b32 s1, 0x3ff71547
	;; [unrolled: 1-line block ×4, first 2 shown]
	s_delay_alu instid0(VALU_DEP_1) | instskip(SKIP_2) | instid1(VALU_DEP_1)
	v_mul_f64 v[44:45], v[42:43], s[0:1]
	s_mov_b32 s0, 0xfefa39ef
	s_mov_b32 s1, 0xbfe62e42
	v_rndne_f64_e32 v[44:45], v[44:45]
	s_delay_alu instid0(VALU_DEP_1) | instskip(SKIP_3) | instid1(VALU_DEP_2)
	v_fma_f64 v[46:47], v[44:45], s[0:1], v[42:43]
	s_mov_b32 s0, 0x3b39803f
	s_mov_b32 s1, 0xbc7abc9e
	v_cvt_i32_f64_e32 v148, v[44:45]
	v_fma_f64 v[46:47], v[44:45], s[0:1], v[46:47]
	s_mov_b32 s0, 0xfca7ab0c
	s_mov_b32 s1, 0x3e928af3
	s_delay_alu instid0(VALU_DEP_1) | instid1(SALU_CYCLE_1)
	v_fma_f64 v[146:147], v[46:47], s[6:7], s[0:1]
	s_mov_b32 s0, 0x623fde64
	s_mov_b32 s1, 0x3ec71dee
	s_delay_alu instid0(VALU_DEP_1) | instid1(SALU_CYCLE_1)
	;; [unrolled: 4-line block ×9, first 2 shown]
	v_fma_f64 v[146:147], v[46:47], v[146:147], s[0:1]
	v_cmp_nlt_f64_e64 s0, 0x40900000, v[42:43]
	v_cmp_ngt_f64_e64 s1, 0xc090cc00, v[42:43]
	s_delay_alu instid0(VALU_DEP_3) | instskip(NEXT) | instid1(VALU_DEP_1)
	v_fma_f64 v[146:147], v[46:47], v[146:147], 1.0
	v_fma_f64 v[44:45], v[46:47], v[146:147], 1.0
	s_delay_alu instid0(VALU_DEP_1) | instskip(NEXT) | instid1(VALU_DEP_1)
	v_ldexp_f64 v[44:45], v[44:45], v148
	v_cndmask_b32_e64 v45, 0x7ff00000, v45, s0
	s_and_b32 s0, s1, s0
	s_delay_alu instid0(VALU_DEP_2) | instid1(SALU_CYCLE_1)
	v_cndmask_b32_e64 v46, 0, v44, s0
	s_delay_alu instid0(VALU_DEP_2) | instskip(NEXT) | instid1(VALU_DEP_1)
	v_cndmask_b32_e64 v47, 0, v45, s1
	v_add_f64 v[62:63], v[62:63], v[46:47]
.LBB695_563:
	s_or_b32 exec_lo, exec_lo, s4
.LBB695_564:
	s_delay_alu instid0(SALU_CYCLE_1) | instskip(SKIP_2) | instid1(VALU_DEP_1)
	s_or_b32 exec_lo, exec_lo, s3
	v_mov_b32_e32 v42, 0
	v_mov_b32_e32 v43, 0
	v_dual_mov_b32 v45, v43 :: v_dual_mov_b32 v44, v42
	s_and_saveexec_b32 s3, s88
	s_cbranch_execz .LBB695_568
; %bb.565:
	global_load_u8 v44, v[4:5], off offset:1440
	s_waitcnt vmcnt(0)
	v_and_b32_e32 v44, 1, v44
	s_delay_alu instid0(VALU_DEP_1) | instskip(SKIP_2) | instid1(VALU_DEP_3)
	v_cmp_eq_u32_e64 s0, 1, v44
	v_mov_b32_e32 v44, 0
	v_mov_b32_e32 v45, 0
	s_xor_b32 s0, s0, -1
	s_delay_alu instid0(SALU_CYCLE_1)
	s_and_saveexec_b32 s4, s0
	s_cbranch_execz .LBB695_567
; %bb.566:
	v_add_f64 v[40:41], v[40:41], -v[64:65]
	s_mov_b32 s0, 0x652b82fe
	s_mov_b32 s1, 0x3ff71547
	;; [unrolled: 1-line block ×4, first 2 shown]
	s_delay_alu instid0(VALU_DEP_1) | instskip(SKIP_2) | instid1(VALU_DEP_1)
	v_mul_f64 v[44:45], v[40:41], s[0:1]
	s_mov_b32 s0, 0xfefa39ef
	s_mov_b32 s1, 0xbfe62e42
	v_rndne_f64_e32 v[44:45], v[44:45]
	s_delay_alu instid0(VALU_DEP_1) | instskip(SKIP_3) | instid1(VALU_DEP_2)
	v_fma_f64 v[146:147], v[44:45], s[0:1], v[40:41]
	s_mov_b32 s0, 0x3b39803f
	s_mov_b32 s1, 0xbc7abc9e
	v_cvt_i32_f64_e32 v150, v[44:45]
	v_fma_f64 v[146:147], v[44:45], s[0:1], v[146:147]
	s_mov_b32 s0, 0xfca7ab0c
	s_mov_b32 s1, 0x3e928af3
	s_delay_alu instid0(VALU_DEP_1) | instid1(SALU_CYCLE_1)
	v_fma_f64 v[148:149], v[146:147], s[6:7], s[0:1]
	s_mov_b32 s0, 0x623fde64
	s_mov_b32 s1, 0x3ec71dee
	s_delay_alu instid0(VALU_DEP_1) | instid1(SALU_CYCLE_1)
	;; [unrolled: 4-line block ×9, first 2 shown]
	v_fma_f64 v[148:149], v[146:147], v[148:149], s[0:1]
	v_cmp_nlt_f64_e64 s0, 0x40900000, v[40:41]
	v_cmp_ngt_f64_e64 s1, 0xc090cc00, v[40:41]
	s_delay_alu instid0(VALU_DEP_3) | instskip(NEXT) | instid1(VALU_DEP_1)
	v_fma_f64 v[148:149], v[146:147], v[148:149], 1.0
	v_fma_f64 v[44:45], v[146:147], v[148:149], 1.0
	s_delay_alu instid0(VALU_DEP_1) | instskip(NEXT) | instid1(VALU_DEP_1)
	v_ldexp_f64 v[44:45], v[44:45], v150
	v_cndmask_b32_e64 v45, 0x7ff00000, v45, s0
	s_and_b32 s0, s1, s0
	s_delay_alu instid0(VALU_DEP_2) | instid1(SALU_CYCLE_1)
	v_cndmask_b32_e64 v44, 0, v44, s0
	s_delay_alu instid0(VALU_DEP_2) | instskip(NEXT) | instid1(VALU_DEP_1)
	v_cndmask_b32_e64 v45, 0, v45, s1
	v_add_f64 v[62:63], v[62:63], v[44:45]
.LBB695_567:
	s_or_b32 exec_lo, exec_lo, s4
.LBB695_568:
	s_delay_alu instid0(SALU_CYCLE_1)
	s_or_b32 exec_lo, exec_lo, s3
	s_and_saveexec_b32 s3, s87
	s_cbranch_execz .LBB695_572
; %bb.569:
	global_load_u8 v40, v[4:5], off offset:1472
	v_mov_b32_e32 v42, 0
	s_waitcnt vmcnt(0)
	v_dual_mov_b32 v43, 0 :: v_dual_and_b32 v40, 1, v40
	s_delay_alu instid0(VALU_DEP_1) | instskip(NEXT) | instid1(VALU_DEP_1)
	v_cmp_eq_u32_e64 s0, 1, v40
	s_xor_b32 s0, s0, -1
	s_delay_alu instid0(SALU_CYCLE_1)
	s_and_saveexec_b32 s4, s0
	s_cbranch_execz .LBB695_571
; %bb.570:
	v_add_f64 v[38:39], v[38:39], -v[64:65]
	s_mov_b32 s0, 0x652b82fe
	s_mov_b32 s1, 0x3ff71547
	;; [unrolled: 1-line block ×4, first 2 shown]
	s_delay_alu instid0(VALU_DEP_1) | instskip(SKIP_2) | instid1(VALU_DEP_1)
	v_mul_f64 v[40:41], v[38:39], s[0:1]
	s_mov_b32 s0, 0xfefa39ef
	s_mov_b32 s1, 0xbfe62e42
	v_rndne_f64_e32 v[40:41], v[40:41]
	s_delay_alu instid0(VALU_DEP_1) | instskip(SKIP_3) | instid1(VALU_DEP_2)
	v_fma_f64 v[42:43], v[40:41], s[0:1], v[38:39]
	s_mov_b32 s0, 0x3b39803f
	s_mov_b32 s1, 0xbc7abc9e
	v_cvt_i32_f64_e32 v148, v[40:41]
	v_fma_f64 v[42:43], v[40:41], s[0:1], v[42:43]
	s_mov_b32 s0, 0xfca7ab0c
	s_mov_b32 s1, 0x3e928af3
	s_delay_alu instid0(VALU_DEP_1) | instid1(SALU_CYCLE_1)
	v_fma_f64 v[146:147], v[42:43], s[6:7], s[0:1]
	s_mov_b32 s0, 0x623fde64
	s_mov_b32 s1, 0x3ec71dee
	s_delay_alu instid0(VALU_DEP_1) | instid1(SALU_CYCLE_1)
	;; [unrolled: 4-line block ×9, first 2 shown]
	v_fma_f64 v[146:147], v[42:43], v[146:147], s[0:1]
	v_cmp_nlt_f64_e64 s0, 0x40900000, v[38:39]
	v_cmp_ngt_f64_e64 s1, 0xc090cc00, v[38:39]
	s_delay_alu instid0(VALU_DEP_3) | instskip(NEXT) | instid1(VALU_DEP_1)
	v_fma_f64 v[146:147], v[42:43], v[146:147], 1.0
	v_fma_f64 v[40:41], v[42:43], v[146:147], 1.0
	s_delay_alu instid0(VALU_DEP_1) | instskip(NEXT) | instid1(VALU_DEP_1)
	v_ldexp_f64 v[40:41], v[40:41], v148
	v_cndmask_b32_e64 v41, 0x7ff00000, v41, s0
	s_and_b32 s0, s1, s0
	s_delay_alu instid0(VALU_DEP_2) | instid1(SALU_CYCLE_1)
	v_cndmask_b32_e64 v42, 0, v40, s0
	s_delay_alu instid0(VALU_DEP_2) | instskip(NEXT) | instid1(VALU_DEP_1)
	v_cndmask_b32_e64 v43, 0, v41, s1
	v_add_f64 v[62:63], v[62:63], v[42:43]
.LBB695_571:
	s_or_b32 exec_lo, exec_lo, s4
.LBB695_572:
	s_delay_alu instid0(SALU_CYCLE_1) | instskip(SKIP_2) | instid1(VALU_DEP_1)
	s_or_b32 exec_lo, exec_lo, s3
	v_mov_b32_e32 v38, 0
	v_mov_b32_e32 v39, 0
	v_dual_mov_b32 v41, v39 :: v_dual_mov_b32 v40, v38
	s_and_saveexec_b32 s3, s86
	s_cbranch_execz .LBB695_576
; %bb.573:
	global_load_u8 v40, v[4:5], off offset:1504
	s_waitcnt vmcnt(0)
	v_and_b32_e32 v40, 1, v40
	s_delay_alu instid0(VALU_DEP_1) | instskip(SKIP_2) | instid1(VALU_DEP_3)
	v_cmp_eq_u32_e64 s0, 1, v40
	v_mov_b32_e32 v40, 0
	v_mov_b32_e32 v41, 0
	s_xor_b32 s0, s0, -1
	s_delay_alu instid0(SALU_CYCLE_1)
	s_and_saveexec_b32 s4, s0
	s_cbranch_execz .LBB695_575
; %bb.574:
	v_add_f64 v[36:37], v[36:37], -v[64:65]
	s_mov_b32 s0, 0x652b82fe
	s_mov_b32 s1, 0x3ff71547
	;; [unrolled: 1-line block ×4, first 2 shown]
	s_delay_alu instid0(VALU_DEP_1) | instskip(SKIP_2) | instid1(VALU_DEP_1)
	v_mul_f64 v[40:41], v[36:37], s[0:1]
	s_mov_b32 s0, 0xfefa39ef
	s_mov_b32 s1, 0xbfe62e42
	v_rndne_f64_e32 v[40:41], v[40:41]
	s_delay_alu instid0(VALU_DEP_1) | instskip(SKIP_3) | instid1(VALU_DEP_2)
	v_fma_f64 v[146:147], v[40:41], s[0:1], v[36:37]
	s_mov_b32 s0, 0x3b39803f
	s_mov_b32 s1, 0xbc7abc9e
	v_cvt_i32_f64_e32 v150, v[40:41]
	v_fma_f64 v[146:147], v[40:41], s[0:1], v[146:147]
	s_mov_b32 s0, 0xfca7ab0c
	s_mov_b32 s1, 0x3e928af3
	s_delay_alu instid0(VALU_DEP_1) | instid1(SALU_CYCLE_1)
	v_fma_f64 v[148:149], v[146:147], s[6:7], s[0:1]
	s_mov_b32 s0, 0x623fde64
	s_mov_b32 s1, 0x3ec71dee
	s_delay_alu instid0(VALU_DEP_1) | instid1(SALU_CYCLE_1)
	;; [unrolled: 4-line block ×9, first 2 shown]
	v_fma_f64 v[148:149], v[146:147], v[148:149], s[0:1]
	v_cmp_nlt_f64_e64 s0, 0x40900000, v[36:37]
	v_cmp_ngt_f64_e64 s1, 0xc090cc00, v[36:37]
	s_delay_alu instid0(VALU_DEP_3) | instskip(NEXT) | instid1(VALU_DEP_1)
	v_fma_f64 v[148:149], v[146:147], v[148:149], 1.0
	v_fma_f64 v[40:41], v[146:147], v[148:149], 1.0
	s_delay_alu instid0(VALU_DEP_1) | instskip(NEXT) | instid1(VALU_DEP_1)
	v_ldexp_f64 v[40:41], v[40:41], v150
	v_cndmask_b32_e64 v41, 0x7ff00000, v41, s0
	s_and_b32 s0, s1, s0
	s_delay_alu instid0(VALU_DEP_2) | instid1(SALU_CYCLE_1)
	v_cndmask_b32_e64 v40, 0, v40, s0
	s_delay_alu instid0(VALU_DEP_2) | instskip(NEXT) | instid1(VALU_DEP_1)
	v_cndmask_b32_e64 v41, 0, v41, s1
	v_add_f64 v[62:63], v[62:63], v[40:41]
.LBB695_575:
	s_or_b32 exec_lo, exec_lo, s4
.LBB695_576:
	s_delay_alu instid0(SALU_CYCLE_1)
	s_or_b32 exec_lo, exec_lo, s3
	s_and_saveexec_b32 s3, s85
	s_cbranch_execz .LBB695_580
; %bb.577:
	global_load_u8 v36, v[4:5], off offset:1536
	v_mov_b32_e32 v38, 0
	s_waitcnt vmcnt(0)
	v_dual_mov_b32 v39, 0 :: v_dual_and_b32 v36, 1, v36
	s_delay_alu instid0(VALU_DEP_1) | instskip(NEXT) | instid1(VALU_DEP_1)
	v_cmp_eq_u32_e64 s0, 1, v36
	s_xor_b32 s0, s0, -1
	s_delay_alu instid0(SALU_CYCLE_1)
	s_and_saveexec_b32 s4, s0
	s_cbranch_execz .LBB695_579
; %bb.578:
	v_add_f64 v[34:35], v[34:35], -v[64:65]
	s_mov_b32 s0, 0x652b82fe
	s_mov_b32 s1, 0x3ff71547
	;; [unrolled: 1-line block ×4, first 2 shown]
	s_delay_alu instid0(VALU_DEP_1) | instskip(SKIP_2) | instid1(VALU_DEP_1)
	v_mul_f64 v[36:37], v[34:35], s[0:1]
	s_mov_b32 s0, 0xfefa39ef
	s_mov_b32 s1, 0xbfe62e42
	v_rndne_f64_e32 v[36:37], v[36:37]
	s_delay_alu instid0(VALU_DEP_1) | instskip(SKIP_3) | instid1(VALU_DEP_2)
	v_fma_f64 v[38:39], v[36:37], s[0:1], v[34:35]
	s_mov_b32 s0, 0x3b39803f
	s_mov_b32 s1, 0xbc7abc9e
	v_cvt_i32_f64_e32 v148, v[36:37]
	v_fma_f64 v[38:39], v[36:37], s[0:1], v[38:39]
	s_mov_b32 s0, 0xfca7ab0c
	s_mov_b32 s1, 0x3e928af3
	s_delay_alu instid0(VALU_DEP_1) | instid1(SALU_CYCLE_1)
	v_fma_f64 v[146:147], v[38:39], s[6:7], s[0:1]
	s_mov_b32 s0, 0x623fde64
	s_mov_b32 s1, 0x3ec71dee
	s_delay_alu instid0(VALU_DEP_1) | instid1(SALU_CYCLE_1)
	;; [unrolled: 4-line block ×9, first 2 shown]
	v_fma_f64 v[146:147], v[38:39], v[146:147], s[0:1]
	v_cmp_nlt_f64_e64 s0, 0x40900000, v[34:35]
	v_cmp_ngt_f64_e64 s1, 0xc090cc00, v[34:35]
	s_delay_alu instid0(VALU_DEP_3) | instskip(NEXT) | instid1(VALU_DEP_1)
	v_fma_f64 v[146:147], v[38:39], v[146:147], 1.0
	v_fma_f64 v[36:37], v[38:39], v[146:147], 1.0
	s_delay_alu instid0(VALU_DEP_1) | instskip(NEXT) | instid1(VALU_DEP_1)
	v_ldexp_f64 v[36:37], v[36:37], v148
	v_cndmask_b32_e64 v37, 0x7ff00000, v37, s0
	s_and_b32 s0, s1, s0
	s_delay_alu instid0(VALU_DEP_2) | instid1(SALU_CYCLE_1)
	v_cndmask_b32_e64 v38, 0, v36, s0
	s_delay_alu instid0(VALU_DEP_2) | instskip(NEXT) | instid1(VALU_DEP_1)
	v_cndmask_b32_e64 v39, 0, v37, s1
	v_add_f64 v[62:63], v[62:63], v[38:39]
.LBB695_579:
	s_or_b32 exec_lo, exec_lo, s4
.LBB695_580:
	s_delay_alu instid0(SALU_CYCLE_1) | instskip(SKIP_2) | instid1(VALU_DEP_1)
	s_or_b32 exec_lo, exec_lo, s3
	v_mov_b32_e32 v34, 0
	v_mov_b32_e32 v35, 0
	v_dual_mov_b32 v37, v35 :: v_dual_mov_b32 v36, v34
	s_and_saveexec_b32 s3, s84
	s_cbranch_execz .LBB695_584
; %bb.581:
	global_load_u8 v36, v[4:5], off offset:1568
	s_waitcnt vmcnt(0)
	v_and_b32_e32 v36, 1, v36
	s_delay_alu instid0(VALU_DEP_1) | instskip(SKIP_2) | instid1(VALU_DEP_3)
	v_cmp_eq_u32_e64 s0, 1, v36
	v_mov_b32_e32 v36, 0
	v_mov_b32_e32 v37, 0
	s_xor_b32 s0, s0, -1
	s_delay_alu instid0(SALU_CYCLE_1)
	s_and_saveexec_b32 s4, s0
	s_cbranch_execz .LBB695_583
; %bb.582:
	v_add_f64 v[32:33], v[32:33], -v[64:65]
	s_mov_b32 s0, 0x652b82fe
	s_mov_b32 s1, 0x3ff71547
	;; [unrolled: 1-line block ×4, first 2 shown]
	s_delay_alu instid0(VALU_DEP_1) | instskip(SKIP_2) | instid1(VALU_DEP_1)
	v_mul_f64 v[36:37], v[32:33], s[0:1]
	s_mov_b32 s0, 0xfefa39ef
	s_mov_b32 s1, 0xbfe62e42
	v_rndne_f64_e32 v[36:37], v[36:37]
	s_delay_alu instid0(VALU_DEP_1) | instskip(SKIP_3) | instid1(VALU_DEP_2)
	v_fma_f64 v[146:147], v[36:37], s[0:1], v[32:33]
	s_mov_b32 s0, 0x3b39803f
	s_mov_b32 s1, 0xbc7abc9e
	v_cvt_i32_f64_e32 v150, v[36:37]
	v_fma_f64 v[146:147], v[36:37], s[0:1], v[146:147]
	s_mov_b32 s0, 0xfca7ab0c
	s_mov_b32 s1, 0x3e928af3
	s_delay_alu instid0(VALU_DEP_1) | instid1(SALU_CYCLE_1)
	v_fma_f64 v[148:149], v[146:147], s[6:7], s[0:1]
	s_mov_b32 s0, 0x623fde64
	s_mov_b32 s1, 0x3ec71dee
	s_delay_alu instid0(VALU_DEP_1) | instid1(SALU_CYCLE_1)
	;; [unrolled: 4-line block ×9, first 2 shown]
	v_fma_f64 v[148:149], v[146:147], v[148:149], s[0:1]
	v_cmp_nlt_f64_e64 s0, 0x40900000, v[32:33]
	v_cmp_ngt_f64_e64 s1, 0xc090cc00, v[32:33]
	s_delay_alu instid0(VALU_DEP_3) | instskip(NEXT) | instid1(VALU_DEP_1)
	v_fma_f64 v[148:149], v[146:147], v[148:149], 1.0
	v_fma_f64 v[36:37], v[146:147], v[148:149], 1.0
	s_delay_alu instid0(VALU_DEP_1) | instskip(NEXT) | instid1(VALU_DEP_1)
	v_ldexp_f64 v[36:37], v[36:37], v150
	v_cndmask_b32_e64 v37, 0x7ff00000, v37, s0
	s_and_b32 s0, s1, s0
	s_delay_alu instid0(VALU_DEP_2) | instid1(SALU_CYCLE_1)
	v_cndmask_b32_e64 v36, 0, v36, s0
	s_delay_alu instid0(VALU_DEP_2) | instskip(NEXT) | instid1(VALU_DEP_1)
	v_cndmask_b32_e64 v37, 0, v37, s1
	v_add_f64 v[62:63], v[62:63], v[36:37]
.LBB695_583:
	s_or_b32 exec_lo, exec_lo, s4
.LBB695_584:
	s_delay_alu instid0(SALU_CYCLE_1)
	s_or_b32 exec_lo, exec_lo, s3
	s_and_saveexec_b32 s3, s83
	s_cbranch_execz .LBB695_588
; %bb.585:
	global_load_u8 v32, v[4:5], off offset:1600
	v_mov_b32_e32 v34, 0
	s_waitcnt vmcnt(0)
	v_dual_mov_b32 v35, 0 :: v_dual_and_b32 v32, 1, v32
	s_delay_alu instid0(VALU_DEP_1) | instskip(NEXT) | instid1(VALU_DEP_1)
	v_cmp_eq_u32_e64 s0, 1, v32
	s_xor_b32 s0, s0, -1
	s_delay_alu instid0(SALU_CYCLE_1)
	s_and_saveexec_b32 s4, s0
	s_cbranch_execz .LBB695_587
; %bb.586:
	v_add_f64 v[30:31], v[30:31], -v[64:65]
	s_mov_b32 s0, 0x652b82fe
	s_mov_b32 s1, 0x3ff71547
	;; [unrolled: 1-line block ×4, first 2 shown]
	s_delay_alu instid0(VALU_DEP_1) | instskip(SKIP_2) | instid1(VALU_DEP_1)
	v_mul_f64 v[32:33], v[30:31], s[0:1]
	s_mov_b32 s0, 0xfefa39ef
	s_mov_b32 s1, 0xbfe62e42
	v_rndne_f64_e32 v[32:33], v[32:33]
	s_delay_alu instid0(VALU_DEP_1) | instskip(SKIP_3) | instid1(VALU_DEP_2)
	v_fma_f64 v[34:35], v[32:33], s[0:1], v[30:31]
	s_mov_b32 s0, 0x3b39803f
	s_mov_b32 s1, 0xbc7abc9e
	v_cvt_i32_f64_e32 v148, v[32:33]
	v_fma_f64 v[34:35], v[32:33], s[0:1], v[34:35]
	s_mov_b32 s0, 0xfca7ab0c
	s_mov_b32 s1, 0x3e928af3
	s_delay_alu instid0(VALU_DEP_1) | instid1(SALU_CYCLE_1)
	v_fma_f64 v[146:147], v[34:35], s[6:7], s[0:1]
	s_mov_b32 s0, 0x623fde64
	s_mov_b32 s1, 0x3ec71dee
	s_delay_alu instid0(VALU_DEP_1) | instid1(SALU_CYCLE_1)
	;; [unrolled: 4-line block ×9, first 2 shown]
	v_fma_f64 v[146:147], v[34:35], v[146:147], s[0:1]
	v_cmp_nlt_f64_e64 s0, 0x40900000, v[30:31]
	v_cmp_ngt_f64_e64 s1, 0xc090cc00, v[30:31]
	s_delay_alu instid0(VALU_DEP_3) | instskip(NEXT) | instid1(VALU_DEP_1)
	v_fma_f64 v[146:147], v[34:35], v[146:147], 1.0
	v_fma_f64 v[32:33], v[34:35], v[146:147], 1.0
	s_delay_alu instid0(VALU_DEP_1) | instskip(NEXT) | instid1(VALU_DEP_1)
	v_ldexp_f64 v[32:33], v[32:33], v148
	v_cndmask_b32_e64 v33, 0x7ff00000, v33, s0
	s_and_b32 s0, s1, s0
	s_delay_alu instid0(VALU_DEP_2) | instid1(SALU_CYCLE_1)
	v_cndmask_b32_e64 v34, 0, v32, s0
	s_delay_alu instid0(VALU_DEP_2) | instskip(NEXT) | instid1(VALU_DEP_1)
	v_cndmask_b32_e64 v35, 0, v33, s1
	v_add_f64 v[62:63], v[62:63], v[34:35]
.LBB695_587:
	s_or_b32 exec_lo, exec_lo, s4
.LBB695_588:
	s_delay_alu instid0(SALU_CYCLE_1) | instskip(SKIP_2) | instid1(VALU_DEP_1)
	s_or_b32 exec_lo, exec_lo, s3
	v_mov_b32_e32 v30, 0
	v_mov_b32_e32 v31, 0
	v_dual_mov_b32 v33, v31 :: v_dual_mov_b32 v32, v30
	s_and_saveexec_b32 s3, s82
	s_cbranch_execz .LBB695_592
; %bb.589:
	global_load_u8 v32, v[4:5], off offset:1632
	s_waitcnt vmcnt(0)
	v_and_b32_e32 v32, 1, v32
	s_delay_alu instid0(VALU_DEP_1) | instskip(SKIP_2) | instid1(VALU_DEP_3)
	v_cmp_eq_u32_e64 s0, 1, v32
	v_mov_b32_e32 v32, 0
	v_mov_b32_e32 v33, 0
	s_xor_b32 s0, s0, -1
	s_delay_alu instid0(SALU_CYCLE_1)
	s_and_saveexec_b32 s4, s0
	s_cbranch_execz .LBB695_591
; %bb.590:
	v_add_f64 v[28:29], v[28:29], -v[64:65]
	s_mov_b32 s0, 0x652b82fe
	s_mov_b32 s1, 0x3ff71547
	;; [unrolled: 1-line block ×4, first 2 shown]
	s_delay_alu instid0(VALU_DEP_1) | instskip(SKIP_2) | instid1(VALU_DEP_1)
	v_mul_f64 v[32:33], v[28:29], s[0:1]
	s_mov_b32 s0, 0xfefa39ef
	s_mov_b32 s1, 0xbfe62e42
	v_rndne_f64_e32 v[32:33], v[32:33]
	s_delay_alu instid0(VALU_DEP_1) | instskip(SKIP_3) | instid1(VALU_DEP_2)
	v_fma_f64 v[146:147], v[32:33], s[0:1], v[28:29]
	s_mov_b32 s0, 0x3b39803f
	s_mov_b32 s1, 0xbc7abc9e
	v_cvt_i32_f64_e32 v150, v[32:33]
	v_fma_f64 v[146:147], v[32:33], s[0:1], v[146:147]
	s_mov_b32 s0, 0xfca7ab0c
	s_mov_b32 s1, 0x3e928af3
	s_delay_alu instid0(VALU_DEP_1) | instid1(SALU_CYCLE_1)
	v_fma_f64 v[148:149], v[146:147], s[6:7], s[0:1]
	s_mov_b32 s0, 0x623fde64
	s_mov_b32 s1, 0x3ec71dee
	s_delay_alu instid0(VALU_DEP_1) | instid1(SALU_CYCLE_1)
	;; [unrolled: 4-line block ×9, first 2 shown]
	v_fma_f64 v[148:149], v[146:147], v[148:149], s[0:1]
	v_cmp_nlt_f64_e64 s0, 0x40900000, v[28:29]
	v_cmp_ngt_f64_e64 s1, 0xc090cc00, v[28:29]
	s_delay_alu instid0(VALU_DEP_3) | instskip(NEXT) | instid1(VALU_DEP_1)
	v_fma_f64 v[148:149], v[146:147], v[148:149], 1.0
	v_fma_f64 v[32:33], v[146:147], v[148:149], 1.0
	s_delay_alu instid0(VALU_DEP_1) | instskip(NEXT) | instid1(VALU_DEP_1)
	v_ldexp_f64 v[32:33], v[32:33], v150
	v_cndmask_b32_e64 v33, 0x7ff00000, v33, s0
	s_and_b32 s0, s1, s0
	s_delay_alu instid0(VALU_DEP_2) | instid1(SALU_CYCLE_1)
	v_cndmask_b32_e64 v32, 0, v32, s0
	s_delay_alu instid0(VALU_DEP_2) | instskip(NEXT) | instid1(VALU_DEP_1)
	v_cndmask_b32_e64 v33, 0, v33, s1
	v_add_f64 v[62:63], v[62:63], v[32:33]
.LBB695_591:
	s_or_b32 exec_lo, exec_lo, s4
.LBB695_592:
	s_delay_alu instid0(SALU_CYCLE_1)
	s_or_b32 exec_lo, exec_lo, s3
	s_and_saveexec_b32 s3, s81
	s_cbranch_execz .LBB695_596
; %bb.593:
	global_load_u8 v28, v[4:5], off offset:1664
	v_mov_b32_e32 v30, 0
	s_waitcnt vmcnt(0)
	v_dual_mov_b32 v31, 0 :: v_dual_and_b32 v28, 1, v28
	s_delay_alu instid0(VALU_DEP_1) | instskip(NEXT) | instid1(VALU_DEP_1)
	v_cmp_eq_u32_e64 s0, 1, v28
	s_xor_b32 s0, s0, -1
	s_delay_alu instid0(SALU_CYCLE_1)
	s_and_saveexec_b32 s4, s0
	s_cbranch_execz .LBB695_595
; %bb.594:
	v_add_f64 v[26:27], v[26:27], -v[64:65]
	s_mov_b32 s0, 0x652b82fe
	s_mov_b32 s1, 0x3ff71547
	;; [unrolled: 1-line block ×4, first 2 shown]
	s_delay_alu instid0(VALU_DEP_1) | instskip(SKIP_2) | instid1(VALU_DEP_1)
	v_mul_f64 v[28:29], v[26:27], s[0:1]
	s_mov_b32 s0, 0xfefa39ef
	s_mov_b32 s1, 0xbfe62e42
	v_rndne_f64_e32 v[28:29], v[28:29]
	s_delay_alu instid0(VALU_DEP_1) | instskip(SKIP_3) | instid1(VALU_DEP_2)
	v_fma_f64 v[30:31], v[28:29], s[0:1], v[26:27]
	s_mov_b32 s0, 0x3b39803f
	s_mov_b32 s1, 0xbc7abc9e
	v_cvt_i32_f64_e32 v148, v[28:29]
	v_fma_f64 v[30:31], v[28:29], s[0:1], v[30:31]
	s_mov_b32 s0, 0xfca7ab0c
	s_mov_b32 s1, 0x3e928af3
	s_delay_alu instid0(VALU_DEP_1) | instid1(SALU_CYCLE_1)
	v_fma_f64 v[146:147], v[30:31], s[6:7], s[0:1]
	s_mov_b32 s0, 0x623fde64
	s_mov_b32 s1, 0x3ec71dee
	s_delay_alu instid0(VALU_DEP_1) | instid1(SALU_CYCLE_1)
	;; [unrolled: 4-line block ×9, first 2 shown]
	v_fma_f64 v[146:147], v[30:31], v[146:147], s[0:1]
	v_cmp_nlt_f64_e64 s0, 0x40900000, v[26:27]
	v_cmp_ngt_f64_e64 s1, 0xc090cc00, v[26:27]
	s_delay_alu instid0(VALU_DEP_3) | instskip(NEXT) | instid1(VALU_DEP_1)
	v_fma_f64 v[146:147], v[30:31], v[146:147], 1.0
	v_fma_f64 v[28:29], v[30:31], v[146:147], 1.0
	s_delay_alu instid0(VALU_DEP_1) | instskip(NEXT) | instid1(VALU_DEP_1)
	v_ldexp_f64 v[28:29], v[28:29], v148
	v_cndmask_b32_e64 v29, 0x7ff00000, v29, s0
	s_and_b32 s0, s1, s0
	s_delay_alu instid0(VALU_DEP_2) | instid1(SALU_CYCLE_1)
	v_cndmask_b32_e64 v30, 0, v28, s0
	s_delay_alu instid0(VALU_DEP_2) | instskip(NEXT) | instid1(VALU_DEP_1)
	v_cndmask_b32_e64 v31, 0, v29, s1
	v_add_f64 v[62:63], v[62:63], v[30:31]
.LBB695_595:
	s_or_b32 exec_lo, exec_lo, s4
.LBB695_596:
	s_delay_alu instid0(SALU_CYCLE_1) | instskip(SKIP_2) | instid1(VALU_DEP_1)
	s_or_b32 exec_lo, exec_lo, s3
	v_mov_b32_e32 v26, 0
	v_mov_b32_e32 v27, 0
	v_dual_mov_b32 v29, v27 :: v_dual_mov_b32 v28, v26
	s_and_saveexec_b32 s3, s80
	s_cbranch_execz .LBB695_600
; %bb.597:
	global_load_u8 v28, v[4:5], off offset:1696
	s_waitcnt vmcnt(0)
	v_and_b32_e32 v28, 1, v28
	s_delay_alu instid0(VALU_DEP_1) | instskip(SKIP_2) | instid1(VALU_DEP_3)
	v_cmp_eq_u32_e64 s0, 1, v28
	v_mov_b32_e32 v28, 0
	v_mov_b32_e32 v29, 0
	s_xor_b32 s0, s0, -1
	s_delay_alu instid0(SALU_CYCLE_1)
	s_and_saveexec_b32 s4, s0
	s_cbranch_execz .LBB695_599
; %bb.598:
	v_add_f64 v[24:25], v[24:25], -v[64:65]
	s_mov_b32 s0, 0x652b82fe
	s_mov_b32 s1, 0x3ff71547
	;; [unrolled: 1-line block ×4, first 2 shown]
	s_delay_alu instid0(VALU_DEP_1) | instskip(SKIP_2) | instid1(VALU_DEP_1)
	v_mul_f64 v[28:29], v[24:25], s[0:1]
	s_mov_b32 s0, 0xfefa39ef
	s_mov_b32 s1, 0xbfe62e42
	v_rndne_f64_e32 v[28:29], v[28:29]
	s_delay_alu instid0(VALU_DEP_1) | instskip(SKIP_3) | instid1(VALU_DEP_2)
	v_fma_f64 v[146:147], v[28:29], s[0:1], v[24:25]
	s_mov_b32 s0, 0x3b39803f
	s_mov_b32 s1, 0xbc7abc9e
	v_cvt_i32_f64_e32 v150, v[28:29]
	v_fma_f64 v[146:147], v[28:29], s[0:1], v[146:147]
	s_mov_b32 s0, 0xfca7ab0c
	s_mov_b32 s1, 0x3e928af3
	s_delay_alu instid0(VALU_DEP_1) | instid1(SALU_CYCLE_1)
	v_fma_f64 v[148:149], v[146:147], s[6:7], s[0:1]
	s_mov_b32 s0, 0x623fde64
	s_mov_b32 s1, 0x3ec71dee
	s_delay_alu instid0(VALU_DEP_1) | instid1(SALU_CYCLE_1)
	;; [unrolled: 4-line block ×9, first 2 shown]
	v_fma_f64 v[148:149], v[146:147], v[148:149], s[0:1]
	v_cmp_nlt_f64_e64 s0, 0x40900000, v[24:25]
	v_cmp_ngt_f64_e64 s1, 0xc090cc00, v[24:25]
	s_delay_alu instid0(VALU_DEP_3) | instskip(NEXT) | instid1(VALU_DEP_1)
	v_fma_f64 v[148:149], v[146:147], v[148:149], 1.0
	v_fma_f64 v[28:29], v[146:147], v[148:149], 1.0
	s_delay_alu instid0(VALU_DEP_1) | instskip(NEXT) | instid1(VALU_DEP_1)
	v_ldexp_f64 v[28:29], v[28:29], v150
	v_cndmask_b32_e64 v29, 0x7ff00000, v29, s0
	s_and_b32 s0, s1, s0
	s_delay_alu instid0(VALU_DEP_2) | instid1(SALU_CYCLE_1)
	v_cndmask_b32_e64 v28, 0, v28, s0
	s_delay_alu instid0(VALU_DEP_2) | instskip(NEXT) | instid1(VALU_DEP_1)
	v_cndmask_b32_e64 v29, 0, v29, s1
	v_add_f64 v[62:63], v[62:63], v[28:29]
.LBB695_599:
	s_or_b32 exec_lo, exec_lo, s4
.LBB695_600:
	s_delay_alu instid0(SALU_CYCLE_1)
	s_or_b32 exec_lo, exec_lo, s3
	s_and_saveexec_b32 s3, s79
	s_cbranch_execz .LBB695_604
; %bb.601:
	global_load_u8 v24, v[4:5], off offset:1728
	v_mov_b32_e32 v26, 0
	s_waitcnt vmcnt(0)
	v_dual_mov_b32 v27, 0 :: v_dual_and_b32 v24, 1, v24
	s_delay_alu instid0(VALU_DEP_1) | instskip(NEXT) | instid1(VALU_DEP_1)
	v_cmp_eq_u32_e64 s0, 1, v24
	s_xor_b32 s0, s0, -1
	s_delay_alu instid0(SALU_CYCLE_1)
	s_and_saveexec_b32 s4, s0
	s_cbranch_execz .LBB695_603
; %bb.602:
	v_add_f64 v[22:23], v[22:23], -v[64:65]
	s_mov_b32 s0, 0x652b82fe
	s_mov_b32 s1, 0x3ff71547
	s_mov_b32 s6, 0x6a5dcb37
	s_mov_b32 s7, 0x3e5ade15
	s_delay_alu instid0(VALU_DEP_1) | instskip(SKIP_2) | instid1(VALU_DEP_1)
	v_mul_f64 v[24:25], v[22:23], s[0:1]
	s_mov_b32 s0, 0xfefa39ef
	s_mov_b32 s1, 0xbfe62e42
	v_rndne_f64_e32 v[24:25], v[24:25]
	s_delay_alu instid0(VALU_DEP_1) | instskip(SKIP_3) | instid1(VALU_DEP_2)
	v_fma_f64 v[26:27], v[24:25], s[0:1], v[22:23]
	s_mov_b32 s0, 0x3b39803f
	s_mov_b32 s1, 0xbc7abc9e
	v_cvt_i32_f64_e32 v148, v[24:25]
	v_fma_f64 v[26:27], v[24:25], s[0:1], v[26:27]
	s_mov_b32 s0, 0xfca7ab0c
	s_mov_b32 s1, 0x3e928af3
	s_delay_alu instid0(VALU_DEP_1) | instid1(SALU_CYCLE_1)
	v_fma_f64 v[146:147], v[26:27], s[6:7], s[0:1]
	s_mov_b32 s0, 0x623fde64
	s_mov_b32 s1, 0x3ec71dee
	s_delay_alu instid0(VALU_DEP_1) | instid1(SALU_CYCLE_1)
	;; [unrolled: 4-line block ×9, first 2 shown]
	v_fma_f64 v[146:147], v[26:27], v[146:147], s[0:1]
	v_cmp_nlt_f64_e64 s0, 0x40900000, v[22:23]
	v_cmp_ngt_f64_e64 s1, 0xc090cc00, v[22:23]
	s_delay_alu instid0(VALU_DEP_3) | instskip(NEXT) | instid1(VALU_DEP_1)
	v_fma_f64 v[146:147], v[26:27], v[146:147], 1.0
	v_fma_f64 v[24:25], v[26:27], v[146:147], 1.0
	s_delay_alu instid0(VALU_DEP_1) | instskip(NEXT) | instid1(VALU_DEP_1)
	v_ldexp_f64 v[24:25], v[24:25], v148
	v_cndmask_b32_e64 v25, 0x7ff00000, v25, s0
	s_and_b32 s0, s1, s0
	s_delay_alu instid0(VALU_DEP_2) | instid1(SALU_CYCLE_1)
	v_cndmask_b32_e64 v26, 0, v24, s0
	s_delay_alu instid0(VALU_DEP_2) | instskip(NEXT) | instid1(VALU_DEP_1)
	v_cndmask_b32_e64 v27, 0, v25, s1
	v_add_f64 v[62:63], v[62:63], v[26:27]
.LBB695_603:
	s_or_b32 exec_lo, exec_lo, s4
.LBB695_604:
	s_delay_alu instid0(SALU_CYCLE_1) | instskip(SKIP_2) | instid1(VALU_DEP_1)
	s_or_b32 exec_lo, exec_lo, s3
	v_mov_b32_e32 v22, 0
	v_mov_b32_e32 v23, 0
	v_dual_mov_b32 v25, v23 :: v_dual_mov_b32 v24, v22
	s_and_saveexec_b32 s3, s78
	s_cbranch_execz .LBB695_608
; %bb.605:
	global_load_u8 v24, v[4:5], off offset:1760
	s_waitcnt vmcnt(0)
	v_and_b32_e32 v24, 1, v24
	s_delay_alu instid0(VALU_DEP_1) | instskip(SKIP_2) | instid1(VALU_DEP_3)
	v_cmp_eq_u32_e64 s0, 1, v24
	v_mov_b32_e32 v24, 0
	v_mov_b32_e32 v25, 0
	s_xor_b32 s0, s0, -1
	s_delay_alu instid0(SALU_CYCLE_1)
	s_and_saveexec_b32 s4, s0
	s_cbranch_execz .LBB695_607
; %bb.606:
	v_add_f64 v[20:21], v[20:21], -v[64:65]
	s_mov_b32 s0, 0x652b82fe
	s_mov_b32 s1, 0x3ff71547
	;; [unrolled: 1-line block ×4, first 2 shown]
	s_delay_alu instid0(VALU_DEP_1) | instskip(SKIP_2) | instid1(VALU_DEP_1)
	v_mul_f64 v[24:25], v[20:21], s[0:1]
	s_mov_b32 s0, 0xfefa39ef
	s_mov_b32 s1, 0xbfe62e42
	v_rndne_f64_e32 v[24:25], v[24:25]
	s_delay_alu instid0(VALU_DEP_1) | instskip(SKIP_3) | instid1(VALU_DEP_2)
	v_fma_f64 v[146:147], v[24:25], s[0:1], v[20:21]
	s_mov_b32 s0, 0x3b39803f
	s_mov_b32 s1, 0xbc7abc9e
	v_cvt_i32_f64_e32 v150, v[24:25]
	v_fma_f64 v[146:147], v[24:25], s[0:1], v[146:147]
	s_mov_b32 s0, 0xfca7ab0c
	s_mov_b32 s1, 0x3e928af3
	s_delay_alu instid0(VALU_DEP_1) | instid1(SALU_CYCLE_1)
	v_fma_f64 v[148:149], v[146:147], s[6:7], s[0:1]
	s_mov_b32 s0, 0x623fde64
	s_mov_b32 s1, 0x3ec71dee
	s_delay_alu instid0(VALU_DEP_1) | instid1(SALU_CYCLE_1)
	;; [unrolled: 4-line block ×9, first 2 shown]
	v_fma_f64 v[148:149], v[146:147], v[148:149], s[0:1]
	v_cmp_nlt_f64_e64 s0, 0x40900000, v[20:21]
	v_cmp_ngt_f64_e64 s1, 0xc090cc00, v[20:21]
	s_delay_alu instid0(VALU_DEP_3) | instskip(NEXT) | instid1(VALU_DEP_1)
	v_fma_f64 v[148:149], v[146:147], v[148:149], 1.0
	v_fma_f64 v[24:25], v[146:147], v[148:149], 1.0
	s_delay_alu instid0(VALU_DEP_1) | instskip(NEXT) | instid1(VALU_DEP_1)
	v_ldexp_f64 v[24:25], v[24:25], v150
	v_cndmask_b32_e64 v25, 0x7ff00000, v25, s0
	s_and_b32 s0, s1, s0
	s_delay_alu instid0(VALU_DEP_2) | instid1(SALU_CYCLE_1)
	v_cndmask_b32_e64 v24, 0, v24, s0
	s_delay_alu instid0(VALU_DEP_2) | instskip(NEXT) | instid1(VALU_DEP_1)
	v_cndmask_b32_e64 v25, 0, v25, s1
	v_add_f64 v[62:63], v[62:63], v[24:25]
.LBB695_607:
	s_or_b32 exec_lo, exec_lo, s4
.LBB695_608:
	s_delay_alu instid0(SALU_CYCLE_1)
	s_or_b32 exec_lo, exec_lo, s3
	s_and_saveexec_b32 s3, s77
	s_cbranch_execz .LBB695_612
; %bb.609:
	global_load_u8 v20, v[4:5], off offset:1792
	v_mov_b32_e32 v22, 0
	s_waitcnt vmcnt(0)
	v_dual_mov_b32 v23, 0 :: v_dual_and_b32 v20, 1, v20
	s_delay_alu instid0(VALU_DEP_1) | instskip(NEXT) | instid1(VALU_DEP_1)
	v_cmp_eq_u32_e64 s0, 1, v20
	s_xor_b32 s0, s0, -1
	s_delay_alu instid0(SALU_CYCLE_1)
	s_and_saveexec_b32 s4, s0
	s_cbranch_execz .LBB695_611
; %bb.610:
	v_add_f64 v[18:19], v[18:19], -v[64:65]
	s_mov_b32 s0, 0x652b82fe
	s_mov_b32 s1, 0x3ff71547
	;; [unrolled: 1-line block ×4, first 2 shown]
	s_delay_alu instid0(VALU_DEP_1) | instskip(SKIP_2) | instid1(VALU_DEP_1)
	v_mul_f64 v[20:21], v[18:19], s[0:1]
	s_mov_b32 s0, 0xfefa39ef
	s_mov_b32 s1, 0xbfe62e42
	v_rndne_f64_e32 v[20:21], v[20:21]
	s_delay_alu instid0(VALU_DEP_1) | instskip(SKIP_3) | instid1(VALU_DEP_2)
	v_fma_f64 v[22:23], v[20:21], s[0:1], v[18:19]
	s_mov_b32 s0, 0x3b39803f
	s_mov_b32 s1, 0xbc7abc9e
	v_cvt_i32_f64_e32 v148, v[20:21]
	v_fma_f64 v[22:23], v[20:21], s[0:1], v[22:23]
	s_mov_b32 s0, 0xfca7ab0c
	s_mov_b32 s1, 0x3e928af3
	s_delay_alu instid0(VALU_DEP_1) | instid1(SALU_CYCLE_1)
	v_fma_f64 v[146:147], v[22:23], s[6:7], s[0:1]
	s_mov_b32 s0, 0x623fde64
	s_mov_b32 s1, 0x3ec71dee
	s_delay_alu instid0(VALU_DEP_1) | instid1(SALU_CYCLE_1)
	;; [unrolled: 4-line block ×9, first 2 shown]
	v_fma_f64 v[146:147], v[22:23], v[146:147], s[0:1]
	v_cmp_nlt_f64_e64 s0, 0x40900000, v[18:19]
	v_cmp_ngt_f64_e64 s1, 0xc090cc00, v[18:19]
	s_delay_alu instid0(VALU_DEP_3) | instskip(NEXT) | instid1(VALU_DEP_1)
	v_fma_f64 v[146:147], v[22:23], v[146:147], 1.0
	v_fma_f64 v[20:21], v[22:23], v[146:147], 1.0
	s_delay_alu instid0(VALU_DEP_1) | instskip(NEXT) | instid1(VALU_DEP_1)
	v_ldexp_f64 v[20:21], v[20:21], v148
	v_cndmask_b32_e64 v21, 0x7ff00000, v21, s0
	s_and_b32 s0, s1, s0
	s_delay_alu instid0(VALU_DEP_2) | instid1(SALU_CYCLE_1)
	v_cndmask_b32_e64 v22, 0, v20, s0
	s_delay_alu instid0(VALU_DEP_2) | instskip(NEXT) | instid1(VALU_DEP_1)
	v_cndmask_b32_e64 v23, 0, v21, s1
	v_add_f64 v[62:63], v[62:63], v[22:23]
.LBB695_611:
	s_or_b32 exec_lo, exec_lo, s4
.LBB695_612:
	s_delay_alu instid0(SALU_CYCLE_1) | instskip(SKIP_2) | instid1(VALU_DEP_1)
	s_or_b32 exec_lo, exec_lo, s3
	v_mov_b32_e32 v18, 0
	v_mov_b32_e32 v19, 0
	v_dual_mov_b32 v21, v19 :: v_dual_mov_b32 v20, v18
	s_and_saveexec_b32 s3, s76
	s_cbranch_execz .LBB695_616
; %bb.613:
	global_load_u8 v20, v[4:5], off offset:1824
	s_waitcnt vmcnt(0)
	v_and_b32_e32 v20, 1, v20
	s_delay_alu instid0(VALU_DEP_1) | instskip(SKIP_2) | instid1(VALU_DEP_3)
	v_cmp_eq_u32_e64 s0, 1, v20
	v_mov_b32_e32 v20, 0
	v_mov_b32_e32 v21, 0
	s_xor_b32 s0, s0, -1
	s_delay_alu instid0(SALU_CYCLE_1)
	s_and_saveexec_b32 s4, s0
	s_cbranch_execz .LBB695_615
; %bb.614:
	v_add_f64 v[16:17], v[16:17], -v[64:65]
	s_mov_b32 s0, 0x652b82fe
	s_mov_b32 s1, 0x3ff71547
	;; [unrolled: 1-line block ×4, first 2 shown]
	s_delay_alu instid0(VALU_DEP_1) | instskip(SKIP_2) | instid1(VALU_DEP_1)
	v_mul_f64 v[20:21], v[16:17], s[0:1]
	s_mov_b32 s0, 0xfefa39ef
	s_mov_b32 s1, 0xbfe62e42
	v_rndne_f64_e32 v[20:21], v[20:21]
	s_delay_alu instid0(VALU_DEP_1) | instskip(SKIP_3) | instid1(VALU_DEP_2)
	v_fma_f64 v[146:147], v[20:21], s[0:1], v[16:17]
	s_mov_b32 s0, 0x3b39803f
	s_mov_b32 s1, 0xbc7abc9e
	v_cvt_i32_f64_e32 v150, v[20:21]
	v_fma_f64 v[146:147], v[20:21], s[0:1], v[146:147]
	s_mov_b32 s0, 0xfca7ab0c
	s_mov_b32 s1, 0x3e928af3
	s_delay_alu instid0(VALU_DEP_1) | instid1(SALU_CYCLE_1)
	v_fma_f64 v[148:149], v[146:147], s[6:7], s[0:1]
	s_mov_b32 s0, 0x623fde64
	s_mov_b32 s1, 0x3ec71dee
	s_delay_alu instid0(VALU_DEP_1) | instid1(SALU_CYCLE_1)
	;; [unrolled: 4-line block ×9, first 2 shown]
	v_fma_f64 v[148:149], v[146:147], v[148:149], s[0:1]
	v_cmp_nlt_f64_e64 s0, 0x40900000, v[16:17]
	v_cmp_ngt_f64_e64 s1, 0xc090cc00, v[16:17]
	s_delay_alu instid0(VALU_DEP_3) | instskip(NEXT) | instid1(VALU_DEP_1)
	v_fma_f64 v[148:149], v[146:147], v[148:149], 1.0
	v_fma_f64 v[20:21], v[146:147], v[148:149], 1.0
	s_delay_alu instid0(VALU_DEP_1) | instskip(NEXT) | instid1(VALU_DEP_1)
	v_ldexp_f64 v[20:21], v[20:21], v150
	v_cndmask_b32_e64 v21, 0x7ff00000, v21, s0
	s_and_b32 s0, s1, s0
	s_delay_alu instid0(VALU_DEP_2) | instid1(SALU_CYCLE_1)
	v_cndmask_b32_e64 v20, 0, v20, s0
	s_delay_alu instid0(VALU_DEP_2) | instskip(NEXT) | instid1(VALU_DEP_1)
	v_cndmask_b32_e64 v21, 0, v21, s1
	v_add_f64 v[62:63], v[62:63], v[20:21]
.LBB695_615:
	s_or_b32 exec_lo, exec_lo, s4
.LBB695_616:
	s_delay_alu instid0(SALU_CYCLE_1)
	s_or_b32 exec_lo, exec_lo, s3
	s_and_saveexec_b32 s3, s75
	s_cbranch_execz .LBB695_620
; %bb.617:
	global_load_u8 v16, v[4:5], off offset:1856
	v_mov_b32_e32 v18, 0
	s_waitcnt vmcnt(0)
	v_dual_mov_b32 v19, 0 :: v_dual_and_b32 v16, 1, v16
	s_delay_alu instid0(VALU_DEP_1) | instskip(NEXT) | instid1(VALU_DEP_1)
	v_cmp_eq_u32_e64 s0, 1, v16
	s_xor_b32 s0, s0, -1
	s_delay_alu instid0(SALU_CYCLE_1)
	s_and_saveexec_b32 s4, s0
	s_cbranch_execz .LBB695_619
; %bb.618:
	v_add_f64 v[14:15], v[14:15], -v[64:65]
	s_mov_b32 s0, 0x652b82fe
	s_mov_b32 s1, 0x3ff71547
	;; [unrolled: 1-line block ×4, first 2 shown]
	s_delay_alu instid0(VALU_DEP_1) | instskip(SKIP_2) | instid1(VALU_DEP_1)
	v_mul_f64 v[16:17], v[14:15], s[0:1]
	s_mov_b32 s0, 0xfefa39ef
	s_mov_b32 s1, 0xbfe62e42
	v_rndne_f64_e32 v[16:17], v[16:17]
	s_delay_alu instid0(VALU_DEP_1) | instskip(SKIP_3) | instid1(VALU_DEP_2)
	v_fma_f64 v[18:19], v[16:17], s[0:1], v[14:15]
	s_mov_b32 s0, 0x3b39803f
	s_mov_b32 s1, 0xbc7abc9e
	v_cvt_i32_f64_e32 v148, v[16:17]
	v_fma_f64 v[18:19], v[16:17], s[0:1], v[18:19]
	s_mov_b32 s0, 0xfca7ab0c
	s_mov_b32 s1, 0x3e928af3
	s_delay_alu instid0(VALU_DEP_1) | instid1(SALU_CYCLE_1)
	v_fma_f64 v[146:147], v[18:19], s[6:7], s[0:1]
	s_mov_b32 s0, 0x623fde64
	s_mov_b32 s1, 0x3ec71dee
	s_delay_alu instid0(VALU_DEP_1) | instid1(SALU_CYCLE_1)
	;; [unrolled: 4-line block ×9, first 2 shown]
	v_fma_f64 v[146:147], v[18:19], v[146:147], s[0:1]
	v_cmp_nlt_f64_e64 s0, 0x40900000, v[14:15]
	v_cmp_ngt_f64_e64 s1, 0xc090cc00, v[14:15]
	s_delay_alu instid0(VALU_DEP_3) | instskip(NEXT) | instid1(VALU_DEP_1)
	v_fma_f64 v[146:147], v[18:19], v[146:147], 1.0
	v_fma_f64 v[16:17], v[18:19], v[146:147], 1.0
	s_delay_alu instid0(VALU_DEP_1) | instskip(NEXT) | instid1(VALU_DEP_1)
	v_ldexp_f64 v[16:17], v[16:17], v148
	v_cndmask_b32_e64 v17, 0x7ff00000, v17, s0
	s_and_b32 s0, s1, s0
	s_delay_alu instid0(VALU_DEP_2) | instid1(SALU_CYCLE_1)
	v_cndmask_b32_e64 v18, 0, v16, s0
	s_delay_alu instid0(VALU_DEP_2) | instskip(NEXT) | instid1(VALU_DEP_1)
	v_cndmask_b32_e64 v19, 0, v17, s1
	v_add_f64 v[62:63], v[62:63], v[18:19]
.LBB695_619:
	s_or_b32 exec_lo, exec_lo, s4
.LBB695_620:
	s_delay_alu instid0(SALU_CYCLE_1) | instskip(SKIP_2) | instid1(VALU_DEP_1)
	s_or_b32 exec_lo, exec_lo, s3
	v_mov_b32_e32 v14, 0
	v_mov_b32_e32 v15, 0
	v_dual_mov_b32 v17, v15 :: v_dual_mov_b32 v16, v14
	s_and_saveexec_b32 s3, s73
	s_cbranch_execz .LBB695_624
; %bb.621:
	global_load_u8 v16, v[4:5], off offset:1888
	s_waitcnt vmcnt(0)
	v_and_b32_e32 v16, 1, v16
	s_delay_alu instid0(VALU_DEP_1) | instskip(SKIP_2) | instid1(VALU_DEP_3)
	v_cmp_eq_u32_e64 s0, 1, v16
	v_mov_b32_e32 v16, 0
	v_mov_b32_e32 v17, 0
	s_xor_b32 s0, s0, -1
	s_delay_alu instid0(SALU_CYCLE_1)
	s_and_saveexec_b32 s4, s0
	s_cbranch_execz .LBB695_623
; %bb.622:
	v_add_f64 v[12:13], v[12:13], -v[64:65]
	s_mov_b32 s0, 0x652b82fe
	s_mov_b32 s1, 0x3ff71547
	;; [unrolled: 1-line block ×4, first 2 shown]
	s_delay_alu instid0(VALU_DEP_1) | instskip(SKIP_2) | instid1(VALU_DEP_1)
	v_mul_f64 v[16:17], v[12:13], s[0:1]
	s_mov_b32 s0, 0xfefa39ef
	s_mov_b32 s1, 0xbfe62e42
	v_rndne_f64_e32 v[16:17], v[16:17]
	s_delay_alu instid0(VALU_DEP_1) | instskip(SKIP_3) | instid1(VALU_DEP_2)
	v_fma_f64 v[146:147], v[16:17], s[0:1], v[12:13]
	s_mov_b32 s0, 0x3b39803f
	s_mov_b32 s1, 0xbc7abc9e
	v_cvt_i32_f64_e32 v150, v[16:17]
	v_fma_f64 v[146:147], v[16:17], s[0:1], v[146:147]
	s_mov_b32 s0, 0xfca7ab0c
	s_mov_b32 s1, 0x3e928af3
	s_delay_alu instid0(VALU_DEP_1) | instid1(SALU_CYCLE_1)
	v_fma_f64 v[148:149], v[146:147], s[6:7], s[0:1]
	s_mov_b32 s0, 0x623fde64
	s_mov_b32 s1, 0x3ec71dee
	s_delay_alu instid0(VALU_DEP_1) | instid1(SALU_CYCLE_1)
	;; [unrolled: 4-line block ×9, first 2 shown]
	v_fma_f64 v[148:149], v[146:147], v[148:149], s[0:1]
	v_cmp_nlt_f64_e64 s0, 0x40900000, v[12:13]
	v_cmp_ngt_f64_e64 s1, 0xc090cc00, v[12:13]
	s_delay_alu instid0(VALU_DEP_3) | instskip(NEXT) | instid1(VALU_DEP_1)
	v_fma_f64 v[148:149], v[146:147], v[148:149], 1.0
	v_fma_f64 v[16:17], v[146:147], v[148:149], 1.0
	s_delay_alu instid0(VALU_DEP_1) | instskip(NEXT) | instid1(VALU_DEP_1)
	v_ldexp_f64 v[16:17], v[16:17], v150
	v_cndmask_b32_e64 v17, 0x7ff00000, v17, s0
	s_and_b32 s0, s1, s0
	s_delay_alu instid0(VALU_DEP_2) | instid1(SALU_CYCLE_1)
	v_cndmask_b32_e64 v16, 0, v16, s0
	s_delay_alu instid0(VALU_DEP_2) | instskip(NEXT) | instid1(VALU_DEP_1)
	v_cndmask_b32_e64 v17, 0, v17, s1
	v_add_f64 v[62:63], v[62:63], v[16:17]
.LBB695_623:
	s_or_b32 exec_lo, exec_lo, s4
.LBB695_624:
	s_delay_alu instid0(SALU_CYCLE_1)
	s_or_b32 exec_lo, exec_lo, s3
	s_and_saveexec_b32 s3, s72
	s_cbranch_execz .LBB695_628
; %bb.625:
	global_load_u8 v12, v[4:5], off offset:1920
	v_mov_b32_e32 v14, 0
	s_waitcnt vmcnt(0)
	v_dual_mov_b32 v15, 0 :: v_dual_and_b32 v12, 1, v12
	s_delay_alu instid0(VALU_DEP_1) | instskip(NEXT) | instid1(VALU_DEP_1)
	v_cmp_eq_u32_e64 s0, 1, v12
	s_xor_b32 s0, s0, -1
	s_delay_alu instid0(SALU_CYCLE_1)
	s_and_saveexec_b32 s4, s0
	s_cbranch_execz .LBB695_627
; %bb.626:
	v_add_f64 v[10:11], v[10:11], -v[64:65]
	s_mov_b32 s0, 0x652b82fe
	s_mov_b32 s1, 0x3ff71547
	s_mov_b32 s6, 0x6a5dcb37
	s_mov_b32 s7, 0x3e5ade15
	s_delay_alu instid0(VALU_DEP_1) | instskip(SKIP_2) | instid1(VALU_DEP_1)
	v_mul_f64 v[12:13], v[10:11], s[0:1]
	s_mov_b32 s0, 0xfefa39ef
	s_mov_b32 s1, 0xbfe62e42
	v_rndne_f64_e32 v[12:13], v[12:13]
	s_delay_alu instid0(VALU_DEP_1) | instskip(SKIP_3) | instid1(VALU_DEP_2)
	v_fma_f64 v[14:15], v[12:13], s[0:1], v[10:11]
	s_mov_b32 s0, 0x3b39803f
	s_mov_b32 s1, 0xbc7abc9e
	v_cvt_i32_f64_e32 v148, v[12:13]
	v_fma_f64 v[14:15], v[12:13], s[0:1], v[14:15]
	s_mov_b32 s0, 0xfca7ab0c
	s_mov_b32 s1, 0x3e928af3
	s_delay_alu instid0(VALU_DEP_1) | instid1(SALU_CYCLE_1)
	v_fma_f64 v[146:147], v[14:15], s[6:7], s[0:1]
	s_mov_b32 s0, 0x623fde64
	s_mov_b32 s1, 0x3ec71dee
	s_delay_alu instid0(VALU_DEP_1) | instid1(SALU_CYCLE_1)
	;; [unrolled: 4-line block ×9, first 2 shown]
	v_fma_f64 v[146:147], v[14:15], v[146:147], s[0:1]
	v_cmp_nlt_f64_e64 s0, 0x40900000, v[10:11]
	v_cmp_ngt_f64_e64 s1, 0xc090cc00, v[10:11]
	s_delay_alu instid0(VALU_DEP_3) | instskip(NEXT) | instid1(VALU_DEP_1)
	v_fma_f64 v[146:147], v[14:15], v[146:147], 1.0
	v_fma_f64 v[12:13], v[14:15], v[146:147], 1.0
	s_delay_alu instid0(VALU_DEP_1) | instskip(NEXT) | instid1(VALU_DEP_1)
	v_ldexp_f64 v[12:13], v[12:13], v148
	v_cndmask_b32_e64 v13, 0x7ff00000, v13, s0
	s_and_b32 s0, s1, s0
	s_delay_alu instid0(VALU_DEP_2) | instid1(SALU_CYCLE_1)
	v_cndmask_b32_e64 v14, 0, v12, s0
	s_delay_alu instid0(VALU_DEP_2) | instskip(NEXT) | instid1(VALU_DEP_1)
	v_cndmask_b32_e64 v15, 0, v13, s1
	v_add_f64 v[62:63], v[62:63], v[14:15]
.LBB695_627:
	s_or_b32 exec_lo, exec_lo, s4
.LBB695_628:
	s_delay_alu instid0(SALU_CYCLE_1) | instskip(SKIP_2) | instid1(VALU_DEP_1)
	s_or_b32 exec_lo, exec_lo, s3
	v_mov_b32_e32 v10, 0
	v_mov_b32_e32 v11, 0
	v_dual_mov_b32 v13, v11 :: v_dual_mov_b32 v12, v10
	s_and_saveexec_b32 s3, s71
	s_cbranch_execz .LBB695_632
; %bb.629:
	global_load_u8 v12, v[4:5], off offset:1952
	s_waitcnt vmcnt(0)
	v_and_b32_e32 v12, 1, v12
	s_delay_alu instid0(VALU_DEP_1) | instskip(SKIP_2) | instid1(VALU_DEP_3)
	v_cmp_eq_u32_e64 s0, 1, v12
	v_mov_b32_e32 v12, 0
	v_mov_b32_e32 v13, 0
	s_xor_b32 s0, s0, -1
	s_delay_alu instid0(SALU_CYCLE_1)
	s_and_saveexec_b32 s4, s0
	s_cbranch_execz .LBB695_631
; %bb.630:
	v_add_f64 v[8:9], v[8:9], -v[64:65]
	s_mov_b32 s0, 0x652b82fe
	s_mov_b32 s1, 0x3ff71547
	;; [unrolled: 1-line block ×4, first 2 shown]
	s_delay_alu instid0(VALU_DEP_1) | instskip(SKIP_2) | instid1(VALU_DEP_1)
	v_mul_f64 v[12:13], v[8:9], s[0:1]
	s_mov_b32 s0, 0xfefa39ef
	s_mov_b32 s1, 0xbfe62e42
	v_rndne_f64_e32 v[12:13], v[12:13]
	s_delay_alu instid0(VALU_DEP_1) | instskip(SKIP_3) | instid1(VALU_DEP_2)
	v_fma_f64 v[146:147], v[12:13], s[0:1], v[8:9]
	s_mov_b32 s0, 0x3b39803f
	s_mov_b32 s1, 0xbc7abc9e
	v_cvt_i32_f64_e32 v150, v[12:13]
	v_fma_f64 v[146:147], v[12:13], s[0:1], v[146:147]
	s_mov_b32 s0, 0xfca7ab0c
	s_mov_b32 s1, 0x3e928af3
	s_delay_alu instid0(VALU_DEP_1) | instid1(SALU_CYCLE_1)
	v_fma_f64 v[148:149], v[146:147], s[6:7], s[0:1]
	s_mov_b32 s0, 0x623fde64
	s_mov_b32 s1, 0x3ec71dee
	s_delay_alu instid0(VALU_DEP_1) | instid1(SALU_CYCLE_1)
	v_fma_f64 v[148:149], v[146:147], v[148:149], s[0:1]
	s_mov_b32 s0, 0x7c89e6b0
	s_mov_b32 s1, 0x3efa0199
	s_delay_alu instid0(VALU_DEP_1) | instid1(SALU_CYCLE_1)
	v_fma_f64 v[148:149], v[146:147], v[148:149], s[0:1]
	s_mov_b32 s0, 0x14761f6e
	s_mov_b32 s1, 0x3f2a01a0
	s_delay_alu instid0(VALU_DEP_1) | instid1(SALU_CYCLE_1)
	v_fma_f64 v[148:149], v[146:147], v[148:149], s[0:1]
	s_mov_b32 s0, 0x1852b7b0
	s_mov_b32 s1, 0x3f56c16c
	s_delay_alu instid0(VALU_DEP_1) | instid1(SALU_CYCLE_1)
	v_fma_f64 v[148:149], v[146:147], v[148:149], s[0:1]
	s_mov_b32 s0, 0x11122322
	s_mov_b32 s1, 0x3f811111
	s_delay_alu instid0(VALU_DEP_1) | instid1(SALU_CYCLE_1)
	v_fma_f64 v[148:149], v[146:147], v[148:149], s[0:1]
	s_mov_b32 s0, 0x555502a1
	s_mov_b32 s1, 0x3fa55555
	s_delay_alu instid0(VALU_DEP_1) | instid1(SALU_CYCLE_1)
	v_fma_f64 v[148:149], v[146:147], v[148:149], s[0:1]
	s_mov_b32 s0, 0x55555511
	s_mov_b32 s1, 0x3fc55555
	s_delay_alu instid0(VALU_DEP_1) | instid1(SALU_CYCLE_1)
	v_fma_f64 v[148:149], v[146:147], v[148:149], s[0:1]
	s_mov_b32 s0, 11
	s_mov_b32 s1, 0x3fe00000
	s_delay_alu instid0(VALU_DEP_1) | instid1(SALU_CYCLE_1)
	v_fma_f64 v[148:149], v[146:147], v[148:149], s[0:1]
	v_cmp_nlt_f64_e64 s0, 0x40900000, v[8:9]
	v_cmp_ngt_f64_e64 s1, 0xc090cc00, v[8:9]
	s_delay_alu instid0(VALU_DEP_3) | instskip(NEXT) | instid1(VALU_DEP_1)
	v_fma_f64 v[148:149], v[146:147], v[148:149], 1.0
	v_fma_f64 v[12:13], v[146:147], v[148:149], 1.0
	s_delay_alu instid0(VALU_DEP_1) | instskip(NEXT) | instid1(VALU_DEP_1)
	v_ldexp_f64 v[12:13], v[12:13], v150
	v_cndmask_b32_e64 v13, 0x7ff00000, v13, s0
	s_and_b32 s0, s1, s0
	s_delay_alu instid0(VALU_DEP_2) | instid1(SALU_CYCLE_1)
	v_cndmask_b32_e64 v12, 0, v12, s0
	s_delay_alu instid0(VALU_DEP_2) | instskip(NEXT) | instid1(VALU_DEP_1)
	v_cndmask_b32_e64 v13, 0, v13, s1
	v_add_f64 v[62:63], v[62:63], v[12:13]
.LBB695_631:
	s_or_b32 exec_lo, exec_lo, s4
.LBB695_632:
	s_delay_alu instid0(SALU_CYCLE_1)
	s_or_b32 exec_lo, exec_lo, s3
	s_and_saveexec_b32 s3, s70
	s_cbranch_execz .LBB695_636
; %bb.633:
	global_load_u8 v8, v[4:5], off offset:1984
	v_mov_b32_e32 v10, 0
	s_waitcnt vmcnt(0)
	v_dual_mov_b32 v11, 0 :: v_dual_and_b32 v8, 1, v8
	s_delay_alu instid0(VALU_DEP_1) | instskip(NEXT) | instid1(VALU_DEP_1)
	v_cmp_eq_u32_e64 s0, 1, v8
	s_xor_b32 s0, s0, -1
	s_delay_alu instid0(SALU_CYCLE_1)
	s_and_saveexec_b32 s4, s0
	s_cbranch_execz .LBB695_635
; %bb.634:
	v_add_f64 v[6:7], v[6:7], -v[64:65]
	s_mov_b32 s0, 0x652b82fe
	s_mov_b32 s1, 0x3ff71547
	;; [unrolled: 1-line block ×4, first 2 shown]
	s_delay_alu instid0(VALU_DEP_1) | instskip(SKIP_2) | instid1(VALU_DEP_1)
	v_mul_f64 v[8:9], v[6:7], s[0:1]
	s_mov_b32 s0, 0xfefa39ef
	s_mov_b32 s1, 0xbfe62e42
	v_rndne_f64_e32 v[8:9], v[8:9]
	s_delay_alu instid0(VALU_DEP_1) | instskip(SKIP_3) | instid1(VALU_DEP_2)
	v_fma_f64 v[10:11], v[8:9], s[0:1], v[6:7]
	s_mov_b32 s0, 0x3b39803f
	s_mov_b32 s1, 0xbc7abc9e
	v_cvt_i32_f64_e32 v148, v[8:9]
	v_fma_f64 v[10:11], v[8:9], s[0:1], v[10:11]
	s_mov_b32 s0, 0xfca7ab0c
	s_mov_b32 s1, 0x3e928af3
	s_delay_alu instid0(VALU_DEP_1) | instid1(SALU_CYCLE_1)
	v_fma_f64 v[146:147], v[10:11], s[6:7], s[0:1]
	s_mov_b32 s0, 0x623fde64
	s_mov_b32 s1, 0x3ec71dee
	s_delay_alu instid0(VALU_DEP_1) | instid1(SALU_CYCLE_1)
	;; [unrolled: 4-line block ×9, first 2 shown]
	v_fma_f64 v[146:147], v[10:11], v[146:147], s[0:1]
	v_cmp_nlt_f64_e64 s0, 0x40900000, v[6:7]
	v_cmp_ngt_f64_e64 s1, 0xc090cc00, v[6:7]
	s_delay_alu instid0(VALU_DEP_3) | instskip(NEXT) | instid1(VALU_DEP_1)
	v_fma_f64 v[146:147], v[10:11], v[146:147], 1.0
	v_fma_f64 v[8:9], v[10:11], v[146:147], 1.0
	s_delay_alu instid0(VALU_DEP_1) | instskip(NEXT) | instid1(VALU_DEP_1)
	v_ldexp_f64 v[8:9], v[8:9], v148
	v_cndmask_b32_e64 v9, 0x7ff00000, v9, s0
	s_and_b32 s0, s1, s0
	s_delay_alu instid0(VALU_DEP_2) | instid1(SALU_CYCLE_1)
	v_cndmask_b32_e64 v10, 0, v8, s0
	s_delay_alu instid0(VALU_DEP_2) | instskip(NEXT) | instid1(VALU_DEP_1)
	v_cndmask_b32_e64 v11, 0, v9, s1
	v_add_f64 v[62:63], v[62:63], v[10:11]
.LBB695_635:
	s_or_b32 exec_lo, exec_lo, s4
.LBB695_636:
	s_delay_alu instid0(SALU_CYCLE_1)
	s_or_b32 exec_lo, exec_lo, s3
	v_mov_b32_e32 v6, 0
	v_mov_b32_e32 v7, 0
	s_and_saveexec_b32 s3, s67
	s_cbranch_execz .LBB695_640
; %bb.637:
	global_load_u8 v4, v[4:5], off offset:2016
	v_mov_b32_e32 v6, 0
	s_waitcnt vmcnt(0)
	v_dual_mov_b32 v7, 0 :: v_dual_and_b32 v4, 1, v4
	s_delay_alu instid0(VALU_DEP_1) | instskip(NEXT) | instid1(VALU_DEP_1)
	v_cmp_eq_u32_e64 s0, 1, v4
	s_xor_b32 s0, s0, -1
	s_delay_alu instid0(SALU_CYCLE_1)
	s_and_saveexec_b32 s4, s0
	s_cbranch_execz .LBB695_639
; %bb.638:
	v_add_f64 v[2:3], v[2:3], -v[64:65]
	s_mov_b32 s0, 0x652b82fe
	s_mov_b32 s1, 0x3ff71547
	;; [unrolled: 1-line block ×4, first 2 shown]
	s_delay_alu instid0(VALU_DEP_1) | instskip(SKIP_2) | instid1(VALU_DEP_1)
	v_mul_f64 v[4:5], v[2:3], s[0:1]
	s_mov_b32 s0, 0xfefa39ef
	s_mov_b32 s1, 0xbfe62e42
	v_rndne_f64_e32 v[4:5], v[4:5]
	s_delay_alu instid0(VALU_DEP_1) | instskip(SKIP_3) | instid1(VALU_DEP_2)
	v_fma_f64 v[6:7], v[4:5], s[0:1], v[2:3]
	s_mov_b32 s0, 0x3b39803f
	s_mov_b32 s1, 0xbc7abc9e
	v_cvt_i32_f64_e32 v64, v[4:5]
	v_fma_f64 v[6:7], v[4:5], s[0:1], v[6:7]
	s_mov_b32 s0, 0xfca7ab0c
	s_mov_b32 s1, 0x3e928af3
	s_delay_alu instid0(VALU_DEP_1) | instid1(SALU_CYCLE_1)
	v_fma_f64 v[8:9], v[6:7], s[6:7], s[0:1]
	s_mov_b32 s0, 0x623fde64
	s_mov_b32 s1, 0x3ec71dee
	s_delay_alu instid0(VALU_DEP_1) | instid1(SALU_CYCLE_1)
	;; [unrolled: 4-line block ×9, first 2 shown]
	v_fma_f64 v[8:9], v[6:7], v[8:9], s[0:1]
	v_cmp_nlt_f64_e64 s0, 0x40900000, v[2:3]
	v_cmp_ngt_f64_e64 s1, 0xc090cc00, v[2:3]
	s_delay_alu instid0(VALU_DEP_3) | instskip(NEXT) | instid1(VALU_DEP_1)
	v_fma_f64 v[8:9], v[6:7], v[8:9], 1.0
	v_fma_f64 v[4:5], v[6:7], v[8:9], 1.0
	s_delay_alu instid0(VALU_DEP_1) | instskip(NEXT) | instid1(VALU_DEP_1)
	v_ldexp_f64 v[4:5], v[4:5], v64
	v_cndmask_b32_e64 v5, 0x7ff00000, v5, s0
	s_and_b32 s0, s1, s0
	s_delay_alu instid0(VALU_DEP_2) | instid1(SALU_CYCLE_1)
	v_cndmask_b32_e64 v6, 0, v4, s0
	s_delay_alu instid0(VALU_DEP_2) | instskip(NEXT) | instid1(VALU_DEP_1)
	v_cndmask_b32_e64 v7, 0, v5, s1
	v_add_f64 v[62:63], v[62:63], v[6:7]
.LBB695_639:
	s_or_b32 exec_lo, exec_lo, s4
.LBB695_640:
	s_delay_alu instid0(SALU_CYCLE_1)
	s_or_b32 exec_lo, exec_lo, s3
	ds_bpermute_b32 v2, v141, v62
	ds_bpermute_b32 v3, v141, v63
	s_mov_b32 s1, exec_lo
	s_waitcnt lgkmcnt(0)
	v_add_f64 v[2:3], v[62:63], v[2:3]
	ds_bpermute_b32 v4, v142, v2
	ds_bpermute_b32 v5, v142, v3
	s_waitcnt lgkmcnt(0)
	v_add_f64 v[2:3], v[2:3], v[4:5]
	ds_bpermute_b32 v4, v143, v2
	ds_bpermute_b32 v5, v143, v3
	s_waitcnt lgkmcnt(0)
	v_add_f64 v[2:3], v[2:3], v[4:5]
	ds_bpermute_b32 v4, v144, v2
	ds_bpermute_b32 v5, v144, v3
	s_waitcnt lgkmcnt(0)
	v_add_f64 v[2:3], v[2:3], v[4:5]
	ds_bpermute_b32 v4, v145, v2
	ds_bpermute_b32 v5, v145, v3
	v_cmpx_lt_i32_e32 0, v140
	s_cbranch_execz .LBB695_706
; %bb.641:
	s_and_b32 exec_lo, exec_lo, vcc_lo
	s_cbranch_execz .LBB695_706
; %bb.642:
	s_waitcnt lgkmcnt(0)
	v_add_f64 v[2:3], v[2:3], v[4:5]
	v_readlane_b32 s4, v151, 0
	v_readlane_b32 s5, v151, 1
	;; [unrolled: 1-line block ×4, first 2 shown]
	v_div_scale_f64 v[4:5], null, v[2:3], v[2:3], v[58:59]
	v_div_scale_f64 v[64:65], vcc_lo, v[58:59], v[2:3], v[58:59]
	v_cmp_eq_f64_e64 s0, 0, v[2:3]
	s_delay_alu instid0(VALU_DEP_3) | instskip(SKIP_2) | instid1(VALU_DEP_1)
	v_rcp_f64_e32 v[8:9], v[4:5]
	s_waitcnt_depctr 0xfff
	v_fma_f64 v[62:63], -v[4:5], v[8:9], 1.0
	v_fma_f64 v[8:9], v[8:9], v[62:63], v[8:9]
	s_delay_alu instid0(VALU_DEP_1) | instskip(NEXT) | instid1(VALU_DEP_1)
	v_fma_f64 v[62:63], -v[4:5], v[8:9], 1.0
	v_fma_f64 v[8:9], v[8:9], v[62:63], v[8:9]
	s_delay_alu instid0(VALU_DEP_1) | instskip(NEXT) | instid1(VALU_DEP_1)
	v_mul_f64 v[62:63], v[64:65], v[8:9]
	v_fma_f64 v[4:5], -v[4:5], v[62:63], v[64:65]
	s_delay_alu instid0(VALU_DEP_1) | instskip(SKIP_2) | instid1(VALU_DEP_3)
	v_div_fmas_f64 v[4:5], v[4:5], v[8:9], v[62:63]
	v_add_co_u32 v0, vcc_lo, s4, v0
	v_add_co_ci_u32_e32 v1, vcc_lo, s5, v1, vcc_lo
	v_div_fixup_f64 v[4:5], v[4:5], v[2:3], v[58:59]
	s_delay_alu instid0(VALU_DEP_1) | instskip(NEXT) | instid1(VALU_DEP_2)
	v_cndmask_b32_e64 v5, v5, 0x7ff80000, s0
	v_cndmask_b32_e64 v4, v4, 0, s0
	global_store_b64 v[0:1], v[4:5], off
	s_and_b32 exec_lo, exec_lo, s65
	s_cbranch_execz .LBB695_706
; %bb.643:
	v_div_scale_f64 v[4:5], null, v[2:3], v[2:3], v[66:67]
	v_div_scale_f64 v[62:63], vcc_lo, v[66:67], v[2:3], v[66:67]
	s_delay_alu instid0(VALU_DEP_2) | instskip(SKIP_2) | instid1(VALU_DEP_1)
	v_rcp_f64_e32 v[8:9], v[4:5]
	s_waitcnt_depctr 0xfff
	v_fma_f64 v[58:59], -v[4:5], v[8:9], 1.0
	v_fma_f64 v[8:9], v[8:9], v[58:59], v[8:9]
	s_delay_alu instid0(VALU_DEP_1) | instskip(NEXT) | instid1(VALU_DEP_1)
	v_fma_f64 v[58:59], -v[4:5], v[8:9], 1.0
	v_fma_f64 v[8:9], v[8:9], v[58:59], v[8:9]
	s_delay_alu instid0(VALU_DEP_1) | instskip(NEXT) | instid1(VALU_DEP_1)
	v_mul_f64 v[58:59], v[62:63], v[8:9]
	v_fma_f64 v[4:5], -v[4:5], v[58:59], v[62:63]
	s_delay_alu instid0(VALU_DEP_1) | instskip(NEXT) | instid1(VALU_DEP_1)
	v_div_fmas_f64 v[4:5], v[4:5], v[8:9], v[58:59]
	v_div_fixup_f64 v[4:5], v[4:5], v[2:3], v[66:67]
	s_delay_alu instid0(VALU_DEP_1) | instskip(NEXT) | instid1(VALU_DEP_2)
	v_cndmask_b32_e64 v5, v5, 0x7ff80000, s0
	v_cndmask_b32_e64 v4, v4, 0, s0
	global_store_b64 v[0:1], v[4:5], off offset:256
	s_and_b32 exec_lo, exec_lo, s64
	s_cbranch_execz .LBB695_706
; %bb.644:
	v_div_scale_f64 v[4:5], null, v[2:3], v[2:3], v[54:55]
	v_div_scale_f64 v[62:63], vcc_lo, v[54:55], v[2:3], v[54:55]
	s_delay_alu instid0(VALU_DEP_2) | instskip(SKIP_2) | instid1(VALU_DEP_1)
	v_rcp_f64_e32 v[8:9], v[4:5]
	s_waitcnt_depctr 0xfff
	v_fma_f64 v[58:59], -v[4:5], v[8:9], 1.0
	v_fma_f64 v[8:9], v[8:9], v[58:59], v[8:9]
	s_delay_alu instid0(VALU_DEP_1) | instskip(NEXT) | instid1(VALU_DEP_1)
	v_fma_f64 v[58:59], -v[4:5], v[8:9], 1.0
	v_fma_f64 v[8:9], v[8:9], v[58:59], v[8:9]
	s_delay_alu instid0(VALU_DEP_1) | instskip(NEXT) | instid1(VALU_DEP_1)
	v_mul_f64 v[58:59], v[62:63], v[8:9]
	v_fma_f64 v[4:5], -v[4:5], v[58:59], v[62:63]
	s_delay_alu instid0(VALU_DEP_1) | instskip(NEXT) | instid1(VALU_DEP_1)
	v_div_fmas_f64 v[4:5], v[4:5], v[8:9], v[58:59]
	v_div_fixup_f64 v[4:5], v[4:5], v[2:3], v[54:55]
	s_delay_alu instid0(VALU_DEP_1) | instskip(NEXT) | instid1(VALU_DEP_2)
	v_cndmask_b32_e64 v5, v5, 0x7ff80000, s0
	v_cndmask_b32_e64 v4, v4, 0, s0
	global_store_b64 v[0:1], v[4:5], off offset:512
	;; [unrolled: 23-line block ×15, first 2 shown]
	s_and_b32 exec_lo, exec_lo, s50
	s_cbranch_execz .LBB695_706
; %bb.658:
	v_div_scale_f64 v[4:5], null, v[2:3], v[2:3], v[120:121]
	v_div_scale_f64 v[58:59], vcc_lo, v[120:121], v[2:3], v[120:121]
	s_delay_alu instid0(VALU_DEP_2) | instskip(SKIP_2) | instid1(VALU_DEP_1)
	v_rcp_f64_e32 v[8:9], v[4:5]
	s_waitcnt_depctr 0xfff
	v_fma_f64 v[54:55], -v[4:5], v[8:9], 1.0
	v_fma_f64 v[8:9], v[8:9], v[54:55], v[8:9]
	s_delay_alu instid0(VALU_DEP_1) | instskip(NEXT) | instid1(VALU_DEP_1)
	v_fma_f64 v[54:55], -v[4:5], v[8:9], 1.0
	v_fma_f64 v[8:9], v[8:9], v[54:55], v[8:9]
	s_delay_alu instid0(VALU_DEP_1) | instskip(NEXT) | instid1(VALU_DEP_1)
	v_mul_f64 v[54:55], v[58:59], v[8:9]
	v_fma_f64 v[4:5], -v[4:5], v[54:55], v[58:59]
	s_delay_alu instid0(VALU_DEP_1) | instskip(NEXT) | instid1(VALU_DEP_1)
	v_div_fmas_f64 v[4:5], v[4:5], v[8:9], v[54:55]
	v_div_fixup_f64 v[4:5], v[4:5], v[2:3], v[120:121]
	s_delay_alu instid0(VALU_DEP_1) | instskip(SKIP_1) | instid1(VALU_DEP_3)
	v_cndmask_b32_e64 v8, v4, 0, s0
	v_add_co_u32 v4, vcc_lo, 0x1000, v0
	v_cndmask_b32_e64 v9, v5, 0x7ff80000, s0
	v_add_co_ci_u32_e32 v5, vcc_lo, 0, v1, vcc_lo
	global_store_b64 v[4:5], v[8:9], off
	s_and_b32 exec_lo, exec_lo, s49
	s_cbranch_execz .LBB695_706
; %bb.659:
	v_div_scale_f64 v[8:9], null, v[2:3], v[2:3], v[130:131]
	v_div_scale_f64 v[62:63], vcc_lo, v[130:131], v[2:3], v[130:131]
	s_delay_alu instid0(VALU_DEP_2) | instskip(SKIP_2) | instid1(VALU_DEP_1)
	v_rcp_f64_e32 v[54:55], v[8:9]
	s_waitcnt_depctr 0xfff
	v_fma_f64 v[58:59], -v[8:9], v[54:55], 1.0
	v_fma_f64 v[54:55], v[54:55], v[58:59], v[54:55]
	s_delay_alu instid0(VALU_DEP_1) | instskip(NEXT) | instid1(VALU_DEP_1)
	v_fma_f64 v[58:59], -v[8:9], v[54:55], 1.0
	v_fma_f64 v[54:55], v[54:55], v[58:59], v[54:55]
	s_delay_alu instid0(VALU_DEP_1) | instskip(NEXT) | instid1(VALU_DEP_1)
	v_mul_f64 v[58:59], v[62:63], v[54:55]
	v_fma_f64 v[8:9], -v[8:9], v[58:59], v[62:63]
	s_delay_alu instid0(VALU_DEP_1) | instskip(NEXT) | instid1(VALU_DEP_1)
	v_div_fmas_f64 v[8:9], v[8:9], v[54:55], v[58:59]
	v_div_fixup_f64 v[8:9], v[8:9], v[2:3], v[130:131]
	s_delay_alu instid0(VALU_DEP_1) | instskip(NEXT) | instid1(VALU_DEP_2)
	v_cndmask_b32_e64 v9, v9, 0x7ff80000, s0
	v_cndmask_b32_e64 v8, v8, 0, s0
	global_store_b64 v[4:5], v[8:9], off offset:256
	s_and_b32 exec_lo, exec_lo, s48
	s_cbranch_execz .LBB695_706
; %bb.660:
	v_div_scale_f64 v[8:9], null, v[2:3], v[2:3], v[128:129]
	v_div_scale_f64 v[62:63], vcc_lo, v[128:129], v[2:3], v[128:129]
	s_delay_alu instid0(VALU_DEP_2) | instskip(SKIP_2) | instid1(VALU_DEP_1)
	v_rcp_f64_e32 v[54:55], v[8:9]
	s_waitcnt_depctr 0xfff
	v_fma_f64 v[58:59], -v[8:9], v[54:55], 1.0
	v_fma_f64 v[54:55], v[54:55], v[58:59], v[54:55]
	s_delay_alu instid0(VALU_DEP_1) | instskip(NEXT) | instid1(VALU_DEP_1)
	v_fma_f64 v[58:59], -v[8:9], v[54:55], 1.0
	v_fma_f64 v[54:55], v[54:55], v[58:59], v[54:55]
	s_delay_alu instid0(VALU_DEP_1) | instskip(NEXT) | instid1(VALU_DEP_1)
	v_mul_f64 v[58:59], v[62:63], v[54:55]
	v_fma_f64 v[8:9], -v[8:9], v[58:59], v[62:63]
	s_delay_alu instid0(VALU_DEP_1) | instskip(NEXT) | instid1(VALU_DEP_1)
	v_div_fmas_f64 v[8:9], v[8:9], v[54:55], v[58:59]
	v_div_fixup_f64 v[8:9], v[8:9], v[2:3], v[128:129]
	s_delay_alu instid0(VALU_DEP_1) | instskip(NEXT) | instid1(VALU_DEP_2)
	v_cndmask_b32_e64 v9, v9, 0x7ff80000, s0
	v_cndmask_b32_e64 v8, v8, 0, s0
	global_store_b64 v[4:5], v[8:9], off offset:512
	s_and_b32 exec_lo, exec_lo, s47
	s_cbranch_execz .LBB695_706
; %bb.661:
	v_div_scale_f64 v[8:9], null, v[2:3], v[2:3], v[138:139]
	v_div_scale_f64 v[62:63], vcc_lo, v[138:139], v[2:3], v[138:139]
	s_delay_alu instid0(VALU_DEP_2) | instskip(SKIP_2) | instid1(VALU_DEP_1)
	v_rcp_f64_e32 v[54:55], v[8:9]
	s_waitcnt_depctr 0xfff
	v_fma_f64 v[58:59], -v[8:9], v[54:55], 1.0
	v_fma_f64 v[54:55], v[54:55], v[58:59], v[54:55]
	s_delay_alu instid0(VALU_DEP_1) | instskip(NEXT) | instid1(VALU_DEP_1)
	v_fma_f64 v[58:59], -v[8:9], v[54:55], 1.0
	v_fma_f64 v[54:55], v[54:55], v[58:59], v[54:55]
	s_delay_alu instid0(VALU_DEP_1) | instskip(NEXT) | instid1(VALU_DEP_1)
	v_mul_f64 v[58:59], v[62:63], v[54:55]
	v_fma_f64 v[8:9], -v[8:9], v[58:59], v[62:63]
	s_delay_alu instid0(VALU_DEP_1) | instskip(NEXT) | instid1(VALU_DEP_1)
	v_div_fmas_f64 v[8:9], v[8:9], v[54:55], v[58:59]
	v_div_fixup_f64 v[8:9], v[8:9], v[2:3], v[138:139]
	s_delay_alu instid0(VALU_DEP_1) | instskip(NEXT) | instid1(VALU_DEP_2)
	v_cndmask_b32_e64 v9, v9, 0x7ff80000, s0
	v_cndmask_b32_e64 v8, v8, 0, s0
	global_store_b64 v[4:5], v[8:9], off offset:768
	s_and_b32 exec_lo, exec_lo, s46
	s_cbranch_execz .LBB695_706
; %bb.662:
	v_div_scale_f64 v[8:9], null, v[2:3], v[2:3], v[136:137]
	v_div_scale_f64 v[62:63], vcc_lo, v[136:137], v[2:3], v[136:137]
	s_delay_alu instid0(VALU_DEP_2) | instskip(SKIP_2) | instid1(VALU_DEP_1)
	v_rcp_f64_e32 v[54:55], v[8:9]
	s_waitcnt_depctr 0xfff
	v_fma_f64 v[58:59], -v[8:9], v[54:55], 1.0
	v_fma_f64 v[54:55], v[54:55], v[58:59], v[54:55]
	s_delay_alu instid0(VALU_DEP_1) | instskip(NEXT) | instid1(VALU_DEP_1)
	v_fma_f64 v[58:59], -v[8:9], v[54:55], 1.0
	v_fma_f64 v[54:55], v[54:55], v[58:59], v[54:55]
	s_delay_alu instid0(VALU_DEP_1) | instskip(NEXT) | instid1(VALU_DEP_1)
	v_mul_f64 v[58:59], v[62:63], v[54:55]
	v_fma_f64 v[8:9], -v[8:9], v[58:59], v[62:63]
	s_delay_alu instid0(VALU_DEP_1) | instskip(NEXT) | instid1(VALU_DEP_1)
	v_div_fmas_f64 v[8:9], v[8:9], v[54:55], v[58:59]
	v_div_fixup_f64 v[8:9], v[8:9], v[2:3], v[136:137]
	s_delay_alu instid0(VALU_DEP_1) | instskip(NEXT) | instid1(VALU_DEP_2)
	v_cndmask_b32_e64 v9, v9, 0x7ff80000, s0
	v_cndmask_b32_e64 v8, v8, 0, s0
	global_store_b64 v[4:5], v[8:9], off offset:1024
	s_and_b32 exec_lo, exec_lo, s45
	s_cbranch_execz .LBB695_706
; %bb.663:
	v_div_scale_f64 v[8:9], null, v[2:3], v[2:3], v[134:135]
	v_div_scale_f64 v[62:63], vcc_lo, v[134:135], v[2:3], v[134:135]
	s_delay_alu instid0(VALU_DEP_2) | instskip(SKIP_2) | instid1(VALU_DEP_1)
	v_rcp_f64_e32 v[54:55], v[8:9]
	s_waitcnt_depctr 0xfff
	v_fma_f64 v[58:59], -v[8:9], v[54:55], 1.0
	v_fma_f64 v[54:55], v[54:55], v[58:59], v[54:55]
	s_delay_alu instid0(VALU_DEP_1) | instskip(NEXT) | instid1(VALU_DEP_1)
	v_fma_f64 v[58:59], -v[8:9], v[54:55], 1.0
	v_fma_f64 v[54:55], v[54:55], v[58:59], v[54:55]
	s_delay_alu instid0(VALU_DEP_1) | instskip(NEXT) | instid1(VALU_DEP_1)
	v_mul_f64 v[58:59], v[62:63], v[54:55]
	v_fma_f64 v[8:9], -v[8:9], v[58:59], v[62:63]
	s_delay_alu instid0(VALU_DEP_1) | instskip(NEXT) | instid1(VALU_DEP_1)
	v_div_fmas_f64 v[8:9], v[8:9], v[54:55], v[58:59]
	v_div_fixup_f64 v[8:9], v[8:9], v[2:3], v[134:135]
	s_delay_alu instid0(VALU_DEP_1) | instskip(NEXT) | instid1(VALU_DEP_2)
	v_cndmask_b32_e64 v9, v9, 0x7ff80000, s0
	v_cndmask_b32_e64 v8, v8, 0, s0
	global_store_b64 v[4:5], v[8:9], off offset:1280
	s_and_b32 exec_lo, exec_lo, s44
	s_cbranch_execz .LBB695_706
; %bb.664:
	v_div_scale_f64 v[8:9], null, v[2:3], v[2:3], v[132:133]
	v_div_scale_f64 v[62:63], vcc_lo, v[132:133], v[2:3], v[132:133]
	s_delay_alu instid0(VALU_DEP_2) | instskip(SKIP_2) | instid1(VALU_DEP_1)
	v_rcp_f64_e32 v[54:55], v[8:9]
	s_waitcnt_depctr 0xfff
	v_fma_f64 v[58:59], -v[8:9], v[54:55], 1.0
	v_fma_f64 v[54:55], v[54:55], v[58:59], v[54:55]
	s_delay_alu instid0(VALU_DEP_1) | instskip(NEXT) | instid1(VALU_DEP_1)
	v_fma_f64 v[58:59], -v[8:9], v[54:55], 1.0
	v_fma_f64 v[54:55], v[54:55], v[58:59], v[54:55]
	s_delay_alu instid0(VALU_DEP_1) | instskip(NEXT) | instid1(VALU_DEP_1)
	v_mul_f64 v[58:59], v[62:63], v[54:55]
	v_fma_f64 v[8:9], -v[8:9], v[58:59], v[62:63]
	s_delay_alu instid0(VALU_DEP_1) | instskip(NEXT) | instid1(VALU_DEP_1)
	v_div_fmas_f64 v[8:9], v[8:9], v[54:55], v[58:59]
	v_div_fixup_f64 v[8:9], v[8:9], v[2:3], v[132:133]
	s_delay_alu instid0(VALU_DEP_1) | instskip(NEXT) | instid1(VALU_DEP_2)
	v_cndmask_b32_e64 v9, v9, 0x7ff80000, s0
	v_cndmask_b32_e64 v8, v8, 0, s0
	global_store_b64 v[4:5], v[8:9], off offset:1536
	s_and_b32 exec_lo, exec_lo, s43
	s_cbranch_execz .LBB695_706
; %bb.665:
	v_div_scale_f64 v[8:9], null, v[2:3], v[2:3], v[126:127]
	v_div_scale_f64 v[62:63], vcc_lo, v[126:127], v[2:3], v[126:127]
	s_delay_alu instid0(VALU_DEP_2) | instskip(SKIP_2) | instid1(VALU_DEP_1)
	v_rcp_f64_e32 v[54:55], v[8:9]
	s_waitcnt_depctr 0xfff
	v_fma_f64 v[58:59], -v[8:9], v[54:55], 1.0
	v_fma_f64 v[54:55], v[54:55], v[58:59], v[54:55]
	s_delay_alu instid0(VALU_DEP_1) | instskip(NEXT) | instid1(VALU_DEP_1)
	v_fma_f64 v[58:59], -v[8:9], v[54:55], 1.0
	v_fma_f64 v[54:55], v[54:55], v[58:59], v[54:55]
	s_delay_alu instid0(VALU_DEP_1) | instskip(NEXT) | instid1(VALU_DEP_1)
	v_mul_f64 v[58:59], v[62:63], v[54:55]
	v_fma_f64 v[8:9], -v[8:9], v[58:59], v[62:63]
	s_delay_alu instid0(VALU_DEP_1) | instskip(NEXT) | instid1(VALU_DEP_1)
	v_div_fmas_f64 v[8:9], v[8:9], v[54:55], v[58:59]
	v_div_fixup_f64 v[8:9], v[8:9], v[2:3], v[126:127]
	s_delay_alu instid0(VALU_DEP_1) | instskip(NEXT) | instid1(VALU_DEP_2)
	v_cndmask_b32_e64 v9, v9, 0x7ff80000, s0
	v_cndmask_b32_e64 v8, v8, 0, s0
	global_store_b64 v[4:5], v[8:9], off offset:1792
	s_and_b32 exec_lo, exec_lo, s42
	s_cbranch_execz .LBB695_706
; %bb.666:
	v_div_scale_f64 v[8:9], null, v[2:3], v[2:3], v[124:125]
	v_div_scale_f64 v[62:63], vcc_lo, v[124:125], v[2:3], v[124:125]
	s_delay_alu instid0(VALU_DEP_2) | instskip(SKIP_2) | instid1(VALU_DEP_1)
	v_rcp_f64_e32 v[54:55], v[8:9]
	s_waitcnt_depctr 0xfff
	v_fma_f64 v[58:59], -v[8:9], v[54:55], 1.0
	v_fma_f64 v[54:55], v[54:55], v[58:59], v[54:55]
	s_delay_alu instid0(VALU_DEP_1) | instskip(NEXT) | instid1(VALU_DEP_1)
	v_fma_f64 v[58:59], -v[8:9], v[54:55], 1.0
	v_fma_f64 v[54:55], v[54:55], v[58:59], v[54:55]
	s_delay_alu instid0(VALU_DEP_1) | instskip(NEXT) | instid1(VALU_DEP_1)
	v_mul_f64 v[58:59], v[62:63], v[54:55]
	v_fma_f64 v[8:9], -v[8:9], v[58:59], v[62:63]
	s_delay_alu instid0(VALU_DEP_1) | instskip(NEXT) | instid1(VALU_DEP_1)
	v_div_fmas_f64 v[8:9], v[8:9], v[54:55], v[58:59]
	v_div_fixup_f64 v[8:9], v[8:9], v[2:3], v[124:125]
	s_delay_alu instid0(VALU_DEP_1) | instskip(NEXT) | instid1(VALU_DEP_2)
	v_cndmask_b32_e64 v9, v9, 0x7ff80000, s0
	v_cndmask_b32_e64 v8, v8, 0, s0
	global_store_b64 v[4:5], v[8:9], off offset:2048
	s_and_b32 exec_lo, exec_lo, s41
	s_cbranch_execz .LBB695_706
; %bb.667:
	v_div_scale_f64 v[8:9], null, v[2:3], v[2:3], v[118:119]
	v_div_scale_f64 v[62:63], vcc_lo, v[118:119], v[2:3], v[118:119]
	s_delay_alu instid0(VALU_DEP_2) | instskip(SKIP_2) | instid1(VALU_DEP_1)
	v_rcp_f64_e32 v[54:55], v[8:9]
	s_waitcnt_depctr 0xfff
	v_fma_f64 v[58:59], -v[8:9], v[54:55], 1.0
	v_fma_f64 v[54:55], v[54:55], v[58:59], v[54:55]
	s_delay_alu instid0(VALU_DEP_1) | instskip(NEXT) | instid1(VALU_DEP_1)
	v_fma_f64 v[58:59], -v[8:9], v[54:55], 1.0
	v_fma_f64 v[54:55], v[54:55], v[58:59], v[54:55]
	s_delay_alu instid0(VALU_DEP_1) | instskip(NEXT) | instid1(VALU_DEP_1)
	v_mul_f64 v[58:59], v[62:63], v[54:55]
	v_fma_f64 v[8:9], -v[8:9], v[58:59], v[62:63]
	s_delay_alu instid0(VALU_DEP_1) | instskip(NEXT) | instid1(VALU_DEP_1)
	v_div_fmas_f64 v[8:9], v[8:9], v[54:55], v[58:59]
	v_div_fixup_f64 v[8:9], v[8:9], v[2:3], v[118:119]
	s_delay_alu instid0(VALU_DEP_1) | instskip(NEXT) | instid1(VALU_DEP_2)
	v_cndmask_b32_e64 v9, v9, 0x7ff80000, s0
	v_cndmask_b32_e64 v8, v8, 0, s0
	global_store_b64 v[4:5], v[8:9], off offset:2304
	s_and_b32 exec_lo, exec_lo, s40
	s_cbranch_execz .LBB695_706
; %bb.668:
	v_div_scale_f64 v[8:9], null, v[2:3], v[2:3], v[116:117]
	v_div_scale_f64 v[62:63], vcc_lo, v[116:117], v[2:3], v[116:117]
	s_delay_alu instid0(VALU_DEP_2) | instskip(SKIP_2) | instid1(VALU_DEP_1)
	v_rcp_f64_e32 v[54:55], v[8:9]
	s_waitcnt_depctr 0xfff
	v_fma_f64 v[58:59], -v[8:9], v[54:55], 1.0
	v_fma_f64 v[54:55], v[54:55], v[58:59], v[54:55]
	s_delay_alu instid0(VALU_DEP_1) | instskip(NEXT) | instid1(VALU_DEP_1)
	v_fma_f64 v[58:59], -v[8:9], v[54:55], 1.0
	v_fma_f64 v[54:55], v[54:55], v[58:59], v[54:55]
	s_delay_alu instid0(VALU_DEP_1) | instskip(NEXT) | instid1(VALU_DEP_1)
	v_mul_f64 v[58:59], v[62:63], v[54:55]
	v_fma_f64 v[8:9], -v[8:9], v[58:59], v[62:63]
	s_delay_alu instid0(VALU_DEP_1) | instskip(NEXT) | instid1(VALU_DEP_1)
	v_div_fmas_f64 v[8:9], v[8:9], v[54:55], v[58:59]
	v_div_fixup_f64 v[8:9], v[8:9], v[2:3], v[116:117]
	s_delay_alu instid0(VALU_DEP_1) | instskip(NEXT) | instid1(VALU_DEP_2)
	v_cndmask_b32_e64 v9, v9, 0x7ff80000, s0
	v_cndmask_b32_e64 v8, v8, 0, s0
	global_store_b64 v[4:5], v[8:9], off offset:2560
	s_and_b32 exec_lo, exec_lo, s39
	s_cbranch_execz .LBB695_706
; %bb.669:
	v_div_scale_f64 v[8:9], null, v[2:3], v[2:3], v[110:111]
	v_div_scale_f64 v[62:63], vcc_lo, v[110:111], v[2:3], v[110:111]
	s_delay_alu instid0(VALU_DEP_2) | instskip(SKIP_2) | instid1(VALU_DEP_1)
	v_rcp_f64_e32 v[54:55], v[8:9]
	s_waitcnt_depctr 0xfff
	v_fma_f64 v[58:59], -v[8:9], v[54:55], 1.0
	v_fma_f64 v[54:55], v[54:55], v[58:59], v[54:55]
	s_delay_alu instid0(VALU_DEP_1) | instskip(NEXT) | instid1(VALU_DEP_1)
	v_fma_f64 v[58:59], -v[8:9], v[54:55], 1.0
	v_fma_f64 v[54:55], v[54:55], v[58:59], v[54:55]
	s_delay_alu instid0(VALU_DEP_1) | instskip(NEXT) | instid1(VALU_DEP_1)
	v_mul_f64 v[58:59], v[62:63], v[54:55]
	v_fma_f64 v[8:9], -v[8:9], v[58:59], v[62:63]
	s_delay_alu instid0(VALU_DEP_1) | instskip(NEXT) | instid1(VALU_DEP_1)
	v_div_fmas_f64 v[8:9], v[8:9], v[54:55], v[58:59]
	v_div_fixup_f64 v[8:9], v[8:9], v[2:3], v[110:111]
	s_delay_alu instid0(VALU_DEP_1) | instskip(NEXT) | instid1(VALU_DEP_2)
	v_cndmask_b32_e64 v9, v9, 0x7ff80000, s0
	v_cndmask_b32_e64 v8, v8, 0, s0
	global_store_b64 v[4:5], v[8:9], off offset:2816
	s_and_b32 exec_lo, exec_lo, s38
	s_cbranch_execz .LBB695_706
; %bb.670:
	v_div_scale_f64 v[8:9], null, v[2:3], v[2:3], v[108:109]
	v_div_scale_f64 v[62:63], vcc_lo, v[108:109], v[2:3], v[108:109]
	s_delay_alu instid0(VALU_DEP_2) | instskip(SKIP_2) | instid1(VALU_DEP_1)
	v_rcp_f64_e32 v[54:55], v[8:9]
	s_waitcnt_depctr 0xfff
	v_fma_f64 v[58:59], -v[8:9], v[54:55], 1.0
	v_fma_f64 v[54:55], v[54:55], v[58:59], v[54:55]
	s_delay_alu instid0(VALU_DEP_1) | instskip(NEXT) | instid1(VALU_DEP_1)
	v_fma_f64 v[58:59], -v[8:9], v[54:55], 1.0
	v_fma_f64 v[54:55], v[54:55], v[58:59], v[54:55]
	s_delay_alu instid0(VALU_DEP_1) | instskip(NEXT) | instid1(VALU_DEP_1)
	v_mul_f64 v[58:59], v[62:63], v[54:55]
	v_fma_f64 v[8:9], -v[8:9], v[58:59], v[62:63]
	s_delay_alu instid0(VALU_DEP_1) | instskip(NEXT) | instid1(VALU_DEP_1)
	v_div_fmas_f64 v[8:9], v[8:9], v[54:55], v[58:59]
	v_div_fixup_f64 v[8:9], v[8:9], v[2:3], v[108:109]
	s_delay_alu instid0(VALU_DEP_1) | instskip(NEXT) | instid1(VALU_DEP_2)
	v_cndmask_b32_e64 v9, v9, 0x7ff80000, s0
	v_cndmask_b32_e64 v8, v8, 0, s0
	global_store_b64 v[4:5], v[8:9], off offset:3072
	s_and_b32 exec_lo, exec_lo, s37
	s_cbranch_execz .LBB695_706
; %bb.671:
	v_div_scale_f64 v[8:9], null, v[2:3], v[2:3], v[102:103]
	v_div_scale_f64 v[62:63], vcc_lo, v[102:103], v[2:3], v[102:103]
	s_delay_alu instid0(VALU_DEP_2) | instskip(SKIP_2) | instid1(VALU_DEP_1)
	v_rcp_f64_e32 v[54:55], v[8:9]
	s_waitcnt_depctr 0xfff
	v_fma_f64 v[58:59], -v[8:9], v[54:55], 1.0
	v_fma_f64 v[54:55], v[54:55], v[58:59], v[54:55]
	s_delay_alu instid0(VALU_DEP_1) | instskip(NEXT) | instid1(VALU_DEP_1)
	v_fma_f64 v[58:59], -v[8:9], v[54:55], 1.0
	v_fma_f64 v[54:55], v[54:55], v[58:59], v[54:55]
	s_delay_alu instid0(VALU_DEP_1) | instskip(NEXT) | instid1(VALU_DEP_1)
	v_mul_f64 v[58:59], v[62:63], v[54:55]
	v_fma_f64 v[8:9], -v[8:9], v[58:59], v[62:63]
	s_delay_alu instid0(VALU_DEP_1) | instskip(NEXT) | instid1(VALU_DEP_1)
	v_div_fmas_f64 v[8:9], v[8:9], v[54:55], v[58:59]
	v_div_fixup_f64 v[8:9], v[8:9], v[2:3], v[102:103]
	s_delay_alu instid0(VALU_DEP_1) | instskip(NEXT) | instid1(VALU_DEP_2)
	v_cndmask_b32_e64 v9, v9, 0x7ff80000, s0
	v_cndmask_b32_e64 v8, v8, 0, s0
	global_store_b64 v[4:5], v[8:9], off offset:3328
	s_and_b32 exec_lo, exec_lo, s36
	s_cbranch_execz .LBB695_706
; %bb.672:
	v_div_scale_f64 v[8:9], null, v[2:3], v[2:3], v[100:101]
	v_div_scale_f64 v[62:63], vcc_lo, v[100:101], v[2:3], v[100:101]
	s_delay_alu instid0(VALU_DEP_2) | instskip(SKIP_2) | instid1(VALU_DEP_1)
	v_rcp_f64_e32 v[54:55], v[8:9]
	s_waitcnt_depctr 0xfff
	v_fma_f64 v[58:59], -v[8:9], v[54:55], 1.0
	v_fma_f64 v[54:55], v[54:55], v[58:59], v[54:55]
	s_delay_alu instid0(VALU_DEP_1) | instskip(NEXT) | instid1(VALU_DEP_1)
	v_fma_f64 v[58:59], -v[8:9], v[54:55], 1.0
	v_fma_f64 v[54:55], v[54:55], v[58:59], v[54:55]
	s_delay_alu instid0(VALU_DEP_1) | instskip(NEXT) | instid1(VALU_DEP_1)
	v_mul_f64 v[58:59], v[62:63], v[54:55]
	v_fma_f64 v[8:9], -v[8:9], v[58:59], v[62:63]
	s_delay_alu instid0(VALU_DEP_1) | instskip(NEXT) | instid1(VALU_DEP_1)
	v_div_fmas_f64 v[8:9], v[8:9], v[54:55], v[58:59]
	v_div_fixup_f64 v[8:9], v[8:9], v[2:3], v[100:101]
	s_delay_alu instid0(VALU_DEP_1) | instskip(NEXT) | instid1(VALU_DEP_2)
	v_cndmask_b32_e64 v9, v9, 0x7ff80000, s0
	v_cndmask_b32_e64 v8, v8, 0, s0
	global_store_b64 v[4:5], v[8:9], off offset:3584
	s_and_b32 exec_lo, exec_lo, s35
	s_cbranch_execz .LBB695_706
; %bb.673:
	v_div_scale_f64 v[8:9], null, v[2:3], v[2:3], v[94:95]
	v_div_scale_f64 v[62:63], vcc_lo, v[94:95], v[2:3], v[94:95]
	s_delay_alu instid0(VALU_DEP_2) | instskip(SKIP_2) | instid1(VALU_DEP_1)
	v_rcp_f64_e32 v[54:55], v[8:9]
	s_waitcnt_depctr 0xfff
	v_fma_f64 v[58:59], -v[8:9], v[54:55], 1.0
	v_fma_f64 v[54:55], v[54:55], v[58:59], v[54:55]
	s_delay_alu instid0(VALU_DEP_1) | instskip(NEXT) | instid1(VALU_DEP_1)
	v_fma_f64 v[58:59], -v[8:9], v[54:55], 1.0
	v_fma_f64 v[54:55], v[54:55], v[58:59], v[54:55]
	s_delay_alu instid0(VALU_DEP_1) | instskip(NEXT) | instid1(VALU_DEP_1)
	v_mul_f64 v[58:59], v[62:63], v[54:55]
	v_fma_f64 v[8:9], -v[8:9], v[58:59], v[62:63]
	s_delay_alu instid0(VALU_DEP_1) | instskip(NEXT) | instid1(VALU_DEP_1)
	v_div_fmas_f64 v[8:9], v[8:9], v[54:55], v[58:59]
	v_div_fixup_f64 v[8:9], v[8:9], v[2:3], v[94:95]
	s_delay_alu instid0(VALU_DEP_1) | instskip(NEXT) | instid1(VALU_DEP_2)
	v_cndmask_b32_e64 v9, v9, 0x7ff80000, s0
	v_cndmask_b32_e64 v8, v8, 0, s0
	global_store_b64 v[4:5], v[8:9], off offset:3840
	s_and_b32 exec_lo, exec_lo, s34
	s_cbranch_execz .LBB695_706
; %bb.674:
	v_div_scale_f64 v[4:5], null, v[2:3], v[2:3], v[92:93]
	v_div_scale_f64 v[58:59], vcc_lo, v[92:93], v[2:3], v[92:93]
	s_delay_alu instid0(VALU_DEP_2) | instskip(SKIP_2) | instid1(VALU_DEP_1)
	v_rcp_f64_e32 v[8:9], v[4:5]
	s_waitcnt_depctr 0xfff
	v_fma_f64 v[54:55], -v[4:5], v[8:9], 1.0
	v_fma_f64 v[8:9], v[8:9], v[54:55], v[8:9]
	s_delay_alu instid0(VALU_DEP_1) | instskip(NEXT) | instid1(VALU_DEP_1)
	v_fma_f64 v[54:55], -v[4:5], v[8:9], 1.0
	v_fma_f64 v[8:9], v[8:9], v[54:55], v[8:9]
	s_delay_alu instid0(VALU_DEP_1) | instskip(NEXT) | instid1(VALU_DEP_1)
	v_mul_f64 v[54:55], v[58:59], v[8:9]
	v_fma_f64 v[4:5], -v[4:5], v[54:55], v[58:59]
	s_delay_alu instid0(VALU_DEP_1) | instskip(NEXT) | instid1(VALU_DEP_1)
	v_div_fmas_f64 v[4:5], v[4:5], v[8:9], v[54:55]
	v_div_fixup_f64 v[4:5], v[4:5], v[2:3], v[92:93]
	s_delay_alu instid0(VALU_DEP_1) | instskip(SKIP_1) | instid1(VALU_DEP_3)
	v_cndmask_b32_e64 v8, v4, 0, s0
	v_add_co_u32 v4, vcc_lo, 0x2000, v0
	v_cndmask_b32_e64 v9, v5, 0x7ff80000, s0
	v_add_co_ci_u32_e32 v5, vcc_lo, 0, v1, vcc_lo
	global_store_b64 v[4:5], v[8:9], off
	s_and_b32 exec_lo, exec_lo, s33
	s_cbranch_execz .LBB695_706
; %bb.675:
	v_div_scale_f64 v[8:9], null, v[2:3], v[2:3], v[86:87]
	v_div_scale_f64 v[62:63], vcc_lo, v[86:87], v[2:3], v[86:87]
	v_readlane_b32 s1, v151, 4
	s_delay_alu instid0(VALU_DEP_3) | instskip(SKIP_2) | instid1(VALU_DEP_1)
	v_rcp_f64_e32 v[54:55], v[8:9]
	s_waitcnt_depctr 0xfff
	v_fma_f64 v[58:59], -v[8:9], v[54:55], 1.0
	v_fma_f64 v[54:55], v[54:55], v[58:59], v[54:55]
	s_delay_alu instid0(VALU_DEP_1) | instskip(NEXT) | instid1(VALU_DEP_1)
	v_fma_f64 v[58:59], -v[8:9], v[54:55], 1.0
	v_fma_f64 v[54:55], v[54:55], v[58:59], v[54:55]
	s_delay_alu instid0(VALU_DEP_1) | instskip(NEXT) | instid1(VALU_DEP_1)
	v_mul_f64 v[58:59], v[62:63], v[54:55]
	v_fma_f64 v[8:9], -v[8:9], v[58:59], v[62:63]
	s_delay_alu instid0(VALU_DEP_1) | instskip(NEXT) | instid1(VALU_DEP_1)
	v_div_fmas_f64 v[8:9], v[8:9], v[54:55], v[58:59]
	v_div_fixup_f64 v[8:9], v[8:9], v[2:3], v[86:87]
	s_delay_alu instid0(VALU_DEP_1) | instskip(NEXT) | instid1(VALU_DEP_2)
	v_cndmask_b32_e64 v9, v9, 0x7ff80000, s0
	v_cndmask_b32_e64 v8, v8, 0, s0
	global_store_b64 v[4:5], v[8:9], off offset:256
	s_and_b32 exec_lo, exec_lo, s1
	s_cbranch_execz .LBB695_706
; %bb.676:
	v_div_scale_f64 v[8:9], null, v[2:3], v[2:3], v[84:85]
	v_div_scale_f64 v[62:63], vcc_lo, v[84:85], v[2:3], v[84:85]
	v_readlane_b32 s1, v151, 5
	s_delay_alu instid0(VALU_DEP_3) | instskip(SKIP_2) | instid1(VALU_DEP_1)
	v_rcp_f64_e32 v[54:55], v[8:9]
	s_waitcnt_depctr 0xfff
	v_fma_f64 v[58:59], -v[8:9], v[54:55], 1.0
	v_fma_f64 v[54:55], v[54:55], v[58:59], v[54:55]
	s_delay_alu instid0(VALU_DEP_1) | instskip(NEXT) | instid1(VALU_DEP_1)
	v_fma_f64 v[58:59], -v[8:9], v[54:55], 1.0
	v_fma_f64 v[54:55], v[54:55], v[58:59], v[54:55]
	s_delay_alu instid0(VALU_DEP_1) | instskip(NEXT) | instid1(VALU_DEP_1)
	v_mul_f64 v[58:59], v[62:63], v[54:55]
	v_fma_f64 v[8:9], -v[8:9], v[58:59], v[62:63]
	s_delay_alu instid0(VALU_DEP_1) | instskip(NEXT) | instid1(VALU_DEP_1)
	v_div_fmas_f64 v[8:9], v[8:9], v[54:55], v[58:59]
	v_div_fixup_f64 v[8:9], v[8:9], v[2:3], v[84:85]
	s_delay_alu instid0(VALU_DEP_1) | instskip(NEXT) | instid1(VALU_DEP_2)
	v_cndmask_b32_e64 v9, v9, 0x7ff80000, s0
	v_cndmask_b32_e64 v8, v8, 0, s0
	global_store_b64 v[4:5], v[8:9], off offset:512
	s_and_b32 exec_lo, exec_lo, s1
	s_cbranch_execz .LBB695_706
; %bb.677:
	v_div_scale_f64 v[8:9], null, v[2:3], v[2:3], v[78:79]
	v_div_scale_f64 v[62:63], vcc_lo, v[78:79], v[2:3], v[78:79]
	s_delay_alu instid0(VALU_DEP_2) | instskip(SKIP_2) | instid1(VALU_DEP_1)
	v_rcp_f64_e32 v[54:55], v[8:9]
	s_waitcnt_depctr 0xfff
	v_fma_f64 v[58:59], -v[8:9], v[54:55], 1.0
	v_fma_f64 v[54:55], v[54:55], v[58:59], v[54:55]
	s_delay_alu instid0(VALU_DEP_1) | instskip(NEXT) | instid1(VALU_DEP_1)
	v_fma_f64 v[58:59], -v[8:9], v[54:55], 1.0
	v_fma_f64 v[54:55], v[54:55], v[58:59], v[54:55]
	s_delay_alu instid0(VALU_DEP_1) | instskip(NEXT) | instid1(VALU_DEP_1)
	v_mul_f64 v[58:59], v[62:63], v[54:55]
	v_fma_f64 v[8:9], -v[8:9], v[58:59], v[62:63]
	s_delay_alu instid0(VALU_DEP_1) | instskip(NEXT) | instid1(VALU_DEP_1)
	v_div_fmas_f64 v[8:9], v[8:9], v[54:55], v[58:59]
	v_div_fixup_f64 v[8:9], v[8:9], v[2:3], v[78:79]
	s_delay_alu instid0(VALU_DEP_1) | instskip(NEXT) | instid1(VALU_DEP_2)
	v_cndmask_b32_e64 v9, v9, 0x7ff80000, s0
	v_cndmask_b32_e64 v8, v8, 0, s0
	global_store_b64 v[4:5], v[8:9], off offset:768
	s_and_b32 exec_lo, exec_lo, s29
	s_cbranch_execz .LBB695_706
; %bb.678:
	v_div_scale_f64 v[8:9], null, v[2:3], v[2:3], v[76:77]
	v_div_scale_f64 v[62:63], vcc_lo, v[76:77], v[2:3], v[76:77]
	v_readlane_b32 s1, v151, 6
	s_delay_alu instid0(VALU_DEP_3) | instskip(SKIP_2) | instid1(VALU_DEP_1)
	v_rcp_f64_e32 v[54:55], v[8:9]
	s_waitcnt_depctr 0xfff
	v_fma_f64 v[58:59], -v[8:9], v[54:55], 1.0
	v_fma_f64 v[54:55], v[54:55], v[58:59], v[54:55]
	s_delay_alu instid0(VALU_DEP_1) | instskip(NEXT) | instid1(VALU_DEP_1)
	v_fma_f64 v[58:59], -v[8:9], v[54:55], 1.0
	v_fma_f64 v[54:55], v[54:55], v[58:59], v[54:55]
	s_delay_alu instid0(VALU_DEP_1) | instskip(NEXT) | instid1(VALU_DEP_1)
	v_mul_f64 v[58:59], v[62:63], v[54:55]
	v_fma_f64 v[8:9], -v[8:9], v[58:59], v[62:63]
	s_delay_alu instid0(VALU_DEP_1) | instskip(NEXT) | instid1(VALU_DEP_1)
	v_div_fmas_f64 v[8:9], v[8:9], v[54:55], v[58:59]
	v_div_fixup_f64 v[8:9], v[8:9], v[2:3], v[76:77]
	s_delay_alu instid0(VALU_DEP_1) | instskip(NEXT) | instid1(VALU_DEP_2)
	v_cndmask_b32_e64 v9, v9, 0x7ff80000, s0
	v_cndmask_b32_e64 v8, v8, 0, s0
	global_store_b64 v[4:5], v[8:9], off offset:1024
	s_and_b32 exec_lo, exec_lo, s1
	s_cbranch_execz .LBB695_706
; %bb.679:
	v_div_scale_f64 v[8:9], null, v[2:3], v[2:3], v[70:71]
	v_div_scale_f64 v[62:63], vcc_lo, v[70:71], v[2:3], v[70:71]
	v_readlane_b32 s1, v151, 7
	s_delay_alu instid0(VALU_DEP_3) | instskip(SKIP_2) | instid1(VALU_DEP_1)
	;; [unrolled: 24-line block ×13, first 2 shown]
	v_rcp_f64_e32 v[8:9], v[4:5]
	s_waitcnt_depctr 0xfff
	v_fma_f64 v[40:41], -v[4:5], v[8:9], 1.0
	v_fma_f64 v[8:9], v[8:9], v[40:41], v[8:9]
	s_delay_alu instid0(VALU_DEP_1) | instskip(NEXT) | instid1(VALU_DEP_1)
	v_fma_f64 v[40:41], -v[4:5], v[8:9], 1.0
	v_fma_f64 v[8:9], v[8:9], v[40:41], v[8:9]
	s_delay_alu instid0(VALU_DEP_1) | instskip(NEXT) | instid1(VALU_DEP_1)
	v_mul_f64 v[40:41], v[42:43], v[8:9]
	v_fma_f64 v[4:5], -v[4:5], v[40:41], v[42:43]
	s_delay_alu instid0(VALU_DEP_1) | instskip(SKIP_2) | instid1(VALU_DEP_3)
	v_div_fmas_f64 v[4:5], v[4:5], v[8:9], v[40:41]
	v_add_co_u32 v0, vcc_lo, 0x3000, v0
	v_add_co_ci_u32_e32 v1, vcc_lo, 0, v1, vcc_lo
	v_div_fixup_f64 v[4:5], v[4:5], v[2:3], v[38:39]
	s_delay_alu instid0(VALU_DEP_1) | instskip(NEXT) | instid1(VALU_DEP_2)
	v_cndmask_b32_e64 v5, v5, 0x7ff80000, s0
	v_cndmask_b32_e64 v4, v4, 0, s0
	global_store_b64 v[0:1], v[4:5], off
	s_and_b32 exec_lo, exec_lo, s1
	s_cbranch_execz .LBB695_706
; %bb.691:
	v_div_scale_f64 v[4:5], null, v[2:3], v[2:3], v[36:37]
	v_div_scale_f64 v[40:41], vcc_lo, v[36:37], v[2:3], v[36:37]
	v_readlane_b32 s1, v151, 19
	s_delay_alu instid0(VALU_DEP_3) | instskip(SKIP_2) | instid1(VALU_DEP_1)
	v_rcp_f64_e32 v[8:9], v[4:5]
	s_waitcnt_depctr 0xfff
	v_fma_f64 v[38:39], -v[4:5], v[8:9], 1.0
	v_fma_f64 v[8:9], v[8:9], v[38:39], v[8:9]
	s_delay_alu instid0(VALU_DEP_1) | instskip(NEXT) | instid1(VALU_DEP_1)
	v_fma_f64 v[38:39], -v[4:5], v[8:9], 1.0
	v_fma_f64 v[8:9], v[8:9], v[38:39], v[8:9]
	s_delay_alu instid0(VALU_DEP_1) | instskip(NEXT) | instid1(VALU_DEP_1)
	v_mul_f64 v[38:39], v[40:41], v[8:9]
	v_fma_f64 v[4:5], -v[4:5], v[38:39], v[40:41]
	s_delay_alu instid0(VALU_DEP_1) | instskip(NEXT) | instid1(VALU_DEP_1)
	v_div_fmas_f64 v[4:5], v[4:5], v[8:9], v[38:39]
	v_div_fixup_f64 v[4:5], v[4:5], v[2:3], v[36:37]
	s_delay_alu instid0(VALU_DEP_1) | instskip(NEXT) | instid1(VALU_DEP_2)
	v_cndmask_b32_e64 v5, v5, 0x7ff80000, s0
	v_cndmask_b32_e64 v4, v4, 0, s0
	global_store_b64 v[0:1], v[4:5], off offset:256
	s_and_b32 exec_lo, exec_lo, s1
	s_cbranch_execz .LBB695_706
; %bb.692:
	v_div_scale_f64 v[4:5], null, v[2:3], v[2:3], v[34:35]
	v_div_scale_f64 v[38:39], vcc_lo, v[34:35], v[2:3], v[34:35]
	v_readlane_b32 s1, v151, 20
	s_delay_alu instid0(VALU_DEP_3) | instskip(SKIP_2) | instid1(VALU_DEP_1)
	v_rcp_f64_e32 v[8:9], v[4:5]
	s_waitcnt_depctr 0xfff
	v_fma_f64 v[36:37], -v[4:5], v[8:9], 1.0
	v_fma_f64 v[8:9], v[8:9], v[36:37], v[8:9]
	s_delay_alu instid0(VALU_DEP_1) | instskip(NEXT) | instid1(VALU_DEP_1)
	v_fma_f64 v[36:37], -v[4:5], v[8:9], 1.0
	v_fma_f64 v[8:9], v[8:9], v[36:37], v[8:9]
	s_delay_alu instid0(VALU_DEP_1) | instskip(NEXT) | instid1(VALU_DEP_1)
	v_mul_f64 v[36:37], v[38:39], v[8:9]
	v_fma_f64 v[4:5], -v[4:5], v[36:37], v[38:39]
	s_delay_alu instid0(VALU_DEP_1) | instskip(NEXT) | instid1(VALU_DEP_1)
	v_div_fmas_f64 v[4:5], v[4:5], v[8:9], v[36:37]
	v_div_fixup_f64 v[4:5], v[4:5], v[2:3], v[34:35]
	s_delay_alu instid0(VALU_DEP_1) | instskip(NEXT) | instid1(VALU_DEP_2)
	v_cndmask_b32_e64 v5, v5, 0x7ff80000, s0
	v_cndmask_b32_e64 v4, v4, 0, s0
	global_store_b64 v[0:1], v[4:5], off offset:512
	;; [unrolled: 24-line block ×13, first 2 shown]
	s_and_b32 exec_lo, exec_lo, s1
	s_cbranch_execz .LBB695_706
; %bb.704:
	v_div_scale_f64 v[4:5], null, v[2:3], v[2:3], v[10:11]
	v_div_scale_f64 v[14:15], vcc_lo, v[10:11], v[2:3], v[10:11]
	s_delay_alu instid0(VALU_DEP_2) | instskip(SKIP_2) | instid1(VALU_DEP_1)
	v_rcp_f64_e32 v[8:9], v[4:5]
	s_waitcnt_depctr 0xfff
	v_fma_f64 v[12:13], -v[4:5], v[8:9], 1.0
	v_fma_f64 v[8:9], v[8:9], v[12:13], v[8:9]
	s_delay_alu instid0(VALU_DEP_1) | instskip(NEXT) | instid1(VALU_DEP_1)
	v_fma_f64 v[12:13], -v[4:5], v[8:9], 1.0
	v_fma_f64 v[8:9], v[8:9], v[12:13], v[8:9]
	s_delay_alu instid0(VALU_DEP_1) | instskip(NEXT) | instid1(VALU_DEP_1)
	v_mul_f64 v[12:13], v[14:15], v[8:9]
	v_fma_f64 v[4:5], -v[4:5], v[12:13], v[14:15]
	s_delay_alu instid0(VALU_DEP_1) | instskip(NEXT) | instid1(VALU_DEP_1)
	v_div_fmas_f64 v[4:5], v[4:5], v[8:9], v[12:13]
	v_div_fixup_f64 v[4:5], v[4:5], v[2:3], v[10:11]
	s_delay_alu instid0(VALU_DEP_1) | instskip(NEXT) | instid1(VALU_DEP_2)
	v_cndmask_b32_e64 v5, v5, 0x7ff80000, s0
	v_cndmask_b32_e64 v4, v4, 0, s0
	global_store_b64 v[0:1], v[4:5], off offset:3584
	s_and_b32 exec_lo, exec_lo, s2
	s_cbranch_execz .LBB695_706
; %bb.705:
	v_div_scale_f64 v[4:5], null, v[2:3], v[2:3], v[6:7]
	v_div_scale_f64 v[12:13], vcc_lo, v[6:7], v[2:3], v[6:7]
	s_delay_alu instid0(VALU_DEP_2) | instskip(SKIP_2) | instid1(VALU_DEP_1)
	v_rcp_f64_e32 v[8:9], v[4:5]
	s_waitcnt_depctr 0xfff
	v_fma_f64 v[10:11], -v[4:5], v[8:9], 1.0
	v_fma_f64 v[8:9], v[8:9], v[10:11], v[8:9]
	s_delay_alu instid0(VALU_DEP_1) | instskip(NEXT) | instid1(VALU_DEP_1)
	v_fma_f64 v[10:11], -v[4:5], v[8:9], 1.0
	v_fma_f64 v[8:9], v[8:9], v[10:11], v[8:9]
	s_delay_alu instid0(VALU_DEP_1) | instskip(NEXT) | instid1(VALU_DEP_1)
	v_mul_f64 v[10:11], v[12:13], v[8:9]
	v_fma_f64 v[4:5], -v[4:5], v[10:11], v[12:13]
	s_delay_alu instid0(VALU_DEP_1) | instskip(NEXT) | instid1(VALU_DEP_1)
	v_div_fmas_f64 v[4:5], v[4:5], v[8:9], v[10:11]
	v_div_fixup_f64 v[2:3], v[4:5], v[2:3], v[6:7]
	s_delay_alu instid0(VALU_DEP_1) | instskip(NEXT) | instid1(VALU_DEP_2)
	v_cndmask_b32_e64 v3, v3, 0x7ff80000, s0
	v_cndmask_b32_e64 v2, v2, 0, s0
	global_store_b64 v[0:1], v[2:3], off offset:3840
.LBB695_706:
	s_nop 0
	s_sendmsg sendmsg(MSG_DEALLOC_VGPRS)
	s_endpgm
	.section	.rodata,"a",@progbits
	.p2align	6, 0x0
	.amdhsa_kernel _ZN12_GLOBAL__N_120softmax_warp_forwardIdddLi11ELb0ELb1ELi32EEEvPT0_PKT_iiiPKbib
		.amdhsa_group_segment_fixed_size 0
		.amdhsa_private_segment_fixed_size 0
		.amdhsa_kernarg_size 304
		.amdhsa_user_sgpr_count 15
		.amdhsa_user_sgpr_dispatch_ptr 0
		.amdhsa_user_sgpr_queue_ptr 0
		.amdhsa_user_sgpr_kernarg_segment_ptr 1
		.amdhsa_user_sgpr_dispatch_id 0
		.amdhsa_user_sgpr_private_segment_size 0
		.amdhsa_wavefront_size32 1
		.amdhsa_uses_dynamic_stack 0
		.amdhsa_enable_private_segment 0
		.amdhsa_system_sgpr_workgroup_id_x 1
		.amdhsa_system_sgpr_workgroup_id_y 0
		.amdhsa_system_sgpr_workgroup_id_z 0
		.amdhsa_system_sgpr_workgroup_info 0
		.amdhsa_system_vgpr_workitem_id 1
		.amdhsa_next_free_vgpr 152
		.amdhsa_next_free_sgpr 105
		.amdhsa_reserve_vcc 1
		.amdhsa_float_round_mode_32 0
		.amdhsa_float_round_mode_16_64 0
		.amdhsa_float_denorm_mode_32 3
		.amdhsa_float_denorm_mode_16_64 3
		.amdhsa_dx10_clamp 1
		.amdhsa_ieee_mode 1
		.amdhsa_fp16_overflow 0
		.amdhsa_workgroup_processor_mode 1
		.amdhsa_memory_ordered 1
		.amdhsa_forward_progress 0
		.amdhsa_shared_vgpr_count 0
		.amdhsa_exception_fp_ieee_invalid_op 0
		.amdhsa_exception_fp_denorm_src 0
		.amdhsa_exception_fp_ieee_div_zero 0
		.amdhsa_exception_fp_ieee_overflow 0
		.amdhsa_exception_fp_ieee_underflow 0
		.amdhsa_exception_fp_ieee_inexact 0
		.amdhsa_exception_int_div_zero 0
	.end_amdhsa_kernel
	.section	.text._ZN12_GLOBAL__N_120softmax_warp_forwardIdddLi11ELb0ELb1ELi32EEEvPT0_PKT_iiiPKbib,"axG",@progbits,_ZN12_GLOBAL__N_120softmax_warp_forwardIdddLi11ELb0ELb1ELi32EEEvPT0_PKT_iiiPKbib,comdat
.Lfunc_end695:
	.size	_ZN12_GLOBAL__N_120softmax_warp_forwardIdddLi11ELb0ELb1ELi32EEEvPT0_PKT_iiiPKbib, .Lfunc_end695-_ZN12_GLOBAL__N_120softmax_warp_forwardIdddLi11ELb0ELb1ELi32EEEvPT0_PKT_iiiPKbib
                                        ; -- End function
	.section	.AMDGPU.csdata,"",@progbits
; Kernel info:
; codeLenInByte = 58024
; NumSgprs: 107
; NumVgprs: 152
; ScratchSize: 0
; MemoryBound: 0
; FloatMode: 240
; IeeeMode: 1
; LDSByteSize: 0 bytes/workgroup (compile time only)
; SGPRBlocks: 13
; VGPRBlocks: 18
; NumSGPRsForWavesPerEU: 107
; NumVGPRsForWavesPerEU: 152
; Occupancy: 9
; WaveLimiterHint : 0
; COMPUTE_PGM_RSRC2:SCRATCH_EN: 0
; COMPUTE_PGM_RSRC2:USER_SGPR: 15
; COMPUTE_PGM_RSRC2:TRAP_HANDLER: 0
; COMPUTE_PGM_RSRC2:TGID_X_EN: 1
; COMPUTE_PGM_RSRC2:TGID_Y_EN: 0
; COMPUTE_PGM_RSRC2:TGID_Z_EN: 0
; COMPUTE_PGM_RSRC2:TIDIG_COMP_CNT: 1
	.section	.text._ZN12_GLOBAL__N_120softmax_warp_forwardIfffLi0ELb0ELb1ELi64EEEvPT0_PKT_iiiPKbib,"axG",@progbits,_ZN12_GLOBAL__N_120softmax_warp_forwardIfffLi0ELb0ELb1ELi64EEEvPT0_PKT_iiiPKbib,comdat
	.globl	_ZN12_GLOBAL__N_120softmax_warp_forwardIfffLi0ELb0ELb1ELi64EEEvPT0_PKT_iiiPKbib ; -- Begin function _ZN12_GLOBAL__N_120softmax_warp_forwardIfffLi0ELb0ELb1ELi64EEEvPT0_PKT_iiiPKbib
	.p2align	8
	.type	_ZN12_GLOBAL__N_120softmax_warp_forwardIfffLi0ELb0ELb1ELi64EEEvPT0_PKT_iiiPKbib,@function
_ZN12_GLOBAL__N_120softmax_warp_forwardIfffLi0ELb0ELb1ELi64EEEvPT0_PKT_iiiPKbib: ; @_ZN12_GLOBAL__N_120softmax_warp_forwardIfffLi0ELb0ELb1ELi64EEEvPT0_PKT_iiiPKbib
; %bb.0:
	s_clause 0x2
	s_load_b64 s[2:3], s[0:1], 0x28
	s_load_b32 s8, s[0:1], 0x3c
	s_load_b128 s[4:7], s[0:1], 0x10
	v_bfe_u32 v1, v0, 10, 10
	v_and_b32_e32 v4, 0x3ff, v0
	s_waitcnt lgkmcnt(0)
	s_bitcmp1_b32 s3, 0
	s_cselect_b32 s12, -1, 0
	s_lshr_b32 s7, s8, 16
	s_bitcmp0_b32 s3, 0
	s_mul_i32 s15, s15, s7
	s_delay_alu instid0(SALU_CYCLE_1) | instskip(NEXT) | instid1(VALU_DEP_1)
	v_add_lshl_u32 v5, s15, v1, 1
	v_mul_lo_u32 v6, v5, s5
	s_delay_alu instid0(VALU_DEP_1) | instskip(NEXT) | instid1(VALU_DEP_1)
	v_add_nc_u32_e32 v0, v6, v4
	v_ashrrev_i32_e32 v1, 31, v0
	s_delay_alu instid0(VALU_DEP_1)
	v_dual_mov_b32 v3, v1 :: v_dual_mov_b32 v2, v0
	s_cbranch_scc1 .LBB696_2
; %bb.1:
	s_abs_i32 s3, s2
	v_sub_nc_u32_e32 v7, 0, v6
	v_cvt_f32_u32_e32 v2, s3
	s_sub_i32 s7, 0, s3
	s_delay_alu instid0(VALU_DEP_2) | instskip(NEXT) | instid1(VALU_DEP_2)
	v_max_i32_e32 v7, v6, v7
	v_rcp_iflag_f32_e32 v2, v2
	v_xor_b32_e32 v6, s2, v6
	s_delay_alu instid0(VALU_DEP_1) | instskip(SKIP_2) | instid1(VALU_DEP_1)
	v_ashrrev_i32_e32 v6, 31, v6
	s_waitcnt_depctr 0xfff
	v_mul_f32_e32 v2, 0x4f7ffffe, v2
	v_cvt_u32_f32_e32 v2, v2
	s_delay_alu instid0(VALU_DEP_1) | instskip(NEXT) | instid1(VALU_DEP_1)
	v_mul_lo_u32 v3, s7, v2
	v_mul_hi_u32 v3, v2, v3
	s_delay_alu instid0(VALU_DEP_1) | instskip(NEXT) | instid1(VALU_DEP_1)
	v_add_nc_u32_e32 v2, v2, v3
	v_mul_hi_u32 v2, v7, v2
	s_delay_alu instid0(VALU_DEP_1) | instskip(NEXT) | instid1(VALU_DEP_1)
	v_mul_lo_u32 v3, v2, s3
	v_sub_nc_u32_e32 v3, v7, v3
	v_add_nc_u32_e32 v7, 1, v2
	s_delay_alu instid0(VALU_DEP_2) | instskip(SKIP_1) | instid1(VALU_DEP_2)
	v_subrev_nc_u32_e32 v8, s3, v3
	v_cmp_le_u32_e32 vcc_lo, s3, v3
	v_dual_cndmask_b32 v3, v3, v8 :: v_dual_cndmask_b32 v2, v2, v7
	s_delay_alu instid0(VALU_DEP_1) | instskip(NEXT) | instid1(VALU_DEP_2)
	v_cmp_le_u32_e32 vcc_lo, s3, v3
	v_add_nc_u32_e32 v7, 1, v2
	s_delay_alu instid0(VALU_DEP_1) | instskip(NEXT) | instid1(VALU_DEP_1)
	v_cndmask_b32_e32 v2, v2, v7, vcc_lo
	v_xor_b32_e32 v2, v2, v6
	s_delay_alu instid0(VALU_DEP_1) | instskip(NEXT) | instid1(VALU_DEP_1)
	v_sub_nc_u32_e32 v6, v2, v6
	v_mad_u64_u32 v[2:3], null, v6, s5, v[4:5]
	s_delay_alu instid0(VALU_DEP_1)
	v_ashrrev_i32_e32 v3, 31, v2
.LBB696_2:
	s_load_b128 s[8:11], s[0:1], 0x0
	v_lshlrev_b64 v[0:1], 2, v[0:1]
	v_sub_nc_u32_e32 v6, s4, v5
	v_cmp_gt_i32_e64 s2, s6, v4
	v_mov_b32_e32 v7, 0xff800000
	v_mov_b32_e32 v9, 0xff800000
	s_delay_alu instid0(VALU_DEP_4) | instskip(SKIP_2) | instid1(VALU_DEP_1)
	v_cmp_lt_i32_e32 vcc_lo, 0, v6
	s_waitcnt lgkmcnt(0)
	v_add_co_u32 v4, s3, s10, v0
	v_add_co_ci_u32_e64 v5, s3, s11, v1, s3
	s_and_b32 s11, s2, vcc_lo
	s_delay_alu instid0(SALU_CYCLE_1)
	s_and_saveexec_b32 s3, s11
	s_cbranch_execz .LBB696_4
; %bb.3:
	global_load_b32 v9, v[4:5], off
.LBB696_4:
	s_or_b32 exec_lo, exec_lo, s3
	v_cmp_lt_i32_e64 s3, 1, v6
	s_delay_alu instid0(VALU_DEP_1) | instskip(NEXT) | instid1(SALU_CYCLE_1)
	s_and_b32 s10, s2, s3
	s_and_saveexec_b32 s4, s10
	s_cbranch_execz .LBB696_6
; %bb.5:
	s_mov_b32 s7, 0
	s_delay_alu instid0(SALU_CYCLE_1) | instskip(NEXT) | instid1(SALU_CYCLE_1)
	s_lshl_b64 s[14:15], s[6:7], 2
	v_add_co_u32 v4, s3, v4, s14
	s_delay_alu instid0(VALU_DEP_1)
	v_add_co_ci_u32_e64 v5, s3, s15, v5, s3
	global_load_b32 v7, v[4:5], off
.LBB696_6:
	s_or_b32 exec_lo, exec_lo, s4
	s_load_b64 s[0:1], s[0:1], 0x20
	s_waitcnt lgkmcnt(0)
	v_add_co_u32 v4, s0, s0, v2
	s_delay_alu instid0(VALU_DEP_1)
	v_add_co_ci_u32_e64 v5, s0, s1, v3, s0
	v_mov_b32_e32 v2, 0xff800000
	s_and_saveexec_b32 s1, s11
	s_cbranch_execz .LBB696_8
; %bb.7:
	global_load_u8 v2, v[4:5], off
	s_waitcnt vmcnt(0)
	v_and_b32_e32 v2, 1, v2
	s_delay_alu instid0(VALU_DEP_1) | instskip(NEXT) | instid1(VALU_DEP_1)
	v_cmp_eq_u32_e64 s0, 1, v2
	v_cndmask_b32_e64 v2, v9, 0xff800000, s0
.LBB696_8:
	s_or_b32 exec_lo, exec_lo, s1
	s_mov_b32 s4, 0
	s_mov_b32 s0, 0
	s_and_saveexec_b32 s1, s10
	s_cbranch_execz .LBB696_10
; %bb.9:
	s_and_b32 s0, s12, exec_lo
	s_cselect_b32 s0, 0, s6
	s_cselect_b32 s3, 0, 0
	v_add_co_u32 v10, s0, v4, s0
	s_delay_alu instid0(VALU_DEP_1) | instskip(SKIP_3) | instid1(VALU_DEP_1)
	v_add_co_ci_u32_e64 v11, s0, s3, v5, s0
	global_load_u8 v3, v[10:11], off
	s_waitcnt vmcnt(0)
	v_and_b32_e32 v3, 1, v3
	v_cmp_eq_u32_e64 s0, 1, v3
	s_delay_alu instid0(VALU_DEP_1) | instskip(NEXT) | instid1(SALU_CYCLE_1)
	s_xor_b32 s0, s0, -1
	s_and_b32 s0, s0, exec_lo
.LBB696_10:
	s_or_b32 exec_lo, exec_lo, s1
	s_mov_b32 s5, s4
	v_cndmask_b32_e64 v12, v2, v2, s0
	v_mov_b32_e32 v2, s4
	s_waitcnt vmcnt(0)
	v_cndmask_b32_e64 v11, 0xff800000, v7, s0
	v_dual_mov_b32 v8, 0 :: v_dual_mov_b32 v3, s5
	v_mov_b32_e32 v10, 0
	s_and_saveexec_b32 s1, s11
	s_cbranch_execnz .LBB696_14
; %bb.11:
	s_or_b32 exec_lo, exec_lo, s1
	s_and_saveexec_b32 s1, s10
	s_cbranch_execnz .LBB696_17
.LBB696_12:
	s_or_b32 exec_lo, exec_lo, s1
	s_and_saveexec_b32 s0, vcc_lo
	s_cbranch_execnz .LBB696_20
.LBB696_13:
	s_nop 0
	s_sendmsg sendmsg(MSG_DEALLOC_VGPRS)
	s_endpgm
.LBB696_14:
	global_load_u8 v2, v[4:5], off
	s_mov_b32 s5, s4
	v_mov_b32_e32 v10, 0
	s_waitcnt vmcnt(0)
	v_and_b32_e32 v2, 1, v2
	s_delay_alu instid0(VALU_DEP_1) | instskip(SKIP_1) | instid1(VALU_DEP_2)
	v_cmp_eq_u32_e64 s0, 1, v2
	v_dual_mov_b32 v2, s4 :: v_dual_mov_b32 v3, s5
	s_xor_b32 s0, s0, -1
	s_delay_alu instid0(SALU_CYCLE_1)
	s_and_saveexec_b32 s3, s0
	s_cbranch_execz .LBB696_16
; %bb.15:
	v_sub_f32_e32 v2, v9, v12
	s_delay_alu instid0(VALU_DEP_1) | instskip(NEXT) | instid1(VALU_DEP_1)
	v_mul_f32_e32 v3, 0x3fb8aa3b, v2
	v_fma_f32 v9, 0x3fb8aa3b, v2, -v3
	v_rndne_f32_e32 v10, v3
	s_delay_alu instid0(VALU_DEP_1) | instskip(NEXT) | instid1(VALU_DEP_3)
	v_sub_f32_e32 v3, v3, v10
	v_fmamk_f32 v9, v2, 0x32a5705f, v9
	v_cmp_ngt_f32_e64 s0, 0xc2ce8ed0, v2
	s_delay_alu instid0(VALU_DEP_2) | instskip(SKIP_1) | instid1(VALU_DEP_2)
	v_add_f32_e32 v3, v3, v9
	v_cvt_i32_f32_e32 v9, v10
	v_exp_f32_e32 v3, v3
	s_waitcnt_depctr 0xfff
	v_ldexp_f32 v3, v3, v9
	s_delay_alu instid0(VALU_DEP_1) | instskip(SKIP_1) | instid1(VALU_DEP_1)
	v_cndmask_b32_e64 v3, 0, v3, s0
	v_cmp_nlt_f32_e64 s0, 0x42b17218, v2
	v_cndmask_b32_e64 v2, 0x7f800000, v3, s0
	s_delay_alu instid0(VALU_DEP_1)
	v_dual_mov_b32 v3, 0 :: v_dual_mov_b32 v10, v2
.LBB696_16:
	s_or_b32 exec_lo, exec_lo, s3
	s_delay_alu instid0(SALU_CYCLE_1)
	s_or_b32 exec_lo, exec_lo, s1
	s_and_saveexec_b32 s1, s10
	s_cbranch_execz .LBB696_12
.LBB696_17:
	s_and_b32 s0, s12, exec_lo
	s_cselect_b32 s0, 0, s6
	s_cselect_b32 s3, 0, 0
	v_add_co_u32 v4, s0, v4, s0
	s_delay_alu instid0(VALU_DEP_1) | instskip(SKIP_4) | instid1(VALU_DEP_1)
	v_add_co_ci_u32_e64 v5, s0, s3, v5, s0
	v_mov_b32_e32 v8, 0
	global_load_u8 v4, v[4:5], off
	s_waitcnt vmcnt(0)
	v_and_b32_e32 v4, 1, v4
	v_cmp_eq_u32_e64 s0, 1, v4
	s_delay_alu instid0(VALU_DEP_1) | instskip(NEXT) | instid1(SALU_CYCLE_1)
	s_xor_b32 s0, s0, -1
	s_and_saveexec_b32 s3, s0
	s_cbranch_execz .LBB696_19
; %bb.18:
	v_sub_f32_e32 v4, v7, v11
	s_delay_alu instid0(VALU_DEP_1) | instskip(NEXT) | instid1(VALU_DEP_1)
	v_mul_f32_e32 v5, 0x3fb8aa3b, v4
	v_fma_f32 v7, 0x3fb8aa3b, v4, -v5
	v_rndne_f32_e32 v8, v5
	s_delay_alu instid0(VALU_DEP_1) | instskip(NEXT) | instid1(VALU_DEP_3)
	v_sub_f32_e32 v5, v5, v8
	v_fmamk_f32 v7, v4, 0x32a5705f, v7
	v_cmp_ngt_f32_e64 s0, 0xc2ce8ed0, v4
	s_delay_alu instid0(VALU_DEP_2) | instskip(SKIP_1) | instid1(VALU_DEP_2)
	v_add_f32_e32 v5, v5, v7
	v_cvt_i32_f32_e32 v7, v8
	v_exp_f32_e32 v5, v5
	s_waitcnt_depctr 0xfff
	v_ldexp_f32 v5, v5, v7
	s_delay_alu instid0(VALU_DEP_1) | instskip(SKIP_1) | instid1(VALU_DEP_1)
	v_cndmask_b32_e64 v5, 0, v5, s0
	v_cmp_nlt_f32_e64 s0, 0x42b17218, v4
	v_cndmask_b32_e64 v8, 0x7f800000, v5, s0
	s_delay_alu instid0(VALU_DEP_1)
	v_add_f32_e32 v3, v3, v8
.LBB696_19:
	s_or_b32 exec_lo, exec_lo, s3
	s_delay_alu instid0(SALU_CYCLE_1)
	s_or_b32 exec_lo, exec_lo, s1
	s_and_saveexec_b32 s0, vcc_lo
	s_cbranch_execz .LBB696_13
.LBB696_20:
	v_add_co_u32 v0, vcc_lo, s8, v0
	v_add_co_ci_u32_e32 v1, vcc_lo, s9, v1, vcc_lo
	s_and_saveexec_b32 s0, s2
	s_cbranch_execz .LBB696_22
; %bb.21:
	v_div_scale_f32 v4, null, v2, v2, v10
	s_delay_alu instid0(VALU_DEP_1) | instskip(SKIP_2) | instid1(VALU_DEP_1)
	v_rcp_f32_e32 v5, v4
	s_waitcnt_depctr 0xfff
	v_fma_f32 v7, -v4, v5, 1.0
	v_fmac_f32_e32 v5, v7, v5
	v_div_scale_f32 v7, vcc_lo, v10, v2, v10
	s_delay_alu instid0(VALU_DEP_1) | instskip(NEXT) | instid1(VALU_DEP_1)
	v_mul_f32_e32 v9, v7, v5
	v_fma_f32 v11, -v4, v9, v7
	s_delay_alu instid0(VALU_DEP_1) | instskip(NEXT) | instid1(VALU_DEP_1)
	v_fmac_f32_e32 v9, v11, v5
	v_fma_f32 v4, -v4, v9, v7
	s_delay_alu instid0(VALU_DEP_1) | instskip(SKIP_1) | instid1(VALU_DEP_2)
	v_div_fmas_f32 v4, v4, v5, v9
	v_cmp_neq_f32_e32 vcc_lo, 0, v2
	v_div_fixup_f32 v4, v4, v2, v10
	s_delay_alu instid0(VALU_DEP_1)
	v_cndmask_b32_e32 v2, 0x7fc00000, v4, vcc_lo
	global_store_b32 v[0:1], v2, off
.LBB696_22:
	s_or_b32 exec_lo, exec_lo, s0
	v_cmp_ne_u32_e32 vcc_lo, 1, v6
	s_and_b32 exec_lo, exec_lo, vcc_lo
	s_cbranch_execz .LBB696_13
; %bb.23:
	s_and_b32 exec_lo, exec_lo, s2
	s_cbranch_execz .LBB696_13
; %bb.24:
	v_div_scale_f32 v2, null, v3, v3, v8
	v_div_scale_f32 v6, vcc_lo, v8, v3, v8
	s_mov_b32 s7, 0
	s_delay_alu instid0(VALU_DEP_2) | instskip(SKIP_3) | instid1(VALU_DEP_1)
	v_rcp_f32_e32 v4, v2
	s_lshl_b64 s[0:1], s[6:7], 2
	s_waitcnt_depctr 0xfff
	v_fma_f32 v5, -v2, v4, 1.0
	v_fmac_f32_e32 v4, v5, v4
	s_delay_alu instid0(VALU_DEP_1) | instskip(NEXT) | instid1(VALU_DEP_1)
	v_mul_f32_e32 v5, v6, v4
	v_fma_f32 v7, -v2, v5, v6
	s_delay_alu instid0(VALU_DEP_1) | instskip(NEXT) | instid1(VALU_DEP_1)
	v_fmac_f32_e32 v5, v7, v4
	v_fma_f32 v2, -v2, v5, v6
	s_delay_alu instid0(VALU_DEP_1) | instskip(SKIP_2) | instid1(VALU_DEP_3)
	v_div_fmas_f32 v2, v2, v4, v5
	v_add_co_u32 v0, vcc_lo, v0, s0
	v_add_co_ci_u32_e32 v1, vcc_lo, s1, v1, vcc_lo
	v_div_fixup_f32 v2, v2, v3, v8
	v_cmp_neq_f32_e32 vcc_lo, 0, v3
	s_delay_alu instid0(VALU_DEP_2)
	v_cndmask_b32_e32 v2, 0x7fc00000, v2, vcc_lo
	global_store_b32 v[0:1], v2, off
	s_nop 0
	s_sendmsg sendmsg(MSG_DEALLOC_VGPRS)
	s_endpgm
	.section	.rodata,"a",@progbits
	.p2align	6, 0x0
	.amdhsa_kernel _ZN12_GLOBAL__N_120softmax_warp_forwardIfffLi0ELb0ELb1ELi64EEEvPT0_PKT_iiiPKbib
		.amdhsa_group_segment_fixed_size 0
		.amdhsa_private_segment_fixed_size 0
		.amdhsa_kernarg_size 304
		.amdhsa_user_sgpr_count 15
		.amdhsa_user_sgpr_dispatch_ptr 0
		.amdhsa_user_sgpr_queue_ptr 0
		.amdhsa_user_sgpr_kernarg_segment_ptr 1
		.amdhsa_user_sgpr_dispatch_id 0
		.amdhsa_user_sgpr_private_segment_size 0
		.amdhsa_wavefront_size32 1
		.amdhsa_uses_dynamic_stack 0
		.amdhsa_enable_private_segment 0
		.amdhsa_system_sgpr_workgroup_id_x 1
		.amdhsa_system_sgpr_workgroup_id_y 0
		.amdhsa_system_sgpr_workgroup_id_z 0
		.amdhsa_system_sgpr_workgroup_info 0
		.amdhsa_system_vgpr_workitem_id 1
		.amdhsa_next_free_vgpr 13
		.amdhsa_next_free_sgpr 16
		.amdhsa_reserve_vcc 1
		.amdhsa_float_round_mode_32 0
		.amdhsa_float_round_mode_16_64 0
		.amdhsa_float_denorm_mode_32 3
		.amdhsa_float_denorm_mode_16_64 3
		.amdhsa_dx10_clamp 1
		.amdhsa_ieee_mode 1
		.amdhsa_fp16_overflow 0
		.amdhsa_workgroup_processor_mode 1
		.amdhsa_memory_ordered 1
		.amdhsa_forward_progress 0
		.amdhsa_shared_vgpr_count 0
		.amdhsa_exception_fp_ieee_invalid_op 0
		.amdhsa_exception_fp_denorm_src 0
		.amdhsa_exception_fp_ieee_div_zero 0
		.amdhsa_exception_fp_ieee_overflow 0
		.amdhsa_exception_fp_ieee_underflow 0
		.amdhsa_exception_fp_ieee_inexact 0
		.amdhsa_exception_int_div_zero 0
	.end_amdhsa_kernel
	.section	.text._ZN12_GLOBAL__N_120softmax_warp_forwardIfffLi0ELb0ELb1ELi64EEEvPT0_PKT_iiiPKbib,"axG",@progbits,_ZN12_GLOBAL__N_120softmax_warp_forwardIfffLi0ELb0ELb1ELi64EEEvPT0_PKT_iiiPKbib,comdat
.Lfunc_end696:
	.size	_ZN12_GLOBAL__N_120softmax_warp_forwardIfffLi0ELb0ELb1ELi64EEEvPT0_PKT_iiiPKbib, .Lfunc_end696-_ZN12_GLOBAL__N_120softmax_warp_forwardIfffLi0ELb0ELb1ELi64EEEvPT0_PKT_iiiPKbib
                                        ; -- End function
	.section	.AMDGPU.csdata,"",@progbits
; Kernel info:
; codeLenInByte = 1484
; NumSgprs: 18
; NumVgprs: 13
; ScratchSize: 0
; MemoryBound: 0
; FloatMode: 240
; IeeeMode: 1
; LDSByteSize: 0 bytes/workgroup (compile time only)
; SGPRBlocks: 2
; VGPRBlocks: 1
; NumSGPRsForWavesPerEU: 18
; NumVGPRsForWavesPerEU: 13
; Occupancy: 16
; WaveLimiterHint : 0
; COMPUTE_PGM_RSRC2:SCRATCH_EN: 0
; COMPUTE_PGM_RSRC2:USER_SGPR: 15
; COMPUTE_PGM_RSRC2:TRAP_HANDLER: 0
; COMPUTE_PGM_RSRC2:TGID_X_EN: 1
; COMPUTE_PGM_RSRC2:TGID_Y_EN: 0
; COMPUTE_PGM_RSRC2:TGID_Z_EN: 0
; COMPUTE_PGM_RSRC2:TIDIG_COMP_CNT: 1
	.section	.text._ZN12_GLOBAL__N_120softmax_warp_forwardIfffLi0ELb0ELb1ELi32EEEvPT0_PKT_iiiPKbib,"axG",@progbits,_ZN12_GLOBAL__N_120softmax_warp_forwardIfffLi0ELb0ELb1ELi32EEEvPT0_PKT_iiiPKbib,comdat
	.globl	_ZN12_GLOBAL__N_120softmax_warp_forwardIfffLi0ELb0ELb1ELi32EEEvPT0_PKT_iiiPKbib ; -- Begin function _ZN12_GLOBAL__N_120softmax_warp_forwardIfffLi0ELb0ELb1ELi32EEEvPT0_PKT_iiiPKbib
	.p2align	8
	.type	_ZN12_GLOBAL__N_120softmax_warp_forwardIfffLi0ELb0ELb1ELi32EEEvPT0_PKT_iiiPKbib,@function
_ZN12_GLOBAL__N_120softmax_warp_forwardIfffLi0ELb0ELb1ELi32EEEvPT0_PKT_iiiPKbib: ; @_ZN12_GLOBAL__N_120softmax_warp_forwardIfffLi0ELb0ELb1ELi32EEEvPT0_PKT_iiiPKbib
; %bb.0:
	s_clause 0x2
	s_load_b64 s[2:3], s[0:1], 0x28
	s_load_b32 s8, s[0:1], 0x3c
	s_load_b128 s[4:7], s[0:1], 0x10
	v_bfe_u32 v1, v0, 10, 10
	v_and_b32_e32 v4, 0x3ff, v0
	s_waitcnt lgkmcnt(0)
	s_bitcmp1_b32 s3, 0
	s_cselect_b32 s12, -1, 0
	s_lshr_b32 s7, s8, 16
	s_bitcmp0_b32 s3, 0
	s_mul_i32 s15, s15, s7
	s_delay_alu instid0(SALU_CYCLE_1) | instskip(NEXT) | instid1(VALU_DEP_1)
	v_add_lshl_u32 v5, s15, v1, 1
	v_mul_lo_u32 v6, v5, s5
	s_delay_alu instid0(VALU_DEP_1) | instskip(NEXT) | instid1(VALU_DEP_1)
	v_add_nc_u32_e32 v0, v6, v4
	v_ashrrev_i32_e32 v1, 31, v0
	s_delay_alu instid0(VALU_DEP_1)
	v_dual_mov_b32 v3, v1 :: v_dual_mov_b32 v2, v0
	s_cbranch_scc1 .LBB697_2
; %bb.1:
	s_abs_i32 s3, s2
	v_sub_nc_u32_e32 v7, 0, v6
	v_cvt_f32_u32_e32 v2, s3
	s_sub_i32 s7, 0, s3
	s_delay_alu instid0(VALU_DEP_2) | instskip(NEXT) | instid1(VALU_DEP_2)
	v_max_i32_e32 v7, v6, v7
	v_rcp_iflag_f32_e32 v2, v2
	v_xor_b32_e32 v6, s2, v6
	s_delay_alu instid0(VALU_DEP_1) | instskip(SKIP_2) | instid1(VALU_DEP_1)
	v_ashrrev_i32_e32 v6, 31, v6
	s_waitcnt_depctr 0xfff
	v_mul_f32_e32 v2, 0x4f7ffffe, v2
	v_cvt_u32_f32_e32 v2, v2
	s_delay_alu instid0(VALU_DEP_1) | instskip(NEXT) | instid1(VALU_DEP_1)
	v_mul_lo_u32 v3, s7, v2
	v_mul_hi_u32 v3, v2, v3
	s_delay_alu instid0(VALU_DEP_1) | instskip(NEXT) | instid1(VALU_DEP_1)
	v_add_nc_u32_e32 v2, v2, v3
	v_mul_hi_u32 v2, v7, v2
	s_delay_alu instid0(VALU_DEP_1) | instskip(NEXT) | instid1(VALU_DEP_1)
	v_mul_lo_u32 v3, v2, s3
	v_sub_nc_u32_e32 v3, v7, v3
	v_add_nc_u32_e32 v7, 1, v2
	s_delay_alu instid0(VALU_DEP_2) | instskip(SKIP_1) | instid1(VALU_DEP_2)
	v_subrev_nc_u32_e32 v8, s3, v3
	v_cmp_le_u32_e32 vcc_lo, s3, v3
	v_dual_cndmask_b32 v3, v3, v8 :: v_dual_cndmask_b32 v2, v2, v7
	s_delay_alu instid0(VALU_DEP_1) | instskip(NEXT) | instid1(VALU_DEP_2)
	v_cmp_le_u32_e32 vcc_lo, s3, v3
	v_add_nc_u32_e32 v7, 1, v2
	s_delay_alu instid0(VALU_DEP_1) | instskip(NEXT) | instid1(VALU_DEP_1)
	v_cndmask_b32_e32 v2, v2, v7, vcc_lo
	v_xor_b32_e32 v2, v2, v6
	s_delay_alu instid0(VALU_DEP_1) | instskip(NEXT) | instid1(VALU_DEP_1)
	v_sub_nc_u32_e32 v6, v2, v6
	v_mad_u64_u32 v[2:3], null, v6, s5, v[4:5]
	s_delay_alu instid0(VALU_DEP_1)
	v_ashrrev_i32_e32 v3, 31, v2
.LBB697_2:
	s_load_b128 s[8:11], s[0:1], 0x0
	v_lshlrev_b64 v[0:1], 2, v[0:1]
	v_sub_nc_u32_e32 v6, s4, v5
	v_cmp_gt_i32_e64 s2, s6, v4
	v_mov_b32_e32 v7, 0xff800000
	v_mov_b32_e32 v9, 0xff800000
	s_delay_alu instid0(VALU_DEP_4) | instskip(SKIP_2) | instid1(VALU_DEP_1)
	v_cmp_lt_i32_e32 vcc_lo, 0, v6
	s_waitcnt lgkmcnt(0)
	v_add_co_u32 v4, s3, s10, v0
	v_add_co_ci_u32_e64 v5, s3, s11, v1, s3
	s_and_b32 s11, s2, vcc_lo
	s_delay_alu instid0(SALU_CYCLE_1)
	s_and_saveexec_b32 s3, s11
	s_cbranch_execz .LBB697_4
; %bb.3:
	global_load_b32 v9, v[4:5], off
.LBB697_4:
	s_or_b32 exec_lo, exec_lo, s3
	v_cmp_lt_i32_e64 s3, 1, v6
	s_delay_alu instid0(VALU_DEP_1) | instskip(NEXT) | instid1(SALU_CYCLE_1)
	s_and_b32 s10, s2, s3
	s_and_saveexec_b32 s4, s10
	s_cbranch_execz .LBB697_6
; %bb.5:
	s_mov_b32 s7, 0
	s_delay_alu instid0(SALU_CYCLE_1) | instskip(NEXT) | instid1(SALU_CYCLE_1)
	s_lshl_b64 s[14:15], s[6:7], 2
	v_add_co_u32 v4, s3, v4, s14
	s_delay_alu instid0(VALU_DEP_1)
	v_add_co_ci_u32_e64 v5, s3, s15, v5, s3
	global_load_b32 v7, v[4:5], off
.LBB697_6:
	s_or_b32 exec_lo, exec_lo, s4
	s_load_b64 s[0:1], s[0:1], 0x20
	s_waitcnt lgkmcnt(0)
	v_add_co_u32 v4, s0, s0, v2
	s_delay_alu instid0(VALU_DEP_1)
	v_add_co_ci_u32_e64 v5, s0, s1, v3, s0
	v_mov_b32_e32 v2, 0xff800000
	s_and_saveexec_b32 s1, s11
	s_cbranch_execz .LBB697_8
; %bb.7:
	global_load_u8 v2, v[4:5], off
	s_waitcnt vmcnt(0)
	v_and_b32_e32 v2, 1, v2
	s_delay_alu instid0(VALU_DEP_1) | instskip(NEXT) | instid1(VALU_DEP_1)
	v_cmp_eq_u32_e64 s0, 1, v2
	v_cndmask_b32_e64 v2, v9, 0xff800000, s0
.LBB697_8:
	s_or_b32 exec_lo, exec_lo, s1
	s_mov_b32 s4, 0
	s_mov_b32 s0, 0
	s_and_saveexec_b32 s1, s10
	s_cbranch_execz .LBB697_10
; %bb.9:
	s_and_b32 s0, s12, exec_lo
	s_cselect_b32 s0, 0, s6
	s_cselect_b32 s3, 0, 0
	v_add_co_u32 v10, s0, v4, s0
	s_delay_alu instid0(VALU_DEP_1) | instskip(SKIP_3) | instid1(VALU_DEP_1)
	v_add_co_ci_u32_e64 v11, s0, s3, v5, s0
	global_load_u8 v3, v[10:11], off
	s_waitcnt vmcnt(0)
	v_and_b32_e32 v3, 1, v3
	v_cmp_eq_u32_e64 s0, 1, v3
	s_delay_alu instid0(VALU_DEP_1) | instskip(NEXT) | instid1(SALU_CYCLE_1)
	s_xor_b32 s0, s0, -1
	s_and_b32 s0, s0, exec_lo
.LBB697_10:
	s_or_b32 exec_lo, exec_lo, s1
	s_mov_b32 s5, s4
	v_cndmask_b32_e64 v12, v2, v2, s0
	v_mov_b32_e32 v2, s4
	s_waitcnt vmcnt(0)
	v_cndmask_b32_e64 v11, 0xff800000, v7, s0
	v_dual_mov_b32 v8, 0 :: v_dual_mov_b32 v3, s5
	v_mov_b32_e32 v10, 0
	s_and_saveexec_b32 s1, s11
	s_cbranch_execnz .LBB697_14
; %bb.11:
	s_or_b32 exec_lo, exec_lo, s1
	s_and_saveexec_b32 s1, s10
	s_cbranch_execnz .LBB697_17
.LBB697_12:
	s_or_b32 exec_lo, exec_lo, s1
	s_and_saveexec_b32 s0, vcc_lo
	s_cbranch_execnz .LBB697_20
.LBB697_13:
	s_nop 0
	s_sendmsg sendmsg(MSG_DEALLOC_VGPRS)
	s_endpgm
.LBB697_14:
	global_load_u8 v2, v[4:5], off
	s_mov_b32 s5, s4
	v_mov_b32_e32 v10, 0
	s_waitcnt vmcnt(0)
	v_and_b32_e32 v2, 1, v2
	s_delay_alu instid0(VALU_DEP_1) | instskip(SKIP_1) | instid1(VALU_DEP_2)
	v_cmp_eq_u32_e64 s0, 1, v2
	v_dual_mov_b32 v2, s4 :: v_dual_mov_b32 v3, s5
	s_xor_b32 s0, s0, -1
	s_delay_alu instid0(SALU_CYCLE_1)
	s_and_saveexec_b32 s3, s0
	s_cbranch_execz .LBB697_16
; %bb.15:
	v_sub_f32_e32 v2, v9, v12
	s_delay_alu instid0(VALU_DEP_1) | instskip(NEXT) | instid1(VALU_DEP_1)
	v_mul_f32_e32 v3, 0x3fb8aa3b, v2
	v_fma_f32 v9, 0x3fb8aa3b, v2, -v3
	v_rndne_f32_e32 v10, v3
	s_delay_alu instid0(VALU_DEP_1) | instskip(NEXT) | instid1(VALU_DEP_3)
	v_sub_f32_e32 v3, v3, v10
	v_fmamk_f32 v9, v2, 0x32a5705f, v9
	v_cmp_ngt_f32_e64 s0, 0xc2ce8ed0, v2
	s_delay_alu instid0(VALU_DEP_2) | instskip(SKIP_1) | instid1(VALU_DEP_2)
	v_add_f32_e32 v3, v3, v9
	v_cvt_i32_f32_e32 v9, v10
	v_exp_f32_e32 v3, v3
	s_waitcnt_depctr 0xfff
	v_ldexp_f32 v3, v3, v9
	s_delay_alu instid0(VALU_DEP_1) | instskip(SKIP_1) | instid1(VALU_DEP_1)
	v_cndmask_b32_e64 v3, 0, v3, s0
	v_cmp_nlt_f32_e64 s0, 0x42b17218, v2
	v_cndmask_b32_e64 v2, 0x7f800000, v3, s0
	s_delay_alu instid0(VALU_DEP_1)
	v_dual_mov_b32 v3, 0 :: v_dual_mov_b32 v10, v2
.LBB697_16:
	s_or_b32 exec_lo, exec_lo, s3
	s_delay_alu instid0(SALU_CYCLE_1)
	s_or_b32 exec_lo, exec_lo, s1
	s_and_saveexec_b32 s1, s10
	s_cbranch_execz .LBB697_12
.LBB697_17:
	s_and_b32 s0, s12, exec_lo
	s_cselect_b32 s0, 0, s6
	s_cselect_b32 s3, 0, 0
	v_add_co_u32 v4, s0, v4, s0
	s_delay_alu instid0(VALU_DEP_1) | instskip(SKIP_4) | instid1(VALU_DEP_1)
	v_add_co_ci_u32_e64 v5, s0, s3, v5, s0
	v_mov_b32_e32 v8, 0
	global_load_u8 v4, v[4:5], off
	s_waitcnt vmcnt(0)
	v_and_b32_e32 v4, 1, v4
	v_cmp_eq_u32_e64 s0, 1, v4
	s_delay_alu instid0(VALU_DEP_1) | instskip(NEXT) | instid1(SALU_CYCLE_1)
	s_xor_b32 s0, s0, -1
	s_and_saveexec_b32 s3, s0
	s_cbranch_execz .LBB697_19
; %bb.18:
	v_sub_f32_e32 v4, v7, v11
	s_delay_alu instid0(VALU_DEP_1) | instskip(NEXT) | instid1(VALU_DEP_1)
	v_mul_f32_e32 v5, 0x3fb8aa3b, v4
	v_fma_f32 v7, 0x3fb8aa3b, v4, -v5
	v_rndne_f32_e32 v8, v5
	s_delay_alu instid0(VALU_DEP_1) | instskip(NEXT) | instid1(VALU_DEP_3)
	v_sub_f32_e32 v5, v5, v8
	v_fmamk_f32 v7, v4, 0x32a5705f, v7
	v_cmp_ngt_f32_e64 s0, 0xc2ce8ed0, v4
	s_delay_alu instid0(VALU_DEP_2) | instskip(SKIP_1) | instid1(VALU_DEP_2)
	v_add_f32_e32 v5, v5, v7
	v_cvt_i32_f32_e32 v7, v8
	v_exp_f32_e32 v5, v5
	s_waitcnt_depctr 0xfff
	v_ldexp_f32 v5, v5, v7
	s_delay_alu instid0(VALU_DEP_1) | instskip(SKIP_1) | instid1(VALU_DEP_1)
	v_cndmask_b32_e64 v5, 0, v5, s0
	v_cmp_nlt_f32_e64 s0, 0x42b17218, v4
	v_cndmask_b32_e64 v8, 0x7f800000, v5, s0
	s_delay_alu instid0(VALU_DEP_1)
	v_add_f32_e32 v3, v3, v8
.LBB697_19:
	s_or_b32 exec_lo, exec_lo, s3
	s_delay_alu instid0(SALU_CYCLE_1)
	s_or_b32 exec_lo, exec_lo, s1
	s_and_saveexec_b32 s0, vcc_lo
	s_cbranch_execz .LBB697_13
.LBB697_20:
	v_add_co_u32 v0, vcc_lo, s8, v0
	v_add_co_ci_u32_e32 v1, vcc_lo, s9, v1, vcc_lo
	s_and_saveexec_b32 s0, s2
	s_cbranch_execz .LBB697_22
; %bb.21:
	v_div_scale_f32 v4, null, v2, v2, v10
	s_delay_alu instid0(VALU_DEP_1) | instskip(SKIP_2) | instid1(VALU_DEP_1)
	v_rcp_f32_e32 v5, v4
	s_waitcnt_depctr 0xfff
	v_fma_f32 v7, -v4, v5, 1.0
	v_fmac_f32_e32 v5, v7, v5
	v_div_scale_f32 v7, vcc_lo, v10, v2, v10
	s_delay_alu instid0(VALU_DEP_1) | instskip(NEXT) | instid1(VALU_DEP_1)
	v_mul_f32_e32 v9, v7, v5
	v_fma_f32 v11, -v4, v9, v7
	s_delay_alu instid0(VALU_DEP_1) | instskip(NEXT) | instid1(VALU_DEP_1)
	v_fmac_f32_e32 v9, v11, v5
	v_fma_f32 v4, -v4, v9, v7
	s_delay_alu instid0(VALU_DEP_1) | instskip(SKIP_1) | instid1(VALU_DEP_2)
	v_div_fmas_f32 v4, v4, v5, v9
	v_cmp_neq_f32_e32 vcc_lo, 0, v2
	v_div_fixup_f32 v4, v4, v2, v10
	s_delay_alu instid0(VALU_DEP_1)
	v_cndmask_b32_e32 v2, 0x7fc00000, v4, vcc_lo
	global_store_b32 v[0:1], v2, off
.LBB697_22:
	s_or_b32 exec_lo, exec_lo, s0
	v_cmp_ne_u32_e32 vcc_lo, 1, v6
	s_and_b32 exec_lo, exec_lo, vcc_lo
	s_cbranch_execz .LBB697_13
; %bb.23:
	s_and_b32 exec_lo, exec_lo, s2
	s_cbranch_execz .LBB697_13
; %bb.24:
	v_div_scale_f32 v2, null, v3, v3, v8
	v_div_scale_f32 v6, vcc_lo, v8, v3, v8
	s_mov_b32 s7, 0
	s_delay_alu instid0(VALU_DEP_2) | instskip(SKIP_3) | instid1(VALU_DEP_1)
	v_rcp_f32_e32 v4, v2
	s_lshl_b64 s[0:1], s[6:7], 2
	s_waitcnt_depctr 0xfff
	v_fma_f32 v5, -v2, v4, 1.0
	v_fmac_f32_e32 v4, v5, v4
	s_delay_alu instid0(VALU_DEP_1) | instskip(NEXT) | instid1(VALU_DEP_1)
	v_mul_f32_e32 v5, v6, v4
	v_fma_f32 v7, -v2, v5, v6
	s_delay_alu instid0(VALU_DEP_1) | instskip(NEXT) | instid1(VALU_DEP_1)
	v_fmac_f32_e32 v5, v7, v4
	v_fma_f32 v2, -v2, v5, v6
	s_delay_alu instid0(VALU_DEP_1) | instskip(SKIP_2) | instid1(VALU_DEP_3)
	v_div_fmas_f32 v2, v2, v4, v5
	v_add_co_u32 v0, vcc_lo, v0, s0
	v_add_co_ci_u32_e32 v1, vcc_lo, s1, v1, vcc_lo
	v_div_fixup_f32 v2, v2, v3, v8
	v_cmp_neq_f32_e32 vcc_lo, 0, v3
	s_delay_alu instid0(VALU_DEP_2)
	v_cndmask_b32_e32 v2, 0x7fc00000, v2, vcc_lo
	global_store_b32 v[0:1], v2, off
	s_nop 0
	s_sendmsg sendmsg(MSG_DEALLOC_VGPRS)
	s_endpgm
	.section	.rodata,"a",@progbits
	.p2align	6, 0x0
	.amdhsa_kernel _ZN12_GLOBAL__N_120softmax_warp_forwardIfffLi0ELb0ELb1ELi32EEEvPT0_PKT_iiiPKbib
		.amdhsa_group_segment_fixed_size 0
		.amdhsa_private_segment_fixed_size 0
		.amdhsa_kernarg_size 304
		.amdhsa_user_sgpr_count 15
		.amdhsa_user_sgpr_dispatch_ptr 0
		.amdhsa_user_sgpr_queue_ptr 0
		.amdhsa_user_sgpr_kernarg_segment_ptr 1
		.amdhsa_user_sgpr_dispatch_id 0
		.amdhsa_user_sgpr_private_segment_size 0
		.amdhsa_wavefront_size32 1
		.amdhsa_uses_dynamic_stack 0
		.amdhsa_enable_private_segment 0
		.amdhsa_system_sgpr_workgroup_id_x 1
		.amdhsa_system_sgpr_workgroup_id_y 0
		.amdhsa_system_sgpr_workgroup_id_z 0
		.amdhsa_system_sgpr_workgroup_info 0
		.amdhsa_system_vgpr_workitem_id 1
		.amdhsa_next_free_vgpr 13
		.amdhsa_next_free_sgpr 16
		.amdhsa_reserve_vcc 1
		.amdhsa_float_round_mode_32 0
		.amdhsa_float_round_mode_16_64 0
		.amdhsa_float_denorm_mode_32 3
		.amdhsa_float_denorm_mode_16_64 3
		.amdhsa_dx10_clamp 1
		.amdhsa_ieee_mode 1
		.amdhsa_fp16_overflow 0
		.amdhsa_workgroup_processor_mode 1
		.amdhsa_memory_ordered 1
		.amdhsa_forward_progress 0
		.amdhsa_shared_vgpr_count 0
		.amdhsa_exception_fp_ieee_invalid_op 0
		.amdhsa_exception_fp_denorm_src 0
		.amdhsa_exception_fp_ieee_div_zero 0
		.amdhsa_exception_fp_ieee_overflow 0
		.amdhsa_exception_fp_ieee_underflow 0
		.amdhsa_exception_fp_ieee_inexact 0
		.amdhsa_exception_int_div_zero 0
	.end_amdhsa_kernel
	.section	.text._ZN12_GLOBAL__N_120softmax_warp_forwardIfffLi0ELb0ELb1ELi32EEEvPT0_PKT_iiiPKbib,"axG",@progbits,_ZN12_GLOBAL__N_120softmax_warp_forwardIfffLi0ELb0ELb1ELi32EEEvPT0_PKT_iiiPKbib,comdat
.Lfunc_end697:
	.size	_ZN12_GLOBAL__N_120softmax_warp_forwardIfffLi0ELb0ELb1ELi32EEEvPT0_PKT_iiiPKbib, .Lfunc_end697-_ZN12_GLOBAL__N_120softmax_warp_forwardIfffLi0ELb0ELb1ELi32EEEvPT0_PKT_iiiPKbib
                                        ; -- End function
	.section	.AMDGPU.csdata,"",@progbits
; Kernel info:
; codeLenInByte = 1484
; NumSgprs: 18
; NumVgprs: 13
; ScratchSize: 0
; MemoryBound: 0
; FloatMode: 240
; IeeeMode: 1
; LDSByteSize: 0 bytes/workgroup (compile time only)
; SGPRBlocks: 2
; VGPRBlocks: 1
; NumSGPRsForWavesPerEU: 18
; NumVGPRsForWavesPerEU: 13
; Occupancy: 16
; WaveLimiterHint : 0
; COMPUTE_PGM_RSRC2:SCRATCH_EN: 0
; COMPUTE_PGM_RSRC2:USER_SGPR: 15
; COMPUTE_PGM_RSRC2:TRAP_HANDLER: 0
; COMPUTE_PGM_RSRC2:TGID_X_EN: 1
; COMPUTE_PGM_RSRC2:TGID_Y_EN: 0
; COMPUTE_PGM_RSRC2:TGID_Z_EN: 0
; COMPUTE_PGM_RSRC2:TIDIG_COMP_CNT: 1
	.section	.text._ZN12_GLOBAL__N_120softmax_warp_forwardIfffLi1ELb0ELb1ELi64EEEvPT0_PKT_iiiPKbib,"axG",@progbits,_ZN12_GLOBAL__N_120softmax_warp_forwardIfffLi1ELb0ELb1ELi64EEEvPT0_PKT_iiiPKbib,comdat
	.globl	_ZN12_GLOBAL__N_120softmax_warp_forwardIfffLi1ELb0ELb1ELi64EEEvPT0_PKT_iiiPKbib ; -- Begin function _ZN12_GLOBAL__N_120softmax_warp_forwardIfffLi1ELb0ELb1ELi64EEEvPT0_PKT_iiiPKbib
	.p2align	8
	.type	_ZN12_GLOBAL__N_120softmax_warp_forwardIfffLi1ELb0ELb1ELi64EEEvPT0_PKT_iiiPKbib,@function
_ZN12_GLOBAL__N_120softmax_warp_forwardIfffLi1ELb0ELb1ELi64EEEvPT0_PKT_iiiPKbib: ; @_ZN12_GLOBAL__N_120softmax_warp_forwardIfffLi1ELb0ELb1ELi64EEEvPT0_PKT_iiiPKbib
; %bb.0:
	s_clause 0x2
	s_load_b64 s[2:3], s[0:1], 0x28
	s_load_b32 s8, s[0:1], 0x3c
	s_load_b128 s[4:7], s[0:1], 0x10
	v_bfe_u32 v1, v0, 10, 10
	v_and_b32_e32 v4, 0x3ff, v0
	s_waitcnt lgkmcnt(0)
	s_bitcmp1_b32 s3, 0
	s_cselect_b32 s12, -1, 0
	s_lshr_b32 s7, s8, 16
	s_bitcmp0_b32 s3, 0
	s_mul_i32 s15, s15, s7
	s_delay_alu instid0(SALU_CYCLE_1) | instskip(NEXT) | instid1(VALU_DEP_1)
	v_add_lshl_u32 v5, s15, v1, 1
	v_mul_lo_u32 v6, v5, s5
	s_delay_alu instid0(VALU_DEP_1) | instskip(NEXT) | instid1(VALU_DEP_1)
	v_add_nc_u32_e32 v0, v6, v4
	v_ashrrev_i32_e32 v1, 31, v0
	s_delay_alu instid0(VALU_DEP_1)
	v_dual_mov_b32 v3, v1 :: v_dual_mov_b32 v2, v0
	s_cbranch_scc1 .LBB698_2
; %bb.1:
	s_abs_i32 s3, s2
	v_sub_nc_u32_e32 v7, 0, v6
	v_cvt_f32_u32_e32 v2, s3
	s_sub_i32 s7, 0, s3
	s_delay_alu instid0(VALU_DEP_2) | instskip(NEXT) | instid1(VALU_DEP_2)
	v_max_i32_e32 v7, v6, v7
	v_rcp_iflag_f32_e32 v2, v2
	v_xor_b32_e32 v6, s2, v6
	s_delay_alu instid0(VALU_DEP_1) | instskip(SKIP_2) | instid1(VALU_DEP_1)
	v_ashrrev_i32_e32 v6, 31, v6
	s_waitcnt_depctr 0xfff
	v_mul_f32_e32 v2, 0x4f7ffffe, v2
	v_cvt_u32_f32_e32 v2, v2
	s_delay_alu instid0(VALU_DEP_1) | instskip(NEXT) | instid1(VALU_DEP_1)
	v_mul_lo_u32 v3, s7, v2
	v_mul_hi_u32 v3, v2, v3
	s_delay_alu instid0(VALU_DEP_1) | instskip(NEXT) | instid1(VALU_DEP_1)
	v_add_nc_u32_e32 v2, v2, v3
	v_mul_hi_u32 v2, v7, v2
	s_delay_alu instid0(VALU_DEP_1) | instskip(NEXT) | instid1(VALU_DEP_1)
	v_mul_lo_u32 v3, v2, s3
	v_sub_nc_u32_e32 v3, v7, v3
	v_add_nc_u32_e32 v7, 1, v2
	s_delay_alu instid0(VALU_DEP_2) | instskip(SKIP_1) | instid1(VALU_DEP_2)
	v_subrev_nc_u32_e32 v8, s3, v3
	v_cmp_le_u32_e32 vcc_lo, s3, v3
	v_dual_cndmask_b32 v3, v3, v8 :: v_dual_cndmask_b32 v2, v2, v7
	s_delay_alu instid0(VALU_DEP_1) | instskip(NEXT) | instid1(VALU_DEP_2)
	v_cmp_le_u32_e32 vcc_lo, s3, v3
	v_add_nc_u32_e32 v7, 1, v2
	s_delay_alu instid0(VALU_DEP_1) | instskip(NEXT) | instid1(VALU_DEP_1)
	v_cndmask_b32_e32 v2, v2, v7, vcc_lo
	v_xor_b32_e32 v2, v2, v6
	s_delay_alu instid0(VALU_DEP_1) | instskip(NEXT) | instid1(VALU_DEP_1)
	v_sub_nc_u32_e32 v6, v2, v6
	v_mad_u64_u32 v[2:3], null, v6, s5, v[4:5]
	s_delay_alu instid0(VALU_DEP_1)
	v_ashrrev_i32_e32 v3, 31, v2
.LBB698_2:
	s_load_b128 s[8:11], s[0:1], 0x0
	v_lshlrev_b64 v[0:1], 2, v[0:1]
	v_sub_nc_u32_e32 v6, s4, v5
	v_cmp_gt_i32_e64 s2, s6, v4
	v_mov_b32_e32 v7, 0xff800000
	v_mov_b32_e32 v9, 0xff800000
	s_delay_alu instid0(VALU_DEP_4) | instskip(SKIP_2) | instid1(VALU_DEP_1)
	v_cmp_lt_i32_e32 vcc_lo, 0, v6
	s_waitcnt lgkmcnt(0)
	v_add_co_u32 v4, s3, s10, v0
	v_add_co_ci_u32_e64 v5, s3, s11, v1, s3
	s_and_b32 s11, s2, vcc_lo
	s_delay_alu instid0(SALU_CYCLE_1)
	s_and_saveexec_b32 s3, s11
	s_cbranch_execz .LBB698_4
; %bb.3:
	global_load_b32 v9, v[4:5], off
.LBB698_4:
	s_or_b32 exec_lo, exec_lo, s3
	v_cmp_lt_i32_e64 s3, 1, v6
	s_delay_alu instid0(VALU_DEP_1) | instskip(NEXT) | instid1(SALU_CYCLE_1)
	s_and_b32 s10, s2, s3
	s_and_saveexec_b32 s4, s10
	s_cbranch_execz .LBB698_6
; %bb.5:
	s_mov_b32 s7, 0
	s_delay_alu instid0(SALU_CYCLE_1) | instskip(NEXT) | instid1(SALU_CYCLE_1)
	s_lshl_b64 s[14:15], s[6:7], 2
	v_add_co_u32 v4, s3, v4, s14
	s_delay_alu instid0(VALU_DEP_1)
	v_add_co_ci_u32_e64 v5, s3, s15, v5, s3
	global_load_b32 v7, v[4:5], off
.LBB698_6:
	s_or_b32 exec_lo, exec_lo, s4
	s_load_b64 s[0:1], s[0:1], 0x20
	s_waitcnt lgkmcnt(0)
	v_add_co_u32 v4, s0, s0, v2
	s_delay_alu instid0(VALU_DEP_1)
	v_add_co_ci_u32_e64 v5, s0, s1, v3, s0
	v_mov_b32_e32 v2, 0xff800000
	s_and_saveexec_b32 s1, s11
	s_cbranch_execz .LBB698_8
; %bb.7:
	global_load_u8 v2, v[4:5], off
	s_waitcnt vmcnt(0)
	v_and_b32_e32 v2, 1, v2
	s_delay_alu instid0(VALU_DEP_1) | instskip(NEXT) | instid1(VALU_DEP_1)
	v_cmp_eq_u32_e64 s0, 1, v2
	v_cndmask_b32_e64 v2, v9, 0xff800000, s0
.LBB698_8:
	s_or_b32 exec_lo, exec_lo, s1
	s_mov_b32 s4, 0
	s_mov_b32 s1, 0
	s_and_saveexec_b32 s3, s10
	s_cbranch_execz .LBB698_10
; %bb.9:
	s_and_b32 s0, s12, exec_lo
	s_cselect_b32 s0, 0, s6
	s_cselect_b32 s1, 0, 0
	v_add_co_u32 v10, s0, v4, s0
	s_delay_alu instid0(VALU_DEP_1) | instskip(SKIP_3) | instid1(VALU_DEP_1)
	v_add_co_ci_u32_e64 v11, s0, s1, v5, s0
	global_load_u8 v3, v[10:11], off
	s_waitcnt vmcnt(0)
	v_and_b32_e32 v3, 1, v3
	v_cmp_eq_u32_e64 s0, 1, v3
	s_delay_alu instid0(VALU_DEP_1) | instskip(NEXT) | instid1(SALU_CYCLE_1)
	s_xor_b32 s0, s0, -1
	s_and_b32 s1, s0, exec_lo
.LBB698_10:
	s_or_b32 exec_lo, exec_lo, s3
	v_mbcnt_lo_u32_b32 v3, -1, 0
	s_mov_b32 s5, s4
	v_cndmask_b32_e64 v14, v2, v2, s1
	s_waitcnt vmcnt(0)
	v_cndmask_b32_e64 v12, 0xff800000, v7, s1
	v_dual_mov_b32 v11, 0 :: v_dual_and_b32 v8, 30, v3
	v_xor_b32_e32 v10, 1, v3
	s_delay_alu instid0(VALU_DEP_2) | instskip(NEXT) | instid1(VALU_DEP_1)
	v_add_nc_u32_e32 v8, 2, v8
	v_cmp_lt_i32_e64 s0, v10, v8
	v_mov_b32_e32 v8, 0
	s_delay_alu instid0(VALU_DEP_2) | instskip(NEXT) | instid1(VALU_DEP_1)
	v_cndmask_b32_e64 v3, v3, v10, s0
	v_lshlrev_b32_e32 v10, 2, v3
	v_dual_mov_b32 v2, s4 :: v_dual_mov_b32 v3, s5
	ds_bpermute_b32 v15, v10, v14
	ds_bpermute_b32 v13, v10, v12
	s_and_saveexec_b32 s1, s11
	s_cbranch_execz .LBB698_14
; %bb.11:
	global_load_u8 v2, v[4:5], off
	s_mov_b32 s5, s4
	s_waitcnt vmcnt(0)
	v_dual_mov_b32 v11, 0 :: v_dual_and_b32 v2, 1, v2
	s_delay_alu instid0(VALU_DEP_1) | instskip(SKIP_1) | instid1(VALU_DEP_2)
	v_cmp_eq_u32_e64 s0, 1, v2
	v_dual_mov_b32 v2, s4 :: v_dual_mov_b32 v3, s5
	s_xor_b32 s0, s0, -1
	s_delay_alu instid0(SALU_CYCLE_1)
	s_and_saveexec_b32 s3, s0
	s_cbranch_execz .LBB698_13
; %bb.12:
	s_waitcnt lgkmcnt(1)
	v_cmp_lt_f32_e64 s0, v14, v15
	s_delay_alu instid0(VALU_DEP_1) | instskip(NEXT) | instid1(VALU_DEP_1)
	v_cndmask_b32_e64 v2, v14, v15, s0
	v_sub_f32_e32 v2, v9, v2
	s_delay_alu instid0(VALU_DEP_1) | instskip(NEXT) | instid1(VALU_DEP_1)
	v_mul_f32_e32 v3, 0x3fb8aa3b, v2
	v_fma_f32 v9, 0x3fb8aa3b, v2, -v3
	v_rndne_f32_e32 v11, v3
	s_delay_alu instid0(VALU_DEP_1) | instskip(NEXT) | instid1(VALU_DEP_3)
	v_sub_f32_e32 v3, v3, v11
	v_fmamk_f32 v9, v2, 0x32a5705f, v9
	v_cmp_ngt_f32_e64 s0, 0xc2ce8ed0, v2
	s_delay_alu instid0(VALU_DEP_2) | instskip(SKIP_1) | instid1(VALU_DEP_2)
	v_add_f32_e32 v3, v3, v9
	v_cvt_i32_f32_e32 v9, v11
	v_exp_f32_e32 v3, v3
	s_waitcnt_depctr 0xfff
	v_ldexp_f32 v3, v3, v9
	s_delay_alu instid0(VALU_DEP_1) | instskip(SKIP_1) | instid1(VALU_DEP_1)
	v_cndmask_b32_e64 v3, 0, v3, s0
	v_cmp_nlt_f32_e64 s0, 0x42b17218, v2
	v_cndmask_b32_e64 v2, 0x7f800000, v3, s0
	v_mov_b32_e32 v3, 0
	s_delay_alu instid0(VALU_DEP_2)
	v_mov_b32_e32 v11, v2
.LBB698_13:
	s_or_b32 exec_lo, exec_lo, s3
.LBB698_14:
	s_delay_alu instid0(SALU_CYCLE_1)
	s_or_b32 exec_lo, exec_lo, s1
	s_and_saveexec_b32 s1, s10
	s_cbranch_execz .LBB698_18
; %bb.15:
	s_and_b32 s0, s12, exec_lo
	s_cselect_b32 s0, 0, s6
	s_cselect_b32 s3, 0, 0
	v_add_co_u32 v4, s0, v4, s0
	s_delay_alu instid0(VALU_DEP_1) | instskip(SKIP_4) | instid1(VALU_DEP_1)
	v_add_co_ci_u32_e64 v5, s0, s3, v5, s0
	v_mov_b32_e32 v8, 0
	global_load_u8 v4, v[4:5], off
	s_waitcnt vmcnt(0)
	v_and_b32_e32 v4, 1, v4
	v_cmp_eq_u32_e64 s0, 1, v4
	s_delay_alu instid0(VALU_DEP_1) | instskip(NEXT) | instid1(SALU_CYCLE_1)
	s_xor_b32 s0, s0, -1
	s_and_saveexec_b32 s3, s0
	s_cbranch_execz .LBB698_17
; %bb.16:
	s_waitcnt lgkmcnt(0)
	v_cmp_lt_f32_e64 s0, v12, v13
	s_delay_alu instid0(VALU_DEP_1) | instskip(NEXT) | instid1(VALU_DEP_1)
	v_cndmask_b32_e64 v4, v12, v13, s0
	v_sub_f32_e32 v4, v7, v4
	s_delay_alu instid0(VALU_DEP_1) | instskip(NEXT) | instid1(VALU_DEP_1)
	v_mul_f32_e32 v5, 0x3fb8aa3b, v4
	v_fma_f32 v7, 0x3fb8aa3b, v4, -v5
	v_rndne_f32_e32 v8, v5
	s_delay_alu instid0(VALU_DEP_2) | instskip(NEXT) | instid1(VALU_DEP_2)
	v_fmamk_f32 v7, v4, 0x32a5705f, v7
	v_sub_f32_e32 v5, v5, v8
	s_delay_alu instid0(VALU_DEP_1) | instskip(SKIP_2) | instid1(VALU_DEP_3)
	v_add_f32_e32 v5, v5, v7
	v_cvt_i32_f32_e32 v7, v8
	v_cmp_ngt_f32_e64 s0, 0xc2ce8ed0, v4
	v_exp_f32_e32 v5, v5
	s_waitcnt_depctr 0xfff
	v_ldexp_f32 v5, v5, v7
	s_delay_alu instid0(VALU_DEP_1) | instskip(SKIP_1) | instid1(VALU_DEP_1)
	v_cndmask_b32_e64 v5, 0, v5, s0
	v_cmp_nlt_f32_e64 s0, 0x42b17218, v4
	v_cndmask_b32_e64 v8, 0x7f800000, v5, s0
	s_delay_alu instid0(VALU_DEP_1)
	v_add_f32_e32 v3, v3, v8
.LBB698_17:
	s_or_b32 exec_lo, exec_lo, s3
.LBB698_18:
	s_delay_alu instid0(SALU_CYCLE_1)
	s_or_b32 exec_lo, exec_lo, s1
	ds_bpermute_b32 v5, v10, v2
	ds_bpermute_b32 v4, v10, v3
	s_and_saveexec_b32 s0, vcc_lo
	s_cbranch_execz .LBB698_24
; %bb.19:
	v_add_co_u32 v0, vcc_lo, s8, v0
	v_add_co_ci_u32_e32 v1, vcc_lo, s9, v1, vcc_lo
	s_and_saveexec_b32 s0, s2
	s_cbranch_execz .LBB698_21
; %bb.20:
	s_waitcnt lgkmcnt(1)
	v_add_f32_e32 v2, v2, v5
	s_delay_alu instid0(VALU_DEP_1) | instskip(NEXT) | instid1(VALU_DEP_1)
	v_div_scale_f32 v5, null, v2, v2, v11
	v_rcp_f32_e32 v7, v5
	s_waitcnt_depctr 0xfff
	v_fma_f32 v9, -v5, v7, 1.0
	s_delay_alu instid0(VALU_DEP_1) | instskip(SKIP_1) | instid1(VALU_DEP_1)
	v_fmac_f32_e32 v7, v9, v7
	v_div_scale_f32 v9, vcc_lo, v11, v2, v11
	v_mul_f32_e32 v10, v9, v7
	s_delay_alu instid0(VALU_DEP_1) | instskip(NEXT) | instid1(VALU_DEP_1)
	v_fma_f32 v12, -v5, v10, v9
	v_fmac_f32_e32 v10, v12, v7
	s_delay_alu instid0(VALU_DEP_1) | instskip(NEXT) | instid1(VALU_DEP_1)
	v_fma_f32 v5, -v5, v10, v9
	v_div_fmas_f32 v5, v5, v7, v10
	v_cmp_neq_f32_e32 vcc_lo, 0, v2
	s_delay_alu instid0(VALU_DEP_2) | instskip(NEXT) | instid1(VALU_DEP_1)
	v_div_fixup_f32 v5, v5, v2, v11
	v_cndmask_b32_e32 v2, 0x7fc00000, v5, vcc_lo
	global_store_b32 v[0:1], v2, off
.LBB698_21:
	s_or_b32 exec_lo, exec_lo, s0
	v_cmp_ne_u32_e32 vcc_lo, 1, v6
	s_and_b32 exec_lo, exec_lo, vcc_lo
	s_cbranch_execz .LBB698_24
; %bb.22:
	s_and_b32 exec_lo, exec_lo, s2
	s_cbranch_execz .LBB698_24
; %bb.23:
	s_waitcnt lgkmcnt(0)
	v_add_f32_e32 v2, v3, v4
	s_mov_b32 s7, 0
	s_delay_alu instid0(SALU_CYCLE_1) | instskip(NEXT) | instid1(VALU_DEP_1)
	s_lshl_b64 s[0:1], s[6:7], 2
	v_div_scale_f32 v3, null, v2, v2, v8
	v_div_scale_f32 v6, vcc_lo, v8, v2, v8
	s_delay_alu instid0(VALU_DEP_2) | instskip(SKIP_2) | instid1(VALU_DEP_1)
	v_rcp_f32_e32 v4, v3
	s_waitcnt_depctr 0xfff
	v_fma_f32 v5, -v3, v4, 1.0
	v_fmac_f32_e32 v4, v5, v4
	s_delay_alu instid0(VALU_DEP_1) | instskip(NEXT) | instid1(VALU_DEP_1)
	v_mul_f32_e32 v5, v6, v4
	v_fma_f32 v7, -v3, v5, v6
	s_delay_alu instid0(VALU_DEP_1) | instskip(NEXT) | instid1(VALU_DEP_1)
	v_fmac_f32_e32 v5, v7, v4
	v_fma_f32 v3, -v3, v5, v6
	s_delay_alu instid0(VALU_DEP_1) | instskip(SKIP_2) | instid1(VALU_DEP_3)
	v_div_fmas_f32 v3, v3, v4, v5
	v_add_co_u32 v0, vcc_lo, v0, s0
	v_add_co_ci_u32_e32 v1, vcc_lo, s1, v1, vcc_lo
	v_div_fixup_f32 v3, v3, v2, v8
	v_cmp_neq_f32_e32 vcc_lo, 0, v2
	s_delay_alu instid0(VALU_DEP_2)
	v_cndmask_b32_e32 v2, 0x7fc00000, v3, vcc_lo
	global_store_b32 v[0:1], v2, off
.LBB698_24:
	s_nop 0
	s_sendmsg sendmsg(MSG_DEALLOC_VGPRS)
	s_endpgm
	.section	.rodata,"a",@progbits
	.p2align	6, 0x0
	.amdhsa_kernel _ZN12_GLOBAL__N_120softmax_warp_forwardIfffLi1ELb0ELb1ELi64EEEvPT0_PKT_iiiPKbib
		.amdhsa_group_segment_fixed_size 0
		.amdhsa_private_segment_fixed_size 0
		.amdhsa_kernarg_size 304
		.amdhsa_user_sgpr_count 15
		.amdhsa_user_sgpr_dispatch_ptr 0
		.amdhsa_user_sgpr_queue_ptr 0
		.amdhsa_user_sgpr_kernarg_segment_ptr 1
		.amdhsa_user_sgpr_dispatch_id 0
		.amdhsa_user_sgpr_private_segment_size 0
		.amdhsa_wavefront_size32 1
		.amdhsa_uses_dynamic_stack 0
		.amdhsa_enable_private_segment 0
		.amdhsa_system_sgpr_workgroup_id_x 1
		.amdhsa_system_sgpr_workgroup_id_y 0
		.amdhsa_system_sgpr_workgroup_id_z 0
		.amdhsa_system_sgpr_workgroup_info 0
		.amdhsa_system_vgpr_workitem_id 1
		.amdhsa_next_free_vgpr 16
		.amdhsa_next_free_sgpr 16
		.amdhsa_reserve_vcc 1
		.amdhsa_float_round_mode_32 0
		.amdhsa_float_round_mode_16_64 0
		.amdhsa_float_denorm_mode_32 3
		.amdhsa_float_denorm_mode_16_64 3
		.amdhsa_dx10_clamp 1
		.amdhsa_ieee_mode 1
		.amdhsa_fp16_overflow 0
		.amdhsa_workgroup_processor_mode 1
		.amdhsa_memory_ordered 1
		.amdhsa_forward_progress 0
		.amdhsa_shared_vgpr_count 0
		.amdhsa_exception_fp_ieee_invalid_op 0
		.amdhsa_exception_fp_denorm_src 0
		.amdhsa_exception_fp_ieee_div_zero 0
		.amdhsa_exception_fp_ieee_overflow 0
		.amdhsa_exception_fp_ieee_underflow 0
		.amdhsa_exception_fp_ieee_inexact 0
		.amdhsa_exception_int_div_zero 0
	.end_amdhsa_kernel
	.section	.text._ZN12_GLOBAL__N_120softmax_warp_forwardIfffLi1ELb0ELb1ELi64EEEvPT0_PKT_iiiPKbib,"axG",@progbits,_ZN12_GLOBAL__N_120softmax_warp_forwardIfffLi1ELb0ELb1ELi64EEEvPT0_PKT_iiiPKbib,comdat
.Lfunc_end698:
	.size	_ZN12_GLOBAL__N_120softmax_warp_forwardIfffLi1ELb0ELb1ELi64EEEvPT0_PKT_iiiPKbib, .Lfunc_end698-_ZN12_GLOBAL__N_120softmax_warp_forwardIfffLi1ELb0ELb1ELi64EEEvPT0_PKT_iiiPKbib
                                        ; -- End function
	.section	.AMDGPU.csdata,"",@progbits
; Kernel info:
; codeLenInByte = 1596
; NumSgprs: 18
; NumVgprs: 16
; ScratchSize: 0
; MemoryBound: 0
; FloatMode: 240
; IeeeMode: 1
; LDSByteSize: 0 bytes/workgroup (compile time only)
; SGPRBlocks: 2
; VGPRBlocks: 1
; NumSGPRsForWavesPerEU: 18
; NumVGPRsForWavesPerEU: 16
; Occupancy: 16
; WaveLimiterHint : 0
; COMPUTE_PGM_RSRC2:SCRATCH_EN: 0
; COMPUTE_PGM_RSRC2:USER_SGPR: 15
; COMPUTE_PGM_RSRC2:TRAP_HANDLER: 0
; COMPUTE_PGM_RSRC2:TGID_X_EN: 1
; COMPUTE_PGM_RSRC2:TGID_Y_EN: 0
; COMPUTE_PGM_RSRC2:TGID_Z_EN: 0
; COMPUTE_PGM_RSRC2:TIDIG_COMP_CNT: 1
	.section	.text._ZN12_GLOBAL__N_120softmax_warp_forwardIfffLi1ELb0ELb1ELi32EEEvPT0_PKT_iiiPKbib,"axG",@progbits,_ZN12_GLOBAL__N_120softmax_warp_forwardIfffLi1ELb0ELb1ELi32EEEvPT0_PKT_iiiPKbib,comdat
	.globl	_ZN12_GLOBAL__N_120softmax_warp_forwardIfffLi1ELb0ELb1ELi32EEEvPT0_PKT_iiiPKbib ; -- Begin function _ZN12_GLOBAL__N_120softmax_warp_forwardIfffLi1ELb0ELb1ELi32EEEvPT0_PKT_iiiPKbib
	.p2align	8
	.type	_ZN12_GLOBAL__N_120softmax_warp_forwardIfffLi1ELb0ELb1ELi32EEEvPT0_PKT_iiiPKbib,@function
_ZN12_GLOBAL__N_120softmax_warp_forwardIfffLi1ELb0ELb1ELi32EEEvPT0_PKT_iiiPKbib: ; @_ZN12_GLOBAL__N_120softmax_warp_forwardIfffLi1ELb0ELb1ELi32EEEvPT0_PKT_iiiPKbib
; %bb.0:
	s_clause 0x2
	s_load_b64 s[2:3], s[0:1], 0x28
	s_load_b32 s8, s[0:1], 0x3c
	s_load_b128 s[4:7], s[0:1], 0x10
	v_bfe_u32 v1, v0, 10, 10
	v_and_b32_e32 v4, 0x3ff, v0
	s_waitcnt lgkmcnt(0)
	s_bitcmp1_b32 s3, 0
	s_cselect_b32 s12, -1, 0
	s_lshr_b32 s7, s8, 16
	s_bitcmp0_b32 s3, 0
	s_mul_i32 s15, s15, s7
	s_delay_alu instid0(SALU_CYCLE_1) | instskip(NEXT) | instid1(VALU_DEP_1)
	v_add_lshl_u32 v5, s15, v1, 1
	v_mul_lo_u32 v6, v5, s5
	s_delay_alu instid0(VALU_DEP_1) | instskip(NEXT) | instid1(VALU_DEP_1)
	v_add_nc_u32_e32 v0, v6, v4
	v_ashrrev_i32_e32 v1, 31, v0
	s_delay_alu instid0(VALU_DEP_1)
	v_dual_mov_b32 v3, v1 :: v_dual_mov_b32 v2, v0
	s_cbranch_scc1 .LBB699_2
; %bb.1:
	s_abs_i32 s3, s2
	v_sub_nc_u32_e32 v7, 0, v6
	v_cvt_f32_u32_e32 v2, s3
	s_sub_i32 s7, 0, s3
	s_delay_alu instid0(VALU_DEP_2) | instskip(NEXT) | instid1(VALU_DEP_2)
	v_max_i32_e32 v7, v6, v7
	v_rcp_iflag_f32_e32 v2, v2
	v_xor_b32_e32 v6, s2, v6
	s_delay_alu instid0(VALU_DEP_1) | instskip(SKIP_2) | instid1(VALU_DEP_1)
	v_ashrrev_i32_e32 v6, 31, v6
	s_waitcnt_depctr 0xfff
	v_mul_f32_e32 v2, 0x4f7ffffe, v2
	v_cvt_u32_f32_e32 v2, v2
	s_delay_alu instid0(VALU_DEP_1) | instskip(NEXT) | instid1(VALU_DEP_1)
	v_mul_lo_u32 v3, s7, v2
	v_mul_hi_u32 v3, v2, v3
	s_delay_alu instid0(VALU_DEP_1) | instskip(NEXT) | instid1(VALU_DEP_1)
	v_add_nc_u32_e32 v2, v2, v3
	v_mul_hi_u32 v2, v7, v2
	s_delay_alu instid0(VALU_DEP_1) | instskip(NEXT) | instid1(VALU_DEP_1)
	v_mul_lo_u32 v3, v2, s3
	v_sub_nc_u32_e32 v3, v7, v3
	v_add_nc_u32_e32 v7, 1, v2
	s_delay_alu instid0(VALU_DEP_2) | instskip(SKIP_1) | instid1(VALU_DEP_2)
	v_subrev_nc_u32_e32 v8, s3, v3
	v_cmp_le_u32_e32 vcc_lo, s3, v3
	v_dual_cndmask_b32 v3, v3, v8 :: v_dual_cndmask_b32 v2, v2, v7
	s_delay_alu instid0(VALU_DEP_1) | instskip(NEXT) | instid1(VALU_DEP_2)
	v_cmp_le_u32_e32 vcc_lo, s3, v3
	v_add_nc_u32_e32 v7, 1, v2
	s_delay_alu instid0(VALU_DEP_1) | instskip(NEXT) | instid1(VALU_DEP_1)
	v_cndmask_b32_e32 v2, v2, v7, vcc_lo
	v_xor_b32_e32 v2, v2, v6
	s_delay_alu instid0(VALU_DEP_1) | instskip(NEXT) | instid1(VALU_DEP_1)
	v_sub_nc_u32_e32 v6, v2, v6
	v_mad_u64_u32 v[2:3], null, v6, s5, v[4:5]
	s_delay_alu instid0(VALU_DEP_1)
	v_ashrrev_i32_e32 v3, 31, v2
.LBB699_2:
	s_load_b128 s[8:11], s[0:1], 0x0
	v_lshlrev_b64 v[0:1], 2, v[0:1]
	v_sub_nc_u32_e32 v6, s4, v5
	v_cmp_gt_i32_e64 s2, s6, v4
	v_mov_b32_e32 v7, 0xff800000
	v_mov_b32_e32 v9, 0xff800000
	s_delay_alu instid0(VALU_DEP_4) | instskip(SKIP_2) | instid1(VALU_DEP_1)
	v_cmp_lt_i32_e32 vcc_lo, 0, v6
	s_waitcnt lgkmcnt(0)
	v_add_co_u32 v4, s3, s10, v0
	v_add_co_ci_u32_e64 v5, s3, s11, v1, s3
	s_and_b32 s11, s2, vcc_lo
	s_delay_alu instid0(SALU_CYCLE_1)
	s_and_saveexec_b32 s3, s11
	s_cbranch_execz .LBB699_4
; %bb.3:
	global_load_b32 v9, v[4:5], off
.LBB699_4:
	s_or_b32 exec_lo, exec_lo, s3
	v_cmp_lt_i32_e64 s3, 1, v6
	s_delay_alu instid0(VALU_DEP_1) | instskip(NEXT) | instid1(SALU_CYCLE_1)
	s_and_b32 s10, s2, s3
	s_and_saveexec_b32 s4, s10
	s_cbranch_execz .LBB699_6
; %bb.5:
	s_mov_b32 s7, 0
	s_delay_alu instid0(SALU_CYCLE_1) | instskip(NEXT) | instid1(SALU_CYCLE_1)
	s_lshl_b64 s[14:15], s[6:7], 2
	v_add_co_u32 v4, s3, v4, s14
	s_delay_alu instid0(VALU_DEP_1)
	v_add_co_ci_u32_e64 v5, s3, s15, v5, s3
	global_load_b32 v7, v[4:5], off
.LBB699_6:
	s_or_b32 exec_lo, exec_lo, s4
	s_load_b64 s[0:1], s[0:1], 0x20
	s_waitcnt lgkmcnt(0)
	v_add_co_u32 v4, s0, s0, v2
	s_delay_alu instid0(VALU_DEP_1)
	v_add_co_ci_u32_e64 v5, s0, s1, v3, s0
	v_mov_b32_e32 v2, 0xff800000
	s_and_saveexec_b32 s1, s11
	s_cbranch_execz .LBB699_8
; %bb.7:
	global_load_u8 v2, v[4:5], off
	s_waitcnt vmcnt(0)
	v_and_b32_e32 v2, 1, v2
	s_delay_alu instid0(VALU_DEP_1) | instskip(NEXT) | instid1(VALU_DEP_1)
	v_cmp_eq_u32_e64 s0, 1, v2
	v_cndmask_b32_e64 v2, v9, 0xff800000, s0
.LBB699_8:
	s_or_b32 exec_lo, exec_lo, s1
	s_mov_b32 s4, 0
	s_mov_b32 s1, 0
	s_and_saveexec_b32 s3, s10
	s_cbranch_execz .LBB699_10
; %bb.9:
	s_and_b32 s0, s12, exec_lo
	s_cselect_b32 s0, 0, s6
	s_cselect_b32 s1, 0, 0
	v_add_co_u32 v10, s0, v4, s0
	s_delay_alu instid0(VALU_DEP_1) | instskip(SKIP_3) | instid1(VALU_DEP_1)
	v_add_co_ci_u32_e64 v11, s0, s1, v5, s0
	global_load_u8 v3, v[10:11], off
	s_waitcnt vmcnt(0)
	v_and_b32_e32 v3, 1, v3
	v_cmp_eq_u32_e64 s0, 1, v3
	s_delay_alu instid0(VALU_DEP_1) | instskip(NEXT) | instid1(SALU_CYCLE_1)
	s_xor_b32 s0, s0, -1
	s_and_b32 s1, s0, exec_lo
.LBB699_10:
	s_or_b32 exec_lo, exec_lo, s3
	v_mbcnt_lo_u32_b32 v3, -1, 0
	s_mov_b32 s5, s4
	v_cndmask_b32_e64 v14, v2, v2, s1
	s_waitcnt vmcnt(0)
	v_cndmask_b32_e64 v12, 0xff800000, v7, s1
	v_dual_mov_b32 v11, 0 :: v_dual_and_b32 v8, 30, v3
	v_xor_b32_e32 v10, 1, v3
	s_delay_alu instid0(VALU_DEP_2) | instskip(NEXT) | instid1(VALU_DEP_1)
	v_add_nc_u32_e32 v8, 2, v8
	v_cmp_lt_i32_e64 s0, v10, v8
	v_mov_b32_e32 v8, 0
	s_delay_alu instid0(VALU_DEP_2) | instskip(NEXT) | instid1(VALU_DEP_1)
	v_cndmask_b32_e64 v3, v3, v10, s0
	v_lshlrev_b32_e32 v10, 2, v3
	v_dual_mov_b32 v2, s4 :: v_dual_mov_b32 v3, s5
	ds_bpermute_b32 v15, v10, v14
	ds_bpermute_b32 v13, v10, v12
	s_and_saveexec_b32 s1, s11
	s_cbranch_execz .LBB699_14
; %bb.11:
	global_load_u8 v2, v[4:5], off
	s_mov_b32 s5, s4
	s_waitcnt vmcnt(0)
	v_dual_mov_b32 v11, 0 :: v_dual_and_b32 v2, 1, v2
	s_delay_alu instid0(VALU_DEP_1) | instskip(SKIP_1) | instid1(VALU_DEP_2)
	v_cmp_eq_u32_e64 s0, 1, v2
	v_dual_mov_b32 v2, s4 :: v_dual_mov_b32 v3, s5
	s_xor_b32 s0, s0, -1
	s_delay_alu instid0(SALU_CYCLE_1)
	s_and_saveexec_b32 s3, s0
	s_cbranch_execz .LBB699_13
; %bb.12:
	s_waitcnt lgkmcnt(1)
	v_cmp_lt_f32_e64 s0, v14, v15
	s_delay_alu instid0(VALU_DEP_1) | instskip(NEXT) | instid1(VALU_DEP_1)
	v_cndmask_b32_e64 v2, v14, v15, s0
	v_sub_f32_e32 v2, v9, v2
	s_delay_alu instid0(VALU_DEP_1) | instskip(NEXT) | instid1(VALU_DEP_1)
	v_mul_f32_e32 v3, 0x3fb8aa3b, v2
	v_fma_f32 v9, 0x3fb8aa3b, v2, -v3
	v_rndne_f32_e32 v11, v3
	s_delay_alu instid0(VALU_DEP_1) | instskip(NEXT) | instid1(VALU_DEP_3)
	v_sub_f32_e32 v3, v3, v11
	v_fmamk_f32 v9, v2, 0x32a5705f, v9
	v_cmp_ngt_f32_e64 s0, 0xc2ce8ed0, v2
	s_delay_alu instid0(VALU_DEP_2) | instskip(SKIP_1) | instid1(VALU_DEP_2)
	v_add_f32_e32 v3, v3, v9
	v_cvt_i32_f32_e32 v9, v11
	v_exp_f32_e32 v3, v3
	s_waitcnt_depctr 0xfff
	v_ldexp_f32 v3, v3, v9
	s_delay_alu instid0(VALU_DEP_1) | instskip(SKIP_1) | instid1(VALU_DEP_1)
	v_cndmask_b32_e64 v3, 0, v3, s0
	v_cmp_nlt_f32_e64 s0, 0x42b17218, v2
	v_cndmask_b32_e64 v2, 0x7f800000, v3, s0
	v_mov_b32_e32 v3, 0
	s_delay_alu instid0(VALU_DEP_2)
	v_mov_b32_e32 v11, v2
.LBB699_13:
	s_or_b32 exec_lo, exec_lo, s3
.LBB699_14:
	s_delay_alu instid0(SALU_CYCLE_1)
	s_or_b32 exec_lo, exec_lo, s1
	s_and_saveexec_b32 s1, s10
	s_cbranch_execz .LBB699_18
; %bb.15:
	s_and_b32 s0, s12, exec_lo
	s_cselect_b32 s0, 0, s6
	s_cselect_b32 s3, 0, 0
	v_add_co_u32 v4, s0, v4, s0
	s_delay_alu instid0(VALU_DEP_1) | instskip(SKIP_4) | instid1(VALU_DEP_1)
	v_add_co_ci_u32_e64 v5, s0, s3, v5, s0
	v_mov_b32_e32 v8, 0
	global_load_u8 v4, v[4:5], off
	s_waitcnt vmcnt(0)
	v_and_b32_e32 v4, 1, v4
	v_cmp_eq_u32_e64 s0, 1, v4
	s_delay_alu instid0(VALU_DEP_1) | instskip(NEXT) | instid1(SALU_CYCLE_1)
	s_xor_b32 s0, s0, -1
	s_and_saveexec_b32 s3, s0
	s_cbranch_execz .LBB699_17
; %bb.16:
	s_waitcnt lgkmcnt(0)
	v_cmp_lt_f32_e64 s0, v12, v13
	s_delay_alu instid0(VALU_DEP_1) | instskip(NEXT) | instid1(VALU_DEP_1)
	v_cndmask_b32_e64 v4, v12, v13, s0
	v_sub_f32_e32 v4, v7, v4
	s_delay_alu instid0(VALU_DEP_1) | instskip(NEXT) | instid1(VALU_DEP_1)
	v_mul_f32_e32 v5, 0x3fb8aa3b, v4
	v_fma_f32 v7, 0x3fb8aa3b, v4, -v5
	v_rndne_f32_e32 v8, v5
	s_delay_alu instid0(VALU_DEP_2) | instskip(NEXT) | instid1(VALU_DEP_2)
	v_fmamk_f32 v7, v4, 0x32a5705f, v7
	v_sub_f32_e32 v5, v5, v8
	s_delay_alu instid0(VALU_DEP_1) | instskip(SKIP_2) | instid1(VALU_DEP_3)
	v_add_f32_e32 v5, v5, v7
	v_cvt_i32_f32_e32 v7, v8
	v_cmp_ngt_f32_e64 s0, 0xc2ce8ed0, v4
	v_exp_f32_e32 v5, v5
	s_waitcnt_depctr 0xfff
	v_ldexp_f32 v5, v5, v7
	s_delay_alu instid0(VALU_DEP_1) | instskip(SKIP_1) | instid1(VALU_DEP_1)
	v_cndmask_b32_e64 v5, 0, v5, s0
	v_cmp_nlt_f32_e64 s0, 0x42b17218, v4
	v_cndmask_b32_e64 v8, 0x7f800000, v5, s0
	s_delay_alu instid0(VALU_DEP_1)
	v_add_f32_e32 v3, v3, v8
.LBB699_17:
	s_or_b32 exec_lo, exec_lo, s3
.LBB699_18:
	s_delay_alu instid0(SALU_CYCLE_1)
	s_or_b32 exec_lo, exec_lo, s1
	ds_bpermute_b32 v5, v10, v2
	ds_bpermute_b32 v4, v10, v3
	s_and_saveexec_b32 s0, vcc_lo
	s_cbranch_execz .LBB699_24
; %bb.19:
	v_add_co_u32 v0, vcc_lo, s8, v0
	v_add_co_ci_u32_e32 v1, vcc_lo, s9, v1, vcc_lo
	s_and_saveexec_b32 s0, s2
	s_cbranch_execz .LBB699_21
; %bb.20:
	s_waitcnt lgkmcnt(1)
	v_add_f32_e32 v2, v2, v5
	s_delay_alu instid0(VALU_DEP_1) | instskip(NEXT) | instid1(VALU_DEP_1)
	v_div_scale_f32 v5, null, v2, v2, v11
	v_rcp_f32_e32 v7, v5
	s_waitcnt_depctr 0xfff
	v_fma_f32 v9, -v5, v7, 1.0
	s_delay_alu instid0(VALU_DEP_1) | instskip(SKIP_1) | instid1(VALU_DEP_1)
	v_fmac_f32_e32 v7, v9, v7
	v_div_scale_f32 v9, vcc_lo, v11, v2, v11
	v_mul_f32_e32 v10, v9, v7
	s_delay_alu instid0(VALU_DEP_1) | instskip(NEXT) | instid1(VALU_DEP_1)
	v_fma_f32 v12, -v5, v10, v9
	v_fmac_f32_e32 v10, v12, v7
	s_delay_alu instid0(VALU_DEP_1) | instskip(NEXT) | instid1(VALU_DEP_1)
	v_fma_f32 v5, -v5, v10, v9
	v_div_fmas_f32 v5, v5, v7, v10
	v_cmp_neq_f32_e32 vcc_lo, 0, v2
	s_delay_alu instid0(VALU_DEP_2) | instskip(NEXT) | instid1(VALU_DEP_1)
	v_div_fixup_f32 v5, v5, v2, v11
	v_cndmask_b32_e32 v2, 0x7fc00000, v5, vcc_lo
	global_store_b32 v[0:1], v2, off
.LBB699_21:
	s_or_b32 exec_lo, exec_lo, s0
	v_cmp_ne_u32_e32 vcc_lo, 1, v6
	s_and_b32 exec_lo, exec_lo, vcc_lo
	s_cbranch_execz .LBB699_24
; %bb.22:
	s_and_b32 exec_lo, exec_lo, s2
	s_cbranch_execz .LBB699_24
; %bb.23:
	s_waitcnt lgkmcnt(0)
	v_add_f32_e32 v2, v3, v4
	s_mov_b32 s7, 0
	s_delay_alu instid0(SALU_CYCLE_1) | instskip(NEXT) | instid1(VALU_DEP_1)
	s_lshl_b64 s[0:1], s[6:7], 2
	v_div_scale_f32 v3, null, v2, v2, v8
	v_div_scale_f32 v6, vcc_lo, v8, v2, v8
	s_delay_alu instid0(VALU_DEP_2) | instskip(SKIP_2) | instid1(VALU_DEP_1)
	v_rcp_f32_e32 v4, v3
	s_waitcnt_depctr 0xfff
	v_fma_f32 v5, -v3, v4, 1.0
	v_fmac_f32_e32 v4, v5, v4
	s_delay_alu instid0(VALU_DEP_1) | instskip(NEXT) | instid1(VALU_DEP_1)
	v_mul_f32_e32 v5, v6, v4
	v_fma_f32 v7, -v3, v5, v6
	s_delay_alu instid0(VALU_DEP_1) | instskip(NEXT) | instid1(VALU_DEP_1)
	v_fmac_f32_e32 v5, v7, v4
	v_fma_f32 v3, -v3, v5, v6
	s_delay_alu instid0(VALU_DEP_1) | instskip(SKIP_2) | instid1(VALU_DEP_3)
	v_div_fmas_f32 v3, v3, v4, v5
	v_add_co_u32 v0, vcc_lo, v0, s0
	v_add_co_ci_u32_e32 v1, vcc_lo, s1, v1, vcc_lo
	v_div_fixup_f32 v3, v3, v2, v8
	v_cmp_neq_f32_e32 vcc_lo, 0, v2
	s_delay_alu instid0(VALU_DEP_2)
	v_cndmask_b32_e32 v2, 0x7fc00000, v3, vcc_lo
	global_store_b32 v[0:1], v2, off
.LBB699_24:
	s_nop 0
	s_sendmsg sendmsg(MSG_DEALLOC_VGPRS)
	s_endpgm
	.section	.rodata,"a",@progbits
	.p2align	6, 0x0
	.amdhsa_kernel _ZN12_GLOBAL__N_120softmax_warp_forwardIfffLi1ELb0ELb1ELi32EEEvPT0_PKT_iiiPKbib
		.amdhsa_group_segment_fixed_size 0
		.amdhsa_private_segment_fixed_size 0
		.amdhsa_kernarg_size 304
		.amdhsa_user_sgpr_count 15
		.amdhsa_user_sgpr_dispatch_ptr 0
		.amdhsa_user_sgpr_queue_ptr 0
		.amdhsa_user_sgpr_kernarg_segment_ptr 1
		.amdhsa_user_sgpr_dispatch_id 0
		.amdhsa_user_sgpr_private_segment_size 0
		.amdhsa_wavefront_size32 1
		.amdhsa_uses_dynamic_stack 0
		.amdhsa_enable_private_segment 0
		.amdhsa_system_sgpr_workgroup_id_x 1
		.amdhsa_system_sgpr_workgroup_id_y 0
		.amdhsa_system_sgpr_workgroup_id_z 0
		.amdhsa_system_sgpr_workgroup_info 0
		.amdhsa_system_vgpr_workitem_id 1
		.amdhsa_next_free_vgpr 16
		.amdhsa_next_free_sgpr 16
		.amdhsa_reserve_vcc 1
		.amdhsa_float_round_mode_32 0
		.amdhsa_float_round_mode_16_64 0
		.amdhsa_float_denorm_mode_32 3
		.amdhsa_float_denorm_mode_16_64 3
		.amdhsa_dx10_clamp 1
		.amdhsa_ieee_mode 1
		.amdhsa_fp16_overflow 0
		.amdhsa_workgroup_processor_mode 1
		.amdhsa_memory_ordered 1
		.amdhsa_forward_progress 0
		.amdhsa_shared_vgpr_count 0
		.amdhsa_exception_fp_ieee_invalid_op 0
		.amdhsa_exception_fp_denorm_src 0
		.amdhsa_exception_fp_ieee_div_zero 0
		.amdhsa_exception_fp_ieee_overflow 0
		.amdhsa_exception_fp_ieee_underflow 0
		.amdhsa_exception_fp_ieee_inexact 0
		.amdhsa_exception_int_div_zero 0
	.end_amdhsa_kernel
	.section	.text._ZN12_GLOBAL__N_120softmax_warp_forwardIfffLi1ELb0ELb1ELi32EEEvPT0_PKT_iiiPKbib,"axG",@progbits,_ZN12_GLOBAL__N_120softmax_warp_forwardIfffLi1ELb0ELb1ELi32EEEvPT0_PKT_iiiPKbib,comdat
.Lfunc_end699:
	.size	_ZN12_GLOBAL__N_120softmax_warp_forwardIfffLi1ELb0ELb1ELi32EEEvPT0_PKT_iiiPKbib, .Lfunc_end699-_ZN12_GLOBAL__N_120softmax_warp_forwardIfffLi1ELb0ELb1ELi32EEEvPT0_PKT_iiiPKbib
                                        ; -- End function
	.section	.AMDGPU.csdata,"",@progbits
; Kernel info:
; codeLenInByte = 1596
; NumSgprs: 18
; NumVgprs: 16
; ScratchSize: 0
; MemoryBound: 0
; FloatMode: 240
; IeeeMode: 1
; LDSByteSize: 0 bytes/workgroup (compile time only)
; SGPRBlocks: 2
; VGPRBlocks: 1
; NumSGPRsForWavesPerEU: 18
; NumVGPRsForWavesPerEU: 16
; Occupancy: 16
; WaveLimiterHint : 0
; COMPUTE_PGM_RSRC2:SCRATCH_EN: 0
; COMPUTE_PGM_RSRC2:USER_SGPR: 15
; COMPUTE_PGM_RSRC2:TRAP_HANDLER: 0
; COMPUTE_PGM_RSRC2:TGID_X_EN: 1
; COMPUTE_PGM_RSRC2:TGID_Y_EN: 0
; COMPUTE_PGM_RSRC2:TGID_Z_EN: 0
; COMPUTE_PGM_RSRC2:TIDIG_COMP_CNT: 1
	.section	.text._ZN12_GLOBAL__N_120softmax_warp_forwardIfffLi2ELb0ELb1ELi64EEEvPT0_PKT_iiiPKbib,"axG",@progbits,_ZN12_GLOBAL__N_120softmax_warp_forwardIfffLi2ELb0ELb1ELi64EEEvPT0_PKT_iiiPKbib,comdat
	.globl	_ZN12_GLOBAL__N_120softmax_warp_forwardIfffLi2ELb0ELb1ELi64EEEvPT0_PKT_iiiPKbib ; -- Begin function _ZN12_GLOBAL__N_120softmax_warp_forwardIfffLi2ELb0ELb1ELi64EEEvPT0_PKT_iiiPKbib
	.p2align	8
	.type	_ZN12_GLOBAL__N_120softmax_warp_forwardIfffLi2ELb0ELb1ELi64EEEvPT0_PKT_iiiPKbib,@function
_ZN12_GLOBAL__N_120softmax_warp_forwardIfffLi2ELb0ELb1ELi64EEEvPT0_PKT_iiiPKbib: ; @_ZN12_GLOBAL__N_120softmax_warp_forwardIfffLi2ELb0ELb1ELi64EEEvPT0_PKT_iiiPKbib
; %bb.0:
	s_clause 0x2
	s_load_b64 s[2:3], s[0:1], 0x28
	s_load_b32 s8, s[0:1], 0x3c
	s_load_b128 s[4:7], s[0:1], 0x10
	v_bfe_u32 v1, v0, 10, 10
	v_and_b32_e32 v4, 0x3ff, v0
	s_waitcnt lgkmcnt(0)
	s_bitcmp1_b32 s3, 0
	s_cselect_b32 s12, -1, 0
	s_lshr_b32 s7, s8, 16
	s_bitcmp0_b32 s3, 0
	s_mul_i32 s15, s15, s7
	s_delay_alu instid0(SALU_CYCLE_1) | instskip(NEXT) | instid1(VALU_DEP_1)
	v_add_lshl_u32 v5, s15, v1, 1
	v_mul_lo_u32 v6, v5, s5
	s_delay_alu instid0(VALU_DEP_1) | instskip(NEXT) | instid1(VALU_DEP_1)
	v_add_nc_u32_e32 v0, v6, v4
	v_ashrrev_i32_e32 v1, 31, v0
	s_delay_alu instid0(VALU_DEP_1)
	v_dual_mov_b32 v3, v1 :: v_dual_mov_b32 v2, v0
	s_cbranch_scc1 .LBB700_2
; %bb.1:
	s_abs_i32 s3, s2
	v_sub_nc_u32_e32 v7, 0, v6
	v_cvt_f32_u32_e32 v2, s3
	s_sub_i32 s7, 0, s3
	s_delay_alu instid0(VALU_DEP_2) | instskip(NEXT) | instid1(VALU_DEP_2)
	v_max_i32_e32 v7, v6, v7
	v_rcp_iflag_f32_e32 v2, v2
	v_xor_b32_e32 v6, s2, v6
	s_delay_alu instid0(VALU_DEP_1) | instskip(SKIP_2) | instid1(VALU_DEP_1)
	v_ashrrev_i32_e32 v6, 31, v6
	s_waitcnt_depctr 0xfff
	v_mul_f32_e32 v2, 0x4f7ffffe, v2
	v_cvt_u32_f32_e32 v2, v2
	s_delay_alu instid0(VALU_DEP_1) | instskip(NEXT) | instid1(VALU_DEP_1)
	v_mul_lo_u32 v3, s7, v2
	v_mul_hi_u32 v3, v2, v3
	s_delay_alu instid0(VALU_DEP_1) | instskip(NEXT) | instid1(VALU_DEP_1)
	v_add_nc_u32_e32 v2, v2, v3
	v_mul_hi_u32 v2, v7, v2
	s_delay_alu instid0(VALU_DEP_1) | instskip(NEXT) | instid1(VALU_DEP_1)
	v_mul_lo_u32 v3, v2, s3
	v_sub_nc_u32_e32 v3, v7, v3
	v_add_nc_u32_e32 v7, 1, v2
	s_delay_alu instid0(VALU_DEP_2) | instskip(SKIP_1) | instid1(VALU_DEP_2)
	v_subrev_nc_u32_e32 v8, s3, v3
	v_cmp_le_u32_e32 vcc_lo, s3, v3
	v_dual_cndmask_b32 v3, v3, v8 :: v_dual_cndmask_b32 v2, v2, v7
	s_delay_alu instid0(VALU_DEP_1) | instskip(NEXT) | instid1(VALU_DEP_2)
	v_cmp_le_u32_e32 vcc_lo, s3, v3
	v_add_nc_u32_e32 v7, 1, v2
	s_delay_alu instid0(VALU_DEP_1) | instskip(NEXT) | instid1(VALU_DEP_1)
	v_cndmask_b32_e32 v2, v2, v7, vcc_lo
	v_xor_b32_e32 v2, v2, v6
	s_delay_alu instid0(VALU_DEP_1) | instskip(NEXT) | instid1(VALU_DEP_1)
	v_sub_nc_u32_e32 v6, v2, v6
	v_mad_u64_u32 v[2:3], null, v6, s5, v[4:5]
	s_delay_alu instid0(VALU_DEP_1)
	v_ashrrev_i32_e32 v3, 31, v2
.LBB700_2:
	s_load_b128 s[8:11], s[0:1], 0x0
	v_lshlrev_b64 v[0:1], 2, v[0:1]
	v_sub_nc_u32_e32 v6, s4, v5
	v_cmp_gt_i32_e64 s2, s6, v4
	v_mov_b32_e32 v7, 0xff800000
	v_mov_b32_e32 v9, 0xff800000
	s_delay_alu instid0(VALU_DEP_4) | instskip(SKIP_2) | instid1(VALU_DEP_1)
	v_cmp_lt_i32_e32 vcc_lo, 0, v6
	s_waitcnt lgkmcnt(0)
	v_add_co_u32 v4, s3, s10, v0
	v_add_co_ci_u32_e64 v5, s3, s11, v1, s3
	s_and_b32 s11, s2, vcc_lo
	s_delay_alu instid0(SALU_CYCLE_1)
	s_and_saveexec_b32 s3, s11
	s_cbranch_execz .LBB700_4
; %bb.3:
	global_load_b32 v9, v[4:5], off
.LBB700_4:
	s_or_b32 exec_lo, exec_lo, s3
	v_cmp_lt_i32_e64 s3, 1, v6
	s_delay_alu instid0(VALU_DEP_1) | instskip(NEXT) | instid1(SALU_CYCLE_1)
	s_and_b32 s10, s2, s3
	s_and_saveexec_b32 s4, s10
	s_cbranch_execz .LBB700_6
; %bb.5:
	s_mov_b32 s7, 0
	s_delay_alu instid0(SALU_CYCLE_1) | instskip(NEXT) | instid1(SALU_CYCLE_1)
	s_lshl_b64 s[14:15], s[6:7], 2
	v_add_co_u32 v4, s3, v4, s14
	s_delay_alu instid0(VALU_DEP_1)
	v_add_co_ci_u32_e64 v5, s3, s15, v5, s3
	global_load_b32 v7, v[4:5], off
.LBB700_6:
	s_or_b32 exec_lo, exec_lo, s4
	s_load_b64 s[0:1], s[0:1], 0x20
	v_mov_b32_e32 v4, 0xff800000
	s_waitcnt lgkmcnt(0)
	v_add_co_u32 v2, s0, s0, v2
	s_delay_alu instid0(VALU_DEP_1)
	v_add_co_ci_u32_e64 v3, s0, s1, v3, s0
	s_and_saveexec_b32 s1, s11
	s_cbranch_execz .LBB700_8
; %bb.7:
	global_load_u8 v4, v[2:3], off
	s_waitcnt vmcnt(0)
	v_and_b32_e32 v4, 1, v4
	s_delay_alu instid0(VALU_DEP_1) | instskip(NEXT) | instid1(VALU_DEP_1)
	v_cmp_eq_u32_e64 s0, 1, v4
	v_cndmask_b32_e64 v4, v9, 0xff800000, s0
.LBB700_8:
	s_or_b32 exec_lo, exec_lo, s1
	s_mov_b32 s4, 0
	s_mov_b32 s1, 0
	s_and_saveexec_b32 s3, s10
	s_cbranch_execz .LBB700_10
; %bb.9:
	s_and_b32 s0, s12, exec_lo
	s_cselect_b32 s0, 0, s6
	s_cselect_b32 s1, 0, 0
	v_add_co_u32 v10, s0, v2, s0
	s_delay_alu instid0(VALU_DEP_1) | instskip(SKIP_3) | instid1(VALU_DEP_1)
	v_add_co_ci_u32_e64 v11, s0, s1, v3, s0
	global_load_u8 v5, v[10:11], off
	s_waitcnt vmcnt(0)
	v_and_b32_e32 v5, 1, v5
	v_cmp_eq_u32_e64 s0, 1, v5
	s_delay_alu instid0(VALU_DEP_1) | instskip(NEXT) | instid1(SALU_CYCLE_1)
	s_xor_b32 s0, s0, -1
	s_and_b32 s1, s0, exec_lo
.LBB700_10:
	s_or_b32 exec_lo, exec_lo, s3
	v_mbcnt_lo_u32_b32 v5, -1, 0
	s_mov_b32 s5, s4
	v_cndmask_b32_e64 v4, v4, v4, s1
	s_waitcnt vmcnt(0)
	v_cndmask_b32_e64 v12, 0xff800000, v7, s1
	v_and_b32_e32 v8, 28, v5
	v_xor_b32_e32 v10, 2, v5
	v_xor_b32_e32 v11, 1, v5
	s_delay_alu instid0(VALU_DEP_3) | instskip(NEXT) | instid1(VALU_DEP_1)
	v_add_nc_u32_e32 v8, 4, v8
	v_cmp_lt_i32_e64 s0, v10, v8
	s_delay_alu instid0(VALU_DEP_1) | instskip(NEXT) | instid1(VALU_DEP_4)
	v_cndmask_b32_e64 v10, v5, v10, s0
	v_cmp_lt_i32_e64 s0, v11, v8
	v_mov_b32_e32 v8, 0
	s_delay_alu instid0(VALU_DEP_3) | instskip(NEXT) | instid1(VALU_DEP_3)
	v_lshlrev_b32_e32 v10, 2, v10
	v_cndmask_b32_e64 v5, v5, v11, s0
	ds_bpermute_b32 v13, v10, v4
	ds_bpermute_b32 v14, v10, v12
	v_lshlrev_b32_e32 v11, 2, v5
	s_waitcnt lgkmcnt(1)
	v_cmp_lt_f32_e64 s0, v4, v13
	s_delay_alu instid0(VALU_DEP_1)
	v_cndmask_b32_e64 v15, v4, v13, s0
	s_waitcnt lgkmcnt(0)
	v_cmp_lt_f32_e64 s0, v12, v14
	v_dual_mov_b32 v4, s4 :: v_dual_mov_b32 v5, s5
	ds_bpermute_b32 v16, v11, v15
	v_cndmask_b32_e64 v13, v12, v14, s0
	v_mov_b32_e32 v12, 0
	ds_bpermute_b32 v14, v11, v13
	s_and_saveexec_b32 s1, s11
	s_cbranch_execz .LBB700_14
; %bb.11:
	global_load_u8 v4, v[2:3], off
	s_mov_b32 s5, s4
	v_mov_b32_e32 v12, 0
	s_waitcnt vmcnt(0)
	v_and_b32_e32 v4, 1, v4
	s_delay_alu instid0(VALU_DEP_1) | instskip(SKIP_1) | instid1(VALU_DEP_2)
	v_cmp_eq_u32_e64 s0, 1, v4
	v_dual_mov_b32 v4, s4 :: v_dual_mov_b32 v5, s5
	s_xor_b32 s0, s0, -1
	s_delay_alu instid0(SALU_CYCLE_1)
	s_and_saveexec_b32 s3, s0
	s_cbranch_execz .LBB700_13
; %bb.12:
	s_waitcnt lgkmcnt(1)
	v_cmp_lt_f32_e64 s0, v15, v16
	s_delay_alu instid0(VALU_DEP_1) | instskip(NEXT) | instid1(VALU_DEP_1)
	v_cndmask_b32_e64 v4, v15, v16, s0
	v_sub_f32_e32 v4, v9, v4
	s_delay_alu instid0(VALU_DEP_1) | instskip(SKIP_1) | instid1(VALU_DEP_2)
	v_mul_f32_e32 v5, 0x3fb8aa3b, v4
	v_cmp_ngt_f32_e64 s0, 0xc2ce8ed0, v4
	v_fma_f32 v9, 0x3fb8aa3b, v4, -v5
	v_rndne_f32_e32 v12, v5
	s_delay_alu instid0(VALU_DEP_2) | instskip(NEXT) | instid1(VALU_DEP_2)
	v_fmamk_f32 v9, v4, 0x32a5705f, v9
	v_sub_f32_e32 v5, v5, v12
	s_delay_alu instid0(VALU_DEP_1) | instskip(SKIP_1) | instid1(VALU_DEP_2)
	v_add_f32_e32 v5, v5, v9
	v_cvt_i32_f32_e32 v9, v12
	v_exp_f32_e32 v5, v5
	s_waitcnt_depctr 0xfff
	v_ldexp_f32 v5, v5, v9
	s_delay_alu instid0(VALU_DEP_1) | instskip(SKIP_1) | instid1(VALU_DEP_1)
	v_cndmask_b32_e64 v5, 0, v5, s0
	v_cmp_nlt_f32_e64 s0, 0x42b17218, v4
	v_cndmask_b32_e64 v4, 0x7f800000, v5, s0
	s_delay_alu instid0(VALU_DEP_1)
	v_dual_mov_b32 v5, 0 :: v_dual_mov_b32 v12, v4
.LBB700_13:
	s_or_b32 exec_lo, exec_lo, s3
.LBB700_14:
	s_delay_alu instid0(SALU_CYCLE_1)
	s_or_b32 exec_lo, exec_lo, s1
	s_and_saveexec_b32 s1, s10
	s_cbranch_execz .LBB700_18
; %bb.15:
	s_and_b32 s0, s12, exec_lo
	s_cselect_b32 s0, 0, s6
	s_cselect_b32 s3, 0, 0
	v_add_co_u32 v2, s0, v2, s0
	s_delay_alu instid0(VALU_DEP_1) | instskip(SKIP_4) | instid1(VALU_DEP_1)
	v_add_co_ci_u32_e64 v3, s0, s3, v3, s0
	v_mov_b32_e32 v8, 0
	global_load_u8 v2, v[2:3], off
	s_waitcnt vmcnt(0)
	v_and_b32_e32 v2, 1, v2
	v_cmp_eq_u32_e64 s0, 1, v2
	s_delay_alu instid0(VALU_DEP_1) | instskip(NEXT) | instid1(SALU_CYCLE_1)
	s_xor_b32 s0, s0, -1
	s_and_saveexec_b32 s3, s0
	s_cbranch_execz .LBB700_17
; %bb.16:
	s_waitcnt lgkmcnt(0)
	v_cmp_lt_f32_e64 s0, v13, v14
	s_delay_alu instid0(VALU_DEP_1) | instskip(NEXT) | instid1(VALU_DEP_1)
	v_cndmask_b32_e64 v2, v13, v14, s0
	v_sub_f32_e32 v2, v7, v2
	s_delay_alu instid0(VALU_DEP_1) | instskip(SKIP_1) | instid1(VALU_DEP_2)
	v_mul_f32_e32 v3, 0x3fb8aa3b, v2
	v_cmp_ngt_f32_e64 s0, 0xc2ce8ed0, v2
	v_fma_f32 v7, 0x3fb8aa3b, v2, -v3
	v_rndne_f32_e32 v8, v3
	s_delay_alu instid0(VALU_DEP_2) | instskip(NEXT) | instid1(VALU_DEP_2)
	v_fmamk_f32 v7, v2, 0x32a5705f, v7
	v_sub_f32_e32 v3, v3, v8
	s_delay_alu instid0(VALU_DEP_1) | instskip(SKIP_1) | instid1(VALU_DEP_2)
	v_add_f32_e32 v3, v3, v7
	v_cvt_i32_f32_e32 v7, v8
	v_exp_f32_e32 v3, v3
	s_waitcnt_depctr 0xfff
	v_ldexp_f32 v3, v3, v7
	s_delay_alu instid0(VALU_DEP_1) | instskip(SKIP_1) | instid1(VALU_DEP_1)
	v_cndmask_b32_e64 v3, 0, v3, s0
	v_cmp_nlt_f32_e64 s0, 0x42b17218, v2
	v_cndmask_b32_e64 v8, 0x7f800000, v3, s0
	s_delay_alu instid0(VALU_DEP_1)
	v_add_f32_e32 v5, v5, v8
.LBB700_17:
	s_or_b32 exec_lo, exec_lo, s3
.LBB700_18:
	s_delay_alu instid0(SALU_CYCLE_1)
	s_or_b32 exec_lo, exec_lo, s1
	ds_bpermute_b32 v2, v10, v4
	ds_bpermute_b32 v3, v10, v5
	s_waitcnt lgkmcnt(1)
	v_add_f32_e32 v4, v4, v2
	s_waitcnt lgkmcnt(0)
	v_add_f32_e32 v2, v5, v3
	ds_bpermute_b32 v5, v11, v4
	ds_bpermute_b32 v3, v11, v2
	s_and_saveexec_b32 s0, vcc_lo
	s_cbranch_execz .LBB700_24
; %bb.19:
	v_add_co_u32 v0, vcc_lo, s8, v0
	v_add_co_ci_u32_e32 v1, vcc_lo, s9, v1, vcc_lo
	s_and_saveexec_b32 s0, s2
	s_cbranch_execz .LBB700_21
; %bb.20:
	s_waitcnt lgkmcnt(1)
	v_add_f32_e32 v4, v4, v5
	s_delay_alu instid0(VALU_DEP_1) | instskip(NEXT) | instid1(VALU_DEP_1)
	v_div_scale_f32 v5, null, v4, v4, v12
	v_rcp_f32_e32 v7, v5
	s_waitcnt_depctr 0xfff
	v_fma_f32 v9, -v5, v7, 1.0
	s_delay_alu instid0(VALU_DEP_1) | instskip(SKIP_1) | instid1(VALU_DEP_1)
	v_fmac_f32_e32 v7, v9, v7
	v_div_scale_f32 v9, vcc_lo, v12, v4, v12
	v_mul_f32_e32 v10, v9, v7
	s_delay_alu instid0(VALU_DEP_1) | instskip(NEXT) | instid1(VALU_DEP_1)
	v_fma_f32 v11, -v5, v10, v9
	v_fmac_f32_e32 v10, v11, v7
	s_delay_alu instid0(VALU_DEP_1) | instskip(NEXT) | instid1(VALU_DEP_1)
	v_fma_f32 v5, -v5, v10, v9
	v_div_fmas_f32 v5, v5, v7, v10
	v_cmp_neq_f32_e32 vcc_lo, 0, v4
	s_delay_alu instid0(VALU_DEP_2) | instskip(NEXT) | instid1(VALU_DEP_1)
	v_div_fixup_f32 v5, v5, v4, v12
	v_cndmask_b32_e32 v4, 0x7fc00000, v5, vcc_lo
	global_store_b32 v[0:1], v4, off
.LBB700_21:
	s_or_b32 exec_lo, exec_lo, s0
	v_cmp_ne_u32_e32 vcc_lo, 1, v6
	s_and_b32 exec_lo, exec_lo, vcc_lo
	s_cbranch_execz .LBB700_24
; %bb.22:
	s_and_b32 exec_lo, exec_lo, s2
	s_cbranch_execz .LBB700_24
; %bb.23:
	s_waitcnt lgkmcnt(0)
	v_add_f32_e32 v2, v2, v3
	s_mov_b32 s7, 0
	s_delay_alu instid0(SALU_CYCLE_1) | instskip(NEXT) | instid1(VALU_DEP_1)
	s_lshl_b64 s[0:1], s[6:7], 2
	v_div_scale_f32 v3, null, v2, v2, v8
	v_div_scale_f32 v6, vcc_lo, v8, v2, v8
	s_delay_alu instid0(VALU_DEP_2) | instskip(SKIP_2) | instid1(VALU_DEP_1)
	v_rcp_f32_e32 v4, v3
	s_waitcnt_depctr 0xfff
	v_fma_f32 v5, -v3, v4, 1.0
	v_fmac_f32_e32 v4, v5, v4
	s_delay_alu instid0(VALU_DEP_1) | instskip(NEXT) | instid1(VALU_DEP_1)
	v_mul_f32_e32 v5, v6, v4
	v_fma_f32 v7, -v3, v5, v6
	s_delay_alu instid0(VALU_DEP_1) | instskip(NEXT) | instid1(VALU_DEP_1)
	v_fmac_f32_e32 v5, v7, v4
	v_fma_f32 v3, -v3, v5, v6
	s_delay_alu instid0(VALU_DEP_1) | instskip(SKIP_2) | instid1(VALU_DEP_3)
	v_div_fmas_f32 v3, v3, v4, v5
	v_add_co_u32 v0, vcc_lo, v0, s0
	v_add_co_ci_u32_e32 v1, vcc_lo, s1, v1, vcc_lo
	v_div_fixup_f32 v3, v3, v2, v8
	v_cmp_neq_f32_e32 vcc_lo, 0, v2
	s_delay_alu instid0(VALU_DEP_2)
	v_cndmask_b32_e32 v2, 0x7fc00000, v3, vcc_lo
	global_store_b32 v[0:1], v2, off
.LBB700_24:
	s_nop 0
	s_sendmsg sendmsg(MSG_DEALLOC_VGPRS)
	s_endpgm
	.section	.rodata,"a",@progbits
	.p2align	6, 0x0
	.amdhsa_kernel _ZN12_GLOBAL__N_120softmax_warp_forwardIfffLi2ELb0ELb1ELi64EEEvPT0_PKT_iiiPKbib
		.amdhsa_group_segment_fixed_size 0
		.amdhsa_private_segment_fixed_size 0
		.amdhsa_kernarg_size 304
		.amdhsa_user_sgpr_count 15
		.amdhsa_user_sgpr_dispatch_ptr 0
		.amdhsa_user_sgpr_queue_ptr 0
		.amdhsa_user_sgpr_kernarg_segment_ptr 1
		.amdhsa_user_sgpr_dispatch_id 0
		.amdhsa_user_sgpr_private_segment_size 0
		.amdhsa_wavefront_size32 1
		.amdhsa_uses_dynamic_stack 0
		.amdhsa_enable_private_segment 0
		.amdhsa_system_sgpr_workgroup_id_x 1
		.amdhsa_system_sgpr_workgroup_id_y 0
		.amdhsa_system_sgpr_workgroup_id_z 0
		.amdhsa_system_sgpr_workgroup_info 0
		.amdhsa_system_vgpr_workitem_id 1
		.amdhsa_next_free_vgpr 17
		.amdhsa_next_free_sgpr 16
		.amdhsa_reserve_vcc 1
		.amdhsa_float_round_mode_32 0
		.amdhsa_float_round_mode_16_64 0
		.amdhsa_float_denorm_mode_32 3
		.amdhsa_float_denorm_mode_16_64 3
		.amdhsa_dx10_clamp 1
		.amdhsa_ieee_mode 1
		.amdhsa_fp16_overflow 0
		.amdhsa_workgroup_processor_mode 1
		.amdhsa_memory_ordered 1
		.amdhsa_forward_progress 0
		.amdhsa_shared_vgpr_count 0
		.amdhsa_exception_fp_ieee_invalid_op 0
		.amdhsa_exception_fp_denorm_src 0
		.amdhsa_exception_fp_ieee_div_zero 0
		.amdhsa_exception_fp_ieee_overflow 0
		.amdhsa_exception_fp_ieee_underflow 0
		.amdhsa_exception_fp_ieee_inexact 0
		.amdhsa_exception_int_div_zero 0
	.end_amdhsa_kernel
	.section	.text._ZN12_GLOBAL__N_120softmax_warp_forwardIfffLi2ELb0ELb1ELi64EEEvPT0_PKT_iiiPKbib,"axG",@progbits,_ZN12_GLOBAL__N_120softmax_warp_forwardIfffLi2ELb0ELb1ELi64EEEvPT0_PKT_iiiPKbib,comdat
.Lfunc_end700:
	.size	_ZN12_GLOBAL__N_120softmax_warp_forwardIfffLi2ELb0ELb1ELi64EEEvPT0_PKT_iiiPKbib, .Lfunc_end700-_ZN12_GLOBAL__N_120softmax_warp_forwardIfffLi2ELb0ELb1ELi64EEEvPT0_PKT_iiiPKbib
                                        ; -- End function
	.section	.AMDGPU.csdata,"",@progbits
; Kernel info:
; codeLenInByte = 1716
; NumSgprs: 18
; NumVgprs: 17
; ScratchSize: 0
; MemoryBound: 0
; FloatMode: 240
; IeeeMode: 1
; LDSByteSize: 0 bytes/workgroup (compile time only)
; SGPRBlocks: 2
; VGPRBlocks: 2
; NumSGPRsForWavesPerEU: 18
; NumVGPRsForWavesPerEU: 17
; Occupancy: 16
; WaveLimiterHint : 0
; COMPUTE_PGM_RSRC2:SCRATCH_EN: 0
; COMPUTE_PGM_RSRC2:USER_SGPR: 15
; COMPUTE_PGM_RSRC2:TRAP_HANDLER: 0
; COMPUTE_PGM_RSRC2:TGID_X_EN: 1
; COMPUTE_PGM_RSRC2:TGID_Y_EN: 0
; COMPUTE_PGM_RSRC2:TGID_Z_EN: 0
; COMPUTE_PGM_RSRC2:TIDIG_COMP_CNT: 1
	.section	.text._ZN12_GLOBAL__N_120softmax_warp_forwardIfffLi2ELb0ELb1ELi32EEEvPT0_PKT_iiiPKbib,"axG",@progbits,_ZN12_GLOBAL__N_120softmax_warp_forwardIfffLi2ELb0ELb1ELi32EEEvPT0_PKT_iiiPKbib,comdat
	.globl	_ZN12_GLOBAL__N_120softmax_warp_forwardIfffLi2ELb0ELb1ELi32EEEvPT0_PKT_iiiPKbib ; -- Begin function _ZN12_GLOBAL__N_120softmax_warp_forwardIfffLi2ELb0ELb1ELi32EEEvPT0_PKT_iiiPKbib
	.p2align	8
	.type	_ZN12_GLOBAL__N_120softmax_warp_forwardIfffLi2ELb0ELb1ELi32EEEvPT0_PKT_iiiPKbib,@function
_ZN12_GLOBAL__N_120softmax_warp_forwardIfffLi2ELb0ELb1ELi32EEEvPT0_PKT_iiiPKbib: ; @_ZN12_GLOBAL__N_120softmax_warp_forwardIfffLi2ELb0ELb1ELi32EEEvPT0_PKT_iiiPKbib
; %bb.0:
	s_clause 0x2
	s_load_b64 s[2:3], s[0:1], 0x28
	s_load_b32 s8, s[0:1], 0x3c
	s_load_b128 s[4:7], s[0:1], 0x10
	v_bfe_u32 v1, v0, 10, 10
	v_and_b32_e32 v4, 0x3ff, v0
	s_waitcnt lgkmcnt(0)
	s_bitcmp1_b32 s3, 0
	s_cselect_b32 s12, -1, 0
	s_lshr_b32 s7, s8, 16
	s_bitcmp0_b32 s3, 0
	s_mul_i32 s15, s15, s7
	s_delay_alu instid0(SALU_CYCLE_1) | instskip(NEXT) | instid1(VALU_DEP_1)
	v_add_lshl_u32 v5, s15, v1, 1
	v_mul_lo_u32 v6, v5, s5
	s_delay_alu instid0(VALU_DEP_1) | instskip(NEXT) | instid1(VALU_DEP_1)
	v_add_nc_u32_e32 v0, v6, v4
	v_ashrrev_i32_e32 v1, 31, v0
	s_delay_alu instid0(VALU_DEP_1)
	v_dual_mov_b32 v3, v1 :: v_dual_mov_b32 v2, v0
	s_cbranch_scc1 .LBB701_2
; %bb.1:
	s_abs_i32 s3, s2
	v_sub_nc_u32_e32 v7, 0, v6
	v_cvt_f32_u32_e32 v2, s3
	s_sub_i32 s7, 0, s3
	s_delay_alu instid0(VALU_DEP_2) | instskip(NEXT) | instid1(VALU_DEP_2)
	v_max_i32_e32 v7, v6, v7
	v_rcp_iflag_f32_e32 v2, v2
	v_xor_b32_e32 v6, s2, v6
	s_delay_alu instid0(VALU_DEP_1) | instskip(SKIP_2) | instid1(VALU_DEP_1)
	v_ashrrev_i32_e32 v6, 31, v6
	s_waitcnt_depctr 0xfff
	v_mul_f32_e32 v2, 0x4f7ffffe, v2
	v_cvt_u32_f32_e32 v2, v2
	s_delay_alu instid0(VALU_DEP_1) | instskip(NEXT) | instid1(VALU_DEP_1)
	v_mul_lo_u32 v3, s7, v2
	v_mul_hi_u32 v3, v2, v3
	s_delay_alu instid0(VALU_DEP_1) | instskip(NEXT) | instid1(VALU_DEP_1)
	v_add_nc_u32_e32 v2, v2, v3
	v_mul_hi_u32 v2, v7, v2
	s_delay_alu instid0(VALU_DEP_1) | instskip(NEXT) | instid1(VALU_DEP_1)
	v_mul_lo_u32 v3, v2, s3
	v_sub_nc_u32_e32 v3, v7, v3
	v_add_nc_u32_e32 v7, 1, v2
	s_delay_alu instid0(VALU_DEP_2) | instskip(SKIP_1) | instid1(VALU_DEP_2)
	v_subrev_nc_u32_e32 v8, s3, v3
	v_cmp_le_u32_e32 vcc_lo, s3, v3
	v_dual_cndmask_b32 v3, v3, v8 :: v_dual_cndmask_b32 v2, v2, v7
	s_delay_alu instid0(VALU_DEP_1) | instskip(NEXT) | instid1(VALU_DEP_2)
	v_cmp_le_u32_e32 vcc_lo, s3, v3
	v_add_nc_u32_e32 v7, 1, v2
	s_delay_alu instid0(VALU_DEP_1) | instskip(NEXT) | instid1(VALU_DEP_1)
	v_cndmask_b32_e32 v2, v2, v7, vcc_lo
	v_xor_b32_e32 v2, v2, v6
	s_delay_alu instid0(VALU_DEP_1) | instskip(NEXT) | instid1(VALU_DEP_1)
	v_sub_nc_u32_e32 v6, v2, v6
	v_mad_u64_u32 v[2:3], null, v6, s5, v[4:5]
	s_delay_alu instid0(VALU_DEP_1)
	v_ashrrev_i32_e32 v3, 31, v2
.LBB701_2:
	s_load_b128 s[8:11], s[0:1], 0x0
	v_lshlrev_b64 v[0:1], 2, v[0:1]
	v_sub_nc_u32_e32 v6, s4, v5
	v_cmp_gt_i32_e64 s2, s6, v4
	v_mov_b32_e32 v7, 0xff800000
	v_mov_b32_e32 v9, 0xff800000
	s_delay_alu instid0(VALU_DEP_4) | instskip(SKIP_2) | instid1(VALU_DEP_1)
	v_cmp_lt_i32_e32 vcc_lo, 0, v6
	s_waitcnt lgkmcnt(0)
	v_add_co_u32 v4, s3, s10, v0
	v_add_co_ci_u32_e64 v5, s3, s11, v1, s3
	s_and_b32 s11, s2, vcc_lo
	s_delay_alu instid0(SALU_CYCLE_1)
	s_and_saveexec_b32 s3, s11
	s_cbranch_execz .LBB701_4
; %bb.3:
	global_load_b32 v9, v[4:5], off
.LBB701_4:
	s_or_b32 exec_lo, exec_lo, s3
	v_cmp_lt_i32_e64 s3, 1, v6
	s_delay_alu instid0(VALU_DEP_1) | instskip(NEXT) | instid1(SALU_CYCLE_1)
	s_and_b32 s10, s2, s3
	s_and_saveexec_b32 s4, s10
	s_cbranch_execz .LBB701_6
; %bb.5:
	s_mov_b32 s7, 0
	s_delay_alu instid0(SALU_CYCLE_1) | instskip(NEXT) | instid1(SALU_CYCLE_1)
	s_lshl_b64 s[14:15], s[6:7], 2
	v_add_co_u32 v4, s3, v4, s14
	s_delay_alu instid0(VALU_DEP_1)
	v_add_co_ci_u32_e64 v5, s3, s15, v5, s3
	global_load_b32 v7, v[4:5], off
.LBB701_6:
	s_or_b32 exec_lo, exec_lo, s4
	s_load_b64 s[0:1], s[0:1], 0x20
	v_mov_b32_e32 v4, 0xff800000
	s_waitcnt lgkmcnt(0)
	v_add_co_u32 v2, s0, s0, v2
	s_delay_alu instid0(VALU_DEP_1)
	v_add_co_ci_u32_e64 v3, s0, s1, v3, s0
	s_and_saveexec_b32 s1, s11
	s_cbranch_execz .LBB701_8
; %bb.7:
	global_load_u8 v4, v[2:3], off
	s_waitcnt vmcnt(0)
	v_and_b32_e32 v4, 1, v4
	s_delay_alu instid0(VALU_DEP_1) | instskip(NEXT) | instid1(VALU_DEP_1)
	v_cmp_eq_u32_e64 s0, 1, v4
	v_cndmask_b32_e64 v4, v9, 0xff800000, s0
.LBB701_8:
	s_or_b32 exec_lo, exec_lo, s1
	s_mov_b32 s4, 0
	s_mov_b32 s1, 0
	s_and_saveexec_b32 s3, s10
	s_cbranch_execz .LBB701_10
; %bb.9:
	s_and_b32 s0, s12, exec_lo
	s_cselect_b32 s0, 0, s6
	s_cselect_b32 s1, 0, 0
	v_add_co_u32 v10, s0, v2, s0
	s_delay_alu instid0(VALU_DEP_1) | instskip(SKIP_3) | instid1(VALU_DEP_1)
	v_add_co_ci_u32_e64 v11, s0, s1, v3, s0
	global_load_u8 v5, v[10:11], off
	s_waitcnt vmcnt(0)
	v_and_b32_e32 v5, 1, v5
	v_cmp_eq_u32_e64 s0, 1, v5
	s_delay_alu instid0(VALU_DEP_1) | instskip(NEXT) | instid1(SALU_CYCLE_1)
	s_xor_b32 s0, s0, -1
	s_and_b32 s1, s0, exec_lo
.LBB701_10:
	s_or_b32 exec_lo, exec_lo, s3
	v_mbcnt_lo_u32_b32 v5, -1, 0
	s_mov_b32 s5, s4
	v_cndmask_b32_e64 v4, v4, v4, s1
	s_waitcnt vmcnt(0)
	v_cndmask_b32_e64 v12, 0xff800000, v7, s1
	v_and_b32_e32 v8, 28, v5
	v_xor_b32_e32 v10, 2, v5
	v_xor_b32_e32 v11, 1, v5
	s_delay_alu instid0(VALU_DEP_3) | instskip(NEXT) | instid1(VALU_DEP_1)
	v_add_nc_u32_e32 v8, 4, v8
	v_cmp_lt_i32_e64 s0, v10, v8
	s_delay_alu instid0(VALU_DEP_1) | instskip(NEXT) | instid1(VALU_DEP_4)
	v_cndmask_b32_e64 v10, v5, v10, s0
	v_cmp_lt_i32_e64 s0, v11, v8
	v_mov_b32_e32 v8, 0
	s_delay_alu instid0(VALU_DEP_3) | instskip(NEXT) | instid1(VALU_DEP_3)
	v_lshlrev_b32_e32 v10, 2, v10
	v_cndmask_b32_e64 v5, v5, v11, s0
	ds_bpermute_b32 v13, v10, v4
	ds_bpermute_b32 v14, v10, v12
	v_lshlrev_b32_e32 v11, 2, v5
	s_waitcnt lgkmcnt(1)
	v_cmp_lt_f32_e64 s0, v4, v13
	s_delay_alu instid0(VALU_DEP_1)
	v_cndmask_b32_e64 v15, v4, v13, s0
	s_waitcnt lgkmcnt(0)
	v_cmp_lt_f32_e64 s0, v12, v14
	v_dual_mov_b32 v4, s4 :: v_dual_mov_b32 v5, s5
	ds_bpermute_b32 v16, v11, v15
	v_cndmask_b32_e64 v13, v12, v14, s0
	v_mov_b32_e32 v12, 0
	ds_bpermute_b32 v14, v11, v13
	s_and_saveexec_b32 s1, s11
	s_cbranch_execz .LBB701_14
; %bb.11:
	global_load_u8 v4, v[2:3], off
	s_mov_b32 s5, s4
	v_mov_b32_e32 v12, 0
	s_waitcnt vmcnt(0)
	v_and_b32_e32 v4, 1, v4
	s_delay_alu instid0(VALU_DEP_1) | instskip(SKIP_1) | instid1(VALU_DEP_2)
	v_cmp_eq_u32_e64 s0, 1, v4
	v_dual_mov_b32 v4, s4 :: v_dual_mov_b32 v5, s5
	s_xor_b32 s0, s0, -1
	s_delay_alu instid0(SALU_CYCLE_1)
	s_and_saveexec_b32 s3, s0
	s_cbranch_execz .LBB701_13
; %bb.12:
	s_waitcnt lgkmcnt(1)
	v_cmp_lt_f32_e64 s0, v15, v16
	s_delay_alu instid0(VALU_DEP_1) | instskip(NEXT) | instid1(VALU_DEP_1)
	v_cndmask_b32_e64 v4, v15, v16, s0
	v_sub_f32_e32 v4, v9, v4
	s_delay_alu instid0(VALU_DEP_1) | instskip(SKIP_1) | instid1(VALU_DEP_2)
	v_mul_f32_e32 v5, 0x3fb8aa3b, v4
	v_cmp_ngt_f32_e64 s0, 0xc2ce8ed0, v4
	v_fma_f32 v9, 0x3fb8aa3b, v4, -v5
	v_rndne_f32_e32 v12, v5
	s_delay_alu instid0(VALU_DEP_2) | instskip(NEXT) | instid1(VALU_DEP_2)
	v_fmamk_f32 v9, v4, 0x32a5705f, v9
	v_sub_f32_e32 v5, v5, v12
	s_delay_alu instid0(VALU_DEP_1) | instskip(SKIP_1) | instid1(VALU_DEP_2)
	v_add_f32_e32 v5, v5, v9
	v_cvt_i32_f32_e32 v9, v12
	v_exp_f32_e32 v5, v5
	s_waitcnt_depctr 0xfff
	v_ldexp_f32 v5, v5, v9
	s_delay_alu instid0(VALU_DEP_1) | instskip(SKIP_1) | instid1(VALU_DEP_1)
	v_cndmask_b32_e64 v5, 0, v5, s0
	v_cmp_nlt_f32_e64 s0, 0x42b17218, v4
	v_cndmask_b32_e64 v4, 0x7f800000, v5, s0
	s_delay_alu instid0(VALU_DEP_1)
	v_dual_mov_b32 v5, 0 :: v_dual_mov_b32 v12, v4
.LBB701_13:
	s_or_b32 exec_lo, exec_lo, s3
.LBB701_14:
	s_delay_alu instid0(SALU_CYCLE_1)
	s_or_b32 exec_lo, exec_lo, s1
	s_and_saveexec_b32 s1, s10
	s_cbranch_execz .LBB701_18
; %bb.15:
	s_and_b32 s0, s12, exec_lo
	s_cselect_b32 s0, 0, s6
	s_cselect_b32 s3, 0, 0
	v_add_co_u32 v2, s0, v2, s0
	s_delay_alu instid0(VALU_DEP_1) | instskip(SKIP_4) | instid1(VALU_DEP_1)
	v_add_co_ci_u32_e64 v3, s0, s3, v3, s0
	v_mov_b32_e32 v8, 0
	global_load_u8 v2, v[2:3], off
	s_waitcnt vmcnt(0)
	v_and_b32_e32 v2, 1, v2
	v_cmp_eq_u32_e64 s0, 1, v2
	s_delay_alu instid0(VALU_DEP_1) | instskip(NEXT) | instid1(SALU_CYCLE_1)
	s_xor_b32 s0, s0, -1
	s_and_saveexec_b32 s3, s0
	s_cbranch_execz .LBB701_17
; %bb.16:
	s_waitcnt lgkmcnt(0)
	v_cmp_lt_f32_e64 s0, v13, v14
	s_delay_alu instid0(VALU_DEP_1) | instskip(NEXT) | instid1(VALU_DEP_1)
	v_cndmask_b32_e64 v2, v13, v14, s0
	v_sub_f32_e32 v2, v7, v2
	s_delay_alu instid0(VALU_DEP_1) | instskip(SKIP_1) | instid1(VALU_DEP_2)
	v_mul_f32_e32 v3, 0x3fb8aa3b, v2
	v_cmp_ngt_f32_e64 s0, 0xc2ce8ed0, v2
	v_fma_f32 v7, 0x3fb8aa3b, v2, -v3
	v_rndne_f32_e32 v8, v3
	s_delay_alu instid0(VALU_DEP_2) | instskip(NEXT) | instid1(VALU_DEP_2)
	v_fmamk_f32 v7, v2, 0x32a5705f, v7
	v_sub_f32_e32 v3, v3, v8
	s_delay_alu instid0(VALU_DEP_1) | instskip(SKIP_1) | instid1(VALU_DEP_2)
	v_add_f32_e32 v3, v3, v7
	v_cvt_i32_f32_e32 v7, v8
	v_exp_f32_e32 v3, v3
	s_waitcnt_depctr 0xfff
	v_ldexp_f32 v3, v3, v7
	s_delay_alu instid0(VALU_DEP_1) | instskip(SKIP_1) | instid1(VALU_DEP_1)
	v_cndmask_b32_e64 v3, 0, v3, s0
	v_cmp_nlt_f32_e64 s0, 0x42b17218, v2
	v_cndmask_b32_e64 v8, 0x7f800000, v3, s0
	s_delay_alu instid0(VALU_DEP_1)
	v_add_f32_e32 v5, v5, v8
.LBB701_17:
	s_or_b32 exec_lo, exec_lo, s3
.LBB701_18:
	s_delay_alu instid0(SALU_CYCLE_1)
	s_or_b32 exec_lo, exec_lo, s1
	ds_bpermute_b32 v2, v10, v4
	ds_bpermute_b32 v3, v10, v5
	s_waitcnt lgkmcnt(1)
	v_add_f32_e32 v4, v4, v2
	s_waitcnt lgkmcnt(0)
	v_add_f32_e32 v2, v5, v3
	ds_bpermute_b32 v5, v11, v4
	ds_bpermute_b32 v3, v11, v2
	s_and_saveexec_b32 s0, vcc_lo
	s_cbranch_execz .LBB701_24
; %bb.19:
	v_add_co_u32 v0, vcc_lo, s8, v0
	v_add_co_ci_u32_e32 v1, vcc_lo, s9, v1, vcc_lo
	s_and_saveexec_b32 s0, s2
	s_cbranch_execz .LBB701_21
; %bb.20:
	s_waitcnt lgkmcnt(1)
	v_add_f32_e32 v4, v4, v5
	s_delay_alu instid0(VALU_DEP_1) | instskip(NEXT) | instid1(VALU_DEP_1)
	v_div_scale_f32 v5, null, v4, v4, v12
	v_rcp_f32_e32 v7, v5
	s_waitcnt_depctr 0xfff
	v_fma_f32 v9, -v5, v7, 1.0
	s_delay_alu instid0(VALU_DEP_1) | instskip(SKIP_1) | instid1(VALU_DEP_1)
	v_fmac_f32_e32 v7, v9, v7
	v_div_scale_f32 v9, vcc_lo, v12, v4, v12
	v_mul_f32_e32 v10, v9, v7
	s_delay_alu instid0(VALU_DEP_1) | instskip(NEXT) | instid1(VALU_DEP_1)
	v_fma_f32 v11, -v5, v10, v9
	v_fmac_f32_e32 v10, v11, v7
	s_delay_alu instid0(VALU_DEP_1) | instskip(NEXT) | instid1(VALU_DEP_1)
	v_fma_f32 v5, -v5, v10, v9
	v_div_fmas_f32 v5, v5, v7, v10
	v_cmp_neq_f32_e32 vcc_lo, 0, v4
	s_delay_alu instid0(VALU_DEP_2) | instskip(NEXT) | instid1(VALU_DEP_1)
	v_div_fixup_f32 v5, v5, v4, v12
	v_cndmask_b32_e32 v4, 0x7fc00000, v5, vcc_lo
	global_store_b32 v[0:1], v4, off
.LBB701_21:
	s_or_b32 exec_lo, exec_lo, s0
	v_cmp_ne_u32_e32 vcc_lo, 1, v6
	s_and_b32 exec_lo, exec_lo, vcc_lo
	s_cbranch_execz .LBB701_24
; %bb.22:
	s_and_b32 exec_lo, exec_lo, s2
	s_cbranch_execz .LBB701_24
; %bb.23:
	s_waitcnt lgkmcnt(0)
	v_add_f32_e32 v2, v2, v3
	s_mov_b32 s7, 0
	s_delay_alu instid0(SALU_CYCLE_1) | instskip(NEXT) | instid1(VALU_DEP_1)
	s_lshl_b64 s[0:1], s[6:7], 2
	v_div_scale_f32 v3, null, v2, v2, v8
	v_div_scale_f32 v6, vcc_lo, v8, v2, v8
	s_delay_alu instid0(VALU_DEP_2) | instskip(SKIP_2) | instid1(VALU_DEP_1)
	v_rcp_f32_e32 v4, v3
	s_waitcnt_depctr 0xfff
	v_fma_f32 v5, -v3, v4, 1.0
	v_fmac_f32_e32 v4, v5, v4
	s_delay_alu instid0(VALU_DEP_1) | instskip(NEXT) | instid1(VALU_DEP_1)
	v_mul_f32_e32 v5, v6, v4
	v_fma_f32 v7, -v3, v5, v6
	s_delay_alu instid0(VALU_DEP_1) | instskip(NEXT) | instid1(VALU_DEP_1)
	v_fmac_f32_e32 v5, v7, v4
	v_fma_f32 v3, -v3, v5, v6
	s_delay_alu instid0(VALU_DEP_1) | instskip(SKIP_2) | instid1(VALU_DEP_3)
	v_div_fmas_f32 v3, v3, v4, v5
	v_add_co_u32 v0, vcc_lo, v0, s0
	v_add_co_ci_u32_e32 v1, vcc_lo, s1, v1, vcc_lo
	v_div_fixup_f32 v3, v3, v2, v8
	v_cmp_neq_f32_e32 vcc_lo, 0, v2
	s_delay_alu instid0(VALU_DEP_2)
	v_cndmask_b32_e32 v2, 0x7fc00000, v3, vcc_lo
	global_store_b32 v[0:1], v2, off
.LBB701_24:
	s_nop 0
	s_sendmsg sendmsg(MSG_DEALLOC_VGPRS)
	s_endpgm
	.section	.rodata,"a",@progbits
	.p2align	6, 0x0
	.amdhsa_kernel _ZN12_GLOBAL__N_120softmax_warp_forwardIfffLi2ELb0ELb1ELi32EEEvPT0_PKT_iiiPKbib
		.amdhsa_group_segment_fixed_size 0
		.amdhsa_private_segment_fixed_size 0
		.amdhsa_kernarg_size 304
		.amdhsa_user_sgpr_count 15
		.amdhsa_user_sgpr_dispatch_ptr 0
		.amdhsa_user_sgpr_queue_ptr 0
		.amdhsa_user_sgpr_kernarg_segment_ptr 1
		.amdhsa_user_sgpr_dispatch_id 0
		.amdhsa_user_sgpr_private_segment_size 0
		.amdhsa_wavefront_size32 1
		.amdhsa_uses_dynamic_stack 0
		.amdhsa_enable_private_segment 0
		.amdhsa_system_sgpr_workgroup_id_x 1
		.amdhsa_system_sgpr_workgroup_id_y 0
		.amdhsa_system_sgpr_workgroup_id_z 0
		.amdhsa_system_sgpr_workgroup_info 0
		.amdhsa_system_vgpr_workitem_id 1
		.amdhsa_next_free_vgpr 17
		.amdhsa_next_free_sgpr 16
		.amdhsa_reserve_vcc 1
		.amdhsa_float_round_mode_32 0
		.amdhsa_float_round_mode_16_64 0
		.amdhsa_float_denorm_mode_32 3
		.amdhsa_float_denorm_mode_16_64 3
		.amdhsa_dx10_clamp 1
		.amdhsa_ieee_mode 1
		.amdhsa_fp16_overflow 0
		.amdhsa_workgroup_processor_mode 1
		.amdhsa_memory_ordered 1
		.amdhsa_forward_progress 0
		.amdhsa_shared_vgpr_count 0
		.amdhsa_exception_fp_ieee_invalid_op 0
		.amdhsa_exception_fp_denorm_src 0
		.amdhsa_exception_fp_ieee_div_zero 0
		.amdhsa_exception_fp_ieee_overflow 0
		.amdhsa_exception_fp_ieee_underflow 0
		.amdhsa_exception_fp_ieee_inexact 0
		.amdhsa_exception_int_div_zero 0
	.end_amdhsa_kernel
	.section	.text._ZN12_GLOBAL__N_120softmax_warp_forwardIfffLi2ELb0ELb1ELi32EEEvPT0_PKT_iiiPKbib,"axG",@progbits,_ZN12_GLOBAL__N_120softmax_warp_forwardIfffLi2ELb0ELb1ELi32EEEvPT0_PKT_iiiPKbib,comdat
.Lfunc_end701:
	.size	_ZN12_GLOBAL__N_120softmax_warp_forwardIfffLi2ELb0ELb1ELi32EEEvPT0_PKT_iiiPKbib, .Lfunc_end701-_ZN12_GLOBAL__N_120softmax_warp_forwardIfffLi2ELb0ELb1ELi32EEEvPT0_PKT_iiiPKbib
                                        ; -- End function
	.section	.AMDGPU.csdata,"",@progbits
; Kernel info:
; codeLenInByte = 1716
; NumSgprs: 18
; NumVgprs: 17
; ScratchSize: 0
; MemoryBound: 0
; FloatMode: 240
; IeeeMode: 1
; LDSByteSize: 0 bytes/workgroup (compile time only)
; SGPRBlocks: 2
; VGPRBlocks: 2
; NumSGPRsForWavesPerEU: 18
; NumVGPRsForWavesPerEU: 17
; Occupancy: 16
; WaveLimiterHint : 0
; COMPUTE_PGM_RSRC2:SCRATCH_EN: 0
; COMPUTE_PGM_RSRC2:USER_SGPR: 15
; COMPUTE_PGM_RSRC2:TRAP_HANDLER: 0
; COMPUTE_PGM_RSRC2:TGID_X_EN: 1
; COMPUTE_PGM_RSRC2:TGID_Y_EN: 0
; COMPUTE_PGM_RSRC2:TGID_Z_EN: 0
; COMPUTE_PGM_RSRC2:TIDIG_COMP_CNT: 1
	.section	.text._ZN12_GLOBAL__N_120softmax_warp_forwardIfffLi3ELb0ELb1ELi64EEEvPT0_PKT_iiiPKbib,"axG",@progbits,_ZN12_GLOBAL__N_120softmax_warp_forwardIfffLi3ELb0ELb1ELi64EEEvPT0_PKT_iiiPKbib,comdat
	.globl	_ZN12_GLOBAL__N_120softmax_warp_forwardIfffLi3ELb0ELb1ELi64EEEvPT0_PKT_iiiPKbib ; -- Begin function _ZN12_GLOBAL__N_120softmax_warp_forwardIfffLi3ELb0ELb1ELi64EEEvPT0_PKT_iiiPKbib
	.p2align	8
	.type	_ZN12_GLOBAL__N_120softmax_warp_forwardIfffLi3ELb0ELb1ELi64EEEvPT0_PKT_iiiPKbib,@function
_ZN12_GLOBAL__N_120softmax_warp_forwardIfffLi3ELb0ELb1ELi64EEEvPT0_PKT_iiiPKbib: ; @_ZN12_GLOBAL__N_120softmax_warp_forwardIfffLi3ELb0ELb1ELi64EEEvPT0_PKT_iiiPKbib
; %bb.0:
	s_clause 0x2
	s_load_b64 s[2:3], s[0:1], 0x28
	s_load_b32 s8, s[0:1], 0x3c
	s_load_b128 s[4:7], s[0:1], 0x10
	v_bfe_u32 v1, v0, 10, 10
	v_and_b32_e32 v4, 0x3ff, v0
	s_waitcnt lgkmcnt(0)
	s_bitcmp1_b32 s3, 0
	s_cselect_b32 s12, -1, 0
	s_lshr_b32 s7, s8, 16
	s_bitcmp0_b32 s3, 0
	s_mul_i32 s15, s15, s7
	s_delay_alu instid0(SALU_CYCLE_1) | instskip(NEXT) | instid1(VALU_DEP_1)
	v_add_lshl_u32 v5, s15, v1, 1
	v_mul_lo_u32 v6, v5, s5
	s_delay_alu instid0(VALU_DEP_1) | instskip(NEXT) | instid1(VALU_DEP_1)
	v_add_nc_u32_e32 v0, v6, v4
	v_ashrrev_i32_e32 v1, 31, v0
	s_delay_alu instid0(VALU_DEP_1)
	v_dual_mov_b32 v3, v1 :: v_dual_mov_b32 v2, v0
	s_cbranch_scc1 .LBB702_2
; %bb.1:
	s_abs_i32 s3, s2
	v_sub_nc_u32_e32 v7, 0, v6
	v_cvt_f32_u32_e32 v2, s3
	s_sub_i32 s7, 0, s3
	s_delay_alu instid0(VALU_DEP_2) | instskip(NEXT) | instid1(VALU_DEP_2)
	v_max_i32_e32 v7, v6, v7
	v_rcp_iflag_f32_e32 v2, v2
	v_xor_b32_e32 v6, s2, v6
	s_delay_alu instid0(VALU_DEP_1) | instskip(SKIP_2) | instid1(VALU_DEP_1)
	v_ashrrev_i32_e32 v6, 31, v6
	s_waitcnt_depctr 0xfff
	v_mul_f32_e32 v2, 0x4f7ffffe, v2
	v_cvt_u32_f32_e32 v2, v2
	s_delay_alu instid0(VALU_DEP_1) | instskip(NEXT) | instid1(VALU_DEP_1)
	v_mul_lo_u32 v3, s7, v2
	v_mul_hi_u32 v3, v2, v3
	s_delay_alu instid0(VALU_DEP_1) | instskip(NEXT) | instid1(VALU_DEP_1)
	v_add_nc_u32_e32 v2, v2, v3
	v_mul_hi_u32 v2, v7, v2
	s_delay_alu instid0(VALU_DEP_1) | instskip(NEXT) | instid1(VALU_DEP_1)
	v_mul_lo_u32 v3, v2, s3
	v_sub_nc_u32_e32 v3, v7, v3
	v_add_nc_u32_e32 v7, 1, v2
	s_delay_alu instid0(VALU_DEP_2) | instskip(SKIP_1) | instid1(VALU_DEP_2)
	v_subrev_nc_u32_e32 v8, s3, v3
	v_cmp_le_u32_e32 vcc_lo, s3, v3
	v_dual_cndmask_b32 v3, v3, v8 :: v_dual_cndmask_b32 v2, v2, v7
	s_delay_alu instid0(VALU_DEP_1) | instskip(NEXT) | instid1(VALU_DEP_2)
	v_cmp_le_u32_e32 vcc_lo, s3, v3
	v_add_nc_u32_e32 v7, 1, v2
	s_delay_alu instid0(VALU_DEP_1) | instskip(NEXT) | instid1(VALU_DEP_1)
	v_cndmask_b32_e32 v2, v2, v7, vcc_lo
	v_xor_b32_e32 v2, v2, v6
	s_delay_alu instid0(VALU_DEP_1) | instskip(NEXT) | instid1(VALU_DEP_1)
	v_sub_nc_u32_e32 v6, v2, v6
	v_mad_u64_u32 v[2:3], null, v6, s5, v[4:5]
	s_delay_alu instid0(VALU_DEP_1)
	v_ashrrev_i32_e32 v3, 31, v2
.LBB702_2:
	s_load_b128 s[8:11], s[0:1], 0x0
	v_lshlrev_b64 v[0:1], 2, v[0:1]
	v_sub_nc_u32_e32 v6, s4, v5
	v_cmp_gt_i32_e64 s2, s6, v4
	v_mov_b32_e32 v7, 0xff800000
	v_mov_b32_e32 v9, 0xff800000
	s_delay_alu instid0(VALU_DEP_4) | instskip(SKIP_2) | instid1(VALU_DEP_1)
	v_cmp_lt_i32_e32 vcc_lo, 0, v6
	s_waitcnt lgkmcnt(0)
	v_add_co_u32 v4, s3, s10, v0
	v_add_co_ci_u32_e64 v5, s3, s11, v1, s3
	s_and_b32 s11, s2, vcc_lo
	s_delay_alu instid0(SALU_CYCLE_1)
	s_and_saveexec_b32 s3, s11
	s_cbranch_execz .LBB702_4
; %bb.3:
	global_load_b32 v9, v[4:5], off
.LBB702_4:
	s_or_b32 exec_lo, exec_lo, s3
	v_cmp_lt_i32_e64 s3, 1, v6
	s_delay_alu instid0(VALU_DEP_1) | instskip(NEXT) | instid1(SALU_CYCLE_1)
	s_and_b32 s10, s2, s3
	s_and_saveexec_b32 s4, s10
	s_cbranch_execz .LBB702_6
; %bb.5:
	s_mov_b32 s7, 0
	s_delay_alu instid0(SALU_CYCLE_1) | instskip(NEXT) | instid1(SALU_CYCLE_1)
	s_lshl_b64 s[14:15], s[6:7], 2
	v_add_co_u32 v4, s3, v4, s14
	s_delay_alu instid0(VALU_DEP_1)
	v_add_co_ci_u32_e64 v5, s3, s15, v5, s3
	global_load_b32 v7, v[4:5], off
.LBB702_6:
	s_or_b32 exec_lo, exec_lo, s4
	s_load_b64 s[0:1], s[0:1], 0x20
	v_mov_b32_e32 v4, 0xff800000
	s_waitcnt lgkmcnt(0)
	v_add_co_u32 v2, s0, s0, v2
	s_delay_alu instid0(VALU_DEP_1)
	v_add_co_ci_u32_e64 v3, s0, s1, v3, s0
	s_and_saveexec_b32 s1, s11
	s_cbranch_execz .LBB702_8
; %bb.7:
	global_load_u8 v4, v[2:3], off
	s_waitcnt vmcnt(0)
	v_and_b32_e32 v4, 1, v4
	s_delay_alu instid0(VALU_DEP_1) | instskip(NEXT) | instid1(VALU_DEP_1)
	v_cmp_eq_u32_e64 s0, 1, v4
	v_cndmask_b32_e64 v4, v9, 0xff800000, s0
.LBB702_8:
	s_or_b32 exec_lo, exec_lo, s1
	s_mov_b32 s4, 0
	s_mov_b32 s1, 0
	s_and_saveexec_b32 s3, s10
	s_cbranch_execz .LBB702_10
; %bb.9:
	s_and_b32 s0, s12, exec_lo
	s_cselect_b32 s0, 0, s6
	s_cselect_b32 s1, 0, 0
	v_add_co_u32 v10, s0, v2, s0
	s_delay_alu instid0(VALU_DEP_1) | instskip(SKIP_3) | instid1(VALU_DEP_1)
	v_add_co_ci_u32_e64 v11, s0, s1, v3, s0
	global_load_u8 v5, v[10:11], off
	s_waitcnt vmcnt(0)
	v_and_b32_e32 v5, 1, v5
	v_cmp_eq_u32_e64 s0, 1, v5
	s_delay_alu instid0(VALU_DEP_1) | instskip(NEXT) | instid1(SALU_CYCLE_1)
	s_xor_b32 s0, s0, -1
	s_and_b32 s1, s0, exec_lo
.LBB702_10:
	s_or_b32 exec_lo, exec_lo, s3
	v_mbcnt_lo_u32_b32 v5, -1, 0
	s_mov_b32 s5, s4
	v_cndmask_b32_e64 v4, v4, v4, s1
	s_waitcnt vmcnt(0)
	v_cndmask_b32_e64 v12, 0xff800000, v7, s1
	v_and_b32_e32 v8, 24, v5
	v_xor_b32_e32 v10, 4, v5
	v_xor_b32_e32 v11, 2, v5
	s_delay_alu instid0(VALU_DEP_3) | instskip(NEXT) | instid1(VALU_DEP_1)
	v_add_nc_u32_e32 v8, 8, v8
	v_cmp_lt_i32_e64 s0, v10, v8
	s_delay_alu instid0(VALU_DEP_1) | instskip(NEXT) | instid1(VALU_DEP_4)
	v_cndmask_b32_e64 v10, v5, v10, s0
	v_cmp_lt_i32_e64 s0, v11, v8
	s_delay_alu instid0(VALU_DEP_2) | instskip(NEXT) | instid1(VALU_DEP_2)
	v_lshlrev_b32_e32 v10, 2, v10
	v_cndmask_b32_e64 v11, v5, v11, s0
	ds_bpermute_b32 v13, v10, v4
	ds_bpermute_b32 v14, v10, v12
	v_lshlrev_b32_e32 v11, 2, v11
	s_waitcnt lgkmcnt(1)
	v_cmp_lt_f32_e64 s0, v4, v13
	s_delay_alu instid0(VALU_DEP_1) | instskip(SKIP_2) | instid1(VALU_DEP_1)
	v_cndmask_b32_e64 v4, v4, v13, s0
	s_waitcnt lgkmcnt(0)
	v_cmp_lt_f32_e64 s0, v12, v14
	v_cndmask_b32_e64 v13, v12, v14, s0
	v_xor_b32_e32 v12, 1, v5
	s_delay_alu instid0(VALU_DEP_1) | instskip(SKIP_4) | instid1(VALU_DEP_1)
	v_cmp_lt_i32_e64 s0, v12, v8
	v_mov_b32_e32 v8, 0
	ds_bpermute_b32 v14, v11, v4
	ds_bpermute_b32 v15, v11, v13
	v_cndmask_b32_e64 v5, v5, v12, s0
	v_lshlrev_b32_e32 v12, 2, v5
	s_waitcnt lgkmcnt(1)
	v_cmp_lt_f32_e64 s0, v4, v14
	s_delay_alu instid0(VALU_DEP_1)
	v_cndmask_b32_e64 v16, v4, v14, s0
	s_waitcnt lgkmcnt(0)
	v_cmp_lt_f32_e64 s0, v13, v15
	v_dual_mov_b32 v4, s4 :: v_dual_mov_b32 v5, s5
	ds_bpermute_b32 v17, v12, v16
	v_cndmask_b32_e64 v14, v13, v15, s0
	v_mov_b32_e32 v13, 0
	ds_bpermute_b32 v15, v12, v14
	s_and_saveexec_b32 s1, s11
	s_cbranch_execz .LBB702_14
; %bb.11:
	global_load_u8 v4, v[2:3], off
	s_mov_b32 s5, s4
	s_waitcnt vmcnt(0)
	v_dual_mov_b32 v13, 0 :: v_dual_and_b32 v4, 1, v4
	s_delay_alu instid0(VALU_DEP_1) | instskip(SKIP_1) | instid1(VALU_DEP_2)
	v_cmp_eq_u32_e64 s0, 1, v4
	v_dual_mov_b32 v4, s4 :: v_dual_mov_b32 v5, s5
	s_xor_b32 s0, s0, -1
	s_delay_alu instid0(SALU_CYCLE_1)
	s_and_saveexec_b32 s3, s0
	s_cbranch_execz .LBB702_13
; %bb.12:
	s_waitcnt lgkmcnt(1)
	v_cmp_lt_f32_e64 s0, v16, v17
	s_delay_alu instid0(VALU_DEP_1) | instskip(NEXT) | instid1(VALU_DEP_1)
	v_cndmask_b32_e64 v4, v16, v17, s0
	v_sub_f32_e32 v4, v9, v4
	s_delay_alu instid0(VALU_DEP_1) | instskip(SKIP_1) | instid1(VALU_DEP_2)
	v_mul_f32_e32 v5, 0x3fb8aa3b, v4
	v_cmp_ngt_f32_e64 s0, 0xc2ce8ed0, v4
	v_fma_f32 v9, 0x3fb8aa3b, v4, -v5
	v_rndne_f32_e32 v13, v5
	s_delay_alu instid0(VALU_DEP_2) | instskip(NEXT) | instid1(VALU_DEP_2)
	v_fmamk_f32 v9, v4, 0x32a5705f, v9
	v_sub_f32_e32 v5, v5, v13
	s_delay_alu instid0(VALU_DEP_1) | instskip(SKIP_1) | instid1(VALU_DEP_2)
	v_add_f32_e32 v5, v5, v9
	v_cvt_i32_f32_e32 v9, v13
	v_exp_f32_e32 v5, v5
	s_waitcnt_depctr 0xfff
	v_ldexp_f32 v5, v5, v9
	s_delay_alu instid0(VALU_DEP_1) | instskip(SKIP_1) | instid1(VALU_DEP_1)
	v_cndmask_b32_e64 v5, 0, v5, s0
	v_cmp_nlt_f32_e64 s0, 0x42b17218, v4
	v_cndmask_b32_e64 v4, 0x7f800000, v5, s0
	v_mov_b32_e32 v5, 0
	s_delay_alu instid0(VALU_DEP_2)
	v_mov_b32_e32 v13, v4
.LBB702_13:
	s_or_b32 exec_lo, exec_lo, s3
.LBB702_14:
	s_delay_alu instid0(SALU_CYCLE_1)
	s_or_b32 exec_lo, exec_lo, s1
	s_and_saveexec_b32 s1, s10
	s_cbranch_execz .LBB702_18
; %bb.15:
	s_and_b32 s0, s12, exec_lo
	s_cselect_b32 s0, 0, s6
	s_cselect_b32 s3, 0, 0
	v_add_co_u32 v2, s0, v2, s0
	s_delay_alu instid0(VALU_DEP_1) | instskip(SKIP_4) | instid1(VALU_DEP_1)
	v_add_co_ci_u32_e64 v3, s0, s3, v3, s0
	v_mov_b32_e32 v8, 0
	global_load_u8 v2, v[2:3], off
	s_waitcnt vmcnt(0)
	v_and_b32_e32 v2, 1, v2
	v_cmp_eq_u32_e64 s0, 1, v2
	s_delay_alu instid0(VALU_DEP_1) | instskip(NEXT) | instid1(SALU_CYCLE_1)
	s_xor_b32 s0, s0, -1
	s_and_saveexec_b32 s3, s0
	s_cbranch_execz .LBB702_17
; %bb.16:
	s_waitcnt lgkmcnt(0)
	v_cmp_lt_f32_e64 s0, v14, v15
	s_delay_alu instid0(VALU_DEP_1) | instskip(NEXT) | instid1(VALU_DEP_1)
	v_cndmask_b32_e64 v2, v14, v15, s0
	v_sub_f32_e32 v2, v7, v2
	s_delay_alu instid0(VALU_DEP_1) | instskip(SKIP_1) | instid1(VALU_DEP_2)
	v_mul_f32_e32 v3, 0x3fb8aa3b, v2
	v_cmp_ngt_f32_e64 s0, 0xc2ce8ed0, v2
	v_fma_f32 v7, 0x3fb8aa3b, v2, -v3
	v_rndne_f32_e32 v8, v3
	s_delay_alu instid0(VALU_DEP_2) | instskip(NEXT) | instid1(VALU_DEP_2)
	v_fmamk_f32 v7, v2, 0x32a5705f, v7
	v_sub_f32_e32 v3, v3, v8
	s_delay_alu instid0(VALU_DEP_1) | instskip(SKIP_1) | instid1(VALU_DEP_2)
	v_add_f32_e32 v3, v3, v7
	v_cvt_i32_f32_e32 v7, v8
	v_exp_f32_e32 v3, v3
	s_waitcnt_depctr 0xfff
	v_ldexp_f32 v3, v3, v7
	s_delay_alu instid0(VALU_DEP_1) | instskip(SKIP_1) | instid1(VALU_DEP_1)
	v_cndmask_b32_e64 v3, 0, v3, s0
	v_cmp_nlt_f32_e64 s0, 0x42b17218, v2
	v_cndmask_b32_e64 v8, 0x7f800000, v3, s0
	s_delay_alu instid0(VALU_DEP_1)
	v_add_f32_e32 v5, v5, v8
.LBB702_17:
	s_or_b32 exec_lo, exec_lo, s3
.LBB702_18:
	s_delay_alu instid0(SALU_CYCLE_1)
	s_or_b32 exec_lo, exec_lo, s1
	ds_bpermute_b32 v2, v10, v4
	ds_bpermute_b32 v3, v10, v5
	s_waitcnt lgkmcnt(0)
	v_dual_add_f32 v2, v4, v2 :: v_dual_add_f32 v3, v5, v3
	ds_bpermute_b32 v4, v11, v2
	ds_bpermute_b32 v5, v11, v3
	s_waitcnt lgkmcnt(1)
	v_add_f32_e32 v4, v2, v4
	s_waitcnt lgkmcnt(0)
	v_add_f32_e32 v2, v3, v5
	ds_bpermute_b32 v5, v12, v4
	ds_bpermute_b32 v3, v12, v2
	s_and_saveexec_b32 s0, vcc_lo
	s_cbranch_execz .LBB702_24
; %bb.19:
	v_add_co_u32 v0, vcc_lo, s8, v0
	v_add_co_ci_u32_e32 v1, vcc_lo, s9, v1, vcc_lo
	s_and_saveexec_b32 s0, s2
	s_cbranch_execz .LBB702_21
; %bb.20:
	s_waitcnt lgkmcnt(1)
	v_add_f32_e32 v4, v4, v5
	s_delay_alu instid0(VALU_DEP_1) | instskip(NEXT) | instid1(VALU_DEP_1)
	v_div_scale_f32 v5, null, v4, v4, v13
	v_rcp_f32_e32 v7, v5
	s_waitcnt_depctr 0xfff
	v_fma_f32 v9, -v5, v7, 1.0
	s_delay_alu instid0(VALU_DEP_1) | instskip(SKIP_1) | instid1(VALU_DEP_1)
	v_fmac_f32_e32 v7, v9, v7
	v_div_scale_f32 v9, vcc_lo, v13, v4, v13
	v_mul_f32_e32 v10, v9, v7
	s_delay_alu instid0(VALU_DEP_1) | instskip(NEXT) | instid1(VALU_DEP_1)
	v_fma_f32 v11, -v5, v10, v9
	v_fmac_f32_e32 v10, v11, v7
	s_delay_alu instid0(VALU_DEP_1) | instskip(NEXT) | instid1(VALU_DEP_1)
	v_fma_f32 v5, -v5, v10, v9
	v_div_fmas_f32 v5, v5, v7, v10
	v_cmp_neq_f32_e32 vcc_lo, 0, v4
	s_delay_alu instid0(VALU_DEP_2) | instskip(NEXT) | instid1(VALU_DEP_1)
	v_div_fixup_f32 v5, v5, v4, v13
	v_cndmask_b32_e32 v4, 0x7fc00000, v5, vcc_lo
	global_store_b32 v[0:1], v4, off
.LBB702_21:
	s_or_b32 exec_lo, exec_lo, s0
	v_cmp_ne_u32_e32 vcc_lo, 1, v6
	s_and_b32 exec_lo, exec_lo, vcc_lo
	s_cbranch_execz .LBB702_24
; %bb.22:
	s_and_b32 exec_lo, exec_lo, s2
	s_cbranch_execz .LBB702_24
; %bb.23:
	s_waitcnt lgkmcnt(0)
	v_add_f32_e32 v2, v2, v3
	s_mov_b32 s7, 0
	s_delay_alu instid0(SALU_CYCLE_1) | instskip(NEXT) | instid1(VALU_DEP_1)
	s_lshl_b64 s[0:1], s[6:7], 2
	v_div_scale_f32 v3, null, v2, v2, v8
	v_div_scale_f32 v6, vcc_lo, v8, v2, v8
	s_delay_alu instid0(VALU_DEP_2) | instskip(SKIP_2) | instid1(VALU_DEP_1)
	v_rcp_f32_e32 v4, v3
	s_waitcnt_depctr 0xfff
	v_fma_f32 v5, -v3, v4, 1.0
	v_fmac_f32_e32 v4, v5, v4
	s_delay_alu instid0(VALU_DEP_1) | instskip(NEXT) | instid1(VALU_DEP_1)
	v_mul_f32_e32 v5, v6, v4
	v_fma_f32 v7, -v3, v5, v6
	s_delay_alu instid0(VALU_DEP_1) | instskip(NEXT) | instid1(VALU_DEP_1)
	v_fmac_f32_e32 v5, v7, v4
	v_fma_f32 v3, -v3, v5, v6
	s_delay_alu instid0(VALU_DEP_1) | instskip(SKIP_2) | instid1(VALU_DEP_3)
	v_div_fmas_f32 v3, v3, v4, v5
	v_add_co_u32 v0, vcc_lo, v0, s0
	v_add_co_ci_u32_e32 v1, vcc_lo, s1, v1, vcc_lo
	v_div_fixup_f32 v3, v3, v2, v8
	v_cmp_neq_f32_e32 vcc_lo, 0, v2
	s_delay_alu instid0(VALU_DEP_2)
	v_cndmask_b32_e32 v2, 0x7fc00000, v3, vcc_lo
	global_store_b32 v[0:1], v2, off
.LBB702_24:
	s_nop 0
	s_sendmsg sendmsg(MSG_DEALLOC_VGPRS)
	s_endpgm
	.section	.rodata,"a",@progbits
	.p2align	6, 0x0
	.amdhsa_kernel _ZN12_GLOBAL__N_120softmax_warp_forwardIfffLi3ELb0ELb1ELi64EEEvPT0_PKT_iiiPKbib
		.amdhsa_group_segment_fixed_size 0
		.amdhsa_private_segment_fixed_size 0
		.amdhsa_kernarg_size 304
		.amdhsa_user_sgpr_count 15
		.amdhsa_user_sgpr_dispatch_ptr 0
		.amdhsa_user_sgpr_queue_ptr 0
		.amdhsa_user_sgpr_kernarg_segment_ptr 1
		.amdhsa_user_sgpr_dispatch_id 0
		.amdhsa_user_sgpr_private_segment_size 0
		.amdhsa_wavefront_size32 1
		.amdhsa_uses_dynamic_stack 0
		.amdhsa_enable_private_segment 0
		.amdhsa_system_sgpr_workgroup_id_x 1
		.amdhsa_system_sgpr_workgroup_id_y 0
		.amdhsa_system_sgpr_workgroup_id_z 0
		.amdhsa_system_sgpr_workgroup_info 0
		.amdhsa_system_vgpr_workitem_id 1
		.amdhsa_next_free_vgpr 18
		.amdhsa_next_free_sgpr 16
		.amdhsa_reserve_vcc 1
		.amdhsa_float_round_mode_32 0
		.amdhsa_float_round_mode_16_64 0
		.amdhsa_float_denorm_mode_32 3
		.amdhsa_float_denorm_mode_16_64 3
		.amdhsa_dx10_clamp 1
		.amdhsa_ieee_mode 1
		.amdhsa_fp16_overflow 0
		.amdhsa_workgroup_processor_mode 1
		.amdhsa_memory_ordered 1
		.amdhsa_forward_progress 0
		.amdhsa_shared_vgpr_count 0
		.amdhsa_exception_fp_ieee_invalid_op 0
		.amdhsa_exception_fp_denorm_src 0
		.amdhsa_exception_fp_ieee_div_zero 0
		.amdhsa_exception_fp_ieee_overflow 0
		.amdhsa_exception_fp_ieee_underflow 0
		.amdhsa_exception_fp_ieee_inexact 0
		.amdhsa_exception_int_div_zero 0
	.end_amdhsa_kernel
	.section	.text._ZN12_GLOBAL__N_120softmax_warp_forwardIfffLi3ELb0ELb1ELi64EEEvPT0_PKT_iiiPKbib,"axG",@progbits,_ZN12_GLOBAL__N_120softmax_warp_forwardIfffLi3ELb0ELb1ELi64EEEvPT0_PKT_iiiPKbib,comdat
.Lfunc_end702:
	.size	_ZN12_GLOBAL__N_120softmax_warp_forwardIfffLi3ELb0ELb1ELi64EEEvPT0_PKT_iiiPKbib, .Lfunc_end702-_ZN12_GLOBAL__N_120softmax_warp_forwardIfffLi3ELb0ELb1ELi64EEEvPT0_PKT_iiiPKbib
                                        ; -- End function
	.section	.AMDGPU.csdata,"",@progbits
; Kernel info:
; codeLenInByte = 1832
; NumSgprs: 18
; NumVgprs: 18
; ScratchSize: 0
; MemoryBound: 0
; FloatMode: 240
; IeeeMode: 1
; LDSByteSize: 0 bytes/workgroup (compile time only)
; SGPRBlocks: 2
; VGPRBlocks: 2
; NumSGPRsForWavesPerEU: 18
; NumVGPRsForWavesPerEU: 18
; Occupancy: 16
; WaveLimiterHint : 0
; COMPUTE_PGM_RSRC2:SCRATCH_EN: 0
; COMPUTE_PGM_RSRC2:USER_SGPR: 15
; COMPUTE_PGM_RSRC2:TRAP_HANDLER: 0
; COMPUTE_PGM_RSRC2:TGID_X_EN: 1
; COMPUTE_PGM_RSRC2:TGID_Y_EN: 0
; COMPUTE_PGM_RSRC2:TGID_Z_EN: 0
; COMPUTE_PGM_RSRC2:TIDIG_COMP_CNT: 1
	.section	.text._ZN12_GLOBAL__N_120softmax_warp_forwardIfffLi3ELb0ELb1ELi32EEEvPT0_PKT_iiiPKbib,"axG",@progbits,_ZN12_GLOBAL__N_120softmax_warp_forwardIfffLi3ELb0ELb1ELi32EEEvPT0_PKT_iiiPKbib,comdat
	.globl	_ZN12_GLOBAL__N_120softmax_warp_forwardIfffLi3ELb0ELb1ELi32EEEvPT0_PKT_iiiPKbib ; -- Begin function _ZN12_GLOBAL__N_120softmax_warp_forwardIfffLi3ELb0ELb1ELi32EEEvPT0_PKT_iiiPKbib
	.p2align	8
	.type	_ZN12_GLOBAL__N_120softmax_warp_forwardIfffLi3ELb0ELb1ELi32EEEvPT0_PKT_iiiPKbib,@function
_ZN12_GLOBAL__N_120softmax_warp_forwardIfffLi3ELb0ELb1ELi32EEEvPT0_PKT_iiiPKbib: ; @_ZN12_GLOBAL__N_120softmax_warp_forwardIfffLi3ELb0ELb1ELi32EEEvPT0_PKT_iiiPKbib
; %bb.0:
	s_clause 0x2
	s_load_b64 s[2:3], s[0:1], 0x28
	s_load_b32 s8, s[0:1], 0x3c
	s_load_b128 s[4:7], s[0:1], 0x10
	v_bfe_u32 v1, v0, 10, 10
	v_and_b32_e32 v4, 0x3ff, v0
	s_waitcnt lgkmcnt(0)
	s_bitcmp1_b32 s3, 0
	s_cselect_b32 s12, -1, 0
	s_lshr_b32 s7, s8, 16
	s_bitcmp0_b32 s3, 0
	s_mul_i32 s15, s15, s7
	s_delay_alu instid0(SALU_CYCLE_1) | instskip(NEXT) | instid1(VALU_DEP_1)
	v_add_lshl_u32 v5, s15, v1, 1
	v_mul_lo_u32 v6, v5, s5
	s_delay_alu instid0(VALU_DEP_1) | instskip(NEXT) | instid1(VALU_DEP_1)
	v_add_nc_u32_e32 v0, v6, v4
	v_ashrrev_i32_e32 v1, 31, v0
	s_delay_alu instid0(VALU_DEP_1)
	v_dual_mov_b32 v3, v1 :: v_dual_mov_b32 v2, v0
	s_cbranch_scc1 .LBB703_2
; %bb.1:
	s_abs_i32 s3, s2
	v_sub_nc_u32_e32 v7, 0, v6
	v_cvt_f32_u32_e32 v2, s3
	s_sub_i32 s7, 0, s3
	s_delay_alu instid0(VALU_DEP_2) | instskip(NEXT) | instid1(VALU_DEP_2)
	v_max_i32_e32 v7, v6, v7
	v_rcp_iflag_f32_e32 v2, v2
	v_xor_b32_e32 v6, s2, v6
	s_delay_alu instid0(VALU_DEP_1) | instskip(SKIP_2) | instid1(VALU_DEP_1)
	v_ashrrev_i32_e32 v6, 31, v6
	s_waitcnt_depctr 0xfff
	v_mul_f32_e32 v2, 0x4f7ffffe, v2
	v_cvt_u32_f32_e32 v2, v2
	s_delay_alu instid0(VALU_DEP_1) | instskip(NEXT) | instid1(VALU_DEP_1)
	v_mul_lo_u32 v3, s7, v2
	v_mul_hi_u32 v3, v2, v3
	s_delay_alu instid0(VALU_DEP_1) | instskip(NEXT) | instid1(VALU_DEP_1)
	v_add_nc_u32_e32 v2, v2, v3
	v_mul_hi_u32 v2, v7, v2
	s_delay_alu instid0(VALU_DEP_1) | instskip(NEXT) | instid1(VALU_DEP_1)
	v_mul_lo_u32 v3, v2, s3
	v_sub_nc_u32_e32 v3, v7, v3
	v_add_nc_u32_e32 v7, 1, v2
	s_delay_alu instid0(VALU_DEP_2) | instskip(SKIP_1) | instid1(VALU_DEP_2)
	v_subrev_nc_u32_e32 v8, s3, v3
	v_cmp_le_u32_e32 vcc_lo, s3, v3
	v_dual_cndmask_b32 v3, v3, v8 :: v_dual_cndmask_b32 v2, v2, v7
	s_delay_alu instid0(VALU_DEP_1) | instskip(NEXT) | instid1(VALU_DEP_2)
	v_cmp_le_u32_e32 vcc_lo, s3, v3
	v_add_nc_u32_e32 v7, 1, v2
	s_delay_alu instid0(VALU_DEP_1) | instskip(NEXT) | instid1(VALU_DEP_1)
	v_cndmask_b32_e32 v2, v2, v7, vcc_lo
	v_xor_b32_e32 v2, v2, v6
	s_delay_alu instid0(VALU_DEP_1) | instskip(NEXT) | instid1(VALU_DEP_1)
	v_sub_nc_u32_e32 v6, v2, v6
	v_mad_u64_u32 v[2:3], null, v6, s5, v[4:5]
	s_delay_alu instid0(VALU_DEP_1)
	v_ashrrev_i32_e32 v3, 31, v2
.LBB703_2:
	s_load_b128 s[8:11], s[0:1], 0x0
	v_lshlrev_b64 v[0:1], 2, v[0:1]
	v_sub_nc_u32_e32 v6, s4, v5
	v_cmp_gt_i32_e64 s2, s6, v4
	v_mov_b32_e32 v7, 0xff800000
	v_mov_b32_e32 v9, 0xff800000
	s_delay_alu instid0(VALU_DEP_4) | instskip(SKIP_2) | instid1(VALU_DEP_1)
	v_cmp_lt_i32_e32 vcc_lo, 0, v6
	s_waitcnt lgkmcnt(0)
	v_add_co_u32 v4, s3, s10, v0
	v_add_co_ci_u32_e64 v5, s3, s11, v1, s3
	s_and_b32 s11, s2, vcc_lo
	s_delay_alu instid0(SALU_CYCLE_1)
	s_and_saveexec_b32 s3, s11
	s_cbranch_execz .LBB703_4
; %bb.3:
	global_load_b32 v9, v[4:5], off
.LBB703_4:
	s_or_b32 exec_lo, exec_lo, s3
	v_cmp_lt_i32_e64 s3, 1, v6
	s_delay_alu instid0(VALU_DEP_1) | instskip(NEXT) | instid1(SALU_CYCLE_1)
	s_and_b32 s10, s2, s3
	s_and_saveexec_b32 s4, s10
	s_cbranch_execz .LBB703_6
; %bb.5:
	s_mov_b32 s7, 0
	s_delay_alu instid0(SALU_CYCLE_1) | instskip(NEXT) | instid1(SALU_CYCLE_1)
	s_lshl_b64 s[14:15], s[6:7], 2
	v_add_co_u32 v4, s3, v4, s14
	s_delay_alu instid0(VALU_DEP_1)
	v_add_co_ci_u32_e64 v5, s3, s15, v5, s3
	global_load_b32 v7, v[4:5], off
.LBB703_6:
	s_or_b32 exec_lo, exec_lo, s4
	s_load_b64 s[0:1], s[0:1], 0x20
	v_mov_b32_e32 v4, 0xff800000
	s_waitcnt lgkmcnt(0)
	v_add_co_u32 v2, s0, s0, v2
	s_delay_alu instid0(VALU_DEP_1)
	v_add_co_ci_u32_e64 v3, s0, s1, v3, s0
	s_and_saveexec_b32 s1, s11
	s_cbranch_execz .LBB703_8
; %bb.7:
	global_load_u8 v4, v[2:3], off
	s_waitcnt vmcnt(0)
	v_and_b32_e32 v4, 1, v4
	s_delay_alu instid0(VALU_DEP_1) | instskip(NEXT) | instid1(VALU_DEP_1)
	v_cmp_eq_u32_e64 s0, 1, v4
	v_cndmask_b32_e64 v4, v9, 0xff800000, s0
.LBB703_8:
	s_or_b32 exec_lo, exec_lo, s1
	s_mov_b32 s4, 0
	s_mov_b32 s1, 0
	s_and_saveexec_b32 s3, s10
	s_cbranch_execz .LBB703_10
; %bb.9:
	s_and_b32 s0, s12, exec_lo
	s_cselect_b32 s0, 0, s6
	s_cselect_b32 s1, 0, 0
	v_add_co_u32 v10, s0, v2, s0
	s_delay_alu instid0(VALU_DEP_1) | instskip(SKIP_3) | instid1(VALU_DEP_1)
	v_add_co_ci_u32_e64 v11, s0, s1, v3, s0
	global_load_u8 v5, v[10:11], off
	s_waitcnt vmcnt(0)
	v_and_b32_e32 v5, 1, v5
	v_cmp_eq_u32_e64 s0, 1, v5
	s_delay_alu instid0(VALU_DEP_1) | instskip(NEXT) | instid1(SALU_CYCLE_1)
	s_xor_b32 s0, s0, -1
	s_and_b32 s1, s0, exec_lo
.LBB703_10:
	s_or_b32 exec_lo, exec_lo, s3
	v_mbcnt_lo_u32_b32 v5, -1, 0
	s_mov_b32 s5, s4
	v_cndmask_b32_e64 v4, v4, v4, s1
	s_waitcnt vmcnt(0)
	v_cndmask_b32_e64 v12, 0xff800000, v7, s1
	v_and_b32_e32 v8, 24, v5
	v_xor_b32_e32 v10, 4, v5
	v_xor_b32_e32 v11, 2, v5
	s_delay_alu instid0(VALU_DEP_3) | instskip(NEXT) | instid1(VALU_DEP_1)
	v_add_nc_u32_e32 v8, 8, v8
	v_cmp_lt_i32_e64 s0, v10, v8
	s_delay_alu instid0(VALU_DEP_1) | instskip(NEXT) | instid1(VALU_DEP_4)
	v_cndmask_b32_e64 v10, v5, v10, s0
	v_cmp_lt_i32_e64 s0, v11, v8
	s_delay_alu instid0(VALU_DEP_2) | instskip(NEXT) | instid1(VALU_DEP_2)
	v_lshlrev_b32_e32 v10, 2, v10
	v_cndmask_b32_e64 v11, v5, v11, s0
	ds_bpermute_b32 v13, v10, v4
	ds_bpermute_b32 v14, v10, v12
	v_lshlrev_b32_e32 v11, 2, v11
	s_waitcnt lgkmcnt(1)
	v_cmp_lt_f32_e64 s0, v4, v13
	s_delay_alu instid0(VALU_DEP_1) | instskip(SKIP_2) | instid1(VALU_DEP_1)
	v_cndmask_b32_e64 v4, v4, v13, s0
	s_waitcnt lgkmcnt(0)
	v_cmp_lt_f32_e64 s0, v12, v14
	v_cndmask_b32_e64 v13, v12, v14, s0
	v_xor_b32_e32 v12, 1, v5
	s_delay_alu instid0(VALU_DEP_1) | instskip(SKIP_4) | instid1(VALU_DEP_1)
	v_cmp_lt_i32_e64 s0, v12, v8
	v_mov_b32_e32 v8, 0
	ds_bpermute_b32 v14, v11, v4
	ds_bpermute_b32 v15, v11, v13
	v_cndmask_b32_e64 v5, v5, v12, s0
	v_lshlrev_b32_e32 v12, 2, v5
	s_waitcnt lgkmcnt(1)
	v_cmp_lt_f32_e64 s0, v4, v14
	s_delay_alu instid0(VALU_DEP_1)
	v_cndmask_b32_e64 v16, v4, v14, s0
	s_waitcnt lgkmcnt(0)
	v_cmp_lt_f32_e64 s0, v13, v15
	v_dual_mov_b32 v4, s4 :: v_dual_mov_b32 v5, s5
	ds_bpermute_b32 v17, v12, v16
	v_cndmask_b32_e64 v14, v13, v15, s0
	v_mov_b32_e32 v13, 0
	ds_bpermute_b32 v15, v12, v14
	s_and_saveexec_b32 s1, s11
	s_cbranch_execz .LBB703_14
; %bb.11:
	global_load_u8 v4, v[2:3], off
	s_mov_b32 s5, s4
	s_waitcnt vmcnt(0)
	v_dual_mov_b32 v13, 0 :: v_dual_and_b32 v4, 1, v4
	s_delay_alu instid0(VALU_DEP_1) | instskip(SKIP_1) | instid1(VALU_DEP_2)
	v_cmp_eq_u32_e64 s0, 1, v4
	v_dual_mov_b32 v4, s4 :: v_dual_mov_b32 v5, s5
	s_xor_b32 s0, s0, -1
	s_delay_alu instid0(SALU_CYCLE_1)
	s_and_saveexec_b32 s3, s0
	s_cbranch_execz .LBB703_13
; %bb.12:
	s_waitcnt lgkmcnt(1)
	v_cmp_lt_f32_e64 s0, v16, v17
	s_delay_alu instid0(VALU_DEP_1) | instskip(NEXT) | instid1(VALU_DEP_1)
	v_cndmask_b32_e64 v4, v16, v17, s0
	v_sub_f32_e32 v4, v9, v4
	s_delay_alu instid0(VALU_DEP_1) | instskip(SKIP_1) | instid1(VALU_DEP_2)
	v_mul_f32_e32 v5, 0x3fb8aa3b, v4
	v_cmp_ngt_f32_e64 s0, 0xc2ce8ed0, v4
	v_fma_f32 v9, 0x3fb8aa3b, v4, -v5
	v_rndne_f32_e32 v13, v5
	s_delay_alu instid0(VALU_DEP_2) | instskip(NEXT) | instid1(VALU_DEP_2)
	v_fmamk_f32 v9, v4, 0x32a5705f, v9
	v_sub_f32_e32 v5, v5, v13
	s_delay_alu instid0(VALU_DEP_1) | instskip(SKIP_1) | instid1(VALU_DEP_2)
	v_add_f32_e32 v5, v5, v9
	v_cvt_i32_f32_e32 v9, v13
	v_exp_f32_e32 v5, v5
	s_waitcnt_depctr 0xfff
	v_ldexp_f32 v5, v5, v9
	s_delay_alu instid0(VALU_DEP_1) | instskip(SKIP_1) | instid1(VALU_DEP_1)
	v_cndmask_b32_e64 v5, 0, v5, s0
	v_cmp_nlt_f32_e64 s0, 0x42b17218, v4
	v_cndmask_b32_e64 v4, 0x7f800000, v5, s0
	v_mov_b32_e32 v5, 0
	s_delay_alu instid0(VALU_DEP_2)
	v_mov_b32_e32 v13, v4
.LBB703_13:
	s_or_b32 exec_lo, exec_lo, s3
.LBB703_14:
	s_delay_alu instid0(SALU_CYCLE_1)
	s_or_b32 exec_lo, exec_lo, s1
	s_and_saveexec_b32 s1, s10
	s_cbranch_execz .LBB703_18
; %bb.15:
	s_and_b32 s0, s12, exec_lo
	s_cselect_b32 s0, 0, s6
	s_cselect_b32 s3, 0, 0
	v_add_co_u32 v2, s0, v2, s0
	s_delay_alu instid0(VALU_DEP_1) | instskip(SKIP_4) | instid1(VALU_DEP_1)
	v_add_co_ci_u32_e64 v3, s0, s3, v3, s0
	v_mov_b32_e32 v8, 0
	global_load_u8 v2, v[2:3], off
	s_waitcnt vmcnt(0)
	v_and_b32_e32 v2, 1, v2
	v_cmp_eq_u32_e64 s0, 1, v2
	s_delay_alu instid0(VALU_DEP_1) | instskip(NEXT) | instid1(SALU_CYCLE_1)
	s_xor_b32 s0, s0, -1
	s_and_saveexec_b32 s3, s0
	s_cbranch_execz .LBB703_17
; %bb.16:
	s_waitcnt lgkmcnt(0)
	v_cmp_lt_f32_e64 s0, v14, v15
	s_delay_alu instid0(VALU_DEP_1) | instskip(NEXT) | instid1(VALU_DEP_1)
	v_cndmask_b32_e64 v2, v14, v15, s0
	v_sub_f32_e32 v2, v7, v2
	s_delay_alu instid0(VALU_DEP_1) | instskip(SKIP_1) | instid1(VALU_DEP_2)
	v_mul_f32_e32 v3, 0x3fb8aa3b, v2
	v_cmp_ngt_f32_e64 s0, 0xc2ce8ed0, v2
	v_fma_f32 v7, 0x3fb8aa3b, v2, -v3
	v_rndne_f32_e32 v8, v3
	s_delay_alu instid0(VALU_DEP_2) | instskip(NEXT) | instid1(VALU_DEP_2)
	v_fmamk_f32 v7, v2, 0x32a5705f, v7
	v_sub_f32_e32 v3, v3, v8
	s_delay_alu instid0(VALU_DEP_1) | instskip(SKIP_1) | instid1(VALU_DEP_2)
	v_add_f32_e32 v3, v3, v7
	v_cvt_i32_f32_e32 v7, v8
	v_exp_f32_e32 v3, v3
	s_waitcnt_depctr 0xfff
	v_ldexp_f32 v3, v3, v7
	s_delay_alu instid0(VALU_DEP_1) | instskip(SKIP_1) | instid1(VALU_DEP_1)
	v_cndmask_b32_e64 v3, 0, v3, s0
	v_cmp_nlt_f32_e64 s0, 0x42b17218, v2
	v_cndmask_b32_e64 v8, 0x7f800000, v3, s0
	s_delay_alu instid0(VALU_DEP_1)
	v_add_f32_e32 v5, v5, v8
.LBB703_17:
	s_or_b32 exec_lo, exec_lo, s3
.LBB703_18:
	s_delay_alu instid0(SALU_CYCLE_1)
	s_or_b32 exec_lo, exec_lo, s1
	ds_bpermute_b32 v2, v10, v4
	ds_bpermute_b32 v3, v10, v5
	s_waitcnt lgkmcnt(0)
	v_dual_add_f32 v2, v4, v2 :: v_dual_add_f32 v3, v5, v3
	ds_bpermute_b32 v4, v11, v2
	ds_bpermute_b32 v5, v11, v3
	s_waitcnt lgkmcnt(1)
	v_add_f32_e32 v4, v2, v4
	s_waitcnt lgkmcnt(0)
	v_add_f32_e32 v2, v3, v5
	ds_bpermute_b32 v5, v12, v4
	ds_bpermute_b32 v3, v12, v2
	s_and_saveexec_b32 s0, vcc_lo
	s_cbranch_execz .LBB703_24
; %bb.19:
	v_add_co_u32 v0, vcc_lo, s8, v0
	v_add_co_ci_u32_e32 v1, vcc_lo, s9, v1, vcc_lo
	s_and_saveexec_b32 s0, s2
	s_cbranch_execz .LBB703_21
; %bb.20:
	s_waitcnt lgkmcnt(1)
	v_add_f32_e32 v4, v4, v5
	s_delay_alu instid0(VALU_DEP_1) | instskip(NEXT) | instid1(VALU_DEP_1)
	v_div_scale_f32 v5, null, v4, v4, v13
	v_rcp_f32_e32 v7, v5
	s_waitcnt_depctr 0xfff
	v_fma_f32 v9, -v5, v7, 1.0
	s_delay_alu instid0(VALU_DEP_1) | instskip(SKIP_1) | instid1(VALU_DEP_1)
	v_fmac_f32_e32 v7, v9, v7
	v_div_scale_f32 v9, vcc_lo, v13, v4, v13
	v_mul_f32_e32 v10, v9, v7
	s_delay_alu instid0(VALU_DEP_1) | instskip(NEXT) | instid1(VALU_DEP_1)
	v_fma_f32 v11, -v5, v10, v9
	v_fmac_f32_e32 v10, v11, v7
	s_delay_alu instid0(VALU_DEP_1) | instskip(NEXT) | instid1(VALU_DEP_1)
	v_fma_f32 v5, -v5, v10, v9
	v_div_fmas_f32 v5, v5, v7, v10
	v_cmp_neq_f32_e32 vcc_lo, 0, v4
	s_delay_alu instid0(VALU_DEP_2) | instskip(NEXT) | instid1(VALU_DEP_1)
	v_div_fixup_f32 v5, v5, v4, v13
	v_cndmask_b32_e32 v4, 0x7fc00000, v5, vcc_lo
	global_store_b32 v[0:1], v4, off
.LBB703_21:
	s_or_b32 exec_lo, exec_lo, s0
	v_cmp_ne_u32_e32 vcc_lo, 1, v6
	s_and_b32 exec_lo, exec_lo, vcc_lo
	s_cbranch_execz .LBB703_24
; %bb.22:
	s_and_b32 exec_lo, exec_lo, s2
	s_cbranch_execz .LBB703_24
; %bb.23:
	s_waitcnt lgkmcnt(0)
	v_add_f32_e32 v2, v2, v3
	s_mov_b32 s7, 0
	s_delay_alu instid0(SALU_CYCLE_1) | instskip(NEXT) | instid1(VALU_DEP_1)
	s_lshl_b64 s[0:1], s[6:7], 2
	v_div_scale_f32 v3, null, v2, v2, v8
	v_div_scale_f32 v6, vcc_lo, v8, v2, v8
	s_delay_alu instid0(VALU_DEP_2) | instskip(SKIP_2) | instid1(VALU_DEP_1)
	v_rcp_f32_e32 v4, v3
	s_waitcnt_depctr 0xfff
	v_fma_f32 v5, -v3, v4, 1.0
	v_fmac_f32_e32 v4, v5, v4
	s_delay_alu instid0(VALU_DEP_1) | instskip(NEXT) | instid1(VALU_DEP_1)
	v_mul_f32_e32 v5, v6, v4
	v_fma_f32 v7, -v3, v5, v6
	s_delay_alu instid0(VALU_DEP_1) | instskip(NEXT) | instid1(VALU_DEP_1)
	v_fmac_f32_e32 v5, v7, v4
	v_fma_f32 v3, -v3, v5, v6
	s_delay_alu instid0(VALU_DEP_1) | instskip(SKIP_2) | instid1(VALU_DEP_3)
	v_div_fmas_f32 v3, v3, v4, v5
	v_add_co_u32 v0, vcc_lo, v0, s0
	v_add_co_ci_u32_e32 v1, vcc_lo, s1, v1, vcc_lo
	v_div_fixup_f32 v3, v3, v2, v8
	v_cmp_neq_f32_e32 vcc_lo, 0, v2
	s_delay_alu instid0(VALU_DEP_2)
	v_cndmask_b32_e32 v2, 0x7fc00000, v3, vcc_lo
	global_store_b32 v[0:1], v2, off
.LBB703_24:
	s_nop 0
	s_sendmsg sendmsg(MSG_DEALLOC_VGPRS)
	s_endpgm
	.section	.rodata,"a",@progbits
	.p2align	6, 0x0
	.amdhsa_kernel _ZN12_GLOBAL__N_120softmax_warp_forwardIfffLi3ELb0ELb1ELi32EEEvPT0_PKT_iiiPKbib
		.amdhsa_group_segment_fixed_size 0
		.amdhsa_private_segment_fixed_size 0
		.amdhsa_kernarg_size 304
		.amdhsa_user_sgpr_count 15
		.amdhsa_user_sgpr_dispatch_ptr 0
		.amdhsa_user_sgpr_queue_ptr 0
		.amdhsa_user_sgpr_kernarg_segment_ptr 1
		.amdhsa_user_sgpr_dispatch_id 0
		.amdhsa_user_sgpr_private_segment_size 0
		.amdhsa_wavefront_size32 1
		.amdhsa_uses_dynamic_stack 0
		.amdhsa_enable_private_segment 0
		.amdhsa_system_sgpr_workgroup_id_x 1
		.amdhsa_system_sgpr_workgroup_id_y 0
		.amdhsa_system_sgpr_workgroup_id_z 0
		.amdhsa_system_sgpr_workgroup_info 0
		.amdhsa_system_vgpr_workitem_id 1
		.amdhsa_next_free_vgpr 18
		.amdhsa_next_free_sgpr 16
		.amdhsa_reserve_vcc 1
		.amdhsa_float_round_mode_32 0
		.amdhsa_float_round_mode_16_64 0
		.amdhsa_float_denorm_mode_32 3
		.amdhsa_float_denorm_mode_16_64 3
		.amdhsa_dx10_clamp 1
		.amdhsa_ieee_mode 1
		.amdhsa_fp16_overflow 0
		.amdhsa_workgroup_processor_mode 1
		.amdhsa_memory_ordered 1
		.amdhsa_forward_progress 0
		.amdhsa_shared_vgpr_count 0
		.amdhsa_exception_fp_ieee_invalid_op 0
		.amdhsa_exception_fp_denorm_src 0
		.amdhsa_exception_fp_ieee_div_zero 0
		.amdhsa_exception_fp_ieee_overflow 0
		.amdhsa_exception_fp_ieee_underflow 0
		.amdhsa_exception_fp_ieee_inexact 0
		.amdhsa_exception_int_div_zero 0
	.end_amdhsa_kernel
	.section	.text._ZN12_GLOBAL__N_120softmax_warp_forwardIfffLi3ELb0ELb1ELi32EEEvPT0_PKT_iiiPKbib,"axG",@progbits,_ZN12_GLOBAL__N_120softmax_warp_forwardIfffLi3ELb0ELb1ELi32EEEvPT0_PKT_iiiPKbib,comdat
.Lfunc_end703:
	.size	_ZN12_GLOBAL__N_120softmax_warp_forwardIfffLi3ELb0ELb1ELi32EEEvPT0_PKT_iiiPKbib, .Lfunc_end703-_ZN12_GLOBAL__N_120softmax_warp_forwardIfffLi3ELb0ELb1ELi32EEEvPT0_PKT_iiiPKbib
                                        ; -- End function
	.section	.AMDGPU.csdata,"",@progbits
; Kernel info:
; codeLenInByte = 1832
; NumSgprs: 18
; NumVgprs: 18
; ScratchSize: 0
; MemoryBound: 0
; FloatMode: 240
; IeeeMode: 1
; LDSByteSize: 0 bytes/workgroup (compile time only)
; SGPRBlocks: 2
; VGPRBlocks: 2
; NumSGPRsForWavesPerEU: 18
; NumVGPRsForWavesPerEU: 18
; Occupancy: 16
; WaveLimiterHint : 0
; COMPUTE_PGM_RSRC2:SCRATCH_EN: 0
; COMPUTE_PGM_RSRC2:USER_SGPR: 15
; COMPUTE_PGM_RSRC2:TRAP_HANDLER: 0
; COMPUTE_PGM_RSRC2:TGID_X_EN: 1
; COMPUTE_PGM_RSRC2:TGID_Y_EN: 0
; COMPUTE_PGM_RSRC2:TGID_Z_EN: 0
; COMPUTE_PGM_RSRC2:TIDIG_COMP_CNT: 1
	.section	.text._ZN12_GLOBAL__N_120softmax_warp_forwardIfffLi4ELb0ELb1ELi64EEEvPT0_PKT_iiiPKbib,"axG",@progbits,_ZN12_GLOBAL__N_120softmax_warp_forwardIfffLi4ELb0ELb1ELi64EEEvPT0_PKT_iiiPKbib,comdat
	.globl	_ZN12_GLOBAL__N_120softmax_warp_forwardIfffLi4ELb0ELb1ELi64EEEvPT0_PKT_iiiPKbib ; -- Begin function _ZN12_GLOBAL__N_120softmax_warp_forwardIfffLi4ELb0ELb1ELi64EEEvPT0_PKT_iiiPKbib
	.p2align	8
	.type	_ZN12_GLOBAL__N_120softmax_warp_forwardIfffLi4ELb0ELb1ELi64EEEvPT0_PKT_iiiPKbib,@function
_ZN12_GLOBAL__N_120softmax_warp_forwardIfffLi4ELb0ELb1ELi64EEEvPT0_PKT_iiiPKbib: ; @_ZN12_GLOBAL__N_120softmax_warp_forwardIfffLi4ELb0ELb1ELi64EEEvPT0_PKT_iiiPKbib
; %bb.0:
	s_clause 0x2
	s_load_b64 s[2:3], s[0:1], 0x28
	s_load_b32 s8, s[0:1], 0x3c
	s_load_b128 s[4:7], s[0:1], 0x10
	v_bfe_u32 v1, v0, 10, 10
	v_and_b32_e32 v4, 0x3ff, v0
	s_waitcnt lgkmcnt(0)
	s_bitcmp1_b32 s3, 0
	s_cselect_b32 s12, -1, 0
	s_lshr_b32 s7, s8, 16
	s_bitcmp0_b32 s3, 0
	s_mul_i32 s15, s15, s7
	s_delay_alu instid0(SALU_CYCLE_1) | instskip(NEXT) | instid1(VALU_DEP_1)
	v_add_lshl_u32 v5, s15, v1, 1
	v_mul_lo_u32 v6, v5, s5
	s_delay_alu instid0(VALU_DEP_1) | instskip(NEXT) | instid1(VALU_DEP_1)
	v_add_nc_u32_e32 v0, v6, v4
	v_ashrrev_i32_e32 v1, 31, v0
	s_delay_alu instid0(VALU_DEP_1)
	v_dual_mov_b32 v3, v1 :: v_dual_mov_b32 v2, v0
	s_cbranch_scc1 .LBB704_2
; %bb.1:
	s_abs_i32 s3, s2
	v_sub_nc_u32_e32 v7, 0, v6
	v_cvt_f32_u32_e32 v2, s3
	s_sub_i32 s7, 0, s3
	s_delay_alu instid0(VALU_DEP_2) | instskip(NEXT) | instid1(VALU_DEP_2)
	v_max_i32_e32 v7, v6, v7
	v_rcp_iflag_f32_e32 v2, v2
	v_xor_b32_e32 v6, s2, v6
	s_delay_alu instid0(VALU_DEP_1) | instskip(SKIP_2) | instid1(VALU_DEP_1)
	v_ashrrev_i32_e32 v6, 31, v6
	s_waitcnt_depctr 0xfff
	v_mul_f32_e32 v2, 0x4f7ffffe, v2
	v_cvt_u32_f32_e32 v2, v2
	s_delay_alu instid0(VALU_DEP_1) | instskip(NEXT) | instid1(VALU_DEP_1)
	v_mul_lo_u32 v3, s7, v2
	v_mul_hi_u32 v3, v2, v3
	s_delay_alu instid0(VALU_DEP_1) | instskip(NEXT) | instid1(VALU_DEP_1)
	v_add_nc_u32_e32 v2, v2, v3
	v_mul_hi_u32 v2, v7, v2
	s_delay_alu instid0(VALU_DEP_1) | instskip(NEXT) | instid1(VALU_DEP_1)
	v_mul_lo_u32 v3, v2, s3
	v_sub_nc_u32_e32 v3, v7, v3
	v_add_nc_u32_e32 v7, 1, v2
	s_delay_alu instid0(VALU_DEP_2) | instskip(SKIP_1) | instid1(VALU_DEP_2)
	v_subrev_nc_u32_e32 v8, s3, v3
	v_cmp_le_u32_e32 vcc_lo, s3, v3
	v_dual_cndmask_b32 v3, v3, v8 :: v_dual_cndmask_b32 v2, v2, v7
	s_delay_alu instid0(VALU_DEP_1) | instskip(NEXT) | instid1(VALU_DEP_2)
	v_cmp_le_u32_e32 vcc_lo, s3, v3
	v_add_nc_u32_e32 v7, 1, v2
	s_delay_alu instid0(VALU_DEP_1) | instskip(NEXT) | instid1(VALU_DEP_1)
	v_cndmask_b32_e32 v2, v2, v7, vcc_lo
	v_xor_b32_e32 v2, v2, v6
	s_delay_alu instid0(VALU_DEP_1) | instskip(NEXT) | instid1(VALU_DEP_1)
	v_sub_nc_u32_e32 v6, v2, v6
	v_mad_u64_u32 v[2:3], null, v6, s5, v[4:5]
	s_delay_alu instid0(VALU_DEP_1)
	v_ashrrev_i32_e32 v3, 31, v2
.LBB704_2:
	s_load_b128 s[8:11], s[0:1], 0x0
	v_lshlrev_b64 v[0:1], 2, v[0:1]
	v_sub_nc_u32_e32 v6, s4, v5
	v_cmp_gt_i32_e64 s2, s6, v4
	v_mov_b32_e32 v7, 0xff800000
	v_mov_b32_e32 v9, 0xff800000
	s_delay_alu instid0(VALU_DEP_4) | instskip(SKIP_2) | instid1(VALU_DEP_1)
	v_cmp_lt_i32_e32 vcc_lo, 0, v6
	s_waitcnt lgkmcnt(0)
	v_add_co_u32 v4, s3, s10, v0
	v_add_co_ci_u32_e64 v5, s3, s11, v1, s3
	s_and_b32 s11, s2, vcc_lo
	s_delay_alu instid0(SALU_CYCLE_1)
	s_and_saveexec_b32 s3, s11
	s_cbranch_execz .LBB704_4
; %bb.3:
	global_load_b32 v9, v[4:5], off
.LBB704_4:
	s_or_b32 exec_lo, exec_lo, s3
	v_cmp_lt_i32_e64 s3, 1, v6
	s_delay_alu instid0(VALU_DEP_1) | instskip(NEXT) | instid1(SALU_CYCLE_1)
	s_and_b32 s10, s2, s3
	s_and_saveexec_b32 s4, s10
	s_cbranch_execz .LBB704_6
; %bb.5:
	s_mov_b32 s7, 0
	s_delay_alu instid0(SALU_CYCLE_1) | instskip(NEXT) | instid1(SALU_CYCLE_1)
	s_lshl_b64 s[14:15], s[6:7], 2
	v_add_co_u32 v4, s3, v4, s14
	s_delay_alu instid0(VALU_DEP_1)
	v_add_co_ci_u32_e64 v5, s3, s15, v5, s3
	global_load_b32 v7, v[4:5], off
.LBB704_6:
	s_or_b32 exec_lo, exec_lo, s4
	s_load_b64 s[0:1], s[0:1], 0x20
	v_mov_b32_e32 v4, 0xff800000
	s_waitcnt lgkmcnt(0)
	v_add_co_u32 v2, s0, s0, v2
	s_delay_alu instid0(VALU_DEP_1)
	v_add_co_ci_u32_e64 v3, s0, s1, v3, s0
	s_and_saveexec_b32 s1, s11
	s_cbranch_execz .LBB704_8
; %bb.7:
	global_load_u8 v4, v[2:3], off
	s_waitcnt vmcnt(0)
	v_and_b32_e32 v4, 1, v4
	s_delay_alu instid0(VALU_DEP_1) | instskip(NEXT) | instid1(VALU_DEP_1)
	v_cmp_eq_u32_e64 s0, 1, v4
	v_cndmask_b32_e64 v4, v9, 0xff800000, s0
.LBB704_8:
	s_or_b32 exec_lo, exec_lo, s1
	s_mov_b32 s4, 0
	s_mov_b32 s1, 0
	s_and_saveexec_b32 s3, s10
	s_cbranch_execz .LBB704_10
; %bb.9:
	s_and_b32 s0, s12, exec_lo
	s_cselect_b32 s0, 0, s6
	s_cselect_b32 s1, 0, 0
	v_add_co_u32 v10, s0, v2, s0
	s_delay_alu instid0(VALU_DEP_1) | instskip(SKIP_3) | instid1(VALU_DEP_1)
	v_add_co_ci_u32_e64 v11, s0, s1, v3, s0
	global_load_u8 v5, v[10:11], off
	s_waitcnt vmcnt(0)
	v_and_b32_e32 v5, 1, v5
	v_cmp_eq_u32_e64 s0, 1, v5
	s_delay_alu instid0(VALU_DEP_1) | instskip(NEXT) | instid1(SALU_CYCLE_1)
	s_xor_b32 s0, s0, -1
	s_and_b32 s1, s0, exec_lo
.LBB704_10:
	s_or_b32 exec_lo, exec_lo, s3
	v_mbcnt_lo_u32_b32 v5, -1, 0
	s_mov_b32 s5, s4
	v_cndmask_b32_e64 v4, v4, v4, s1
	s_waitcnt vmcnt(0)
	v_cndmask_b32_e64 v12, 0xff800000, v7, s1
	v_and_b32_e32 v8, 16, v5
	v_xor_b32_e32 v10, 8, v5
	v_xor_b32_e32 v11, 4, v5
	s_delay_alu instid0(VALU_DEP_3) | instskip(NEXT) | instid1(VALU_DEP_1)
	v_add_nc_u32_e32 v8, 16, v8
	v_cmp_lt_i32_e64 s0, v10, v8
	s_delay_alu instid0(VALU_DEP_1) | instskip(NEXT) | instid1(VALU_DEP_4)
	v_cndmask_b32_e64 v10, v5, v10, s0
	v_cmp_lt_i32_e64 s0, v11, v8
	s_delay_alu instid0(VALU_DEP_2) | instskip(NEXT) | instid1(VALU_DEP_2)
	v_lshlrev_b32_e32 v10, 2, v10
	v_cndmask_b32_e64 v11, v5, v11, s0
	ds_bpermute_b32 v13, v10, v4
	ds_bpermute_b32 v14, v10, v12
	v_lshlrev_b32_e32 v11, 2, v11
	s_waitcnt lgkmcnt(1)
	v_cmp_lt_f32_e64 s0, v4, v13
	s_delay_alu instid0(VALU_DEP_1) | instskip(SKIP_2) | instid1(VALU_DEP_1)
	v_cndmask_b32_e64 v4, v4, v13, s0
	s_waitcnt lgkmcnt(0)
	v_cmp_lt_f32_e64 s0, v12, v14
	v_cndmask_b32_e64 v13, v12, v14, s0
	ds_bpermute_b32 v14, v11, v4
	v_xor_b32_e32 v12, 2, v5
	ds_bpermute_b32 v15, v11, v13
	v_cmp_lt_i32_e64 s0, v12, v8
	s_delay_alu instid0(VALU_DEP_1) | instskip(NEXT) | instid1(VALU_DEP_1)
	v_cndmask_b32_e64 v12, v5, v12, s0
	v_lshlrev_b32_e32 v12, 2, v12
	s_waitcnt lgkmcnt(1)
	v_cmp_lt_f32_e64 s0, v4, v14
	s_delay_alu instid0(VALU_DEP_1) | instskip(SKIP_2) | instid1(VALU_DEP_1)
	v_cndmask_b32_e64 v4, v4, v14, s0
	s_waitcnt lgkmcnt(0)
	v_cmp_lt_f32_e64 s0, v13, v15
	v_cndmask_b32_e64 v14, v13, v15, s0
	ds_bpermute_b32 v15, v12, v4
	v_xor_b32_e32 v13, 1, v5
	ds_bpermute_b32 v16, v12, v14
	v_cmp_lt_i32_e64 s0, v13, v8
	v_mov_b32_e32 v8, 0
	s_delay_alu instid0(VALU_DEP_2) | instskip(NEXT) | instid1(VALU_DEP_1)
	v_cndmask_b32_e64 v5, v5, v13, s0
	v_lshlrev_b32_e32 v13, 2, v5
	s_waitcnt lgkmcnt(1)
	v_cmp_lt_f32_e64 s0, v4, v15
	s_delay_alu instid0(VALU_DEP_1)
	v_cndmask_b32_e64 v17, v4, v15, s0
	v_mov_b32_e32 v4, s4
	s_waitcnt lgkmcnt(0)
	v_cmp_lt_f32_e64 s0, v14, v16
	v_mov_b32_e32 v5, s5
	ds_bpermute_b32 v18, v13, v17
	v_cndmask_b32_e64 v15, v14, v16, s0
	v_mov_b32_e32 v14, 0
	ds_bpermute_b32 v16, v13, v15
	s_and_saveexec_b32 s1, s11
	s_cbranch_execz .LBB704_14
; %bb.11:
	global_load_u8 v4, v[2:3], off
	s_mov_b32 s5, s4
	v_mov_b32_e32 v14, 0
	s_waitcnt vmcnt(0)
	v_and_b32_e32 v4, 1, v4
	s_delay_alu instid0(VALU_DEP_1) | instskip(SKIP_1) | instid1(VALU_DEP_2)
	v_cmp_eq_u32_e64 s0, 1, v4
	v_dual_mov_b32 v4, s4 :: v_dual_mov_b32 v5, s5
	s_xor_b32 s0, s0, -1
	s_delay_alu instid0(SALU_CYCLE_1)
	s_and_saveexec_b32 s3, s0
	s_cbranch_execz .LBB704_13
; %bb.12:
	s_waitcnt lgkmcnt(1)
	v_cmp_lt_f32_e64 s0, v17, v18
	s_delay_alu instid0(VALU_DEP_1) | instskip(NEXT) | instid1(VALU_DEP_1)
	v_cndmask_b32_e64 v4, v17, v18, s0
	v_sub_f32_e32 v4, v9, v4
	s_delay_alu instid0(VALU_DEP_1) | instskip(SKIP_1) | instid1(VALU_DEP_2)
	v_mul_f32_e32 v5, 0x3fb8aa3b, v4
	v_cmp_ngt_f32_e64 s0, 0xc2ce8ed0, v4
	v_fma_f32 v9, 0x3fb8aa3b, v4, -v5
	v_rndne_f32_e32 v14, v5
	s_delay_alu instid0(VALU_DEP_2) | instskip(NEXT) | instid1(VALU_DEP_2)
	v_fmamk_f32 v9, v4, 0x32a5705f, v9
	v_sub_f32_e32 v5, v5, v14
	s_delay_alu instid0(VALU_DEP_1) | instskip(SKIP_1) | instid1(VALU_DEP_2)
	v_add_f32_e32 v5, v5, v9
	v_cvt_i32_f32_e32 v9, v14
	v_exp_f32_e32 v5, v5
	s_waitcnt_depctr 0xfff
	v_ldexp_f32 v5, v5, v9
	s_delay_alu instid0(VALU_DEP_1) | instskip(SKIP_1) | instid1(VALU_DEP_1)
	v_cndmask_b32_e64 v5, 0, v5, s0
	v_cmp_nlt_f32_e64 s0, 0x42b17218, v4
	v_cndmask_b32_e64 v4, 0x7f800000, v5, s0
	s_delay_alu instid0(VALU_DEP_1)
	v_dual_mov_b32 v5, 0 :: v_dual_mov_b32 v14, v4
.LBB704_13:
	s_or_b32 exec_lo, exec_lo, s3
.LBB704_14:
	s_delay_alu instid0(SALU_CYCLE_1)
	s_or_b32 exec_lo, exec_lo, s1
	s_and_saveexec_b32 s1, s10
	s_cbranch_execz .LBB704_18
; %bb.15:
	s_and_b32 s0, s12, exec_lo
	s_cselect_b32 s0, 0, s6
	s_cselect_b32 s3, 0, 0
	v_add_co_u32 v2, s0, v2, s0
	s_delay_alu instid0(VALU_DEP_1) | instskip(SKIP_4) | instid1(VALU_DEP_1)
	v_add_co_ci_u32_e64 v3, s0, s3, v3, s0
	v_mov_b32_e32 v8, 0
	global_load_u8 v2, v[2:3], off
	s_waitcnt vmcnt(0)
	v_and_b32_e32 v2, 1, v2
	v_cmp_eq_u32_e64 s0, 1, v2
	s_delay_alu instid0(VALU_DEP_1) | instskip(NEXT) | instid1(SALU_CYCLE_1)
	s_xor_b32 s0, s0, -1
	s_and_saveexec_b32 s3, s0
	s_cbranch_execz .LBB704_17
; %bb.16:
	s_waitcnt lgkmcnt(0)
	v_cmp_lt_f32_e64 s0, v15, v16
	s_delay_alu instid0(VALU_DEP_1) | instskip(NEXT) | instid1(VALU_DEP_1)
	v_cndmask_b32_e64 v2, v15, v16, s0
	v_sub_f32_e32 v2, v7, v2
	s_delay_alu instid0(VALU_DEP_1) | instskip(SKIP_1) | instid1(VALU_DEP_2)
	v_mul_f32_e32 v3, 0x3fb8aa3b, v2
	v_cmp_ngt_f32_e64 s0, 0xc2ce8ed0, v2
	v_fma_f32 v7, 0x3fb8aa3b, v2, -v3
	v_rndne_f32_e32 v8, v3
	s_delay_alu instid0(VALU_DEP_2) | instskip(NEXT) | instid1(VALU_DEP_2)
	v_fmamk_f32 v7, v2, 0x32a5705f, v7
	v_sub_f32_e32 v3, v3, v8
	s_delay_alu instid0(VALU_DEP_1) | instskip(SKIP_1) | instid1(VALU_DEP_2)
	v_add_f32_e32 v3, v3, v7
	v_cvt_i32_f32_e32 v7, v8
	v_exp_f32_e32 v3, v3
	s_waitcnt_depctr 0xfff
	v_ldexp_f32 v3, v3, v7
	s_delay_alu instid0(VALU_DEP_1) | instskip(SKIP_1) | instid1(VALU_DEP_1)
	v_cndmask_b32_e64 v3, 0, v3, s0
	v_cmp_nlt_f32_e64 s0, 0x42b17218, v2
	v_cndmask_b32_e64 v8, 0x7f800000, v3, s0
	s_delay_alu instid0(VALU_DEP_1)
	v_add_f32_e32 v5, v5, v8
.LBB704_17:
	s_or_b32 exec_lo, exec_lo, s3
.LBB704_18:
	s_delay_alu instid0(SALU_CYCLE_1)
	s_or_b32 exec_lo, exec_lo, s1
	ds_bpermute_b32 v2, v10, v4
	ds_bpermute_b32 v3, v10, v5
	s_waitcnt lgkmcnt(0)
	v_dual_add_f32 v2, v4, v2 :: v_dual_add_f32 v3, v5, v3
	ds_bpermute_b32 v4, v11, v2
	ds_bpermute_b32 v5, v11, v3
	s_waitcnt lgkmcnt(0)
	v_dual_add_f32 v2, v2, v4 :: v_dual_add_f32 v3, v3, v5
	ds_bpermute_b32 v4, v12, v2
	ds_bpermute_b32 v5, v12, v3
	s_waitcnt lgkmcnt(1)
	v_add_f32_e32 v4, v2, v4
	s_waitcnt lgkmcnt(0)
	v_add_f32_e32 v2, v3, v5
	ds_bpermute_b32 v5, v13, v4
	ds_bpermute_b32 v3, v13, v2
	s_and_saveexec_b32 s0, vcc_lo
	s_cbranch_execz .LBB704_24
; %bb.19:
	v_add_co_u32 v0, vcc_lo, s8, v0
	v_add_co_ci_u32_e32 v1, vcc_lo, s9, v1, vcc_lo
	s_and_saveexec_b32 s0, s2
	s_cbranch_execz .LBB704_21
; %bb.20:
	s_waitcnt lgkmcnt(1)
	v_add_f32_e32 v4, v4, v5
	s_delay_alu instid0(VALU_DEP_1) | instskip(NEXT) | instid1(VALU_DEP_1)
	v_div_scale_f32 v5, null, v4, v4, v14
	v_rcp_f32_e32 v7, v5
	s_waitcnt_depctr 0xfff
	v_fma_f32 v9, -v5, v7, 1.0
	s_delay_alu instid0(VALU_DEP_1) | instskip(SKIP_1) | instid1(VALU_DEP_1)
	v_fmac_f32_e32 v7, v9, v7
	v_div_scale_f32 v9, vcc_lo, v14, v4, v14
	v_mul_f32_e32 v10, v9, v7
	s_delay_alu instid0(VALU_DEP_1) | instskip(NEXT) | instid1(VALU_DEP_1)
	v_fma_f32 v11, -v5, v10, v9
	v_fmac_f32_e32 v10, v11, v7
	s_delay_alu instid0(VALU_DEP_1) | instskip(NEXT) | instid1(VALU_DEP_1)
	v_fma_f32 v5, -v5, v10, v9
	v_div_fmas_f32 v5, v5, v7, v10
	v_cmp_neq_f32_e32 vcc_lo, 0, v4
	s_delay_alu instid0(VALU_DEP_2) | instskip(NEXT) | instid1(VALU_DEP_1)
	v_div_fixup_f32 v5, v5, v4, v14
	v_cndmask_b32_e32 v4, 0x7fc00000, v5, vcc_lo
	global_store_b32 v[0:1], v4, off
.LBB704_21:
	s_or_b32 exec_lo, exec_lo, s0
	v_cmp_ne_u32_e32 vcc_lo, 1, v6
	s_and_b32 exec_lo, exec_lo, vcc_lo
	s_cbranch_execz .LBB704_24
; %bb.22:
	s_and_b32 exec_lo, exec_lo, s2
	s_cbranch_execz .LBB704_24
; %bb.23:
	s_waitcnt lgkmcnt(0)
	v_add_f32_e32 v2, v2, v3
	s_mov_b32 s7, 0
	s_delay_alu instid0(SALU_CYCLE_1) | instskip(NEXT) | instid1(VALU_DEP_1)
	s_lshl_b64 s[0:1], s[6:7], 2
	v_div_scale_f32 v3, null, v2, v2, v8
	v_div_scale_f32 v6, vcc_lo, v8, v2, v8
	s_delay_alu instid0(VALU_DEP_2) | instskip(SKIP_2) | instid1(VALU_DEP_1)
	v_rcp_f32_e32 v4, v3
	s_waitcnt_depctr 0xfff
	v_fma_f32 v5, -v3, v4, 1.0
	v_fmac_f32_e32 v4, v5, v4
	s_delay_alu instid0(VALU_DEP_1) | instskip(NEXT) | instid1(VALU_DEP_1)
	v_mul_f32_e32 v5, v6, v4
	v_fma_f32 v7, -v3, v5, v6
	s_delay_alu instid0(VALU_DEP_1) | instskip(NEXT) | instid1(VALU_DEP_1)
	v_fmac_f32_e32 v5, v7, v4
	v_fma_f32 v3, -v3, v5, v6
	s_delay_alu instid0(VALU_DEP_1) | instskip(SKIP_2) | instid1(VALU_DEP_3)
	v_div_fmas_f32 v3, v3, v4, v5
	v_add_co_u32 v0, vcc_lo, v0, s0
	v_add_co_ci_u32_e32 v1, vcc_lo, s1, v1, vcc_lo
	v_div_fixup_f32 v3, v3, v2, v8
	v_cmp_neq_f32_e32 vcc_lo, 0, v2
	s_delay_alu instid0(VALU_DEP_2)
	v_cndmask_b32_e32 v2, 0x7fc00000, v3, vcc_lo
	global_store_b32 v[0:1], v2, off
.LBB704_24:
	s_nop 0
	s_sendmsg sendmsg(MSG_DEALLOC_VGPRS)
	s_endpgm
	.section	.rodata,"a",@progbits
	.p2align	6, 0x0
	.amdhsa_kernel _ZN12_GLOBAL__N_120softmax_warp_forwardIfffLi4ELb0ELb1ELi64EEEvPT0_PKT_iiiPKbib
		.amdhsa_group_segment_fixed_size 0
		.amdhsa_private_segment_fixed_size 0
		.amdhsa_kernarg_size 304
		.amdhsa_user_sgpr_count 15
		.amdhsa_user_sgpr_dispatch_ptr 0
		.amdhsa_user_sgpr_queue_ptr 0
		.amdhsa_user_sgpr_kernarg_segment_ptr 1
		.amdhsa_user_sgpr_dispatch_id 0
		.amdhsa_user_sgpr_private_segment_size 0
		.amdhsa_wavefront_size32 1
		.amdhsa_uses_dynamic_stack 0
		.amdhsa_enable_private_segment 0
		.amdhsa_system_sgpr_workgroup_id_x 1
		.amdhsa_system_sgpr_workgroup_id_y 0
		.amdhsa_system_sgpr_workgroup_id_z 0
		.amdhsa_system_sgpr_workgroup_info 0
		.amdhsa_system_vgpr_workitem_id 1
		.amdhsa_next_free_vgpr 19
		.amdhsa_next_free_sgpr 16
		.amdhsa_reserve_vcc 1
		.amdhsa_float_round_mode_32 0
		.amdhsa_float_round_mode_16_64 0
		.amdhsa_float_denorm_mode_32 3
		.amdhsa_float_denorm_mode_16_64 3
		.amdhsa_dx10_clamp 1
		.amdhsa_ieee_mode 1
		.amdhsa_fp16_overflow 0
		.amdhsa_workgroup_processor_mode 1
		.amdhsa_memory_ordered 1
		.amdhsa_forward_progress 0
		.amdhsa_shared_vgpr_count 0
		.amdhsa_exception_fp_ieee_invalid_op 0
		.amdhsa_exception_fp_denorm_src 0
		.amdhsa_exception_fp_ieee_div_zero 0
		.amdhsa_exception_fp_ieee_overflow 0
		.amdhsa_exception_fp_ieee_underflow 0
		.amdhsa_exception_fp_ieee_inexact 0
		.amdhsa_exception_int_div_zero 0
	.end_amdhsa_kernel
	.section	.text._ZN12_GLOBAL__N_120softmax_warp_forwardIfffLi4ELb0ELb1ELi64EEEvPT0_PKT_iiiPKbib,"axG",@progbits,_ZN12_GLOBAL__N_120softmax_warp_forwardIfffLi4ELb0ELb1ELi64EEEvPT0_PKT_iiiPKbib,comdat
.Lfunc_end704:
	.size	_ZN12_GLOBAL__N_120softmax_warp_forwardIfffLi4ELb0ELb1ELi64EEEvPT0_PKT_iiiPKbib, .Lfunc_end704-_ZN12_GLOBAL__N_120softmax_warp_forwardIfffLi4ELb0ELb1ELi64EEEvPT0_PKT_iiiPKbib
                                        ; -- End function
	.section	.AMDGPU.csdata,"",@progbits
; Kernel info:
; codeLenInByte = 1948
; NumSgprs: 18
; NumVgprs: 19
; ScratchSize: 0
; MemoryBound: 0
; FloatMode: 240
; IeeeMode: 1
; LDSByteSize: 0 bytes/workgroup (compile time only)
; SGPRBlocks: 2
; VGPRBlocks: 2
; NumSGPRsForWavesPerEU: 18
; NumVGPRsForWavesPerEU: 19
; Occupancy: 16
; WaveLimiterHint : 0
; COMPUTE_PGM_RSRC2:SCRATCH_EN: 0
; COMPUTE_PGM_RSRC2:USER_SGPR: 15
; COMPUTE_PGM_RSRC2:TRAP_HANDLER: 0
; COMPUTE_PGM_RSRC2:TGID_X_EN: 1
; COMPUTE_PGM_RSRC2:TGID_Y_EN: 0
; COMPUTE_PGM_RSRC2:TGID_Z_EN: 0
; COMPUTE_PGM_RSRC2:TIDIG_COMP_CNT: 1
	.section	.text._ZN12_GLOBAL__N_120softmax_warp_forwardIfffLi4ELb0ELb1ELi32EEEvPT0_PKT_iiiPKbib,"axG",@progbits,_ZN12_GLOBAL__N_120softmax_warp_forwardIfffLi4ELb0ELb1ELi32EEEvPT0_PKT_iiiPKbib,comdat
	.globl	_ZN12_GLOBAL__N_120softmax_warp_forwardIfffLi4ELb0ELb1ELi32EEEvPT0_PKT_iiiPKbib ; -- Begin function _ZN12_GLOBAL__N_120softmax_warp_forwardIfffLi4ELb0ELb1ELi32EEEvPT0_PKT_iiiPKbib
	.p2align	8
	.type	_ZN12_GLOBAL__N_120softmax_warp_forwardIfffLi4ELb0ELb1ELi32EEEvPT0_PKT_iiiPKbib,@function
_ZN12_GLOBAL__N_120softmax_warp_forwardIfffLi4ELb0ELb1ELi32EEEvPT0_PKT_iiiPKbib: ; @_ZN12_GLOBAL__N_120softmax_warp_forwardIfffLi4ELb0ELb1ELi32EEEvPT0_PKT_iiiPKbib
; %bb.0:
	s_clause 0x2
	s_load_b64 s[2:3], s[0:1], 0x28
	s_load_b32 s8, s[0:1], 0x3c
	s_load_b128 s[4:7], s[0:1], 0x10
	v_bfe_u32 v1, v0, 10, 10
	v_and_b32_e32 v4, 0x3ff, v0
	s_waitcnt lgkmcnt(0)
	s_bitcmp1_b32 s3, 0
	s_cselect_b32 s12, -1, 0
	s_lshr_b32 s7, s8, 16
	s_bitcmp0_b32 s3, 0
	s_mul_i32 s15, s15, s7
	s_delay_alu instid0(SALU_CYCLE_1) | instskip(NEXT) | instid1(VALU_DEP_1)
	v_add_lshl_u32 v5, s15, v1, 1
	v_mul_lo_u32 v6, v5, s5
	s_delay_alu instid0(VALU_DEP_1) | instskip(NEXT) | instid1(VALU_DEP_1)
	v_add_nc_u32_e32 v0, v6, v4
	v_ashrrev_i32_e32 v1, 31, v0
	s_delay_alu instid0(VALU_DEP_1)
	v_dual_mov_b32 v3, v1 :: v_dual_mov_b32 v2, v0
	s_cbranch_scc1 .LBB705_2
; %bb.1:
	s_abs_i32 s3, s2
	v_sub_nc_u32_e32 v7, 0, v6
	v_cvt_f32_u32_e32 v2, s3
	s_sub_i32 s7, 0, s3
	s_delay_alu instid0(VALU_DEP_2) | instskip(NEXT) | instid1(VALU_DEP_2)
	v_max_i32_e32 v7, v6, v7
	v_rcp_iflag_f32_e32 v2, v2
	v_xor_b32_e32 v6, s2, v6
	s_delay_alu instid0(VALU_DEP_1) | instskip(SKIP_2) | instid1(VALU_DEP_1)
	v_ashrrev_i32_e32 v6, 31, v6
	s_waitcnt_depctr 0xfff
	v_mul_f32_e32 v2, 0x4f7ffffe, v2
	v_cvt_u32_f32_e32 v2, v2
	s_delay_alu instid0(VALU_DEP_1) | instskip(NEXT) | instid1(VALU_DEP_1)
	v_mul_lo_u32 v3, s7, v2
	v_mul_hi_u32 v3, v2, v3
	s_delay_alu instid0(VALU_DEP_1) | instskip(NEXT) | instid1(VALU_DEP_1)
	v_add_nc_u32_e32 v2, v2, v3
	v_mul_hi_u32 v2, v7, v2
	s_delay_alu instid0(VALU_DEP_1) | instskip(NEXT) | instid1(VALU_DEP_1)
	v_mul_lo_u32 v3, v2, s3
	v_sub_nc_u32_e32 v3, v7, v3
	v_add_nc_u32_e32 v7, 1, v2
	s_delay_alu instid0(VALU_DEP_2) | instskip(SKIP_1) | instid1(VALU_DEP_2)
	v_subrev_nc_u32_e32 v8, s3, v3
	v_cmp_le_u32_e32 vcc_lo, s3, v3
	v_dual_cndmask_b32 v3, v3, v8 :: v_dual_cndmask_b32 v2, v2, v7
	s_delay_alu instid0(VALU_DEP_1) | instskip(NEXT) | instid1(VALU_DEP_2)
	v_cmp_le_u32_e32 vcc_lo, s3, v3
	v_add_nc_u32_e32 v7, 1, v2
	s_delay_alu instid0(VALU_DEP_1) | instskip(NEXT) | instid1(VALU_DEP_1)
	v_cndmask_b32_e32 v2, v2, v7, vcc_lo
	v_xor_b32_e32 v2, v2, v6
	s_delay_alu instid0(VALU_DEP_1) | instskip(NEXT) | instid1(VALU_DEP_1)
	v_sub_nc_u32_e32 v6, v2, v6
	v_mad_u64_u32 v[2:3], null, v6, s5, v[4:5]
	s_delay_alu instid0(VALU_DEP_1)
	v_ashrrev_i32_e32 v3, 31, v2
.LBB705_2:
	s_load_b128 s[8:11], s[0:1], 0x0
	v_lshlrev_b64 v[0:1], 2, v[0:1]
	v_sub_nc_u32_e32 v6, s4, v5
	v_cmp_gt_i32_e64 s2, s6, v4
	v_mov_b32_e32 v7, 0xff800000
	v_mov_b32_e32 v9, 0xff800000
	s_delay_alu instid0(VALU_DEP_4) | instskip(SKIP_2) | instid1(VALU_DEP_1)
	v_cmp_lt_i32_e32 vcc_lo, 0, v6
	s_waitcnt lgkmcnt(0)
	v_add_co_u32 v4, s3, s10, v0
	v_add_co_ci_u32_e64 v5, s3, s11, v1, s3
	s_and_b32 s11, s2, vcc_lo
	s_delay_alu instid0(SALU_CYCLE_1)
	s_and_saveexec_b32 s3, s11
	s_cbranch_execz .LBB705_4
; %bb.3:
	global_load_b32 v9, v[4:5], off
.LBB705_4:
	s_or_b32 exec_lo, exec_lo, s3
	v_cmp_lt_i32_e64 s3, 1, v6
	s_delay_alu instid0(VALU_DEP_1) | instskip(NEXT) | instid1(SALU_CYCLE_1)
	s_and_b32 s10, s2, s3
	s_and_saveexec_b32 s4, s10
	s_cbranch_execz .LBB705_6
; %bb.5:
	s_mov_b32 s7, 0
	s_delay_alu instid0(SALU_CYCLE_1) | instskip(NEXT) | instid1(SALU_CYCLE_1)
	s_lshl_b64 s[14:15], s[6:7], 2
	v_add_co_u32 v4, s3, v4, s14
	s_delay_alu instid0(VALU_DEP_1)
	v_add_co_ci_u32_e64 v5, s3, s15, v5, s3
	global_load_b32 v7, v[4:5], off
.LBB705_6:
	s_or_b32 exec_lo, exec_lo, s4
	s_load_b64 s[0:1], s[0:1], 0x20
	v_mov_b32_e32 v4, 0xff800000
	s_waitcnt lgkmcnt(0)
	v_add_co_u32 v2, s0, s0, v2
	s_delay_alu instid0(VALU_DEP_1)
	v_add_co_ci_u32_e64 v3, s0, s1, v3, s0
	s_and_saveexec_b32 s1, s11
	s_cbranch_execz .LBB705_8
; %bb.7:
	global_load_u8 v4, v[2:3], off
	s_waitcnt vmcnt(0)
	v_and_b32_e32 v4, 1, v4
	s_delay_alu instid0(VALU_DEP_1) | instskip(NEXT) | instid1(VALU_DEP_1)
	v_cmp_eq_u32_e64 s0, 1, v4
	v_cndmask_b32_e64 v4, v9, 0xff800000, s0
.LBB705_8:
	s_or_b32 exec_lo, exec_lo, s1
	s_mov_b32 s4, 0
	s_mov_b32 s1, 0
	s_and_saveexec_b32 s3, s10
	s_cbranch_execz .LBB705_10
; %bb.9:
	s_and_b32 s0, s12, exec_lo
	s_cselect_b32 s0, 0, s6
	s_cselect_b32 s1, 0, 0
	v_add_co_u32 v10, s0, v2, s0
	s_delay_alu instid0(VALU_DEP_1) | instskip(SKIP_3) | instid1(VALU_DEP_1)
	v_add_co_ci_u32_e64 v11, s0, s1, v3, s0
	global_load_u8 v5, v[10:11], off
	s_waitcnt vmcnt(0)
	v_and_b32_e32 v5, 1, v5
	v_cmp_eq_u32_e64 s0, 1, v5
	s_delay_alu instid0(VALU_DEP_1) | instskip(NEXT) | instid1(SALU_CYCLE_1)
	s_xor_b32 s0, s0, -1
	s_and_b32 s1, s0, exec_lo
.LBB705_10:
	s_or_b32 exec_lo, exec_lo, s3
	v_mbcnt_lo_u32_b32 v5, -1, 0
	s_mov_b32 s5, s4
	v_cndmask_b32_e64 v4, v4, v4, s1
	s_waitcnt vmcnt(0)
	v_cndmask_b32_e64 v12, 0xff800000, v7, s1
	v_and_b32_e32 v8, 16, v5
	v_xor_b32_e32 v10, 8, v5
	v_xor_b32_e32 v11, 4, v5
	s_delay_alu instid0(VALU_DEP_3) | instskip(NEXT) | instid1(VALU_DEP_1)
	v_add_nc_u32_e32 v8, 16, v8
	v_cmp_lt_i32_e64 s0, v10, v8
	s_delay_alu instid0(VALU_DEP_1) | instskip(NEXT) | instid1(VALU_DEP_4)
	v_cndmask_b32_e64 v10, v5, v10, s0
	v_cmp_lt_i32_e64 s0, v11, v8
	s_delay_alu instid0(VALU_DEP_2) | instskip(NEXT) | instid1(VALU_DEP_2)
	v_lshlrev_b32_e32 v10, 2, v10
	v_cndmask_b32_e64 v11, v5, v11, s0
	ds_bpermute_b32 v13, v10, v4
	ds_bpermute_b32 v14, v10, v12
	v_lshlrev_b32_e32 v11, 2, v11
	s_waitcnt lgkmcnt(1)
	v_cmp_lt_f32_e64 s0, v4, v13
	s_delay_alu instid0(VALU_DEP_1) | instskip(SKIP_2) | instid1(VALU_DEP_1)
	v_cndmask_b32_e64 v4, v4, v13, s0
	s_waitcnt lgkmcnt(0)
	v_cmp_lt_f32_e64 s0, v12, v14
	v_cndmask_b32_e64 v13, v12, v14, s0
	ds_bpermute_b32 v14, v11, v4
	v_xor_b32_e32 v12, 2, v5
	ds_bpermute_b32 v15, v11, v13
	v_cmp_lt_i32_e64 s0, v12, v8
	s_delay_alu instid0(VALU_DEP_1) | instskip(NEXT) | instid1(VALU_DEP_1)
	v_cndmask_b32_e64 v12, v5, v12, s0
	v_lshlrev_b32_e32 v12, 2, v12
	s_waitcnt lgkmcnt(1)
	v_cmp_lt_f32_e64 s0, v4, v14
	s_delay_alu instid0(VALU_DEP_1) | instskip(SKIP_2) | instid1(VALU_DEP_1)
	v_cndmask_b32_e64 v4, v4, v14, s0
	s_waitcnt lgkmcnt(0)
	v_cmp_lt_f32_e64 s0, v13, v15
	v_cndmask_b32_e64 v14, v13, v15, s0
	ds_bpermute_b32 v15, v12, v4
	v_xor_b32_e32 v13, 1, v5
	ds_bpermute_b32 v16, v12, v14
	v_cmp_lt_i32_e64 s0, v13, v8
	v_mov_b32_e32 v8, 0
	s_delay_alu instid0(VALU_DEP_2) | instskip(NEXT) | instid1(VALU_DEP_1)
	v_cndmask_b32_e64 v5, v5, v13, s0
	v_lshlrev_b32_e32 v13, 2, v5
	s_waitcnt lgkmcnt(1)
	v_cmp_lt_f32_e64 s0, v4, v15
	s_delay_alu instid0(VALU_DEP_1)
	v_cndmask_b32_e64 v17, v4, v15, s0
	v_mov_b32_e32 v4, s4
	s_waitcnt lgkmcnt(0)
	v_cmp_lt_f32_e64 s0, v14, v16
	v_mov_b32_e32 v5, s5
	ds_bpermute_b32 v18, v13, v17
	v_cndmask_b32_e64 v15, v14, v16, s0
	v_mov_b32_e32 v14, 0
	ds_bpermute_b32 v16, v13, v15
	s_and_saveexec_b32 s1, s11
	s_cbranch_execz .LBB705_14
; %bb.11:
	global_load_u8 v4, v[2:3], off
	s_mov_b32 s5, s4
	v_mov_b32_e32 v14, 0
	s_waitcnt vmcnt(0)
	v_and_b32_e32 v4, 1, v4
	s_delay_alu instid0(VALU_DEP_1) | instskip(SKIP_1) | instid1(VALU_DEP_2)
	v_cmp_eq_u32_e64 s0, 1, v4
	v_dual_mov_b32 v4, s4 :: v_dual_mov_b32 v5, s5
	s_xor_b32 s0, s0, -1
	s_delay_alu instid0(SALU_CYCLE_1)
	s_and_saveexec_b32 s3, s0
	s_cbranch_execz .LBB705_13
; %bb.12:
	s_waitcnt lgkmcnt(1)
	v_cmp_lt_f32_e64 s0, v17, v18
	s_delay_alu instid0(VALU_DEP_1) | instskip(NEXT) | instid1(VALU_DEP_1)
	v_cndmask_b32_e64 v4, v17, v18, s0
	v_sub_f32_e32 v4, v9, v4
	s_delay_alu instid0(VALU_DEP_1) | instskip(SKIP_1) | instid1(VALU_DEP_2)
	v_mul_f32_e32 v5, 0x3fb8aa3b, v4
	v_cmp_ngt_f32_e64 s0, 0xc2ce8ed0, v4
	v_fma_f32 v9, 0x3fb8aa3b, v4, -v5
	v_rndne_f32_e32 v14, v5
	s_delay_alu instid0(VALU_DEP_2) | instskip(NEXT) | instid1(VALU_DEP_2)
	v_fmamk_f32 v9, v4, 0x32a5705f, v9
	v_sub_f32_e32 v5, v5, v14
	s_delay_alu instid0(VALU_DEP_1) | instskip(SKIP_1) | instid1(VALU_DEP_2)
	v_add_f32_e32 v5, v5, v9
	v_cvt_i32_f32_e32 v9, v14
	v_exp_f32_e32 v5, v5
	s_waitcnt_depctr 0xfff
	v_ldexp_f32 v5, v5, v9
	s_delay_alu instid0(VALU_DEP_1) | instskip(SKIP_1) | instid1(VALU_DEP_1)
	v_cndmask_b32_e64 v5, 0, v5, s0
	v_cmp_nlt_f32_e64 s0, 0x42b17218, v4
	v_cndmask_b32_e64 v4, 0x7f800000, v5, s0
	s_delay_alu instid0(VALU_DEP_1)
	v_dual_mov_b32 v5, 0 :: v_dual_mov_b32 v14, v4
.LBB705_13:
	s_or_b32 exec_lo, exec_lo, s3
.LBB705_14:
	s_delay_alu instid0(SALU_CYCLE_1)
	s_or_b32 exec_lo, exec_lo, s1
	s_and_saveexec_b32 s1, s10
	s_cbranch_execz .LBB705_18
; %bb.15:
	s_and_b32 s0, s12, exec_lo
	s_cselect_b32 s0, 0, s6
	s_cselect_b32 s3, 0, 0
	v_add_co_u32 v2, s0, v2, s0
	s_delay_alu instid0(VALU_DEP_1) | instskip(SKIP_4) | instid1(VALU_DEP_1)
	v_add_co_ci_u32_e64 v3, s0, s3, v3, s0
	v_mov_b32_e32 v8, 0
	global_load_u8 v2, v[2:3], off
	s_waitcnt vmcnt(0)
	v_and_b32_e32 v2, 1, v2
	v_cmp_eq_u32_e64 s0, 1, v2
	s_delay_alu instid0(VALU_DEP_1) | instskip(NEXT) | instid1(SALU_CYCLE_1)
	s_xor_b32 s0, s0, -1
	s_and_saveexec_b32 s3, s0
	s_cbranch_execz .LBB705_17
; %bb.16:
	s_waitcnt lgkmcnt(0)
	v_cmp_lt_f32_e64 s0, v15, v16
	s_delay_alu instid0(VALU_DEP_1) | instskip(NEXT) | instid1(VALU_DEP_1)
	v_cndmask_b32_e64 v2, v15, v16, s0
	v_sub_f32_e32 v2, v7, v2
	s_delay_alu instid0(VALU_DEP_1) | instskip(SKIP_1) | instid1(VALU_DEP_2)
	v_mul_f32_e32 v3, 0x3fb8aa3b, v2
	v_cmp_ngt_f32_e64 s0, 0xc2ce8ed0, v2
	v_fma_f32 v7, 0x3fb8aa3b, v2, -v3
	v_rndne_f32_e32 v8, v3
	s_delay_alu instid0(VALU_DEP_2) | instskip(NEXT) | instid1(VALU_DEP_2)
	v_fmamk_f32 v7, v2, 0x32a5705f, v7
	v_sub_f32_e32 v3, v3, v8
	s_delay_alu instid0(VALU_DEP_1) | instskip(SKIP_1) | instid1(VALU_DEP_2)
	v_add_f32_e32 v3, v3, v7
	v_cvt_i32_f32_e32 v7, v8
	v_exp_f32_e32 v3, v3
	s_waitcnt_depctr 0xfff
	v_ldexp_f32 v3, v3, v7
	s_delay_alu instid0(VALU_DEP_1) | instskip(SKIP_1) | instid1(VALU_DEP_1)
	v_cndmask_b32_e64 v3, 0, v3, s0
	v_cmp_nlt_f32_e64 s0, 0x42b17218, v2
	v_cndmask_b32_e64 v8, 0x7f800000, v3, s0
	s_delay_alu instid0(VALU_DEP_1)
	v_add_f32_e32 v5, v5, v8
.LBB705_17:
	s_or_b32 exec_lo, exec_lo, s3
.LBB705_18:
	s_delay_alu instid0(SALU_CYCLE_1)
	s_or_b32 exec_lo, exec_lo, s1
	ds_bpermute_b32 v2, v10, v4
	ds_bpermute_b32 v3, v10, v5
	s_waitcnt lgkmcnt(0)
	v_dual_add_f32 v2, v4, v2 :: v_dual_add_f32 v3, v5, v3
	ds_bpermute_b32 v4, v11, v2
	ds_bpermute_b32 v5, v11, v3
	s_waitcnt lgkmcnt(0)
	v_dual_add_f32 v2, v2, v4 :: v_dual_add_f32 v3, v3, v5
	ds_bpermute_b32 v4, v12, v2
	ds_bpermute_b32 v5, v12, v3
	s_waitcnt lgkmcnt(1)
	v_add_f32_e32 v4, v2, v4
	s_waitcnt lgkmcnt(0)
	v_add_f32_e32 v2, v3, v5
	ds_bpermute_b32 v5, v13, v4
	ds_bpermute_b32 v3, v13, v2
	s_and_saveexec_b32 s0, vcc_lo
	s_cbranch_execz .LBB705_24
; %bb.19:
	v_add_co_u32 v0, vcc_lo, s8, v0
	v_add_co_ci_u32_e32 v1, vcc_lo, s9, v1, vcc_lo
	s_and_saveexec_b32 s0, s2
	s_cbranch_execz .LBB705_21
; %bb.20:
	s_waitcnt lgkmcnt(1)
	v_add_f32_e32 v4, v4, v5
	s_delay_alu instid0(VALU_DEP_1) | instskip(NEXT) | instid1(VALU_DEP_1)
	v_div_scale_f32 v5, null, v4, v4, v14
	v_rcp_f32_e32 v7, v5
	s_waitcnt_depctr 0xfff
	v_fma_f32 v9, -v5, v7, 1.0
	s_delay_alu instid0(VALU_DEP_1) | instskip(SKIP_1) | instid1(VALU_DEP_1)
	v_fmac_f32_e32 v7, v9, v7
	v_div_scale_f32 v9, vcc_lo, v14, v4, v14
	v_mul_f32_e32 v10, v9, v7
	s_delay_alu instid0(VALU_DEP_1) | instskip(NEXT) | instid1(VALU_DEP_1)
	v_fma_f32 v11, -v5, v10, v9
	v_fmac_f32_e32 v10, v11, v7
	s_delay_alu instid0(VALU_DEP_1) | instskip(NEXT) | instid1(VALU_DEP_1)
	v_fma_f32 v5, -v5, v10, v9
	v_div_fmas_f32 v5, v5, v7, v10
	v_cmp_neq_f32_e32 vcc_lo, 0, v4
	s_delay_alu instid0(VALU_DEP_2) | instskip(NEXT) | instid1(VALU_DEP_1)
	v_div_fixup_f32 v5, v5, v4, v14
	v_cndmask_b32_e32 v4, 0x7fc00000, v5, vcc_lo
	global_store_b32 v[0:1], v4, off
.LBB705_21:
	s_or_b32 exec_lo, exec_lo, s0
	v_cmp_ne_u32_e32 vcc_lo, 1, v6
	s_and_b32 exec_lo, exec_lo, vcc_lo
	s_cbranch_execz .LBB705_24
; %bb.22:
	s_and_b32 exec_lo, exec_lo, s2
	s_cbranch_execz .LBB705_24
; %bb.23:
	s_waitcnt lgkmcnt(0)
	v_add_f32_e32 v2, v2, v3
	s_mov_b32 s7, 0
	s_delay_alu instid0(SALU_CYCLE_1) | instskip(NEXT) | instid1(VALU_DEP_1)
	s_lshl_b64 s[0:1], s[6:7], 2
	v_div_scale_f32 v3, null, v2, v2, v8
	v_div_scale_f32 v6, vcc_lo, v8, v2, v8
	s_delay_alu instid0(VALU_DEP_2) | instskip(SKIP_2) | instid1(VALU_DEP_1)
	v_rcp_f32_e32 v4, v3
	s_waitcnt_depctr 0xfff
	v_fma_f32 v5, -v3, v4, 1.0
	v_fmac_f32_e32 v4, v5, v4
	s_delay_alu instid0(VALU_DEP_1) | instskip(NEXT) | instid1(VALU_DEP_1)
	v_mul_f32_e32 v5, v6, v4
	v_fma_f32 v7, -v3, v5, v6
	s_delay_alu instid0(VALU_DEP_1) | instskip(NEXT) | instid1(VALU_DEP_1)
	v_fmac_f32_e32 v5, v7, v4
	v_fma_f32 v3, -v3, v5, v6
	s_delay_alu instid0(VALU_DEP_1) | instskip(SKIP_2) | instid1(VALU_DEP_3)
	v_div_fmas_f32 v3, v3, v4, v5
	v_add_co_u32 v0, vcc_lo, v0, s0
	v_add_co_ci_u32_e32 v1, vcc_lo, s1, v1, vcc_lo
	v_div_fixup_f32 v3, v3, v2, v8
	v_cmp_neq_f32_e32 vcc_lo, 0, v2
	s_delay_alu instid0(VALU_DEP_2)
	v_cndmask_b32_e32 v2, 0x7fc00000, v3, vcc_lo
	global_store_b32 v[0:1], v2, off
.LBB705_24:
	s_nop 0
	s_sendmsg sendmsg(MSG_DEALLOC_VGPRS)
	s_endpgm
	.section	.rodata,"a",@progbits
	.p2align	6, 0x0
	.amdhsa_kernel _ZN12_GLOBAL__N_120softmax_warp_forwardIfffLi4ELb0ELb1ELi32EEEvPT0_PKT_iiiPKbib
		.amdhsa_group_segment_fixed_size 0
		.amdhsa_private_segment_fixed_size 0
		.amdhsa_kernarg_size 304
		.amdhsa_user_sgpr_count 15
		.amdhsa_user_sgpr_dispatch_ptr 0
		.amdhsa_user_sgpr_queue_ptr 0
		.amdhsa_user_sgpr_kernarg_segment_ptr 1
		.amdhsa_user_sgpr_dispatch_id 0
		.amdhsa_user_sgpr_private_segment_size 0
		.amdhsa_wavefront_size32 1
		.amdhsa_uses_dynamic_stack 0
		.amdhsa_enable_private_segment 0
		.amdhsa_system_sgpr_workgroup_id_x 1
		.amdhsa_system_sgpr_workgroup_id_y 0
		.amdhsa_system_sgpr_workgroup_id_z 0
		.amdhsa_system_sgpr_workgroup_info 0
		.amdhsa_system_vgpr_workitem_id 1
		.amdhsa_next_free_vgpr 19
		.amdhsa_next_free_sgpr 16
		.amdhsa_reserve_vcc 1
		.amdhsa_float_round_mode_32 0
		.amdhsa_float_round_mode_16_64 0
		.amdhsa_float_denorm_mode_32 3
		.amdhsa_float_denorm_mode_16_64 3
		.amdhsa_dx10_clamp 1
		.amdhsa_ieee_mode 1
		.amdhsa_fp16_overflow 0
		.amdhsa_workgroup_processor_mode 1
		.amdhsa_memory_ordered 1
		.amdhsa_forward_progress 0
		.amdhsa_shared_vgpr_count 0
		.amdhsa_exception_fp_ieee_invalid_op 0
		.amdhsa_exception_fp_denorm_src 0
		.amdhsa_exception_fp_ieee_div_zero 0
		.amdhsa_exception_fp_ieee_overflow 0
		.amdhsa_exception_fp_ieee_underflow 0
		.amdhsa_exception_fp_ieee_inexact 0
		.amdhsa_exception_int_div_zero 0
	.end_amdhsa_kernel
	.section	.text._ZN12_GLOBAL__N_120softmax_warp_forwardIfffLi4ELb0ELb1ELi32EEEvPT0_PKT_iiiPKbib,"axG",@progbits,_ZN12_GLOBAL__N_120softmax_warp_forwardIfffLi4ELb0ELb1ELi32EEEvPT0_PKT_iiiPKbib,comdat
.Lfunc_end705:
	.size	_ZN12_GLOBAL__N_120softmax_warp_forwardIfffLi4ELb0ELb1ELi32EEEvPT0_PKT_iiiPKbib, .Lfunc_end705-_ZN12_GLOBAL__N_120softmax_warp_forwardIfffLi4ELb0ELb1ELi32EEEvPT0_PKT_iiiPKbib
                                        ; -- End function
	.section	.AMDGPU.csdata,"",@progbits
; Kernel info:
; codeLenInByte = 1948
; NumSgprs: 18
; NumVgprs: 19
; ScratchSize: 0
; MemoryBound: 0
; FloatMode: 240
; IeeeMode: 1
; LDSByteSize: 0 bytes/workgroup (compile time only)
; SGPRBlocks: 2
; VGPRBlocks: 2
; NumSGPRsForWavesPerEU: 18
; NumVGPRsForWavesPerEU: 19
; Occupancy: 16
; WaveLimiterHint : 0
; COMPUTE_PGM_RSRC2:SCRATCH_EN: 0
; COMPUTE_PGM_RSRC2:USER_SGPR: 15
; COMPUTE_PGM_RSRC2:TRAP_HANDLER: 0
; COMPUTE_PGM_RSRC2:TGID_X_EN: 1
; COMPUTE_PGM_RSRC2:TGID_Y_EN: 0
; COMPUTE_PGM_RSRC2:TGID_Z_EN: 0
; COMPUTE_PGM_RSRC2:TIDIG_COMP_CNT: 1
	.section	.text._ZN12_GLOBAL__N_120softmax_warp_forwardIfffLi5ELb0ELb1ELi64EEEvPT0_PKT_iiiPKbib,"axG",@progbits,_ZN12_GLOBAL__N_120softmax_warp_forwardIfffLi5ELb0ELb1ELi64EEEvPT0_PKT_iiiPKbib,comdat
	.globl	_ZN12_GLOBAL__N_120softmax_warp_forwardIfffLi5ELb0ELb1ELi64EEEvPT0_PKT_iiiPKbib ; -- Begin function _ZN12_GLOBAL__N_120softmax_warp_forwardIfffLi5ELb0ELb1ELi64EEEvPT0_PKT_iiiPKbib
	.p2align	8
	.type	_ZN12_GLOBAL__N_120softmax_warp_forwardIfffLi5ELb0ELb1ELi64EEEvPT0_PKT_iiiPKbib,@function
_ZN12_GLOBAL__N_120softmax_warp_forwardIfffLi5ELb0ELb1ELi64EEEvPT0_PKT_iiiPKbib: ; @_ZN12_GLOBAL__N_120softmax_warp_forwardIfffLi5ELb0ELb1ELi64EEEvPT0_PKT_iiiPKbib
; %bb.0:
	s_clause 0x2
	s_load_b64 s[2:3], s[0:1], 0x28
	s_load_b32 s8, s[0:1], 0x3c
	s_load_b128 s[4:7], s[0:1], 0x10
	v_bfe_u32 v1, v0, 10, 10
	v_and_b32_e32 v4, 0x3ff, v0
	s_waitcnt lgkmcnt(0)
	s_bitcmp1_b32 s3, 0
	s_cselect_b32 s12, -1, 0
	s_lshr_b32 s7, s8, 16
	s_bitcmp0_b32 s3, 0
	s_mul_i32 s15, s15, s7
	s_delay_alu instid0(SALU_CYCLE_1) | instskip(NEXT) | instid1(VALU_DEP_1)
	v_add_lshl_u32 v5, s15, v1, 1
	v_mul_lo_u32 v6, v5, s5
	s_delay_alu instid0(VALU_DEP_1) | instskip(NEXT) | instid1(VALU_DEP_1)
	v_add_nc_u32_e32 v0, v6, v4
	v_ashrrev_i32_e32 v1, 31, v0
	s_delay_alu instid0(VALU_DEP_1)
	v_dual_mov_b32 v3, v1 :: v_dual_mov_b32 v2, v0
	s_cbranch_scc1 .LBB706_2
; %bb.1:
	s_abs_i32 s3, s2
	v_sub_nc_u32_e32 v7, 0, v6
	v_cvt_f32_u32_e32 v2, s3
	s_sub_i32 s7, 0, s3
	s_delay_alu instid0(VALU_DEP_2) | instskip(NEXT) | instid1(VALU_DEP_2)
	v_max_i32_e32 v7, v6, v7
	v_rcp_iflag_f32_e32 v2, v2
	v_xor_b32_e32 v6, s2, v6
	s_delay_alu instid0(VALU_DEP_1) | instskip(SKIP_2) | instid1(VALU_DEP_1)
	v_ashrrev_i32_e32 v6, 31, v6
	s_waitcnt_depctr 0xfff
	v_mul_f32_e32 v2, 0x4f7ffffe, v2
	v_cvt_u32_f32_e32 v2, v2
	s_delay_alu instid0(VALU_DEP_1) | instskip(NEXT) | instid1(VALU_DEP_1)
	v_mul_lo_u32 v3, s7, v2
	v_mul_hi_u32 v3, v2, v3
	s_delay_alu instid0(VALU_DEP_1) | instskip(NEXT) | instid1(VALU_DEP_1)
	v_add_nc_u32_e32 v2, v2, v3
	v_mul_hi_u32 v2, v7, v2
	s_delay_alu instid0(VALU_DEP_1) | instskip(NEXT) | instid1(VALU_DEP_1)
	v_mul_lo_u32 v3, v2, s3
	v_sub_nc_u32_e32 v3, v7, v3
	v_add_nc_u32_e32 v7, 1, v2
	s_delay_alu instid0(VALU_DEP_2) | instskip(SKIP_1) | instid1(VALU_DEP_2)
	v_subrev_nc_u32_e32 v8, s3, v3
	v_cmp_le_u32_e32 vcc_lo, s3, v3
	v_dual_cndmask_b32 v3, v3, v8 :: v_dual_cndmask_b32 v2, v2, v7
	s_delay_alu instid0(VALU_DEP_1) | instskip(NEXT) | instid1(VALU_DEP_2)
	v_cmp_le_u32_e32 vcc_lo, s3, v3
	v_add_nc_u32_e32 v7, 1, v2
	s_delay_alu instid0(VALU_DEP_1) | instskip(NEXT) | instid1(VALU_DEP_1)
	v_cndmask_b32_e32 v2, v2, v7, vcc_lo
	v_xor_b32_e32 v2, v2, v6
	s_delay_alu instid0(VALU_DEP_1) | instskip(NEXT) | instid1(VALU_DEP_1)
	v_sub_nc_u32_e32 v6, v2, v6
	v_mad_u64_u32 v[2:3], null, v6, s5, v[4:5]
	s_delay_alu instid0(VALU_DEP_1)
	v_ashrrev_i32_e32 v3, 31, v2
.LBB706_2:
	s_load_b128 s[8:11], s[0:1], 0x0
	v_lshlrev_b64 v[0:1], 2, v[0:1]
	v_sub_nc_u32_e32 v6, s4, v5
	v_cmp_gt_i32_e64 s2, s6, v4
	v_dual_mov_b32 v7, 0xff800000 :: v_dual_mov_b32 v8, 0xff800000
	s_delay_alu instid0(VALU_DEP_3) | instskip(SKIP_2) | instid1(VALU_DEP_1)
	v_cmp_lt_i32_e32 vcc_lo, 0, v6
	s_waitcnt lgkmcnt(0)
	v_add_co_u32 v4, s3, s10, v0
	v_add_co_ci_u32_e64 v5, s3, s11, v1, s3
	s_and_b32 s11, s2, vcc_lo
	s_delay_alu instid0(SALU_CYCLE_1)
	s_and_saveexec_b32 s3, s11
	s_cbranch_execz .LBB706_4
; %bb.3:
	global_load_b32 v8, v[4:5], off
.LBB706_4:
	s_or_b32 exec_lo, exec_lo, s3
	v_cmp_lt_i32_e64 s3, 1, v6
	s_delay_alu instid0(VALU_DEP_1) | instskip(NEXT) | instid1(SALU_CYCLE_1)
	s_and_b32 s10, s2, s3
	s_and_saveexec_b32 s4, s10
	s_cbranch_execz .LBB706_6
; %bb.5:
	s_mov_b32 s7, 0
	s_delay_alu instid0(SALU_CYCLE_1) | instskip(NEXT) | instid1(SALU_CYCLE_1)
	s_lshl_b64 s[14:15], s[6:7], 2
	v_add_co_u32 v4, s3, v4, s14
	s_delay_alu instid0(VALU_DEP_1)
	v_add_co_ci_u32_e64 v5, s3, s15, v5, s3
	global_load_b32 v7, v[4:5], off
.LBB706_6:
	s_or_b32 exec_lo, exec_lo, s4
	s_load_b64 s[0:1], s[0:1], 0x20
	v_mov_b32_e32 v4, 0xff800000
	s_waitcnt lgkmcnt(0)
	v_add_co_u32 v2, s0, s0, v2
	s_delay_alu instid0(VALU_DEP_1)
	v_add_co_ci_u32_e64 v3, s0, s1, v3, s0
	s_and_saveexec_b32 s1, s11
	s_cbranch_execz .LBB706_8
; %bb.7:
	global_load_u8 v4, v[2:3], off
	s_waitcnt vmcnt(0)
	v_and_b32_e32 v4, 1, v4
	s_delay_alu instid0(VALU_DEP_1) | instskip(NEXT) | instid1(VALU_DEP_1)
	v_cmp_eq_u32_e64 s0, 1, v4
	v_cndmask_b32_e64 v4, v8, 0xff800000, s0
.LBB706_8:
	s_or_b32 exec_lo, exec_lo, s1
	s_mov_b32 s4, 0
	s_mov_b32 s1, 0
	s_and_saveexec_b32 s3, s10
	s_cbranch_execz .LBB706_10
; %bb.9:
	s_and_b32 s0, s12, exec_lo
	s_cselect_b32 s0, 0, s6
	s_cselect_b32 s1, 0, 0
	v_add_co_u32 v9, s0, v2, s0
	s_delay_alu instid0(VALU_DEP_1) | instskip(SKIP_3) | instid1(VALU_DEP_1)
	v_add_co_ci_u32_e64 v10, s0, s1, v3, s0
	global_load_u8 v5, v[9:10], off
	s_waitcnt vmcnt(0)
	v_and_b32_e32 v5, 1, v5
	v_cmp_eq_u32_e64 s0, 1, v5
	s_delay_alu instid0(VALU_DEP_1) | instskip(NEXT) | instid1(SALU_CYCLE_1)
	s_xor_b32 s0, s0, -1
	s_and_b32 s1, s0, exec_lo
.LBB706_10:
	s_or_b32 exec_lo, exec_lo, s3
	v_mbcnt_lo_u32_b32 v5, -1, 0
	v_cndmask_b32_e64 v4, v4, v4, s1
	s_waitcnt vmcnt(0)
	v_cndmask_b32_e64 v10, 0xff800000, v7, s1
	s_mov_b32 s5, s4
	v_xor_b32_e32 v9, 16, v5
	v_xor_b32_e32 v11, 8, v5
	s_delay_alu instid0(VALU_DEP_2) | instskip(NEXT) | instid1(VALU_DEP_1)
	v_cmp_gt_i32_e64 s0, 32, v9
	v_cndmask_b32_e64 v9, v5, v9, s0
	s_delay_alu instid0(VALU_DEP_3) | instskip(NEXT) | instid1(VALU_DEP_2)
	v_cmp_gt_i32_e64 s0, 32, v11
	v_lshlrev_b32_e32 v9, 2, v9
	s_delay_alu instid0(VALU_DEP_2)
	v_cndmask_b32_e64 v11, v5, v11, s0
	ds_bpermute_b32 v12, v9, v4
	ds_bpermute_b32 v13, v9, v10
	v_lshlrev_b32_e32 v11, 2, v11
	s_waitcnt lgkmcnt(1)
	v_cmp_lt_f32_e64 s0, v4, v12
	s_delay_alu instid0(VALU_DEP_1) | instskip(SKIP_3) | instid1(VALU_DEP_2)
	v_cndmask_b32_e64 v4, v4, v12, s0
	s_waitcnt lgkmcnt(0)
	v_cmp_lt_f32_e64 s0, v10, v13
	v_xor_b32_e32 v12, 4, v5
	v_cndmask_b32_e64 v10, v10, v13, s0
	ds_bpermute_b32 v13, v11, v4
	v_cmp_gt_i32_e64 s0, 32, v12
	ds_bpermute_b32 v14, v11, v10
	v_cndmask_b32_e64 v12, v5, v12, s0
	s_delay_alu instid0(VALU_DEP_1) | instskip(SKIP_2) | instid1(VALU_DEP_1)
	v_lshlrev_b32_e32 v12, 2, v12
	s_waitcnt lgkmcnt(1)
	v_cmp_lt_f32_e64 s0, v4, v13
	v_cndmask_b32_e64 v4, v4, v13, s0
	s_waitcnt lgkmcnt(0)
	v_cmp_lt_f32_e64 s0, v10, v14
	v_xor_b32_e32 v13, 2, v5
	s_delay_alu instid0(VALU_DEP_2) | instskip(SKIP_4) | instid1(VALU_DEP_1)
	v_cndmask_b32_e64 v10, v10, v14, s0
	ds_bpermute_b32 v14, v12, v4
	v_cmp_gt_i32_e64 s0, 32, v13
	ds_bpermute_b32 v15, v12, v10
	v_cndmask_b32_e64 v13, v5, v13, s0
	v_lshlrev_b32_e32 v13, 2, v13
	s_waitcnt lgkmcnt(1)
	v_cmp_lt_f32_e64 s0, v4, v14
	s_delay_alu instid0(VALU_DEP_1) | instskip(SKIP_3) | instid1(VALU_DEP_2)
	v_cndmask_b32_e64 v4, v4, v14, s0
	s_waitcnt lgkmcnt(0)
	v_cmp_lt_f32_e64 s0, v10, v15
	v_xor_b32_e32 v14, 1, v5
	v_cndmask_b32_e64 v10, v10, v15, s0
	ds_bpermute_b32 v15, v13, v4
	v_cmp_gt_i32_e64 s0, 32, v14
	ds_bpermute_b32 v16, v13, v10
	v_cndmask_b32_e64 v5, v5, v14, s0
	s_delay_alu instid0(VALU_DEP_1) | instskip(SKIP_2) | instid1(VALU_DEP_1)
	v_lshlrev_b32_e32 v14, 2, v5
	s_waitcnt lgkmcnt(1)
	v_cmp_lt_f32_e64 s0, v4, v15
	v_cndmask_b32_e64 v18, v4, v15, s0
	v_mov_b32_e32 v15, 0
	s_waitcnt lgkmcnt(0)
	v_cmp_lt_f32_e64 s0, v10, v16
	v_dual_mov_b32 v4, s4 :: v_dual_mov_b32 v5, s5
	ds_bpermute_b32 v19, v14, v18
	v_cndmask_b32_e64 v16, v10, v16, s0
	v_mov_b32_e32 v10, 0
	ds_bpermute_b32 v17, v14, v16
	s_and_saveexec_b32 s1, s11
	s_cbranch_execz .LBB706_14
; %bb.11:
	global_load_u8 v4, v[2:3], off
	s_mov_b32 s5, s4
	s_waitcnt vmcnt(0)
	v_dual_mov_b32 v15, 0 :: v_dual_and_b32 v4, 1, v4
	s_delay_alu instid0(VALU_DEP_1) | instskip(SKIP_1) | instid1(VALU_DEP_2)
	v_cmp_eq_u32_e64 s0, 1, v4
	v_dual_mov_b32 v4, s4 :: v_dual_mov_b32 v5, s5
	s_xor_b32 s0, s0, -1
	s_delay_alu instid0(SALU_CYCLE_1)
	s_and_saveexec_b32 s3, s0
	s_cbranch_execz .LBB706_13
; %bb.12:
	s_waitcnt lgkmcnt(1)
	v_cmp_lt_f32_e64 s0, v18, v19
	s_delay_alu instid0(VALU_DEP_1) | instskip(NEXT) | instid1(VALU_DEP_1)
	v_cndmask_b32_e64 v4, v18, v19, s0
	v_sub_f32_e32 v4, v8, v4
	s_delay_alu instid0(VALU_DEP_1) | instskip(NEXT) | instid1(VALU_DEP_1)
	v_mul_f32_e32 v5, 0x3fb8aa3b, v4
	v_fma_f32 v8, 0x3fb8aa3b, v4, -v5
	v_rndne_f32_e32 v15, v5
	s_delay_alu instid0(VALU_DEP_1) | instskip(SKIP_1) | instid1(VALU_DEP_2)
	v_dual_sub_f32 v5, v5, v15 :: v_dual_fmamk_f32 v8, v4, 0x32a5705f, v8
	v_cmp_ngt_f32_e64 s0, 0xc2ce8ed0, v4
	v_add_f32_e32 v5, v5, v8
	v_cvt_i32_f32_e32 v8, v15
	s_delay_alu instid0(VALU_DEP_2) | instskip(SKIP_2) | instid1(VALU_DEP_1)
	v_exp_f32_e32 v5, v5
	s_waitcnt_depctr 0xfff
	v_ldexp_f32 v5, v5, v8
	v_cndmask_b32_e64 v5, 0, v5, s0
	v_cmp_nlt_f32_e64 s0, 0x42b17218, v4
	s_delay_alu instid0(VALU_DEP_1) | instskip(SKIP_1) | instid1(VALU_DEP_2)
	v_cndmask_b32_e64 v4, 0x7f800000, v5, s0
	v_mov_b32_e32 v5, 0
	v_mov_b32_e32 v15, v4
.LBB706_13:
	s_or_b32 exec_lo, exec_lo, s3
.LBB706_14:
	s_delay_alu instid0(SALU_CYCLE_1)
	s_or_b32 exec_lo, exec_lo, s1
	s_and_saveexec_b32 s1, s10
	s_cbranch_execz .LBB706_18
; %bb.15:
	s_and_b32 s0, s12, exec_lo
	s_cselect_b32 s0, 0, s6
	s_cselect_b32 s3, 0, 0
	v_add_co_u32 v2, s0, v2, s0
	s_delay_alu instid0(VALU_DEP_1) | instskip(SKIP_4) | instid1(VALU_DEP_1)
	v_add_co_ci_u32_e64 v3, s0, s3, v3, s0
	v_mov_b32_e32 v10, 0
	global_load_u8 v2, v[2:3], off
	s_waitcnt vmcnt(0)
	v_and_b32_e32 v2, 1, v2
	v_cmp_eq_u32_e64 s0, 1, v2
	s_delay_alu instid0(VALU_DEP_1) | instskip(NEXT) | instid1(SALU_CYCLE_1)
	s_xor_b32 s0, s0, -1
	s_and_saveexec_b32 s3, s0
	s_cbranch_execz .LBB706_17
; %bb.16:
	s_waitcnt lgkmcnt(0)
	v_cmp_lt_f32_e64 s0, v16, v17
	s_delay_alu instid0(VALU_DEP_1) | instskip(NEXT) | instid1(VALU_DEP_1)
	v_cndmask_b32_e64 v2, v16, v17, s0
	v_sub_f32_e32 v2, v7, v2
	s_delay_alu instid0(VALU_DEP_1) | instskip(SKIP_1) | instid1(VALU_DEP_2)
	v_mul_f32_e32 v3, 0x3fb8aa3b, v2
	v_cmp_ngt_f32_e64 s0, 0xc2ce8ed0, v2
	v_fma_f32 v7, 0x3fb8aa3b, v2, -v3
	v_rndne_f32_e32 v8, v3
	s_delay_alu instid0(VALU_DEP_2) | instskip(NEXT) | instid1(VALU_DEP_2)
	v_fmamk_f32 v7, v2, 0x32a5705f, v7
	v_sub_f32_e32 v3, v3, v8
	s_delay_alu instid0(VALU_DEP_1) | instskip(SKIP_1) | instid1(VALU_DEP_2)
	v_add_f32_e32 v3, v3, v7
	v_cvt_i32_f32_e32 v7, v8
	v_exp_f32_e32 v3, v3
	s_waitcnt_depctr 0xfff
	v_ldexp_f32 v3, v3, v7
	s_delay_alu instid0(VALU_DEP_1) | instskip(SKIP_1) | instid1(VALU_DEP_1)
	v_cndmask_b32_e64 v3, 0, v3, s0
	v_cmp_nlt_f32_e64 s0, 0x42b17218, v2
	v_cndmask_b32_e64 v10, 0x7f800000, v3, s0
	s_delay_alu instid0(VALU_DEP_1)
	v_add_f32_e32 v5, v5, v10
.LBB706_17:
	s_or_b32 exec_lo, exec_lo, s3
.LBB706_18:
	s_delay_alu instid0(SALU_CYCLE_1)
	s_or_b32 exec_lo, exec_lo, s1
	ds_bpermute_b32 v2, v9, v4
	ds_bpermute_b32 v3, v9, v5
	s_waitcnt lgkmcnt(0)
	v_dual_add_f32 v2, v4, v2 :: v_dual_add_f32 v3, v5, v3
	ds_bpermute_b32 v4, v11, v2
	ds_bpermute_b32 v5, v11, v3
	s_waitcnt lgkmcnt(0)
	v_dual_add_f32 v2, v2, v4 :: v_dual_add_f32 v3, v3, v5
	;; [unrolled: 4-line block ×3, first 2 shown]
	ds_bpermute_b32 v4, v13, v2
	ds_bpermute_b32 v5, v13, v3
	s_waitcnt lgkmcnt(1)
	v_add_f32_e32 v4, v2, v4
	s_waitcnt lgkmcnt(0)
	v_add_f32_e32 v2, v3, v5
	ds_bpermute_b32 v5, v14, v4
	ds_bpermute_b32 v3, v14, v2
	s_and_saveexec_b32 s0, vcc_lo
	s_cbranch_execz .LBB706_24
; %bb.19:
	v_add_co_u32 v0, vcc_lo, s8, v0
	v_add_co_ci_u32_e32 v1, vcc_lo, s9, v1, vcc_lo
	s_and_saveexec_b32 s0, s2
	s_cbranch_execz .LBB706_21
; %bb.20:
	s_waitcnt lgkmcnt(1)
	v_add_f32_e32 v4, v4, v5
	s_delay_alu instid0(VALU_DEP_1) | instskip(NEXT) | instid1(VALU_DEP_1)
	v_div_scale_f32 v5, null, v4, v4, v15
	v_rcp_f32_e32 v7, v5
	s_waitcnt_depctr 0xfff
	v_fma_f32 v8, -v5, v7, 1.0
	s_delay_alu instid0(VALU_DEP_1) | instskip(SKIP_1) | instid1(VALU_DEP_1)
	v_fmac_f32_e32 v7, v8, v7
	v_div_scale_f32 v8, vcc_lo, v15, v4, v15
	v_mul_f32_e32 v9, v8, v7
	s_delay_alu instid0(VALU_DEP_1) | instskip(NEXT) | instid1(VALU_DEP_1)
	v_fma_f32 v11, -v5, v9, v8
	v_fmac_f32_e32 v9, v11, v7
	s_delay_alu instid0(VALU_DEP_1) | instskip(NEXT) | instid1(VALU_DEP_1)
	v_fma_f32 v5, -v5, v9, v8
	v_div_fmas_f32 v5, v5, v7, v9
	v_cmp_neq_f32_e32 vcc_lo, 0, v4
	s_delay_alu instid0(VALU_DEP_2) | instskip(NEXT) | instid1(VALU_DEP_1)
	v_div_fixup_f32 v5, v5, v4, v15
	v_cndmask_b32_e32 v4, 0x7fc00000, v5, vcc_lo
	global_store_b32 v[0:1], v4, off
.LBB706_21:
	s_or_b32 exec_lo, exec_lo, s0
	v_cmp_ne_u32_e32 vcc_lo, 1, v6
	s_and_b32 exec_lo, exec_lo, vcc_lo
	s_cbranch_execz .LBB706_24
; %bb.22:
	s_and_b32 exec_lo, exec_lo, s2
	s_cbranch_execz .LBB706_24
; %bb.23:
	s_waitcnt lgkmcnt(0)
	v_add_f32_e32 v2, v2, v3
	s_mov_b32 s7, 0
	s_delay_alu instid0(SALU_CYCLE_1) | instskip(NEXT) | instid1(VALU_DEP_1)
	s_lshl_b64 s[0:1], s[6:7], 2
	v_div_scale_f32 v3, null, v2, v2, v10
	v_div_scale_f32 v6, vcc_lo, v10, v2, v10
	s_delay_alu instid0(VALU_DEP_2) | instskip(SKIP_2) | instid1(VALU_DEP_1)
	v_rcp_f32_e32 v4, v3
	s_waitcnt_depctr 0xfff
	v_fma_f32 v5, -v3, v4, 1.0
	v_fmac_f32_e32 v4, v5, v4
	s_delay_alu instid0(VALU_DEP_1) | instskip(NEXT) | instid1(VALU_DEP_1)
	v_mul_f32_e32 v5, v6, v4
	v_fma_f32 v7, -v3, v5, v6
	s_delay_alu instid0(VALU_DEP_1) | instskip(NEXT) | instid1(VALU_DEP_1)
	v_fmac_f32_e32 v5, v7, v4
	v_fma_f32 v3, -v3, v5, v6
	s_delay_alu instid0(VALU_DEP_1) | instskip(SKIP_2) | instid1(VALU_DEP_3)
	v_div_fmas_f32 v3, v3, v4, v5
	v_add_co_u32 v0, vcc_lo, v0, s0
	v_add_co_ci_u32_e32 v1, vcc_lo, s1, v1, vcc_lo
	v_div_fixup_f32 v3, v3, v2, v10
	v_cmp_neq_f32_e32 vcc_lo, 0, v2
	s_delay_alu instid0(VALU_DEP_2)
	v_cndmask_b32_e32 v2, 0x7fc00000, v3, vcc_lo
	global_store_b32 v[0:1], v2, off
.LBB706_24:
	s_nop 0
	s_sendmsg sendmsg(MSG_DEALLOC_VGPRS)
	s_endpgm
	.section	.rodata,"a",@progbits
	.p2align	6, 0x0
	.amdhsa_kernel _ZN12_GLOBAL__N_120softmax_warp_forwardIfffLi5ELb0ELb1ELi64EEEvPT0_PKT_iiiPKbib
		.amdhsa_group_segment_fixed_size 0
		.amdhsa_private_segment_fixed_size 0
		.amdhsa_kernarg_size 304
		.amdhsa_user_sgpr_count 15
		.amdhsa_user_sgpr_dispatch_ptr 0
		.amdhsa_user_sgpr_queue_ptr 0
		.amdhsa_user_sgpr_kernarg_segment_ptr 1
		.amdhsa_user_sgpr_dispatch_id 0
		.amdhsa_user_sgpr_private_segment_size 0
		.amdhsa_wavefront_size32 1
		.amdhsa_uses_dynamic_stack 0
		.amdhsa_enable_private_segment 0
		.amdhsa_system_sgpr_workgroup_id_x 1
		.amdhsa_system_sgpr_workgroup_id_y 0
		.amdhsa_system_sgpr_workgroup_id_z 0
		.amdhsa_system_sgpr_workgroup_info 0
		.amdhsa_system_vgpr_workitem_id 1
		.amdhsa_next_free_vgpr 20
		.amdhsa_next_free_sgpr 16
		.amdhsa_reserve_vcc 1
		.amdhsa_float_round_mode_32 0
		.amdhsa_float_round_mode_16_64 0
		.amdhsa_float_denorm_mode_32 3
		.amdhsa_float_denorm_mode_16_64 3
		.amdhsa_dx10_clamp 1
		.amdhsa_ieee_mode 1
		.amdhsa_fp16_overflow 0
		.amdhsa_workgroup_processor_mode 1
		.amdhsa_memory_ordered 1
		.amdhsa_forward_progress 0
		.amdhsa_shared_vgpr_count 0
		.amdhsa_exception_fp_ieee_invalid_op 0
		.amdhsa_exception_fp_denorm_src 0
		.amdhsa_exception_fp_ieee_div_zero 0
		.amdhsa_exception_fp_ieee_overflow 0
		.amdhsa_exception_fp_ieee_underflow 0
		.amdhsa_exception_fp_ieee_inexact 0
		.amdhsa_exception_int_div_zero 0
	.end_amdhsa_kernel
	.section	.text._ZN12_GLOBAL__N_120softmax_warp_forwardIfffLi5ELb0ELb1ELi64EEEvPT0_PKT_iiiPKbib,"axG",@progbits,_ZN12_GLOBAL__N_120softmax_warp_forwardIfffLi5ELb0ELb1ELi64EEEvPT0_PKT_iiiPKbib,comdat
.Lfunc_end706:
	.size	_ZN12_GLOBAL__N_120softmax_warp_forwardIfffLi5ELb0ELb1ELi64EEEvPT0_PKT_iiiPKbib, .Lfunc_end706-_ZN12_GLOBAL__N_120softmax_warp_forwardIfffLi5ELb0ELb1ELi64EEEvPT0_PKT_iiiPKbib
                                        ; -- End function
	.section	.AMDGPU.csdata,"",@progbits
; Kernel info:
; codeLenInByte = 2040
; NumSgprs: 18
; NumVgprs: 20
; ScratchSize: 0
; MemoryBound: 0
; FloatMode: 240
; IeeeMode: 1
; LDSByteSize: 0 bytes/workgroup (compile time only)
; SGPRBlocks: 2
; VGPRBlocks: 2
; NumSGPRsForWavesPerEU: 18
; NumVGPRsForWavesPerEU: 20
; Occupancy: 16
; WaveLimiterHint : 0
; COMPUTE_PGM_RSRC2:SCRATCH_EN: 0
; COMPUTE_PGM_RSRC2:USER_SGPR: 15
; COMPUTE_PGM_RSRC2:TRAP_HANDLER: 0
; COMPUTE_PGM_RSRC2:TGID_X_EN: 1
; COMPUTE_PGM_RSRC2:TGID_Y_EN: 0
; COMPUTE_PGM_RSRC2:TGID_Z_EN: 0
; COMPUTE_PGM_RSRC2:TIDIG_COMP_CNT: 1
	.section	.text._ZN12_GLOBAL__N_120softmax_warp_forwardIfffLi5ELb0ELb1ELi32EEEvPT0_PKT_iiiPKbib,"axG",@progbits,_ZN12_GLOBAL__N_120softmax_warp_forwardIfffLi5ELb0ELb1ELi32EEEvPT0_PKT_iiiPKbib,comdat
	.globl	_ZN12_GLOBAL__N_120softmax_warp_forwardIfffLi5ELb0ELb1ELi32EEEvPT0_PKT_iiiPKbib ; -- Begin function _ZN12_GLOBAL__N_120softmax_warp_forwardIfffLi5ELb0ELb1ELi32EEEvPT0_PKT_iiiPKbib
	.p2align	8
	.type	_ZN12_GLOBAL__N_120softmax_warp_forwardIfffLi5ELb0ELb1ELi32EEEvPT0_PKT_iiiPKbib,@function
_ZN12_GLOBAL__N_120softmax_warp_forwardIfffLi5ELb0ELb1ELi32EEEvPT0_PKT_iiiPKbib: ; @_ZN12_GLOBAL__N_120softmax_warp_forwardIfffLi5ELb0ELb1ELi32EEEvPT0_PKT_iiiPKbib
; %bb.0:
	s_clause 0x2
	s_load_b64 s[2:3], s[0:1], 0x28
	s_load_b32 s8, s[0:1], 0x3c
	s_load_b128 s[4:7], s[0:1], 0x10
	v_bfe_u32 v1, v0, 10, 10
	v_and_b32_e32 v4, 0x3ff, v0
	s_waitcnt lgkmcnt(0)
	s_bitcmp1_b32 s3, 0
	s_cselect_b32 s12, -1, 0
	s_lshr_b32 s7, s8, 16
	s_bitcmp0_b32 s3, 0
	s_mul_i32 s15, s15, s7
	s_delay_alu instid0(SALU_CYCLE_1) | instskip(NEXT) | instid1(VALU_DEP_1)
	v_add_lshl_u32 v5, s15, v1, 1
	v_mul_lo_u32 v6, v5, s5
	s_delay_alu instid0(VALU_DEP_1) | instskip(NEXT) | instid1(VALU_DEP_1)
	v_add_nc_u32_e32 v0, v6, v4
	v_ashrrev_i32_e32 v1, 31, v0
	s_delay_alu instid0(VALU_DEP_1)
	v_dual_mov_b32 v3, v1 :: v_dual_mov_b32 v2, v0
	s_cbranch_scc1 .LBB707_2
; %bb.1:
	s_abs_i32 s3, s2
	v_sub_nc_u32_e32 v7, 0, v6
	v_cvt_f32_u32_e32 v2, s3
	s_sub_i32 s7, 0, s3
	s_delay_alu instid0(VALU_DEP_2) | instskip(NEXT) | instid1(VALU_DEP_2)
	v_max_i32_e32 v7, v6, v7
	v_rcp_iflag_f32_e32 v2, v2
	v_xor_b32_e32 v6, s2, v6
	s_delay_alu instid0(VALU_DEP_1) | instskip(SKIP_2) | instid1(VALU_DEP_1)
	v_ashrrev_i32_e32 v6, 31, v6
	s_waitcnt_depctr 0xfff
	v_mul_f32_e32 v2, 0x4f7ffffe, v2
	v_cvt_u32_f32_e32 v2, v2
	s_delay_alu instid0(VALU_DEP_1) | instskip(NEXT) | instid1(VALU_DEP_1)
	v_mul_lo_u32 v3, s7, v2
	v_mul_hi_u32 v3, v2, v3
	s_delay_alu instid0(VALU_DEP_1) | instskip(NEXT) | instid1(VALU_DEP_1)
	v_add_nc_u32_e32 v2, v2, v3
	v_mul_hi_u32 v2, v7, v2
	s_delay_alu instid0(VALU_DEP_1) | instskip(NEXT) | instid1(VALU_DEP_1)
	v_mul_lo_u32 v3, v2, s3
	v_sub_nc_u32_e32 v3, v7, v3
	v_add_nc_u32_e32 v7, 1, v2
	s_delay_alu instid0(VALU_DEP_2) | instskip(SKIP_1) | instid1(VALU_DEP_2)
	v_subrev_nc_u32_e32 v8, s3, v3
	v_cmp_le_u32_e32 vcc_lo, s3, v3
	v_dual_cndmask_b32 v3, v3, v8 :: v_dual_cndmask_b32 v2, v2, v7
	s_delay_alu instid0(VALU_DEP_1) | instskip(NEXT) | instid1(VALU_DEP_2)
	v_cmp_le_u32_e32 vcc_lo, s3, v3
	v_add_nc_u32_e32 v7, 1, v2
	s_delay_alu instid0(VALU_DEP_1) | instskip(NEXT) | instid1(VALU_DEP_1)
	v_cndmask_b32_e32 v2, v2, v7, vcc_lo
	v_xor_b32_e32 v2, v2, v6
	s_delay_alu instid0(VALU_DEP_1) | instskip(NEXT) | instid1(VALU_DEP_1)
	v_sub_nc_u32_e32 v6, v2, v6
	v_mad_u64_u32 v[2:3], null, v6, s5, v[4:5]
	s_delay_alu instid0(VALU_DEP_1)
	v_ashrrev_i32_e32 v3, 31, v2
.LBB707_2:
	s_load_b128 s[8:11], s[0:1], 0x0
	v_lshlrev_b64 v[0:1], 2, v[0:1]
	v_sub_nc_u32_e32 v6, s4, v5
	v_cmp_gt_i32_e64 s2, s6, v4
	v_dual_mov_b32 v7, 0xff800000 :: v_dual_mov_b32 v8, 0xff800000
	s_delay_alu instid0(VALU_DEP_3) | instskip(SKIP_2) | instid1(VALU_DEP_1)
	v_cmp_lt_i32_e32 vcc_lo, 0, v6
	s_waitcnt lgkmcnt(0)
	v_add_co_u32 v4, s3, s10, v0
	v_add_co_ci_u32_e64 v5, s3, s11, v1, s3
	s_and_b32 s11, s2, vcc_lo
	s_delay_alu instid0(SALU_CYCLE_1)
	s_and_saveexec_b32 s3, s11
	s_cbranch_execz .LBB707_4
; %bb.3:
	global_load_b32 v8, v[4:5], off
.LBB707_4:
	s_or_b32 exec_lo, exec_lo, s3
	v_cmp_lt_i32_e64 s3, 1, v6
	s_delay_alu instid0(VALU_DEP_1) | instskip(NEXT) | instid1(SALU_CYCLE_1)
	s_and_b32 s10, s2, s3
	s_and_saveexec_b32 s4, s10
	s_cbranch_execz .LBB707_6
; %bb.5:
	s_mov_b32 s7, 0
	s_delay_alu instid0(SALU_CYCLE_1) | instskip(NEXT) | instid1(SALU_CYCLE_1)
	s_lshl_b64 s[14:15], s[6:7], 2
	v_add_co_u32 v4, s3, v4, s14
	s_delay_alu instid0(VALU_DEP_1)
	v_add_co_ci_u32_e64 v5, s3, s15, v5, s3
	global_load_b32 v7, v[4:5], off
.LBB707_6:
	s_or_b32 exec_lo, exec_lo, s4
	s_load_b64 s[0:1], s[0:1], 0x20
	v_mov_b32_e32 v4, 0xff800000
	s_waitcnt lgkmcnt(0)
	v_add_co_u32 v2, s0, s0, v2
	s_delay_alu instid0(VALU_DEP_1)
	v_add_co_ci_u32_e64 v3, s0, s1, v3, s0
	s_and_saveexec_b32 s1, s11
	s_cbranch_execz .LBB707_8
; %bb.7:
	global_load_u8 v4, v[2:3], off
	s_waitcnt vmcnt(0)
	v_and_b32_e32 v4, 1, v4
	s_delay_alu instid0(VALU_DEP_1) | instskip(NEXT) | instid1(VALU_DEP_1)
	v_cmp_eq_u32_e64 s0, 1, v4
	v_cndmask_b32_e64 v4, v8, 0xff800000, s0
.LBB707_8:
	s_or_b32 exec_lo, exec_lo, s1
	s_mov_b32 s4, 0
	s_mov_b32 s1, 0
	s_and_saveexec_b32 s3, s10
	s_cbranch_execz .LBB707_10
; %bb.9:
	s_and_b32 s0, s12, exec_lo
	s_cselect_b32 s0, 0, s6
	s_cselect_b32 s1, 0, 0
	v_add_co_u32 v9, s0, v2, s0
	s_delay_alu instid0(VALU_DEP_1) | instskip(SKIP_3) | instid1(VALU_DEP_1)
	v_add_co_ci_u32_e64 v10, s0, s1, v3, s0
	global_load_u8 v5, v[9:10], off
	s_waitcnt vmcnt(0)
	v_and_b32_e32 v5, 1, v5
	v_cmp_eq_u32_e64 s0, 1, v5
	s_delay_alu instid0(VALU_DEP_1) | instskip(NEXT) | instid1(SALU_CYCLE_1)
	s_xor_b32 s0, s0, -1
	s_and_b32 s1, s0, exec_lo
.LBB707_10:
	s_or_b32 exec_lo, exec_lo, s3
	v_mbcnt_lo_u32_b32 v5, -1, 0
	v_cndmask_b32_e64 v4, v4, v4, s1
	s_waitcnt vmcnt(0)
	v_cndmask_b32_e64 v10, 0xff800000, v7, s1
	s_mov_b32 s5, s4
	v_xor_b32_e32 v9, 16, v5
	v_xor_b32_e32 v11, 8, v5
	s_delay_alu instid0(VALU_DEP_2) | instskip(NEXT) | instid1(VALU_DEP_1)
	v_cmp_gt_i32_e64 s0, 32, v9
	v_cndmask_b32_e64 v9, v5, v9, s0
	s_delay_alu instid0(VALU_DEP_3) | instskip(NEXT) | instid1(VALU_DEP_2)
	v_cmp_gt_i32_e64 s0, 32, v11
	v_lshlrev_b32_e32 v9, 2, v9
	s_delay_alu instid0(VALU_DEP_2)
	v_cndmask_b32_e64 v11, v5, v11, s0
	ds_bpermute_b32 v12, v9, v4
	ds_bpermute_b32 v13, v9, v10
	v_lshlrev_b32_e32 v11, 2, v11
	s_waitcnt lgkmcnt(1)
	v_cmp_lt_f32_e64 s0, v4, v12
	s_delay_alu instid0(VALU_DEP_1) | instskip(SKIP_3) | instid1(VALU_DEP_2)
	v_cndmask_b32_e64 v4, v4, v12, s0
	s_waitcnt lgkmcnt(0)
	v_cmp_lt_f32_e64 s0, v10, v13
	v_xor_b32_e32 v12, 4, v5
	v_cndmask_b32_e64 v10, v10, v13, s0
	ds_bpermute_b32 v13, v11, v4
	v_cmp_gt_i32_e64 s0, 32, v12
	ds_bpermute_b32 v14, v11, v10
	v_cndmask_b32_e64 v12, v5, v12, s0
	s_delay_alu instid0(VALU_DEP_1) | instskip(SKIP_2) | instid1(VALU_DEP_1)
	v_lshlrev_b32_e32 v12, 2, v12
	s_waitcnt lgkmcnt(1)
	v_cmp_lt_f32_e64 s0, v4, v13
	v_cndmask_b32_e64 v4, v4, v13, s0
	s_waitcnt lgkmcnt(0)
	v_cmp_lt_f32_e64 s0, v10, v14
	v_xor_b32_e32 v13, 2, v5
	s_delay_alu instid0(VALU_DEP_2) | instskip(SKIP_4) | instid1(VALU_DEP_1)
	v_cndmask_b32_e64 v10, v10, v14, s0
	ds_bpermute_b32 v14, v12, v4
	v_cmp_gt_i32_e64 s0, 32, v13
	ds_bpermute_b32 v15, v12, v10
	v_cndmask_b32_e64 v13, v5, v13, s0
	v_lshlrev_b32_e32 v13, 2, v13
	s_waitcnt lgkmcnt(1)
	v_cmp_lt_f32_e64 s0, v4, v14
	s_delay_alu instid0(VALU_DEP_1) | instskip(SKIP_3) | instid1(VALU_DEP_2)
	v_cndmask_b32_e64 v4, v4, v14, s0
	s_waitcnt lgkmcnt(0)
	v_cmp_lt_f32_e64 s0, v10, v15
	v_xor_b32_e32 v14, 1, v5
	v_cndmask_b32_e64 v10, v10, v15, s0
	ds_bpermute_b32 v15, v13, v4
	v_cmp_gt_i32_e64 s0, 32, v14
	ds_bpermute_b32 v16, v13, v10
	v_cndmask_b32_e64 v5, v5, v14, s0
	s_delay_alu instid0(VALU_DEP_1) | instskip(SKIP_2) | instid1(VALU_DEP_1)
	v_lshlrev_b32_e32 v14, 2, v5
	s_waitcnt lgkmcnt(1)
	v_cmp_lt_f32_e64 s0, v4, v15
	v_cndmask_b32_e64 v18, v4, v15, s0
	v_mov_b32_e32 v15, 0
	s_waitcnt lgkmcnt(0)
	v_cmp_lt_f32_e64 s0, v10, v16
	v_dual_mov_b32 v4, s4 :: v_dual_mov_b32 v5, s5
	ds_bpermute_b32 v19, v14, v18
	v_cndmask_b32_e64 v16, v10, v16, s0
	v_mov_b32_e32 v10, 0
	ds_bpermute_b32 v17, v14, v16
	s_and_saveexec_b32 s1, s11
	s_cbranch_execz .LBB707_14
; %bb.11:
	global_load_u8 v4, v[2:3], off
	s_mov_b32 s5, s4
	s_waitcnt vmcnt(0)
	v_dual_mov_b32 v15, 0 :: v_dual_and_b32 v4, 1, v4
	s_delay_alu instid0(VALU_DEP_1) | instskip(SKIP_1) | instid1(VALU_DEP_2)
	v_cmp_eq_u32_e64 s0, 1, v4
	v_dual_mov_b32 v4, s4 :: v_dual_mov_b32 v5, s5
	s_xor_b32 s0, s0, -1
	s_delay_alu instid0(SALU_CYCLE_1)
	s_and_saveexec_b32 s3, s0
	s_cbranch_execz .LBB707_13
; %bb.12:
	s_waitcnt lgkmcnt(1)
	v_cmp_lt_f32_e64 s0, v18, v19
	s_delay_alu instid0(VALU_DEP_1) | instskip(NEXT) | instid1(VALU_DEP_1)
	v_cndmask_b32_e64 v4, v18, v19, s0
	v_sub_f32_e32 v4, v8, v4
	s_delay_alu instid0(VALU_DEP_1) | instskip(NEXT) | instid1(VALU_DEP_1)
	v_mul_f32_e32 v5, 0x3fb8aa3b, v4
	v_fma_f32 v8, 0x3fb8aa3b, v4, -v5
	v_rndne_f32_e32 v15, v5
	s_delay_alu instid0(VALU_DEP_1) | instskip(SKIP_1) | instid1(VALU_DEP_2)
	v_dual_sub_f32 v5, v5, v15 :: v_dual_fmamk_f32 v8, v4, 0x32a5705f, v8
	v_cmp_ngt_f32_e64 s0, 0xc2ce8ed0, v4
	v_add_f32_e32 v5, v5, v8
	v_cvt_i32_f32_e32 v8, v15
	s_delay_alu instid0(VALU_DEP_2) | instskip(SKIP_2) | instid1(VALU_DEP_1)
	v_exp_f32_e32 v5, v5
	s_waitcnt_depctr 0xfff
	v_ldexp_f32 v5, v5, v8
	v_cndmask_b32_e64 v5, 0, v5, s0
	v_cmp_nlt_f32_e64 s0, 0x42b17218, v4
	s_delay_alu instid0(VALU_DEP_1) | instskip(SKIP_1) | instid1(VALU_DEP_2)
	v_cndmask_b32_e64 v4, 0x7f800000, v5, s0
	v_mov_b32_e32 v5, 0
	v_mov_b32_e32 v15, v4
.LBB707_13:
	s_or_b32 exec_lo, exec_lo, s3
.LBB707_14:
	s_delay_alu instid0(SALU_CYCLE_1)
	s_or_b32 exec_lo, exec_lo, s1
	s_and_saveexec_b32 s1, s10
	s_cbranch_execz .LBB707_18
; %bb.15:
	s_and_b32 s0, s12, exec_lo
	s_cselect_b32 s0, 0, s6
	s_cselect_b32 s3, 0, 0
	v_add_co_u32 v2, s0, v2, s0
	s_delay_alu instid0(VALU_DEP_1) | instskip(SKIP_4) | instid1(VALU_DEP_1)
	v_add_co_ci_u32_e64 v3, s0, s3, v3, s0
	v_mov_b32_e32 v10, 0
	global_load_u8 v2, v[2:3], off
	s_waitcnt vmcnt(0)
	v_and_b32_e32 v2, 1, v2
	v_cmp_eq_u32_e64 s0, 1, v2
	s_delay_alu instid0(VALU_DEP_1) | instskip(NEXT) | instid1(SALU_CYCLE_1)
	s_xor_b32 s0, s0, -1
	s_and_saveexec_b32 s3, s0
	s_cbranch_execz .LBB707_17
; %bb.16:
	s_waitcnt lgkmcnt(0)
	v_cmp_lt_f32_e64 s0, v16, v17
	s_delay_alu instid0(VALU_DEP_1) | instskip(NEXT) | instid1(VALU_DEP_1)
	v_cndmask_b32_e64 v2, v16, v17, s0
	v_sub_f32_e32 v2, v7, v2
	s_delay_alu instid0(VALU_DEP_1) | instskip(SKIP_1) | instid1(VALU_DEP_2)
	v_mul_f32_e32 v3, 0x3fb8aa3b, v2
	v_cmp_ngt_f32_e64 s0, 0xc2ce8ed0, v2
	v_fma_f32 v7, 0x3fb8aa3b, v2, -v3
	v_rndne_f32_e32 v8, v3
	s_delay_alu instid0(VALU_DEP_2) | instskip(NEXT) | instid1(VALU_DEP_2)
	v_fmamk_f32 v7, v2, 0x32a5705f, v7
	v_sub_f32_e32 v3, v3, v8
	s_delay_alu instid0(VALU_DEP_1) | instskip(SKIP_1) | instid1(VALU_DEP_2)
	v_add_f32_e32 v3, v3, v7
	v_cvt_i32_f32_e32 v7, v8
	v_exp_f32_e32 v3, v3
	s_waitcnt_depctr 0xfff
	v_ldexp_f32 v3, v3, v7
	s_delay_alu instid0(VALU_DEP_1) | instskip(SKIP_1) | instid1(VALU_DEP_1)
	v_cndmask_b32_e64 v3, 0, v3, s0
	v_cmp_nlt_f32_e64 s0, 0x42b17218, v2
	v_cndmask_b32_e64 v10, 0x7f800000, v3, s0
	s_delay_alu instid0(VALU_DEP_1)
	v_add_f32_e32 v5, v5, v10
.LBB707_17:
	s_or_b32 exec_lo, exec_lo, s3
.LBB707_18:
	s_delay_alu instid0(SALU_CYCLE_1)
	s_or_b32 exec_lo, exec_lo, s1
	ds_bpermute_b32 v2, v9, v4
	ds_bpermute_b32 v3, v9, v5
	s_waitcnt lgkmcnt(0)
	v_dual_add_f32 v2, v4, v2 :: v_dual_add_f32 v3, v5, v3
	ds_bpermute_b32 v4, v11, v2
	ds_bpermute_b32 v5, v11, v3
	s_waitcnt lgkmcnt(0)
	v_dual_add_f32 v2, v2, v4 :: v_dual_add_f32 v3, v3, v5
	ds_bpermute_b32 v4, v12, v2
	ds_bpermute_b32 v5, v12, v3
	s_waitcnt lgkmcnt(0)
	v_dual_add_f32 v2, v2, v4 :: v_dual_add_f32 v3, v3, v5
	ds_bpermute_b32 v4, v13, v2
	ds_bpermute_b32 v5, v13, v3
	s_waitcnt lgkmcnt(1)
	v_add_f32_e32 v4, v2, v4
	s_waitcnt lgkmcnt(0)
	v_add_f32_e32 v2, v3, v5
	ds_bpermute_b32 v5, v14, v4
	ds_bpermute_b32 v3, v14, v2
	s_and_saveexec_b32 s0, vcc_lo
	s_cbranch_execz .LBB707_24
; %bb.19:
	v_add_co_u32 v0, vcc_lo, s8, v0
	v_add_co_ci_u32_e32 v1, vcc_lo, s9, v1, vcc_lo
	s_and_saveexec_b32 s0, s2
	s_cbranch_execz .LBB707_21
; %bb.20:
	s_waitcnt lgkmcnt(1)
	v_add_f32_e32 v4, v4, v5
	s_delay_alu instid0(VALU_DEP_1) | instskip(NEXT) | instid1(VALU_DEP_1)
	v_div_scale_f32 v5, null, v4, v4, v15
	v_rcp_f32_e32 v7, v5
	s_waitcnt_depctr 0xfff
	v_fma_f32 v8, -v5, v7, 1.0
	s_delay_alu instid0(VALU_DEP_1) | instskip(SKIP_1) | instid1(VALU_DEP_1)
	v_fmac_f32_e32 v7, v8, v7
	v_div_scale_f32 v8, vcc_lo, v15, v4, v15
	v_mul_f32_e32 v9, v8, v7
	s_delay_alu instid0(VALU_DEP_1) | instskip(NEXT) | instid1(VALU_DEP_1)
	v_fma_f32 v11, -v5, v9, v8
	v_fmac_f32_e32 v9, v11, v7
	s_delay_alu instid0(VALU_DEP_1) | instskip(NEXT) | instid1(VALU_DEP_1)
	v_fma_f32 v5, -v5, v9, v8
	v_div_fmas_f32 v5, v5, v7, v9
	v_cmp_neq_f32_e32 vcc_lo, 0, v4
	s_delay_alu instid0(VALU_DEP_2) | instskip(NEXT) | instid1(VALU_DEP_1)
	v_div_fixup_f32 v5, v5, v4, v15
	v_cndmask_b32_e32 v4, 0x7fc00000, v5, vcc_lo
	global_store_b32 v[0:1], v4, off
.LBB707_21:
	s_or_b32 exec_lo, exec_lo, s0
	v_cmp_ne_u32_e32 vcc_lo, 1, v6
	s_and_b32 exec_lo, exec_lo, vcc_lo
	s_cbranch_execz .LBB707_24
; %bb.22:
	s_and_b32 exec_lo, exec_lo, s2
	s_cbranch_execz .LBB707_24
; %bb.23:
	s_waitcnt lgkmcnt(0)
	v_add_f32_e32 v2, v2, v3
	s_mov_b32 s7, 0
	s_delay_alu instid0(SALU_CYCLE_1) | instskip(NEXT) | instid1(VALU_DEP_1)
	s_lshl_b64 s[0:1], s[6:7], 2
	v_div_scale_f32 v3, null, v2, v2, v10
	v_div_scale_f32 v6, vcc_lo, v10, v2, v10
	s_delay_alu instid0(VALU_DEP_2) | instskip(SKIP_2) | instid1(VALU_DEP_1)
	v_rcp_f32_e32 v4, v3
	s_waitcnt_depctr 0xfff
	v_fma_f32 v5, -v3, v4, 1.0
	v_fmac_f32_e32 v4, v5, v4
	s_delay_alu instid0(VALU_DEP_1) | instskip(NEXT) | instid1(VALU_DEP_1)
	v_mul_f32_e32 v5, v6, v4
	v_fma_f32 v7, -v3, v5, v6
	s_delay_alu instid0(VALU_DEP_1) | instskip(NEXT) | instid1(VALU_DEP_1)
	v_fmac_f32_e32 v5, v7, v4
	v_fma_f32 v3, -v3, v5, v6
	s_delay_alu instid0(VALU_DEP_1) | instskip(SKIP_2) | instid1(VALU_DEP_3)
	v_div_fmas_f32 v3, v3, v4, v5
	v_add_co_u32 v0, vcc_lo, v0, s0
	v_add_co_ci_u32_e32 v1, vcc_lo, s1, v1, vcc_lo
	v_div_fixup_f32 v3, v3, v2, v10
	v_cmp_neq_f32_e32 vcc_lo, 0, v2
	s_delay_alu instid0(VALU_DEP_2)
	v_cndmask_b32_e32 v2, 0x7fc00000, v3, vcc_lo
	global_store_b32 v[0:1], v2, off
.LBB707_24:
	s_nop 0
	s_sendmsg sendmsg(MSG_DEALLOC_VGPRS)
	s_endpgm
	.section	.rodata,"a",@progbits
	.p2align	6, 0x0
	.amdhsa_kernel _ZN12_GLOBAL__N_120softmax_warp_forwardIfffLi5ELb0ELb1ELi32EEEvPT0_PKT_iiiPKbib
		.amdhsa_group_segment_fixed_size 0
		.amdhsa_private_segment_fixed_size 0
		.amdhsa_kernarg_size 304
		.amdhsa_user_sgpr_count 15
		.amdhsa_user_sgpr_dispatch_ptr 0
		.amdhsa_user_sgpr_queue_ptr 0
		.amdhsa_user_sgpr_kernarg_segment_ptr 1
		.amdhsa_user_sgpr_dispatch_id 0
		.amdhsa_user_sgpr_private_segment_size 0
		.amdhsa_wavefront_size32 1
		.amdhsa_uses_dynamic_stack 0
		.amdhsa_enable_private_segment 0
		.amdhsa_system_sgpr_workgroup_id_x 1
		.amdhsa_system_sgpr_workgroup_id_y 0
		.amdhsa_system_sgpr_workgroup_id_z 0
		.amdhsa_system_sgpr_workgroup_info 0
		.amdhsa_system_vgpr_workitem_id 1
		.amdhsa_next_free_vgpr 20
		.amdhsa_next_free_sgpr 16
		.amdhsa_reserve_vcc 1
		.amdhsa_float_round_mode_32 0
		.amdhsa_float_round_mode_16_64 0
		.amdhsa_float_denorm_mode_32 3
		.amdhsa_float_denorm_mode_16_64 3
		.amdhsa_dx10_clamp 1
		.amdhsa_ieee_mode 1
		.amdhsa_fp16_overflow 0
		.amdhsa_workgroup_processor_mode 1
		.amdhsa_memory_ordered 1
		.amdhsa_forward_progress 0
		.amdhsa_shared_vgpr_count 0
		.amdhsa_exception_fp_ieee_invalid_op 0
		.amdhsa_exception_fp_denorm_src 0
		.amdhsa_exception_fp_ieee_div_zero 0
		.amdhsa_exception_fp_ieee_overflow 0
		.amdhsa_exception_fp_ieee_underflow 0
		.amdhsa_exception_fp_ieee_inexact 0
		.amdhsa_exception_int_div_zero 0
	.end_amdhsa_kernel
	.section	.text._ZN12_GLOBAL__N_120softmax_warp_forwardIfffLi5ELb0ELb1ELi32EEEvPT0_PKT_iiiPKbib,"axG",@progbits,_ZN12_GLOBAL__N_120softmax_warp_forwardIfffLi5ELb0ELb1ELi32EEEvPT0_PKT_iiiPKbib,comdat
.Lfunc_end707:
	.size	_ZN12_GLOBAL__N_120softmax_warp_forwardIfffLi5ELb0ELb1ELi32EEEvPT0_PKT_iiiPKbib, .Lfunc_end707-_ZN12_GLOBAL__N_120softmax_warp_forwardIfffLi5ELb0ELb1ELi32EEEvPT0_PKT_iiiPKbib
                                        ; -- End function
	.section	.AMDGPU.csdata,"",@progbits
; Kernel info:
; codeLenInByte = 2040
; NumSgprs: 18
; NumVgprs: 20
; ScratchSize: 0
; MemoryBound: 0
; FloatMode: 240
; IeeeMode: 1
; LDSByteSize: 0 bytes/workgroup (compile time only)
; SGPRBlocks: 2
; VGPRBlocks: 2
; NumSGPRsForWavesPerEU: 18
; NumVGPRsForWavesPerEU: 20
; Occupancy: 16
; WaveLimiterHint : 0
; COMPUTE_PGM_RSRC2:SCRATCH_EN: 0
; COMPUTE_PGM_RSRC2:USER_SGPR: 15
; COMPUTE_PGM_RSRC2:TRAP_HANDLER: 0
; COMPUTE_PGM_RSRC2:TGID_X_EN: 1
; COMPUTE_PGM_RSRC2:TGID_Y_EN: 0
; COMPUTE_PGM_RSRC2:TGID_Z_EN: 0
; COMPUTE_PGM_RSRC2:TIDIG_COMP_CNT: 1
	.section	.text._ZN12_GLOBAL__N_120softmax_warp_forwardIfffLi6ELb0ELb1ELi64EEEvPT0_PKT_iiiPKbib,"axG",@progbits,_ZN12_GLOBAL__N_120softmax_warp_forwardIfffLi6ELb0ELb1ELi64EEEvPT0_PKT_iiiPKbib,comdat
	.globl	_ZN12_GLOBAL__N_120softmax_warp_forwardIfffLi6ELb0ELb1ELi64EEEvPT0_PKT_iiiPKbib ; -- Begin function _ZN12_GLOBAL__N_120softmax_warp_forwardIfffLi6ELb0ELb1ELi64EEEvPT0_PKT_iiiPKbib
	.p2align	8
	.type	_ZN12_GLOBAL__N_120softmax_warp_forwardIfffLi6ELb0ELb1ELi64EEEvPT0_PKT_iiiPKbib,@function
_ZN12_GLOBAL__N_120softmax_warp_forwardIfffLi6ELb0ELb1ELi64EEEvPT0_PKT_iiiPKbib: ; @_ZN12_GLOBAL__N_120softmax_warp_forwardIfffLi6ELb0ELb1ELi64EEEvPT0_PKT_iiiPKbib
; %bb.0:
	s_clause 0x2
	s_load_b64 s[2:3], s[0:1], 0x28
	s_load_b32 s8, s[0:1], 0x3c
	s_load_b128 s[4:7], s[0:1], 0x10
	v_bfe_u32 v1, v0, 10, 10
	v_and_b32_e32 v4, 0x3ff, v0
	s_waitcnt lgkmcnt(0)
	s_bitcmp1_b32 s3, 0
	s_cselect_b32 s12, -1, 0
	s_lshr_b32 s7, s8, 16
	s_bitcmp0_b32 s3, 0
	s_mul_i32 s15, s15, s7
	s_delay_alu instid0(SALU_CYCLE_1) | instskip(NEXT) | instid1(VALU_DEP_1)
	v_add_lshl_u32 v5, s15, v1, 1
	v_mul_lo_u32 v6, v5, s5
	s_delay_alu instid0(VALU_DEP_1) | instskip(NEXT) | instid1(VALU_DEP_1)
	v_add_nc_u32_e32 v0, v6, v4
	v_ashrrev_i32_e32 v1, 31, v0
	s_delay_alu instid0(VALU_DEP_1)
	v_dual_mov_b32 v3, v1 :: v_dual_mov_b32 v2, v0
	s_cbranch_scc1 .LBB708_2
; %bb.1:
	s_abs_i32 s3, s2
	v_sub_nc_u32_e32 v7, 0, v6
	v_cvt_f32_u32_e32 v2, s3
	s_sub_i32 s7, 0, s3
	s_delay_alu instid0(VALU_DEP_2) | instskip(NEXT) | instid1(VALU_DEP_2)
	v_max_i32_e32 v7, v6, v7
	v_rcp_iflag_f32_e32 v2, v2
	v_xor_b32_e32 v6, s2, v6
	s_delay_alu instid0(VALU_DEP_1) | instskip(SKIP_2) | instid1(VALU_DEP_1)
	v_ashrrev_i32_e32 v6, 31, v6
	s_waitcnt_depctr 0xfff
	v_mul_f32_e32 v2, 0x4f7ffffe, v2
	v_cvt_u32_f32_e32 v2, v2
	s_delay_alu instid0(VALU_DEP_1) | instskip(NEXT) | instid1(VALU_DEP_1)
	v_mul_lo_u32 v3, s7, v2
	v_mul_hi_u32 v3, v2, v3
	s_delay_alu instid0(VALU_DEP_1) | instskip(NEXT) | instid1(VALU_DEP_1)
	v_add_nc_u32_e32 v2, v2, v3
	v_mul_hi_u32 v2, v7, v2
	s_delay_alu instid0(VALU_DEP_1) | instskip(NEXT) | instid1(VALU_DEP_1)
	v_mul_lo_u32 v3, v2, s3
	v_sub_nc_u32_e32 v3, v7, v3
	v_add_nc_u32_e32 v7, 1, v2
	s_delay_alu instid0(VALU_DEP_2) | instskip(SKIP_1) | instid1(VALU_DEP_2)
	v_subrev_nc_u32_e32 v8, s3, v3
	v_cmp_le_u32_e32 vcc_lo, s3, v3
	v_dual_cndmask_b32 v3, v3, v8 :: v_dual_cndmask_b32 v2, v2, v7
	s_delay_alu instid0(VALU_DEP_1) | instskip(NEXT) | instid1(VALU_DEP_2)
	v_cmp_le_u32_e32 vcc_lo, s3, v3
	v_add_nc_u32_e32 v7, 1, v2
	s_delay_alu instid0(VALU_DEP_1) | instskip(NEXT) | instid1(VALU_DEP_1)
	v_cndmask_b32_e32 v2, v2, v7, vcc_lo
	v_xor_b32_e32 v2, v2, v6
	s_delay_alu instid0(VALU_DEP_1) | instskip(NEXT) | instid1(VALU_DEP_1)
	v_sub_nc_u32_e32 v6, v2, v6
	v_mad_u64_u32 v[2:3], null, v6, s5, v[4:5]
	s_delay_alu instid0(VALU_DEP_1)
	v_ashrrev_i32_e32 v3, 31, v2
.LBB708_2:
	s_load_b128 s[8:11], s[0:1], 0x0
	v_lshlrev_b64 v[0:1], 2, v[0:1]
	v_sub_nc_u32_e32 v6, s4, v5
	v_cmp_gt_i32_e64 s2, s6, v4
	v_dual_mov_b32 v7, 0xff800000 :: v_dual_mov_b32 v8, 0xff800000
	s_delay_alu instid0(VALU_DEP_3) | instskip(SKIP_2) | instid1(VALU_DEP_1)
	v_cmp_lt_i32_e32 vcc_lo, 0, v6
	s_waitcnt lgkmcnt(0)
	v_add_co_u32 v4, s3, s10, v0
	v_add_co_ci_u32_e64 v5, s3, s11, v1, s3
	s_and_b32 s11, s2, vcc_lo
	s_delay_alu instid0(SALU_CYCLE_1)
	s_and_saveexec_b32 s3, s11
	s_cbranch_execz .LBB708_4
; %bb.3:
	global_load_b32 v8, v[4:5], off
.LBB708_4:
	s_or_b32 exec_lo, exec_lo, s3
	v_cmp_lt_i32_e64 s3, 1, v6
	s_delay_alu instid0(VALU_DEP_1) | instskip(NEXT) | instid1(SALU_CYCLE_1)
	s_and_b32 s10, s2, s3
	s_and_saveexec_b32 s4, s10
	s_cbranch_execz .LBB708_6
; %bb.5:
	s_mov_b32 s7, 0
	s_delay_alu instid0(SALU_CYCLE_1) | instskip(NEXT) | instid1(SALU_CYCLE_1)
	s_lshl_b64 s[14:15], s[6:7], 2
	v_add_co_u32 v4, s3, v4, s14
	s_delay_alu instid0(VALU_DEP_1)
	v_add_co_ci_u32_e64 v5, s3, s15, v5, s3
	global_load_b32 v7, v[4:5], off
.LBB708_6:
	s_or_b32 exec_lo, exec_lo, s4
	s_load_b64 s[0:1], s[0:1], 0x20
	v_mov_b32_e32 v4, 0xff800000
	s_waitcnt lgkmcnt(0)
	v_add_co_u32 v2, s0, s0, v2
	s_delay_alu instid0(VALU_DEP_1)
	v_add_co_ci_u32_e64 v3, s0, s1, v3, s0
	s_and_saveexec_b32 s1, s11
	s_cbranch_execz .LBB708_8
; %bb.7:
	global_load_u8 v4, v[2:3], off
	s_waitcnt vmcnt(0)
	v_and_b32_e32 v4, 1, v4
	s_delay_alu instid0(VALU_DEP_1) | instskip(NEXT) | instid1(VALU_DEP_1)
	v_cmp_eq_u32_e64 s0, 1, v4
	v_cndmask_b32_e64 v4, v8, 0xff800000, s0
.LBB708_8:
	s_or_b32 exec_lo, exec_lo, s1
	s_mov_b32 s4, 0
	s_mov_b32 s1, 0
	s_and_saveexec_b32 s3, s10
	s_cbranch_execz .LBB708_10
; %bb.9:
	s_and_b32 s0, s12, exec_lo
	s_cselect_b32 s0, 0, s6
	s_cselect_b32 s1, 0, 0
	v_add_co_u32 v9, s0, v2, s0
	s_delay_alu instid0(VALU_DEP_1) | instskip(SKIP_3) | instid1(VALU_DEP_1)
	v_add_co_ci_u32_e64 v10, s0, s1, v3, s0
	global_load_u8 v5, v[9:10], off
	s_waitcnt vmcnt(0)
	v_and_b32_e32 v5, 1, v5
	v_cmp_eq_u32_e64 s0, 1, v5
	s_delay_alu instid0(VALU_DEP_1) | instskip(NEXT) | instid1(SALU_CYCLE_1)
	s_xor_b32 s0, s0, -1
	s_and_b32 s1, s0, exec_lo
.LBB708_10:
	s_or_b32 exec_lo, exec_lo, s3
	v_mbcnt_lo_u32_b32 v5, -1, 0
	v_cndmask_b32_e64 v4, v4, v4, s1
	s_mov_b32 s5, s4
	s_waitcnt vmcnt(0)
	v_cndmask_b32_e64 v11, 0xff800000, v7, s1
	v_or_b32_e32 v9, 32, v5
	v_xor_b32_e32 v10, 16, v5
	s_delay_alu instid0(VALU_DEP_2) | instskip(NEXT) | instid1(VALU_DEP_1)
	v_cmp_gt_i32_e64 s0, 64, v9
	v_cndmask_b32_e64 v9, v5, v9, s0
	s_delay_alu instid0(VALU_DEP_3) | instskip(NEXT) | instid1(VALU_DEP_2)
	v_cmp_gt_i32_e64 s0, 64, v10
	v_lshlrev_b32_e32 v9, 2, v9
	s_delay_alu instid0(VALU_DEP_2)
	v_cndmask_b32_e64 v10, v5, v10, s0
	ds_bpermute_b32 v12, v9, v4
	ds_bpermute_b32 v13, v9, v11
	v_lshlrev_b32_e32 v10, 2, v10
	s_waitcnt lgkmcnt(1)
	v_cmp_lt_f32_e64 s0, v4, v12
	s_delay_alu instid0(VALU_DEP_1) | instskip(SKIP_3) | instid1(VALU_DEP_2)
	v_cndmask_b32_e64 v4, v4, v12, s0
	s_waitcnt lgkmcnt(0)
	v_cmp_lt_f32_e64 s0, v11, v13
	v_xor_b32_e32 v12, 8, v5
	v_cndmask_b32_e64 v11, v11, v13, s0
	ds_bpermute_b32 v13, v10, v4
	v_cmp_gt_i32_e64 s0, 64, v12
	ds_bpermute_b32 v14, v10, v11
	v_cndmask_b32_e64 v12, v5, v12, s0
	s_delay_alu instid0(VALU_DEP_1) | instskip(SKIP_2) | instid1(VALU_DEP_1)
	v_lshlrev_b32_e32 v12, 2, v12
	s_waitcnt lgkmcnt(1)
	v_cmp_lt_f32_e64 s0, v4, v13
	v_cndmask_b32_e64 v4, v4, v13, s0
	s_waitcnt lgkmcnt(0)
	v_cmp_lt_f32_e64 s0, v11, v14
	v_xor_b32_e32 v13, 4, v5
	s_delay_alu instid0(VALU_DEP_2) | instskip(SKIP_4) | instid1(VALU_DEP_1)
	v_cndmask_b32_e64 v11, v11, v14, s0
	ds_bpermute_b32 v14, v12, v4
	v_cmp_gt_i32_e64 s0, 64, v13
	ds_bpermute_b32 v15, v12, v11
	v_cndmask_b32_e64 v13, v5, v13, s0
	v_lshlrev_b32_e32 v13, 2, v13
	s_waitcnt lgkmcnt(1)
	v_cmp_lt_f32_e64 s0, v4, v14
	s_delay_alu instid0(VALU_DEP_1) | instskip(SKIP_3) | instid1(VALU_DEP_2)
	v_cndmask_b32_e64 v4, v4, v14, s0
	s_waitcnt lgkmcnt(0)
	v_cmp_lt_f32_e64 s0, v11, v15
	v_xor_b32_e32 v14, 2, v5
	v_cndmask_b32_e64 v11, v11, v15, s0
	ds_bpermute_b32 v15, v13, v4
	v_cmp_gt_i32_e64 s0, 64, v14
	ds_bpermute_b32 v16, v13, v11
	v_cndmask_b32_e64 v14, v5, v14, s0
	s_delay_alu instid0(VALU_DEP_1) | instskip(SKIP_2) | instid1(VALU_DEP_1)
	v_lshlrev_b32_e32 v14, 2, v14
	s_waitcnt lgkmcnt(1)
	v_cmp_lt_f32_e64 s0, v4, v15
	v_cndmask_b32_e64 v4, v4, v15, s0
	s_waitcnt lgkmcnt(0)
	v_cmp_lt_f32_e64 s0, v11, v16
	v_xor_b32_e32 v15, 1, v5
	s_delay_alu instid0(VALU_DEP_2) | instskip(SKIP_4) | instid1(VALU_DEP_1)
	v_cndmask_b32_e64 v11, v11, v16, s0
	ds_bpermute_b32 v16, v14, v4
	v_cmp_gt_i32_e64 s0, 64, v15
	ds_bpermute_b32 v17, v14, v11
	v_cndmask_b32_e64 v5, v5, v15, s0
	v_lshlrev_b32_e32 v15, 2, v5
	s_waitcnt lgkmcnt(1)
	v_cmp_lt_f32_e64 s0, v4, v16
	s_delay_alu instid0(VALU_DEP_1)
	v_cndmask_b32_e64 v19, v4, v16, s0
	v_mov_b32_e32 v16, 0
	s_waitcnt lgkmcnt(0)
	v_cmp_lt_f32_e64 s0, v11, v17
	v_dual_mov_b32 v4, s4 :: v_dual_mov_b32 v5, s5
	ds_bpermute_b32 v20, v15, v19
	v_cndmask_b32_e64 v17, v11, v17, s0
	v_mov_b32_e32 v11, 0
	ds_bpermute_b32 v18, v15, v17
	s_and_saveexec_b32 s1, s11
	s_cbranch_execz .LBB708_14
; %bb.11:
	global_load_u8 v4, v[2:3], off
	s_mov_b32 s5, s4
	v_mov_b32_e32 v16, 0
	s_waitcnt vmcnt(0)
	v_and_b32_e32 v4, 1, v4
	s_delay_alu instid0(VALU_DEP_1) | instskip(SKIP_1) | instid1(VALU_DEP_2)
	v_cmp_eq_u32_e64 s0, 1, v4
	v_dual_mov_b32 v4, s4 :: v_dual_mov_b32 v5, s5
	s_xor_b32 s0, s0, -1
	s_delay_alu instid0(SALU_CYCLE_1)
	s_and_saveexec_b32 s3, s0
	s_cbranch_execz .LBB708_13
; %bb.12:
	s_waitcnt lgkmcnt(1)
	v_cmp_lt_f32_e64 s0, v19, v20
	s_delay_alu instid0(VALU_DEP_1) | instskip(NEXT) | instid1(VALU_DEP_1)
	v_cndmask_b32_e64 v4, v19, v20, s0
	v_sub_f32_e32 v4, v8, v4
	s_delay_alu instid0(VALU_DEP_1) | instskip(SKIP_1) | instid1(VALU_DEP_2)
	v_mul_f32_e32 v5, 0x3fb8aa3b, v4
	v_cmp_ngt_f32_e64 s0, 0xc2ce8ed0, v4
	v_fma_f32 v8, 0x3fb8aa3b, v4, -v5
	v_rndne_f32_e32 v16, v5
	s_delay_alu instid0(VALU_DEP_1) | instskip(NEXT) | instid1(VALU_DEP_1)
	v_dual_fmamk_f32 v8, v4, 0x32a5705f, v8 :: v_dual_sub_f32 v5, v5, v16
	v_add_f32_e32 v5, v5, v8
	v_cvt_i32_f32_e32 v8, v16
	s_delay_alu instid0(VALU_DEP_2) | instskip(SKIP_2) | instid1(VALU_DEP_1)
	v_exp_f32_e32 v5, v5
	s_waitcnt_depctr 0xfff
	v_ldexp_f32 v5, v5, v8
	v_cndmask_b32_e64 v5, 0, v5, s0
	v_cmp_nlt_f32_e64 s0, 0x42b17218, v4
	s_delay_alu instid0(VALU_DEP_1) | instskip(NEXT) | instid1(VALU_DEP_1)
	v_cndmask_b32_e64 v4, 0x7f800000, v5, s0
	v_dual_mov_b32 v5, 0 :: v_dual_mov_b32 v16, v4
.LBB708_13:
	s_or_b32 exec_lo, exec_lo, s3
.LBB708_14:
	s_delay_alu instid0(SALU_CYCLE_1)
	s_or_b32 exec_lo, exec_lo, s1
	s_and_saveexec_b32 s1, s10
	s_cbranch_execz .LBB708_18
; %bb.15:
	s_and_b32 s0, s12, exec_lo
	s_cselect_b32 s0, 0, s6
	s_cselect_b32 s3, 0, 0
	v_add_co_u32 v2, s0, v2, s0
	s_delay_alu instid0(VALU_DEP_1) | instskip(SKIP_4) | instid1(VALU_DEP_1)
	v_add_co_ci_u32_e64 v3, s0, s3, v3, s0
	v_mov_b32_e32 v11, 0
	global_load_u8 v2, v[2:3], off
	s_waitcnt vmcnt(0)
	v_and_b32_e32 v2, 1, v2
	v_cmp_eq_u32_e64 s0, 1, v2
	s_delay_alu instid0(VALU_DEP_1) | instskip(NEXT) | instid1(SALU_CYCLE_1)
	s_xor_b32 s0, s0, -1
	s_and_saveexec_b32 s3, s0
	s_cbranch_execz .LBB708_17
; %bb.16:
	s_waitcnt lgkmcnt(0)
	v_cmp_lt_f32_e64 s0, v17, v18
	s_delay_alu instid0(VALU_DEP_1) | instskip(NEXT) | instid1(VALU_DEP_1)
	v_cndmask_b32_e64 v2, v17, v18, s0
	v_sub_f32_e32 v2, v7, v2
	s_delay_alu instid0(VALU_DEP_1) | instskip(SKIP_1) | instid1(VALU_DEP_2)
	v_mul_f32_e32 v3, 0x3fb8aa3b, v2
	v_cmp_ngt_f32_e64 s0, 0xc2ce8ed0, v2
	v_fma_f32 v7, 0x3fb8aa3b, v2, -v3
	v_rndne_f32_e32 v8, v3
	s_delay_alu instid0(VALU_DEP_2) | instskip(NEXT) | instid1(VALU_DEP_2)
	v_fmamk_f32 v7, v2, 0x32a5705f, v7
	v_sub_f32_e32 v3, v3, v8
	s_delay_alu instid0(VALU_DEP_1) | instskip(SKIP_1) | instid1(VALU_DEP_2)
	v_add_f32_e32 v3, v3, v7
	v_cvt_i32_f32_e32 v7, v8
	v_exp_f32_e32 v3, v3
	s_waitcnt_depctr 0xfff
	v_ldexp_f32 v3, v3, v7
	s_delay_alu instid0(VALU_DEP_1) | instskip(SKIP_1) | instid1(VALU_DEP_1)
	v_cndmask_b32_e64 v3, 0, v3, s0
	v_cmp_nlt_f32_e64 s0, 0x42b17218, v2
	v_cndmask_b32_e64 v11, 0x7f800000, v3, s0
	s_delay_alu instid0(VALU_DEP_1)
	v_add_f32_e32 v5, v5, v11
.LBB708_17:
	s_or_b32 exec_lo, exec_lo, s3
.LBB708_18:
	s_delay_alu instid0(SALU_CYCLE_1)
	s_or_b32 exec_lo, exec_lo, s1
	ds_bpermute_b32 v2, v9, v4
	ds_bpermute_b32 v3, v9, v5
	s_waitcnt lgkmcnt(0)
	v_dual_add_f32 v2, v4, v2 :: v_dual_add_f32 v3, v5, v3
	ds_bpermute_b32 v4, v10, v2
	ds_bpermute_b32 v5, v10, v3
	s_waitcnt lgkmcnt(0)
	v_dual_add_f32 v2, v2, v4 :: v_dual_add_f32 v3, v3, v5
	;; [unrolled: 4-line block ×4, first 2 shown]
	ds_bpermute_b32 v4, v14, v2
	ds_bpermute_b32 v5, v14, v3
	s_waitcnt lgkmcnt(1)
	v_add_f32_e32 v4, v2, v4
	s_waitcnt lgkmcnt(0)
	v_add_f32_e32 v2, v3, v5
	ds_bpermute_b32 v5, v15, v4
	ds_bpermute_b32 v3, v15, v2
	s_and_saveexec_b32 s0, vcc_lo
	s_cbranch_execz .LBB708_24
; %bb.19:
	v_add_co_u32 v0, vcc_lo, s8, v0
	v_add_co_ci_u32_e32 v1, vcc_lo, s9, v1, vcc_lo
	s_and_saveexec_b32 s0, s2
	s_cbranch_execz .LBB708_21
; %bb.20:
	s_waitcnt lgkmcnt(1)
	v_add_f32_e32 v4, v4, v5
	s_delay_alu instid0(VALU_DEP_1) | instskip(NEXT) | instid1(VALU_DEP_1)
	v_div_scale_f32 v5, null, v4, v4, v16
	v_rcp_f32_e32 v7, v5
	s_waitcnt_depctr 0xfff
	v_fma_f32 v8, -v5, v7, 1.0
	s_delay_alu instid0(VALU_DEP_1) | instskip(SKIP_1) | instid1(VALU_DEP_1)
	v_fmac_f32_e32 v7, v8, v7
	v_div_scale_f32 v8, vcc_lo, v16, v4, v16
	v_mul_f32_e32 v9, v8, v7
	s_delay_alu instid0(VALU_DEP_1) | instskip(NEXT) | instid1(VALU_DEP_1)
	v_fma_f32 v10, -v5, v9, v8
	v_fmac_f32_e32 v9, v10, v7
	s_delay_alu instid0(VALU_DEP_1) | instskip(NEXT) | instid1(VALU_DEP_1)
	v_fma_f32 v5, -v5, v9, v8
	v_div_fmas_f32 v5, v5, v7, v9
	v_cmp_neq_f32_e32 vcc_lo, 0, v4
	s_delay_alu instid0(VALU_DEP_2) | instskip(NEXT) | instid1(VALU_DEP_1)
	v_div_fixup_f32 v5, v5, v4, v16
	v_cndmask_b32_e32 v4, 0x7fc00000, v5, vcc_lo
	global_store_b32 v[0:1], v4, off
.LBB708_21:
	s_or_b32 exec_lo, exec_lo, s0
	v_cmp_ne_u32_e32 vcc_lo, 1, v6
	s_and_b32 exec_lo, exec_lo, vcc_lo
	s_cbranch_execz .LBB708_24
; %bb.22:
	s_and_b32 exec_lo, exec_lo, s2
	s_cbranch_execz .LBB708_24
; %bb.23:
	s_waitcnt lgkmcnt(0)
	v_add_f32_e32 v2, v2, v3
	s_mov_b32 s7, 0
	s_delay_alu instid0(SALU_CYCLE_1) | instskip(NEXT) | instid1(VALU_DEP_1)
	s_lshl_b64 s[0:1], s[6:7], 2
	v_div_scale_f32 v3, null, v2, v2, v11
	v_div_scale_f32 v6, vcc_lo, v11, v2, v11
	s_delay_alu instid0(VALU_DEP_2) | instskip(SKIP_2) | instid1(VALU_DEP_1)
	v_rcp_f32_e32 v4, v3
	s_waitcnt_depctr 0xfff
	v_fma_f32 v5, -v3, v4, 1.0
	v_fmac_f32_e32 v4, v5, v4
	s_delay_alu instid0(VALU_DEP_1) | instskip(NEXT) | instid1(VALU_DEP_1)
	v_mul_f32_e32 v5, v6, v4
	v_fma_f32 v7, -v3, v5, v6
	s_delay_alu instid0(VALU_DEP_1) | instskip(NEXT) | instid1(VALU_DEP_1)
	v_fmac_f32_e32 v5, v7, v4
	v_fma_f32 v3, -v3, v5, v6
	s_delay_alu instid0(VALU_DEP_1) | instskip(SKIP_2) | instid1(VALU_DEP_3)
	v_div_fmas_f32 v3, v3, v4, v5
	v_add_co_u32 v0, vcc_lo, v0, s0
	v_add_co_ci_u32_e32 v1, vcc_lo, s1, v1, vcc_lo
	v_div_fixup_f32 v3, v3, v2, v11
	v_cmp_neq_f32_e32 vcc_lo, 0, v2
	s_delay_alu instid0(VALU_DEP_2)
	v_cndmask_b32_e32 v2, 0x7fc00000, v3, vcc_lo
	global_store_b32 v[0:1], v2, off
.LBB708_24:
	s_nop 0
	s_sendmsg sendmsg(MSG_DEALLOC_VGPRS)
	s_endpgm
	.section	.rodata,"a",@progbits
	.p2align	6, 0x0
	.amdhsa_kernel _ZN12_GLOBAL__N_120softmax_warp_forwardIfffLi6ELb0ELb1ELi64EEEvPT0_PKT_iiiPKbib
		.amdhsa_group_segment_fixed_size 0
		.amdhsa_private_segment_fixed_size 0
		.amdhsa_kernarg_size 304
		.amdhsa_user_sgpr_count 15
		.amdhsa_user_sgpr_dispatch_ptr 0
		.amdhsa_user_sgpr_queue_ptr 0
		.amdhsa_user_sgpr_kernarg_segment_ptr 1
		.amdhsa_user_sgpr_dispatch_id 0
		.amdhsa_user_sgpr_private_segment_size 0
		.amdhsa_wavefront_size32 1
		.amdhsa_uses_dynamic_stack 0
		.amdhsa_enable_private_segment 0
		.amdhsa_system_sgpr_workgroup_id_x 1
		.amdhsa_system_sgpr_workgroup_id_y 0
		.amdhsa_system_sgpr_workgroup_id_z 0
		.amdhsa_system_sgpr_workgroup_info 0
		.amdhsa_system_vgpr_workitem_id 1
		.amdhsa_next_free_vgpr 21
		.amdhsa_next_free_sgpr 16
		.amdhsa_reserve_vcc 1
		.amdhsa_float_round_mode_32 0
		.amdhsa_float_round_mode_16_64 0
		.amdhsa_float_denorm_mode_32 3
		.amdhsa_float_denorm_mode_16_64 3
		.amdhsa_dx10_clamp 1
		.amdhsa_ieee_mode 1
		.amdhsa_fp16_overflow 0
		.amdhsa_workgroup_processor_mode 1
		.amdhsa_memory_ordered 1
		.amdhsa_forward_progress 0
		.amdhsa_shared_vgpr_count 0
		.amdhsa_exception_fp_ieee_invalid_op 0
		.amdhsa_exception_fp_denorm_src 0
		.amdhsa_exception_fp_ieee_div_zero 0
		.amdhsa_exception_fp_ieee_overflow 0
		.amdhsa_exception_fp_ieee_underflow 0
		.amdhsa_exception_fp_ieee_inexact 0
		.amdhsa_exception_int_div_zero 0
	.end_amdhsa_kernel
	.section	.text._ZN12_GLOBAL__N_120softmax_warp_forwardIfffLi6ELb0ELb1ELi64EEEvPT0_PKT_iiiPKbib,"axG",@progbits,_ZN12_GLOBAL__N_120softmax_warp_forwardIfffLi6ELb0ELb1ELi64EEEvPT0_PKT_iiiPKbib,comdat
.Lfunc_end708:
	.size	_ZN12_GLOBAL__N_120softmax_warp_forwardIfffLi6ELb0ELb1ELi64EEEvPT0_PKT_iiiPKbib, .Lfunc_end708-_ZN12_GLOBAL__N_120softmax_warp_forwardIfffLi6ELb0ELb1ELi64EEEvPT0_PKT_iiiPKbib
                                        ; -- End function
	.section	.AMDGPU.csdata,"",@progbits
; Kernel info:
; codeLenInByte = 2156
; NumSgprs: 18
; NumVgprs: 21
; ScratchSize: 0
; MemoryBound: 0
; FloatMode: 240
; IeeeMode: 1
; LDSByteSize: 0 bytes/workgroup (compile time only)
; SGPRBlocks: 2
; VGPRBlocks: 2
; NumSGPRsForWavesPerEU: 18
; NumVGPRsForWavesPerEU: 21
; Occupancy: 16
; WaveLimiterHint : 0
; COMPUTE_PGM_RSRC2:SCRATCH_EN: 0
; COMPUTE_PGM_RSRC2:USER_SGPR: 15
; COMPUTE_PGM_RSRC2:TRAP_HANDLER: 0
; COMPUTE_PGM_RSRC2:TGID_X_EN: 1
; COMPUTE_PGM_RSRC2:TGID_Y_EN: 0
; COMPUTE_PGM_RSRC2:TGID_Z_EN: 0
; COMPUTE_PGM_RSRC2:TIDIG_COMP_CNT: 1
	.section	.text._ZN12_GLOBAL__N_120softmax_warp_forwardIfffLi6ELb0ELb1ELi32EEEvPT0_PKT_iiiPKbib,"axG",@progbits,_ZN12_GLOBAL__N_120softmax_warp_forwardIfffLi6ELb0ELb1ELi32EEEvPT0_PKT_iiiPKbib,comdat
	.globl	_ZN12_GLOBAL__N_120softmax_warp_forwardIfffLi6ELb0ELb1ELi32EEEvPT0_PKT_iiiPKbib ; -- Begin function _ZN12_GLOBAL__N_120softmax_warp_forwardIfffLi6ELb0ELb1ELi32EEEvPT0_PKT_iiiPKbib
	.p2align	8
	.type	_ZN12_GLOBAL__N_120softmax_warp_forwardIfffLi6ELb0ELb1ELi32EEEvPT0_PKT_iiiPKbib,@function
_ZN12_GLOBAL__N_120softmax_warp_forwardIfffLi6ELb0ELb1ELi32EEEvPT0_PKT_iiiPKbib: ; @_ZN12_GLOBAL__N_120softmax_warp_forwardIfffLi6ELb0ELb1ELi32EEEvPT0_PKT_iiiPKbib
; %bb.0:
	s_clause 0x2
	s_load_b64 s[2:3], s[0:1], 0x28
	s_load_b32 s8, s[0:1], 0x3c
	s_load_b128 s[4:7], s[0:1], 0x10
	v_bfe_u32 v1, v0, 10, 10
	v_and_b32_e32 v4, 0x3ff, v0
	s_waitcnt lgkmcnt(0)
	s_bitcmp1_b32 s3, 0
	s_cselect_b32 s14, -1, 0
	s_lshr_b32 s7, s8, 16
	s_bitcmp0_b32 s3, 0
	s_mul_i32 s15, s15, s7
	s_delay_alu instid0(SALU_CYCLE_1) | instskip(NEXT) | instid1(VALU_DEP_1)
	v_add_lshl_u32 v5, s15, v1, 1
	v_mul_lo_u32 v6, v5, s5
	s_delay_alu instid0(VALU_DEP_1) | instskip(NEXT) | instid1(VALU_DEP_1)
	v_add_nc_u32_e32 v0, v6, v4
	v_ashrrev_i32_e32 v1, 31, v0
	s_delay_alu instid0(VALU_DEP_1)
	v_dual_mov_b32 v3, v1 :: v_dual_mov_b32 v2, v0
	s_cbranch_scc1 .LBB709_2
; %bb.1:
	s_abs_i32 s3, s2
	v_sub_nc_u32_e32 v7, 0, v6
	v_cvt_f32_u32_e32 v2, s3
	s_sub_i32 s7, 0, s3
	s_delay_alu instid0(VALU_DEP_2) | instskip(NEXT) | instid1(VALU_DEP_2)
	v_max_i32_e32 v7, v6, v7
	v_rcp_iflag_f32_e32 v2, v2
	v_xor_b32_e32 v6, s2, v6
	s_delay_alu instid0(VALU_DEP_1) | instskip(SKIP_2) | instid1(VALU_DEP_1)
	v_ashrrev_i32_e32 v6, 31, v6
	s_waitcnt_depctr 0xfff
	v_mul_f32_e32 v2, 0x4f7ffffe, v2
	v_cvt_u32_f32_e32 v2, v2
	s_delay_alu instid0(VALU_DEP_1) | instskip(NEXT) | instid1(VALU_DEP_1)
	v_mul_lo_u32 v3, s7, v2
	v_mul_hi_u32 v3, v2, v3
	s_delay_alu instid0(VALU_DEP_1) | instskip(NEXT) | instid1(VALU_DEP_1)
	v_add_nc_u32_e32 v2, v2, v3
	v_mul_hi_u32 v2, v7, v2
	s_delay_alu instid0(VALU_DEP_1) | instskip(NEXT) | instid1(VALU_DEP_1)
	v_mul_lo_u32 v3, v2, s3
	v_sub_nc_u32_e32 v3, v7, v3
	v_add_nc_u32_e32 v7, 1, v2
	s_delay_alu instid0(VALU_DEP_2) | instskip(SKIP_1) | instid1(VALU_DEP_2)
	v_subrev_nc_u32_e32 v8, s3, v3
	v_cmp_le_u32_e32 vcc_lo, s3, v3
	v_dual_cndmask_b32 v3, v3, v8 :: v_dual_cndmask_b32 v2, v2, v7
	s_delay_alu instid0(VALU_DEP_1) | instskip(NEXT) | instid1(VALU_DEP_2)
	v_cmp_le_u32_e32 vcc_lo, s3, v3
	v_add_nc_u32_e32 v7, 1, v2
	s_delay_alu instid0(VALU_DEP_1) | instskip(NEXT) | instid1(VALU_DEP_1)
	v_cndmask_b32_e32 v2, v2, v7, vcc_lo
	v_xor_b32_e32 v2, v2, v6
	s_delay_alu instid0(VALU_DEP_1) | instskip(NEXT) | instid1(VALU_DEP_1)
	v_sub_nc_u32_e32 v6, v2, v6
	v_mad_u64_u32 v[2:3], null, v6, s5, v[4:5]
	s_delay_alu instid0(VALU_DEP_1)
	v_ashrrev_i32_e32 v3, 31, v2
.LBB709_2:
	s_load_b128 s[8:11], s[0:1], 0x0
	v_lshlrev_b64 v[0:1], 2, v[0:1]
	v_sub_nc_u32_e32 v9, s4, v5
	v_cmp_gt_i32_e64 s3, s6, v4
	v_dual_mov_b32 v11, 0xff800000 :: v_dual_mov_b32 v6, 0xff800000
	s_delay_alu instid0(VALU_DEP_3) | instskip(NEXT) | instid1(VALU_DEP_3)
	v_cmp_lt_i32_e32 vcc_lo, 0, v9
	s_and_b32 s13, vcc_lo, s3
	s_waitcnt lgkmcnt(0)
	v_add_co_u32 v7, s2, s10, v0
	s_delay_alu instid0(VALU_DEP_1)
	v_add_co_ci_u32_e64 v8, s2, s11, v1, s2
	s_and_saveexec_b32 s2, s13
	s_cbranch_execz .LBB709_4
; %bb.3:
	global_load_b32 v6, v[7:8], off
.LBB709_4:
	s_or_b32 exec_lo, exec_lo, s2
	v_add_nc_u32_e32 v4, 32, v4
	s_delay_alu instid0(VALU_DEP_1) | instskip(NEXT) | instid1(VALU_DEP_1)
	v_cmp_gt_i32_e64 s2, s6, v4
	s_and_b32 s12, vcc_lo, s2
	s_delay_alu instid0(SALU_CYCLE_1)
	s_and_saveexec_b32 s4, s12
	s_cbranch_execz .LBB709_6
; %bb.5:
	global_load_b32 v11, v[7:8], off offset:128
.LBB709_6:
	s_or_b32 exec_lo, exec_lo, s4
	v_cmp_lt_i32_e64 s4, 1, v9
	v_dual_mov_b32 v10, 0xff800000 :: v_dual_mov_b32 v5, 0xff800000
	s_delay_alu instid0(VALU_DEP_2) | instskip(NEXT) | instid1(SALU_CYCLE_1)
	s_and_b32 s11, s4, s3
	s_and_saveexec_b32 s10, s11
	s_cbranch_execz .LBB709_8
; %bb.7:
	s_mov_b32 s7, 0
	s_delay_alu instid0(SALU_CYCLE_1) | instskip(NEXT) | instid1(SALU_CYCLE_1)
	s_lshl_b64 s[16:17], s[6:7], 2
	v_add_co_u32 v4, s5, v7, s16
	s_delay_alu instid0(VALU_DEP_1)
	v_add_co_ci_u32_e64 v5, s5, s17, v8, s5
	global_load_b32 v5, v[4:5], off
.LBB709_8:
	s_or_b32 exec_lo, exec_lo, s10
	s_and_b32 s10, s4, s2
	s_delay_alu instid0(SALU_CYCLE_1)
	s_and_saveexec_b32 s5, s10
	s_cbranch_execz .LBB709_10
; %bb.9:
	s_mov_b32 s7, 0
	s_delay_alu instid0(SALU_CYCLE_1) | instskip(NEXT) | instid1(SALU_CYCLE_1)
	s_lshl_b64 s[16:17], s[6:7], 2
	v_add_co_u32 v7, s4, v7, s16
	s_delay_alu instid0(VALU_DEP_1)
	v_add_co_ci_u32_e64 v8, s4, s17, v8, s4
	global_load_b32 v10, v[7:8], off offset:128
.LBB709_10:
	s_or_b32 exec_lo, exec_lo, s5
	s_load_b64 s[0:1], s[0:1], 0x20
	s_waitcnt vmcnt(0)
	v_mov_b32_e32 v8, v7
	v_mov_b32_e32 v7, v6
	s_waitcnt lgkmcnt(0)
	v_add_co_u32 v2, s0, s0, v2
	s_delay_alu instid0(VALU_DEP_1)
	v_add_co_ci_u32_e64 v3, s0, s1, v3, s0
	s_mov_b32 s1, 0
	s_and_saveexec_b32 s4, s13
	s_cbranch_execz .LBB709_12
; %bb.11:
	global_load_u8 v4, v[2:3], off
	v_mov_b32_e32 v8, v7
	s_waitcnt vmcnt(0)
	v_dual_mov_b32 v7, v6 :: v_dual_and_b32 v4, 1, v4
	s_delay_alu instid0(VALU_DEP_1) | instskip(NEXT) | instid1(VALU_DEP_1)
	v_cmp_eq_u32_e64 s0, 1, v4
	s_xor_b32 s0, s0, -1
	s_delay_alu instid0(SALU_CYCLE_1)
	s_and_b32 s1, s0, exec_lo
.LBB709_12:
	s_or_b32 exec_lo, exec_lo, s4
	s_and_saveexec_b32 s4, s12
	s_cbranch_execz .LBB709_16
; %bb.13:
	global_load_u8 v4, v[2:3], off offset:32
	s_waitcnt vmcnt(0)
	v_and_b32_e32 v4, 1, v4
	s_delay_alu instid0(VALU_DEP_1) | instskip(NEXT) | instid1(VALU_DEP_1)
	v_cmp_eq_u32_e64 s0, 1, v4
	s_xor_b32 s7, s0, -1
	s_mov_b32 s0, s1
	s_and_saveexec_b32 s5, s7
; %bb.14:
	v_cmp_gt_f32_e64 s0, v7, v11
	s_delay_alu instid0(VALU_DEP_1) | instskip(NEXT) | instid1(SALU_CYCLE_1)
	s_and_b32 s0, s1, s0
	v_cndmask_b32_e64 v7, v11, v7, s0
	s_or_b32 s0, s1, exec_lo
; %bb.15:
	s_or_b32 exec_lo, exec_lo, s5
	s_delay_alu instid0(SALU_CYCLE_1) | instskip(SKIP_1) | instid1(SALU_CYCLE_1)
	s_and_not1_b32 s1, s1, exec_lo
	s_and_b32 s0, s0, exec_lo
	s_or_b32 s1, s1, s0
.LBB709_16:
	s_or_b32 exec_lo, exec_lo, s4
	v_cndmask_b32_e64 v4, 0xff800000, v7, s1
	v_mov_b32_e32 v8, v5
	s_and_b32 s0, s14, exec_lo
	s_mov_b32 s4, 0
	s_cselect_b32 s1, 0, s6
	v_mov_b32_e32 v7, v4
	s_and_saveexec_b32 s5, s11
	s_cbranch_execz .LBB709_18
; %bb.17:
	s_ashr_i32 s4, s1, 31
	v_add_co_u32 v7, s0, v2, s1
	s_delay_alu instid0(VALU_DEP_1) | instskip(SKIP_3) | instid1(VALU_DEP_1)
	v_add_co_ci_u32_e64 v8, s0, s4, v3, s0
	global_load_u8 v7, v[7:8], off
	s_waitcnt vmcnt(0)
	v_and_b32_e32 v7, 1, v7
	v_cmp_eq_u32_e64 s0, 1, v7
	v_dual_mov_b32 v8, v5 :: v_dual_mov_b32 v7, v4
	s_delay_alu instid0(VALU_DEP_2) | instskip(NEXT) | instid1(SALU_CYCLE_1)
	s_xor_b32 s0, s0, -1
	s_and_b32 s4, s0, exec_lo
.LBB709_18:
	s_or_b32 exec_lo, exec_lo, s5
	s_and_saveexec_b32 s5, s10
	s_cbranch_execz .LBB709_22
; %bb.19:
	s_ashr_i32 s7, s1, 31
	v_add_co_u32 v12, s0, v2, s1
	s_delay_alu instid0(VALU_DEP_1) | instskip(SKIP_3) | instid1(VALU_DEP_1)
	v_add_co_ci_u32_e64 v13, s0, s7, v3, s0
	global_load_u8 v4, v[12:13], off offset:32
	s_waitcnt vmcnt(0)
	v_and_b32_e32 v4, 1, v4
	v_cmp_eq_u32_e64 s0, 1, v4
	s_delay_alu instid0(VALU_DEP_1)
	s_xor_b32 s14, s0, -1
	s_mov_b32 s0, s4
	s_and_saveexec_b32 s7, s14
; %bb.20:
	v_cmp_gt_f32_e64 s0, v8, v10
	s_delay_alu instid0(VALU_DEP_1) | instskip(NEXT) | instid1(SALU_CYCLE_1)
	s_and_b32 s0, s4, s0
	v_cndmask_b32_e64 v8, v10, v8, s0
	s_or_b32 s0, s4, exec_lo
; %bb.21:
	s_or_b32 exec_lo, exec_lo, s7
	s_delay_alu instid0(SALU_CYCLE_1) | instskip(SKIP_1) | instid1(SALU_CYCLE_1)
	s_and_not1_b32 s4, s4, exec_lo
	s_and_b32 s0, s0, exec_lo
	s_or_b32 s4, s4, s0
.LBB709_22:
	s_or_b32 exec_lo, exec_lo, s5
	v_mbcnt_lo_u32_b32 v4, -1, 0
	v_cndmask_b32_e64 v7, v7, v7, s4
	v_cndmask_b32_e64 v8, 0xff800000, v8, s4
	s_mov_b32 s4, 0
	s_delay_alu instid0(SALU_CYCLE_1) | instskip(SKIP_2) | instid1(VALU_DEP_2)
	s_mov_b32 s5, s4
	v_xor_b32_e32 v12, 16, v4
	v_xor_b32_e32 v13, 8, v4
	v_cmp_gt_i32_e64 s0, 32, v12
	s_delay_alu instid0(VALU_DEP_1) | instskip(NEXT) | instid1(VALU_DEP_3)
	v_cndmask_b32_e64 v12, v4, v12, s0
	v_cmp_gt_i32_e64 s0, 32, v13
	s_delay_alu instid0(VALU_DEP_2) | instskip(NEXT) | instid1(VALU_DEP_2)
	v_lshlrev_b32_e32 v12, 2, v12
	v_cndmask_b32_e64 v13, v4, v13, s0
	ds_bpermute_b32 v14, v12, v7
	ds_bpermute_b32 v15, v12, v8
	v_lshlrev_b32_e32 v13, 2, v13
	s_waitcnt lgkmcnt(1)
	v_cmp_lt_f32_e64 s0, v7, v14
	s_delay_alu instid0(VALU_DEP_1)
	v_cndmask_b32_e64 v7, v7, v14, s0
	s_waitcnt lgkmcnt(0)
	v_cmp_lt_f32_e64 s0, v8, v15
	v_xor_b32_e32 v14, 4, v4
	ds_bpermute_b32 v16, v13, v7
	v_cndmask_b32_e64 v8, v8, v15, s0
	v_cmp_gt_i32_e64 s0, 32, v14
	ds_bpermute_b32 v15, v13, v8
	v_cndmask_b32_e64 v14, v4, v14, s0
	s_delay_alu instid0(VALU_DEP_1) | instskip(SKIP_2) | instid1(VALU_DEP_1)
	v_lshlrev_b32_e32 v14, 2, v14
	s_waitcnt lgkmcnt(1)
	v_cmp_lt_f32_e64 s0, v7, v16
	v_cndmask_b32_e64 v7, v7, v16, s0
	s_waitcnt lgkmcnt(0)
	v_cmp_lt_f32_e64 s0, v8, v15
	ds_bpermute_b32 v16, v14, v7
	v_cndmask_b32_e64 v8, v8, v15, s0
	v_xor_b32_e32 v15, 2, v4
	ds_bpermute_b32 v17, v14, v8
	v_cmp_gt_i32_e64 s0, 32, v15
	s_delay_alu instid0(VALU_DEP_1) | instskip(NEXT) | instid1(VALU_DEP_1)
	v_cndmask_b32_e64 v15, v4, v15, s0
	v_lshlrev_b32_e32 v15, 2, v15
	s_waitcnt lgkmcnt(1)
	v_cmp_lt_f32_e64 s0, v7, v16
	s_delay_alu instid0(VALU_DEP_1)
	v_cndmask_b32_e64 v7, v7, v16, s0
	s_waitcnt lgkmcnt(0)
	v_cmp_lt_f32_e64 s0, v8, v17
	v_xor_b32_e32 v16, 1, v4
	ds_bpermute_b32 v18, v15, v7
	v_cndmask_b32_e64 v8, v8, v17, s0
	v_cmp_gt_i32_e64 s0, 32, v16
	ds_bpermute_b32 v17, v15, v8
	v_cndmask_b32_e64 v4, v4, v16, s0
	s_delay_alu instid0(VALU_DEP_1) | instskip(SKIP_3) | instid1(VALU_DEP_1)
	v_lshlrev_b32_e32 v16, 2, v4
	v_mov_b32_e32 v4, 0
	s_waitcnt lgkmcnt(1)
	v_cmp_lt_f32_e64 s0, v7, v18
	v_cndmask_b32_e64 v20, v7, v18, s0
	s_waitcnt lgkmcnt(0)
	v_cmp_lt_f32_e64 s0, v8, v17
	ds_bpermute_b32 v21, v16, v20
	v_cndmask_b32_e64 v18, v8, v17, s0
	v_dual_mov_b32 v8, s5 :: v_dual_mov_b32 v7, s4
	v_mov_b32_e32 v17, 0
	ds_bpermute_b32 v19, v16, v18
	s_waitcnt lgkmcnt(1)
	v_cmp_lt_f32_e64 s0, v20, v21
	s_delay_alu instid0(VALU_DEP_1)
	v_cndmask_b32_e64 v20, v20, v21, s0
	s_and_saveexec_b32 s7, s13
	s_cbranch_execz .LBB709_26
; %bb.23:
	global_load_u8 v7, v[2:3], off
	v_mov_b32_e32 v17, 0
	s_waitcnt vmcnt(0)
	v_and_b32_e32 v7, 1, v7
	s_delay_alu instid0(VALU_DEP_1) | instskip(SKIP_1) | instid1(VALU_DEP_2)
	v_cmp_eq_u32_e64 s0, 1, v7
	v_dual_mov_b32 v8, s5 :: v_dual_mov_b32 v7, s4
	s_xor_b32 s0, s0, -1
	s_delay_alu instid0(SALU_CYCLE_1)
	s_and_saveexec_b32 s4, s0
	s_cbranch_execz .LBB709_25
; %bb.24:
	v_sub_f32_e32 v6, v6, v20
	s_delay_alu instid0(VALU_DEP_1) | instskip(NEXT) | instid1(VALU_DEP_1)
	v_mul_f32_e32 v7, 0x3fb8aa3b, v6
	v_fma_f32 v8, 0x3fb8aa3b, v6, -v7
	v_rndne_f32_e32 v17, v7
	s_delay_alu instid0(VALU_DEP_1) | instskip(SKIP_1) | instid1(VALU_DEP_2)
	v_dual_sub_f32 v7, v7, v17 :: v_dual_fmamk_f32 v8, v6, 0x32a5705f, v8
	v_cmp_ngt_f32_e64 s0, 0xc2ce8ed0, v6
	v_add_f32_e32 v7, v7, v8
	v_cvt_i32_f32_e32 v8, v17
	s_delay_alu instid0(VALU_DEP_2) | instskip(SKIP_3) | instid1(VALU_DEP_2)
	v_exp_f32_e32 v7, v7
	s_waitcnt_depctr 0xfff
	v_ldexp_f32 v7, v7, v8
	v_mov_b32_e32 v8, 0
	v_cndmask_b32_e64 v7, 0, v7, s0
	v_cmp_nlt_f32_e64 s0, 0x42b17218, v6
	s_delay_alu instid0(VALU_DEP_1) | instskip(NEXT) | instid1(VALU_DEP_1)
	v_cndmask_b32_e64 v7, 0x7f800000, v7, s0
	v_mov_b32_e32 v17, v7
.LBB709_25:
	s_or_b32 exec_lo, exec_lo, s4
.LBB709_26:
	s_delay_alu instid0(SALU_CYCLE_1)
	s_or_b32 exec_lo, exec_lo, s7
	v_mov_b32_e32 v6, 0
	s_and_saveexec_b32 s4, s12
	s_cbranch_execz .LBB709_30
; %bb.27:
	global_load_u8 v6, v[2:3], off offset:32
	s_waitcnt vmcnt(0)
	v_and_b32_e32 v6, 1, v6
	s_delay_alu instid0(VALU_DEP_1) | instskip(SKIP_1) | instid1(VALU_DEP_2)
	v_cmp_eq_u32_e64 s0, 1, v6
	v_mov_b32_e32 v6, 0
	s_xor_b32 s0, s0, -1
	s_delay_alu instid0(SALU_CYCLE_1)
	s_and_saveexec_b32 s5, s0
	s_cbranch_execz .LBB709_29
; %bb.28:
	v_sub_f32_e32 v6, v11, v20
	s_delay_alu instid0(VALU_DEP_1) | instskip(SKIP_1) | instid1(VALU_DEP_2)
	v_mul_f32_e32 v11, 0x3fb8aa3b, v6
	v_cmp_ngt_f32_e64 s0, 0xc2ce8ed0, v6
	v_fma_f32 v20, 0x3fb8aa3b, v6, -v11
	v_rndne_f32_e32 v21, v11
	s_delay_alu instid0(VALU_DEP_1) | instskip(NEXT) | instid1(VALU_DEP_1)
	v_dual_fmamk_f32 v20, v6, 0x32a5705f, v20 :: v_dual_sub_f32 v11, v11, v21
	v_add_f32_e32 v11, v11, v20
	v_cvt_i32_f32_e32 v20, v21
	s_delay_alu instid0(VALU_DEP_2) | instskip(SKIP_2) | instid1(VALU_DEP_1)
	v_exp_f32_e32 v11, v11
	s_waitcnt_depctr 0xfff
	v_ldexp_f32 v11, v11, v20
	v_cndmask_b32_e64 v11, 0, v11, s0
	v_cmp_nlt_f32_e64 s0, 0x42b17218, v6
	s_delay_alu instid0(VALU_DEP_1) | instskip(NEXT) | instid1(VALU_DEP_1)
	v_cndmask_b32_e64 v6, 0x7f800000, v11, s0
	v_add_f32_e32 v7, v7, v6
.LBB709_29:
	s_or_b32 exec_lo, exec_lo, s5
.LBB709_30:
	s_delay_alu instid0(SALU_CYCLE_1) | instskip(SKIP_2) | instid1(VALU_DEP_1)
	s_or_b32 exec_lo, exec_lo, s4
	s_waitcnt lgkmcnt(0)
	v_cmp_lt_f32_e64 s0, v18, v19
	v_cndmask_b32_e64 v11, v18, v19, s0
	s_and_saveexec_b32 s4, s11
	s_cbranch_execz .LBB709_34
; %bb.31:
	s_ashr_i32 s5, s1, 31
	v_add_co_u32 v18, s0, v2, s1
	s_delay_alu instid0(VALU_DEP_1) | instskip(SKIP_3) | instid1(VALU_DEP_1)
	v_add_co_ci_u32_e64 v19, s0, s5, v3, s0
	global_load_u8 v4, v[18:19], off
	s_waitcnt vmcnt(0)
	v_and_b32_e32 v4, 1, v4
	v_cmp_eq_u32_e64 s0, 1, v4
	v_mov_b32_e32 v4, 0
	s_delay_alu instid0(VALU_DEP_2) | instskip(NEXT) | instid1(SALU_CYCLE_1)
	s_xor_b32 s0, s0, -1
	s_and_saveexec_b32 s5, s0
	s_cbranch_execz .LBB709_33
; %bb.32:
	v_sub_f32_e32 v4, v5, v11
	s_delay_alu instid0(VALU_DEP_1) | instskip(SKIP_1) | instid1(VALU_DEP_2)
	v_mul_f32_e32 v5, 0x3fb8aa3b, v4
	v_cmp_ngt_f32_e64 s0, 0xc2ce8ed0, v4
	v_fma_f32 v18, 0x3fb8aa3b, v4, -v5
	v_rndne_f32_e32 v19, v5
	s_delay_alu instid0(VALU_DEP_1) | instskip(NEXT) | instid1(VALU_DEP_1)
	v_dual_fmamk_f32 v18, v4, 0x32a5705f, v18 :: v_dual_sub_f32 v5, v5, v19
	v_add_f32_e32 v5, v5, v18
	v_cvt_i32_f32_e32 v18, v19
	s_delay_alu instid0(VALU_DEP_2) | instskip(SKIP_2) | instid1(VALU_DEP_1)
	v_exp_f32_e32 v5, v5
	s_waitcnt_depctr 0xfff
	v_ldexp_f32 v5, v5, v18
	v_cndmask_b32_e64 v5, 0, v5, s0
	v_cmp_nlt_f32_e64 s0, 0x42b17218, v4
	s_delay_alu instid0(VALU_DEP_1) | instskip(NEXT) | instid1(VALU_DEP_1)
	v_cndmask_b32_e64 v4, 0x7f800000, v5, s0
	v_add_f32_e32 v8, v8, v4
.LBB709_33:
	s_or_b32 exec_lo, exec_lo, s5
.LBB709_34:
	s_delay_alu instid0(SALU_CYCLE_1)
	s_or_b32 exec_lo, exec_lo, s4
	v_mov_b32_e32 v5, 0
	s_and_saveexec_b32 s4, s10
	s_cbranch_execz .LBB709_38
; %bb.35:
	s_ashr_i32 s5, s1, 31
	v_add_co_u32 v2, s0, v2, s1
	s_delay_alu instid0(VALU_DEP_1) | instskip(SKIP_4) | instid1(VALU_DEP_1)
	v_add_co_ci_u32_e64 v3, s0, s5, v3, s0
	v_mov_b32_e32 v5, 0
	global_load_u8 v2, v[2:3], off offset:32
	s_waitcnt vmcnt(0)
	v_and_b32_e32 v2, 1, v2
	v_cmp_eq_u32_e64 s0, 1, v2
	s_delay_alu instid0(VALU_DEP_1) | instskip(NEXT) | instid1(SALU_CYCLE_1)
	s_xor_b32 s0, s0, -1
	s_and_saveexec_b32 s1, s0
	s_cbranch_execz .LBB709_37
; %bb.36:
	v_sub_f32_e32 v2, v10, v11
	s_delay_alu instid0(VALU_DEP_1) | instskip(NEXT) | instid1(VALU_DEP_1)
	v_mul_f32_e32 v3, 0x3fb8aa3b, v2
	v_fma_f32 v5, 0x3fb8aa3b, v2, -v3
	v_rndne_f32_e32 v10, v3
	s_delay_alu instid0(VALU_DEP_1) | instskip(NEXT) | instid1(VALU_DEP_3)
	v_sub_f32_e32 v3, v3, v10
	v_fmamk_f32 v5, v2, 0x32a5705f, v5
	v_cmp_ngt_f32_e64 s0, 0xc2ce8ed0, v2
	s_delay_alu instid0(VALU_DEP_2) | instskip(SKIP_1) | instid1(VALU_DEP_2)
	v_add_f32_e32 v3, v3, v5
	v_cvt_i32_f32_e32 v5, v10
	v_exp_f32_e32 v3, v3
	s_waitcnt_depctr 0xfff
	v_ldexp_f32 v3, v3, v5
	s_delay_alu instid0(VALU_DEP_1) | instskip(SKIP_1) | instid1(VALU_DEP_1)
	v_cndmask_b32_e64 v3, 0, v3, s0
	v_cmp_nlt_f32_e64 s0, 0x42b17218, v2
	v_cndmask_b32_e64 v5, 0x7f800000, v3, s0
	s_delay_alu instid0(VALU_DEP_1)
	v_add_f32_e32 v8, v8, v5
.LBB709_37:
	s_or_b32 exec_lo, exec_lo, s1
.LBB709_38:
	s_delay_alu instid0(SALU_CYCLE_1)
	s_or_b32 exec_lo, exec_lo, s4
	ds_bpermute_b32 v2, v12, v7
	ds_bpermute_b32 v3, v12, v8
	s_waitcnt lgkmcnt(0)
	v_dual_add_f32 v2, v7, v2 :: v_dual_add_f32 v3, v8, v3
	ds_bpermute_b32 v7, v13, v2
	ds_bpermute_b32 v8, v13, v3
	s_waitcnt lgkmcnt(0)
	v_dual_add_f32 v2, v2, v7 :: v_dual_add_f32 v3, v3, v8
	;; [unrolled: 4-line block ×4, first 2 shown]
	ds_bpermute_b32 v8, v16, v7
	ds_bpermute_b32 v3, v16, v2
	s_and_saveexec_b32 s0, vcc_lo
	s_cbranch_execz .LBB709_46
; %bb.39:
	v_add_co_u32 v0, vcc_lo, s8, v0
	v_add_co_ci_u32_e32 v1, vcc_lo, s9, v1, vcc_lo
	s_and_saveexec_b32 s1, s3
	s_cbranch_execz .LBB709_42
; %bb.40:
	s_waitcnt lgkmcnt(1)
	v_add_f32_e32 v7, v7, v8
	s_delay_alu instid0(VALU_DEP_1) | instskip(NEXT) | instid1(VALU_DEP_1)
	v_div_scale_f32 v8, null, v7, v7, v17
	v_rcp_f32_e32 v10, v8
	s_waitcnt_depctr 0xfff
	v_fma_f32 v11, -v8, v10, 1.0
	s_delay_alu instid0(VALU_DEP_1) | instskip(SKIP_1) | instid1(VALU_DEP_1)
	v_fmac_f32_e32 v10, v11, v10
	v_div_scale_f32 v11, vcc_lo, v17, v7, v17
	v_mul_f32_e32 v12, v11, v10
	s_delay_alu instid0(VALU_DEP_1) | instskip(NEXT) | instid1(VALU_DEP_1)
	v_fma_f32 v13, -v8, v12, v11
	v_fmac_f32_e32 v12, v13, v10
	v_cmp_eq_f32_e64 s0, 0, v7
	s_delay_alu instid0(VALU_DEP_2) | instskip(NEXT) | instid1(VALU_DEP_1)
	v_fma_f32 v8, -v8, v12, v11
	v_div_fmas_f32 v8, v8, v10, v12
	s_delay_alu instid0(VALU_DEP_1) | instskip(NEXT) | instid1(VALU_DEP_1)
	v_div_fixup_f32 v8, v8, v7, v17
	v_cndmask_b32_e64 v8, v8, 0x7fc00000, s0
	global_store_b32 v[0:1], v8, off
	s_and_b32 exec_lo, exec_lo, s2
	s_cbranch_execz .LBB709_42
; %bb.41:
	v_div_scale_f32 v8, null, v7, v7, v6
	s_delay_alu instid0(VALU_DEP_1) | instskip(SKIP_2) | instid1(VALU_DEP_1)
	v_rcp_f32_e32 v10, v8
	s_waitcnt_depctr 0xfff
	v_fma_f32 v11, -v8, v10, 1.0
	v_fmac_f32_e32 v10, v11, v10
	v_div_scale_f32 v11, vcc_lo, v6, v7, v6
	s_delay_alu instid0(VALU_DEP_1) | instskip(NEXT) | instid1(VALU_DEP_1)
	v_mul_f32_e32 v12, v11, v10
	v_fma_f32 v13, -v8, v12, v11
	s_delay_alu instid0(VALU_DEP_1) | instskip(NEXT) | instid1(VALU_DEP_1)
	v_fmac_f32_e32 v12, v13, v10
	v_fma_f32 v8, -v8, v12, v11
	s_delay_alu instid0(VALU_DEP_1) | instskip(NEXT) | instid1(VALU_DEP_1)
	v_div_fmas_f32 v8, v8, v10, v12
	v_div_fixup_f32 v6, v8, v7, v6
	s_delay_alu instid0(VALU_DEP_1)
	v_cndmask_b32_e64 v6, v6, 0x7fc00000, s0
	global_store_b32 v[0:1], v6, off offset:128
.LBB709_42:
	s_or_b32 exec_lo, exec_lo, s1
	v_cmp_ne_u32_e32 vcc_lo, 1, v9
	s_and_b32 exec_lo, exec_lo, vcc_lo
	s_cbranch_execz .LBB709_46
; %bb.43:
	s_and_b32 exec_lo, exec_lo, s3
	s_cbranch_execz .LBB709_46
; %bb.44:
	s_waitcnt lgkmcnt(0)
	v_add_f32_e32 v2, v2, v3
	s_mov_b32 s7, 0
	s_delay_alu instid0(SALU_CYCLE_1) | instskip(NEXT) | instid1(VALU_DEP_1)
	s_lshl_b64 s[0:1], s[6:7], 2
	v_div_scale_f32 v3, null, v2, v2, v4
	v_div_scale_f32 v8, vcc_lo, v4, v2, v4
	s_delay_alu instid0(VALU_DEP_2) | instskip(SKIP_2) | instid1(VALU_DEP_1)
	v_rcp_f32_e32 v6, v3
	s_waitcnt_depctr 0xfff
	v_fma_f32 v7, -v3, v6, 1.0
	v_fmac_f32_e32 v6, v7, v6
	s_delay_alu instid0(VALU_DEP_1) | instskip(NEXT) | instid1(VALU_DEP_1)
	v_mul_f32_e32 v7, v8, v6
	v_fma_f32 v9, -v3, v7, v8
	s_delay_alu instid0(VALU_DEP_1) | instskip(NEXT) | instid1(VALU_DEP_1)
	v_fmac_f32_e32 v7, v9, v6
	v_fma_f32 v3, -v3, v7, v8
	s_delay_alu instid0(VALU_DEP_1) | instskip(NEXT) | instid1(VALU_DEP_1)
	v_div_fmas_f32 v3, v3, v6, v7
	v_div_fixup_f32 v6, v3, v2, v4
	v_add_co_u32 v3, vcc_lo, v0, s0
	v_cmp_eq_f32_e64 s0, 0, v2
	v_add_co_ci_u32_e32 v4, vcc_lo, s1, v1, vcc_lo
	s_delay_alu instid0(VALU_DEP_2)
	v_cndmask_b32_e64 v6, v6, 0x7fc00000, s0
	global_store_b32 v[3:4], v6, off
	s_and_b32 exec_lo, exec_lo, s2
	s_cbranch_execz .LBB709_46
; %bb.45:
	v_div_scale_f32 v3, null, v2, v2, v5
	v_div_scale_f32 v7, vcc_lo, v5, v2, v5
	s_ashr_i32 s7, s6, 31
	s_delay_alu instid0(VALU_DEP_2) | instskip(SKIP_3) | instid1(VALU_DEP_1)
	v_rcp_f32_e32 v4, v3
	s_lshl_b64 s[2:3], s[6:7], 2
	s_waitcnt_depctr 0xfff
	v_fma_f32 v6, -v3, v4, 1.0
	v_fmac_f32_e32 v4, v6, v4
	s_delay_alu instid0(VALU_DEP_1) | instskip(NEXT) | instid1(VALU_DEP_1)
	v_mul_f32_e32 v6, v7, v4
	v_fma_f32 v8, -v3, v6, v7
	s_delay_alu instid0(VALU_DEP_1) | instskip(NEXT) | instid1(VALU_DEP_1)
	v_fmac_f32_e32 v6, v8, v4
	v_fma_f32 v3, -v3, v6, v7
	s_delay_alu instid0(VALU_DEP_1) | instskip(SKIP_2) | instid1(VALU_DEP_3)
	v_div_fmas_f32 v3, v3, v4, v6
	v_add_co_u32 v0, vcc_lo, v0, s2
	v_add_co_ci_u32_e32 v1, vcc_lo, s3, v1, vcc_lo
	v_div_fixup_f32 v2, v3, v2, v5
	s_delay_alu instid0(VALU_DEP_1)
	v_cndmask_b32_e64 v2, v2, 0x7fc00000, s0
	global_store_b32 v[0:1], v2, off offset:128
.LBB709_46:
	s_nop 0
	s_sendmsg sendmsg(MSG_DEALLOC_VGPRS)
	s_endpgm
	.section	.rodata,"a",@progbits
	.p2align	6, 0x0
	.amdhsa_kernel _ZN12_GLOBAL__N_120softmax_warp_forwardIfffLi6ELb0ELb1ELi32EEEvPT0_PKT_iiiPKbib
		.amdhsa_group_segment_fixed_size 0
		.amdhsa_private_segment_fixed_size 0
		.amdhsa_kernarg_size 304
		.amdhsa_user_sgpr_count 15
		.amdhsa_user_sgpr_dispatch_ptr 0
		.amdhsa_user_sgpr_queue_ptr 0
		.amdhsa_user_sgpr_kernarg_segment_ptr 1
		.amdhsa_user_sgpr_dispatch_id 0
		.amdhsa_user_sgpr_private_segment_size 0
		.amdhsa_wavefront_size32 1
		.amdhsa_uses_dynamic_stack 0
		.amdhsa_enable_private_segment 0
		.amdhsa_system_sgpr_workgroup_id_x 1
		.amdhsa_system_sgpr_workgroup_id_y 0
		.amdhsa_system_sgpr_workgroup_id_z 0
		.amdhsa_system_sgpr_workgroup_info 0
		.amdhsa_system_vgpr_workitem_id 1
		.amdhsa_next_free_vgpr 22
		.amdhsa_next_free_sgpr 18
		.amdhsa_reserve_vcc 1
		.amdhsa_float_round_mode_32 0
		.amdhsa_float_round_mode_16_64 0
		.amdhsa_float_denorm_mode_32 3
		.amdhsa_float_denorm_mode_16_64 3
		.amdhsa_dx10_clamp 1
		.amdhsa_ieee_mode 1
		.amdhsa_fp16_overflow 0
		.amdhsa_workgroup_processor_mode 1
		.amdhsa_memory_ordered 1
		.amdhsa_forward_progress 0
		.amdhsa_shared_vgpr_count 0
		.amdhsa_exception_fp_ieee_invalid_op 0
		.amdhsa_exception_fp_denorm_src 0
		.amdhsa_exception_fp_ieee_div_zero 0
		.amdhsa_exception_fp_ieee_overflow 0
		.amdhsa_exception_fp_ieee_underflow 0
		.amdhsa_exception_fp_ieee_inexact 0
		.amdhsa_exception_int_div_zero 0
	.end_amdhsa_kernel
	.section	.text._ZN12_GLOBAL__N_120softmax_warp_forwardIfffLi6ELb0ELb1ELi32EEEvPT0_PKT_iiiPKbib,"axG",@progbits,_ZN12_GLOBAL__N_120softmax_warp_forwardIfffLi6ELb0ELb1ELi32EEEvPT0_PKT_iiiPKbib,comdat
.Lfunc_end709:
	.size	_ZN12_GLOBAL__N_120softmax_warp_forwardIfffLi6ELb0ELb1ELi32EEEvPT0_PKT_iiiPKbib, .Lfunc_end709-_ZN12_GLOBAL__N_120softmax_warp_forwardIfffLi6ELb0ELb1ELi32EEEvPT0_PKT_iiiPKbib
                                        ; -- End function
	.section	.AMDGPU.csdata,"",@progbits
; Kernel info:
; codeLenInByte = 3104
; NumSgprs: 20
; NumVgprs: 22
; ScratchSize: 0
; MemoryBound: 0
; FloatMode: 240
; IeeeMode: 1
; LDSByteSize: 0 bytes/workgroup (compile time only)
; SGPRBlocks: 2
; VGPRBlocks: 2
; NumSGPRsForWavesPerEU: 20
; NumVGPRsForWavesPerEU: 22
; Occupancy: 16
; WaveLimiterHint : 0
; COMPUTE_PGM_RSRC2:SCRATCH_EN: 0
; COMPUTE_PGM_RSRC2:USER_SGPR: 15
; COMPUTE_PGM_RSRC2:TRAP_HANDLER: 0
; COMPUTE_PGM_RSRC2:TGID_X_EN: 1
; COMPUTE_PGM_RSRC2:TGID_Y_EN: 0
; COMPUTE_PGM_RSRC2:TGID_Z_EN: 0
; COMPUTE_PGM_RSRC2:TIDIG_COMP_CNT: 1
	.section	.text._ZN12_GLOBAL__N_120softmax_warp_forwardIfffLi7ELb0ELb1ELi64EEEvPT0_PKT_iiiPKbib,"axG",@progbits,_ZN12_GLOBAL__N_120softmax_warp_forwardIfffLi7ELb0ELb1ELi64EEEvPT0_PKT_iiiPKbib,comdat
	.globl	_ZN12_GLOBAL__N_120softmax_warp_forwardIfffLi7ELb0ELb1ELi64EEEvPT0_PKT_iiiPKbib ; -- Begin function _ZN12_GLOBAL__N_120softmax_warp_forwardIfffLi7ELb0ELb1ELi64EEEvPT0_PKT_iiiPKbib
	.p2align	8
	.type	_ZN12_GLOBAL__N_120softmax_warp_forwardIfffLi7ELb0ELb1ELi64EEEvPT0_PKT_iiiPKbib,@function
_ZN12_GLOBAL__N_120softmax_warp_forwardIfffLi7ELb0ELb1ELi64EEEvPT0_PKT_iiiPKbib: ; @_ZN12_GLOBAL__N_120softmax_warp_forwardIfffLi7ELb0ELb1ELi64EEEvPT0_PKT_iiiPKbib
; %bb.0:
	s_clause 0x2
	s_load_b64 s[2:3], s[0:1], 0x28
	s_load_b32 s8, s[0:1], 0x3c
	s_load_b128 s[4:7], s[0:1], 0x10
	v_bfe_u32 v1, v0, 10, 10
	v_and_b32_e32 v4, 0x3ff, v0
	s_waitcnt lgkmcnt(0)
	s_bitcmp1_b32 s3, 0
	s_cselect_b32 s14, -1, 0
	s_lshr_b32 s7, s8, 16
	s_bitcmp0_b32 s3, 0
	s_mul_i32 s15, s15, s7
	s_delay_alu instid0(SALU_CYCLE_1) | instskip(NEXT) | instid1(VALU_DEP_1)
	v_add_lshl_u32 v5, s15, v1, 1
	v_mul_lo_u32 v6, v5, s5
	s_delay_alu instid0(VALU_DEP_1) | instskip(NEXT) | instid1(VALU_DEP_1)
	v_add_nc_u32_e32 v0, v6, v4
	v_ashrrev_i32_e32 v1, 31, v0
	s_delay_alu instid0(VALU_DEP_1)
	v_dual_mov_b32 v3, v1 :: v_dual_mov_b32 v2, v0
	s_cbranch_scc1 .LBB710_2
; %bb.1:
	s_abs_i32 s3, s2
	v_sub_nc_u32_e32 v7, 0, v6
	v_cvt_f32_u32_e32 v2, s3
	s_sub_i32 s7, 0, s3
	s_delay_alu instid0(VALU_DEP_2) | instskip(NEXT) | instid1(VALU_DEP_2)
	v_max_i32_e32 v7, v6, v7
	v_rcp_iflag_f32_e32 v2, v2
	v_xor_b32_e32 v6, s2, v6
	s_delay_alu instid0(VALU_DEP_1) | instskip(SKIP_2) | instid1(VALU_DEP_1)
	v_ashrrev_i32_e32 v6, 31, v6
	s_waitcnt_depctr 0xfff
	v_mul_f32_e32 v2, 0x4f7ffffe, v2
	v_cvt_u32_f32_e32 v2, v2
	s_delay_alu instid0(VALU_DEP_1) | instskip(NEXT) | instid1(VALU_DEP_1)
	v_mul_lo_u32 v3, s7, v2
	v_mul_hi_u32 v3, v2, v3
	s_delay_alu instid0(VALU_DEP_1) | instskip(NEXT) | instid1(VALU_DEP_1)
	v_add_nc_u32_e32 v2, v2, v3
	v_mul_hi_u32 v2, v7, v2
	s_delay_alu instid0(VALU_DEP_1) | instskip(NEXT) | instid1(VALU_DEP_1)
	v_mul_lo_u32 v3, v2, s3
	v_sub_nc_u32_e32 v3, v7, v3
	v_add_nc_u32_e32 v7, 1, v2
	s_delay_alu instid0(VALU_DEP_2) | instskip(SKIP_1) | instid1(VALU_DEP_2)
	v_subrev_nc_u32_e32 v8, s3, v3
	v_cmp_le_u32_e32 vcc_lo, s3, v3
	v_dual_cndmask_b32 v3, v3, v8 :: v_dual_cndmask_b32 v2, v2, v7
	s_delay_alu instid0(VALU_DEP_1) | instskip(NEXT) | instid1(VALU_DEP_2)
	v_cmp_le_u32_e32 vcc_lo, s3, v3
	v_add_nc_u32_e32 v7, 1, v2
	s_delay_alu instid0(VALU_DEP_1) | instskip(NEXT) | instid1(VALU_DEP_1)
	v_cndmask_b32_e32 v2, v2, v7, vcc_lo
	v_xor_b32_e32 v2, v2, v6
	s_delay_alu instid0(VALU_DEP_1) | instskip(NEXT) | instid1(VALU_DEP_1)
	v_sub_nc_u32_e32 v6, v2, v6
	v_mad_u64_u32 v[2:3], null, v6, s5, v[4:5]
	s_delay_alu instid0(VALU_DEP_1)
	v_ashrrev_i32_e32 v3, 31, v2
.LBB710_2:
	s_load_b128 s[8:11], s[0:1], 0x0
	v_lshlrev_b64 v[0:1], 2, v[0:1]
	v_sub_nc_u32_e32 v9, s4, v5
	v_cmp_gt_i32_e64 s3, s6, v4
	v_dual_mov_b32 v11, 0xff800000 :: v_dual_mov_b32 v6, 0xff800000
	s_delay_alu instid0(VALU_DEP_3) | instskip(NEXT) | instid1(VALU_DEP_3)
	v_cmp_lt_i32_e32 vcc_lo, 0, v9
	s_and_b32 s13, vcc_lo, s3
	s_waitcnt lgkmcnt(0)
	v_add_co_u32 v7, s2, s10, v0
	s_delay_alu instid0(VALU_DEP_1)
	v_add_co_ci_u32_e64 v8, s2, s11, v1, s2
	s_and_saveexec_b32 s2, s13
	s_cbranch_execz .LBB710_4
; %bb.3:
	global_load_b32 v6, v[7:8], off
.LBB710_4:
	s_or_b32 exec_lo, exec_lo, s2
	v_add_nc_u32_e32 v4, 64, v4
	s_delay_alu instid0(VALU_DEP_1) | instskip(NEXT) | instid1(VALU_DEP_1)
	v_cmp_gt_i32_e64 s2, s6, v4
	s_and_b32 s12, vcc_lo, s2
	s_delay_alu instid0(SALU_CYCLE_1)
	s_and_saveexec_b32 s4, s12
	s_cbranch_execz .LBB710_6
; %bb.5:
	global_load_b32 v11, v[7:8], off offset:256
.LBB710_6:
	s_or_b32 exec_lo, exec_lo, s4
	v_cmp_lt_i32_e64 s4, 1, v9
	v_dual_mov_b32 v10, 0xff800000 :: v_dual_mov_b32 v5, 0xff800000
	s_delay_alu instid0(VALU_DEP_2) | instskip(NEXT) | instid1(SALU_CYCLE_1)
	s_and_b32 s11, s4, s3
	s_and_saveexec_b32 s10, s11
	s_cbranch_execz .LBB710_8
; %bb.7:
	s_mov_b32 s7, 0
	s_delay_alu instid0(SALU_CYCLE_1) | instskip(NEXT) | instid1(SALU_CYCLE_1)
	s_lshl_b64 s[16:17], s[6:7], 2
	v_add_co_u32 v4, s5, v7, s16
	s_delay_alu instid0(VALU_DEP_1)
	v_add_co_ci_u32_e64 v5, s5, s17, v8, s5
	global_load_b32 v5, v[4:5], off
.LBB710_8:
	s_or_b32 exec_lo, exec_lo, s10
	s_and_b32 s10, s4, s2
	s_delay_alu instid0(SALU_CYCLE_1)
	s_and_saveexec_b32 s5, s10
	s_cbranch_execz .LBB710_10
; %bb.9:
	s_mov_b32 s7, 0
	s_delay_alu instid0(SALU_CYCLE_1) | instskip(NEXT) | instid1(SALU_CYCLE_1)
	s_lshl_b64 s[16:17], s[6:7], 2
	v_add_co_u32 v7, s4, v7, s16
	s_delay_alu instid0(VALU_DEP_1)
	v_add_co_ci_u32_e64 v8, s4, s17, v8, s4
	global_load_b32 v10, v[7:8], off offset:256
.LBB710_10:
	s_or_b32 exec_lo, exec_lo, s5
	s_load_b64 s[0:1], s[0:1], 0x20
	s_waitcnt vmcnt(0)
	v_mov_b32_e32 v8, v7
	v_mov_b32_e32 v7, v6
	s_waitcnt lgkmcnt(0)
	v_add_co_u32 v2, s0, s0, v2
	s_delay_alu instid0(VALU_DEP_1)
	v_add_co_ci_u32_e64 v3, s0, s1, v3, s0
	s_mov_b32 s1, 0
	s_and_saveexec_b32 s4, s13
	s_cbranch_execz .LBB710_12
; %bb.11:
	global_load_u8 v4, v[2:3], off
	v_mov_b32_e32 v8, v7
	s_waitcnt vmcnt(0)
	v_dual_mov_b32 v7, v6 :: v_dual_and_b32 v4, 1, v4
	s_delay_alu instid0(VALU_DEP_1) | instskip(NEXT) | instid1(VALU_DEP_1)
	v_cmp_eq_u32_e64 s0, 1, v4
	s_xor_b32 s0, s0, -1
	s_delay_alu instid0(SALU_CYCLE_1)
	s_and_b32 s1, s0, exec_lo
.LBB710_12:
	s_or_b32 exec_lo, exec_lo, s4
	s_and_saveexec_b32 s4, s12
	s_cbranch_execz .LBB710_16
; %bb.13:
	global_load_u8 v4, v[2:3], off offset:64
	s_waitcnt vmcnt(0)
	v_and_b32_e32 v4, 1, v4
	s_delay_alu instid0(VALU_DEP_1) | instskip(NEXT) | instid1(VALU_DEP_1)
	v_cmp_eq_u32_e64 s0, 1, v4
	s_xor_b32 s7, s0, -1
	s_mov_b32 s0, s1
	s_and_saveexec_b32 s5, s7
; %bb.14:
	v_cmp_gt_f32_e64 s0, v7, v11
	s_delay_alu instid0(VALU_DEP_1) | instskip(NEXT) | instid1(SALU_CYCLE_1)
	s_and_b32 s0, s1, s0
	v_cndmask_b32_e64 v7, v11, v7, s0
	s_or_b32 s0, s1, exec_lo
; %bb.15:
	s_or_b32 exec_lo, exec_lo, s5
	s_delay_alu instid0(SALU_CYCLE_1) | instskip(SKIP_1) | instid1(SALU_CYCLE_1)
	s_and_not1_b32 s1, s1, exec_lo
	s_and_b32 s0, s0, exec_lo
	s_or_b32 s1, s1, s0
.LBB710_16:
	s_or_b32 exec_lo, exec_lo, s4
	v_cndmask_b32_e64 v4, 0xff800000, v7, s1
	v_mov_b32_e32 v8, v5
	s_and_b32 s0, s14, exec_lo
	s_mov_b32 s4, 0
	s_cselect_b32 s1, 0, s6
	v_mov_b32_e32 v7, v4
	s_and_saveexec_b32 s5, s11
	s_cbranch_execz .LBB710_18
; %bb.17:
	s_ashr_i32 s4, s1, 31
	v_add_co_u32 v7, s0, v2, s1
	s_delay_alu instid0(VALU_DEP_1) | instskip(SKIP_3) | instid1(VALU_DEP_1)
	v_add_co_ci_u32_e64 v8, s0, s4, v3, s0
	global_load_u8 v7, v[7:8], off
	s_waitcnt vmcnt(0)
	v_and_b32_e32 v7, 1, v7
	v_cmp_eq_u32_e64 s0, 1, v7
	v_dual_mov_b32 v8, v5 :: v_dual_mov_b32 v7, v4
	s_delay_alu instid0(VALU_DEP_2) | instskip(NEXT) | instid1(SALU_CYCLE_1)
	s_xor_b32 s0, s0, -1
	s_and_b32 s4, s0, exec_lo
.LBB710_18:
	s_or_b32 exec_lo, exec_lo, s5
	s_and_saveexec_b32 s5, s10
	s_cbranch_execz .LBB710_22
; %bb.19:
	s_ashr_i32 s7, s1, 31
	v_add_co_u32 v12, s0, v2, s1
	s_delay_alu instid0(VALU_DEP_1) | instskip(SKIP_3) | instid1(VALU_DEP_1)
	v_add_co_ci_u32_e64 v13, s0, s7, v3, s0
	global_load_u8 v4, v[12:13], off offset:64
	s_waitcnt vmcnt(0)
	v_and_b32_e32 v4, 1, v4
	v_cmp_eq_u32_e64 s0, 1, v4
	s_delay_alu instid0(VALU_DEP_1)
	s_xor_b32 s14, s0, -1
	s_mov_b32 s0, s4
	s_and_saveexec_b32 s7, s14
; %bb.20:
	v_cmp_gt_f32_e64 s0, v8, v10
	s_delay_alu instid0(VALU_DEP_1) | instskip(NEXT) | instid1(SALU_CYCLE_1)
	s_and_b32 s0, s4, s0
	v_cndmask_b32_e64 v8, v10, v8, s0
	s_or_b32 s0, s4, exec_lo
; %bb.21:
	s_or_b32 exec_lo, exec_lo, s7
	s_delay_alu instid0(SALU_CYCLE_1) | instskip(SKIP_1) | instid1(SALU_CYCLE_1)
	s_and_not1_b32 s4, s4, exec_lo
	s_and_b32 s0, s0, exec_lo
	s_or_b32 s4, s4, s0
.LBB710_22:
	s_or_b32 exec_lo, exec_lo, s5
	v_mbcnt_lo_u32_b32 v4, -1, 0
	v_cndmask_b32_e64 v7, v7, v7, s4
	v_cndmask_b32_e64 v8, 0xff800000, v8, s4
	s_mov_b32 s4, 0
	s_delay_alu instid0(SALU_CYCLE_1) | instskip(SKIP_2) | instid1(VALU_DEP_2)
	s_mov_b32 s5, s4
	v_or_b32_e32 v12, 32, v4
	v_xor_b32_e32 v13, 16, v4
	v_cmp_gt_i32_e64 s0, 64, v12
	s_delay_alu instid0(VALU_DEP_1) | instskip(NEXT) | instid1(VALU_DEP_3)
	v_cndmask_b32_e64 v12, v4, v12, s0
	v_cmp_gt_i32_e64 s0, 64, v13
	s_delay_alu instid0(VALU_DEP_2) | instskip(NEXT) | instid1(VALU_DEP_2)
	v_lshlrev_b32_e32 v12, 2, v12
	v_cndmask_b32_e64 v13, v4, v13, s0
	ds_bpermute_b32 v14, v12, v7
	ds_bpermute_b32 v15, v12, v8
	v_lshlrev_b32_e32 v13, 2, v13
	s_waitcnt lgkmcnt(1)
	v_cmp_lt_f32_e64 s0, v7, v14
	s_delay_alu instid0(VALU_DEP_1)
	v_cndmask_b32_e64 v7, v7, v14, s0
	s_waitcnt lgkmcnt(0)
	v_cmp_lt_f32_e64 s0, v8, v15
	v_xor_b32_e32 v14, 8, v4
	ds_bpermute_b32 v16, v13, v7
	v_cndmask_b32_e64 v8, v8, v15, s0
	v_cmp_gt_i32_e64 s0, 64, v14
	ds_bpermute_b32 v15, v13, v8
	v_cndmask_b32_e64 v14, v4, v14, s0
	s_delay_alu instid0(VALU_DEP_1) | instskip(SKIP_2) | instid1(VALU_DEP_1)
	v_lshlrev_b32_e32 v14, 2, v14
	s_waitcnt lgkmcnt(1)
	v_cmp_lt_f32_e64 s0, v7, v16
	v_cndmask_b32_e64 v7, v7, v16, s0
	s_waitcnt lgkmcnt(0)
	v_cmp_lt_f32_e64 s0, v8, v15
	ds_bpermute_b32 v16, v14, v7
	v_cndmask_b32_e64 v8, v8, v15, s0
	v_xor_b32_e32 v15, 4, v4
	ds_bpermute_b32 v17, v14, v8
	v_cmp_gt_i32_e64 s0, 64, v15
	s_delay_alu instid0(VALU_DEP_1) | instskip(NEXT) | instid1(VALU_DEP_1)
	v_cndmask_b32_e64 v15, v4, v15, s0
	v_lshlrev_b32_e32 v15, 2, v15
	s_waitcnt lgkmcnt(1)
	v_cmp_lt_f32_e64 s0, v7, v16
	s_delay_alu instid0(VALU_DEP_1)
	v_cndmask_b32_e64 v7, v7, v16, s0
	s_waitcnt lgkmcnt(0)
	v_cmp_lt_f32_e64 s0, v8, v17
	v_xor_b32_e32 v16, 2, v4
	ds_bpermute_b32 v18, v15, v7
	v_cndmask_b32_e64 v8, v8, v17, s0
	v_cmp_gt_i32_e64 s0, 64, v16
	ds_bpermute_b32 v17, v15, v8
	v_cndmask_b32_e64 v16, v4, v16, s0
	s_delay_alu instid0(VALU_DEP_1) | instskip(SKIP_2) | instid1(VALU_DEP_1)
	v_lshlrev_b32_e32 v16, 2, v16
	s_waitcnt lgkmcnt(1)
	v_cmp_lt_f32_e64 s0, v7, v18
	v_cndmask_b32_e64 v7, v7, v18, s0
	s_waitcnt lgkmcnt(0)
	v_cmp_lt_f32_e64 s0, v8, v17
	ds_bpermute_b32 v18, v16, v7
	v_cndmask_b32_e64 v8, v8, v17, s0
	v_xor_b32_e32 v17, 1, v4
	ds_bpermute_b32 v19, v16, v8
	v_cmp_gt_i32_e64 s0, 64, v17
	s_delay_alu instid0(VALU_DEP_1) | instskip(NEXT) | instid1(VALU_DEP_1)
	v_cndmask_b32_e64 v4, v4, v17, s0
	v_dual_mov_b32 v4, 0 :: v_dual_lshlrev_b32 v17, 2, v4
	s_waitcnt lgkmcnt(1)
	v_cmp_lt_f32_e64 s0, v7, v18
	s_delay_alu instid0(VALU_DEP_1)
	v_cndmask_b32_e64 v18, v7, v18, s0
	s_waitcnt lgkmcnt(0)
	v_cmp_lt_f32_e64 s0, v8, v19
	ds_bpermute_b32 v21, v17, v18
	v_cndmask_b32_e64 v19, v8, v19, s0
	v_dual_mov_b32 v8, s5 :: v_dual_mov_b32 v7, s4
	s_waitcnt lgkmcnt(0)
	v_cmp_lt_f32_e64 s0, v18, v21
	s_delay_alu instid0(VALU_DEP_1)
	v_cndmask_b32_e64 v21, v18, v21, s0
	v_mov_b32_e32 v18, 0
	ds_bpermute_b32 v20, v17, v19
	s_and_saveexec_b32 s7, s13
	s_cbranch_execz .LBB710_26
; %bb.23:
	global_load_u8 v7, v[2:3], off
	s_waitcnt vmcnt(0)
	v_dual_mov_b32 v18, 0 :: v_dual_and_b32 v7, 1, v7
	s_delay_alu instid0(VALU_DEP_1) | instskip(SKIP_1) | instid1(VALU_DEP_2)
	v_cmp_eq_u32_e64 s0, 1, v7
	v_dual_mov_b32 v8, s5 :: v_dual_mov_b32 v7, s4
	s_xor_b32 s0, s0, -1
	s_delay_alu instid0(SALU_CYCLE_1)
	s_and_saveexec_b32 s4, s0
	s_cbranch_execz .LBB710_25
; %bb.24:
	v_sub_f32_e32 v6, v6, v21
	s_delay_alu instid0(VALU_DEP_1) | instskip(NEXT) | instid1(VALU_DEP_1)
	v_mul_f32_e32 v7, 0x3fb8aa3b, v6
	v_fma_f32 v8, 0x3fb8aa3b, v6, -v7
	v_rndne_f32_e32 v18, v7
	s_delay_alu instid0(VALU_DEP_1) | instskip(SKIP_1) | instid1(VALU_DEP_2)
	v_dual_sub_f32 v7, v7, v18 :: v_dual_fmamk_f32 v8, v6, 0x32a5705f, v8
	v_cmp_ngt_f32_e64 s0, 0xc2ce8ed0, v6
	v_add_f32_e32 v7, v7, v8
	v_cvt_i32_f32_e32 v8, v18
	s_delay_alu instid0(VALU_DEP_2) | instskip(SKIP_3) | instid1(VALU_DEP_2)
	v_exp_f32_e32 v7, v7
	s_waitcnt_depctr 0xfff
	v_ldexp_f32 v7, v7, v8
	v_mov_b32_e32 v8, 0
	v_cndmask_b32_e64 v7, 0, v7, s0
	v_cmp_nlt_f32_e64 s0, 0x42b17218, v6
	s_delay_alu instid0(VALU_DEP_1) | instskip(NEXT) | instid1(VALU_DEP_1)
	v_cndmask_b32_e64 v7, 0x7f800000, v7, s0
	v_mov_b32_e32 v18, v7
.LBB710_25:
	s_or_b32 exec_lo, exec_lo, s4
.LBB710_26:
	s_delay_alu instid0(SALU_CYCLE_1)
	s_or_b32 exec_lo, exec_lo, s7
	v_mov_b32_e32 v6, 0
	s_and_saveexec_b32 s4, s12
	s_cbranch_execz .LBB710_30
; %bb.27:
	global_load_u8 v6, v[2:3], off offset:64
	s_waitcnt vmcnt(0)
	v_and_b32_e32 v6, 1, v6
	s_delay_alu instid0(VALU_DEP_1) | instskip(SKIP_1) | instid1(VALU_DEP_2)
	v_cmp_eq_u32_e64 s0, 1, v6
	v_mov_b32_e32 v6, 0
	s_xor_b32 s0, s0, -1
	s_delay_alu instid0(SALU_CYCLE_1)
	s_and_saveexec_b32 s5, s0
	s_cbranch_execz .LBB710_29
; %bb.28:
	v_sub_f32_e32 v6, v11, v21
	s_delay_alu instid0(VALU_DEP_1) | instskip(SKIP_1) | instid1(VALU_DEP_2)
	v_mul_f32_e32 v11, 0x3fb8aa3b, v6
	v_cmp_ngt_f32_e64 s0, 0xc2ce8ed0, v6
	v_fma_f32 v21, 0x3fb8aa3b, v6, -v11
	v_rndne_f32_e32 v22, v11
	s_delay_alu instid0(VALU_DEP_2) | instskip(NEXT) | instid1(VALU_DEP_2)
	v_fmamk_f32 v21, v6, 0x32a5705f, v21
	v_sub_f32_e32 v11, v11, v22
	s_delay_alu instid0(VALU_DEP_1) | instskip(SKIP_1) | instid1(VALU_DEP_2)
	v_add_f32_e32 v11, v11, v21
	v_cvt_i32_f32_e32 v21, v22
	v_exp_f32_e32 v11, v11
	s_waitcnt_depctr 0xfff
	v_ldexp_f32 v11, v11, v21
	s_delay_alu instid0(VALU_DEP_1) | instskip(SKIP_1) | instid1(VALU_DEP_1)
	v_cndmask_b32_e64 v11, 0, v11, s0
	v_cmp_nlt_f32_e64 s0, 0x42b17218, v6
	v_cndmask_b32_e64 v6, 0x7f800000, v11, s0
	s_delay_alu instid0(VALU_DEP_1)
	v_add_f32_e32 v7, v7, v6
.LBB710_29:
	s_or_b32 exec_lo, exec_lo, s5
.LBB710_30:
	s_delay_alu instid0(SALU_CYCLE_1) | instskip(SKIP_2) | instid1(VALU_DEP_1)
	s_or_b32 exec_lo, exec_lo, s4
	s_waitcnt lgkmcnt(0)
	v_cmp_lt_f32_e64 s0, v19, v20
	v_cndmask_b32_e64 v11, v19, v20, s0
	s_and_saveexec_b32 s4, s11
	s_cbranch_execz .LBB710_34
; %bb.31:
	s_ashr_i32 s5, s1, 31
	v_add_co_u32 v19, s0, v2, s1
	s_delay_alu instid0(VALU_DEP_1) | instskip(SKIP_3) | instid1(VALU_DEP_1)
	v_add_co_ci_u32_e64 v20, s0, s5, v3, s0
	global_load_u8 v4, v[19:20], off
	s_waitcnt vmcnt(0)
	v_and_b32_e32 v4, 1, v4
	v_cmp_eq_u32_e64 s0, 1, v4
	v_mov_b32_e32 v4, 0
	s_delay_alu instid0(VALU_DEP_2) | instskip(NEXT) | instid1(SALU_CYCLE_1)
	s_xor_b32 s0, s0, -1
	s_and_saveexec_b32 s5, s0
	s_cbranch_execz .LBB710_33
; %bb.32:
	v_sub_f32_e32 v4, v5, v11
	s_delay_alu instid0(VALU_DEP_1) | instskip(SKIP_1) | instid1(VALU_DEP_2)
	v_mul_f32_e32 v5, 0x3fb8aa3b, v4
	v_cmp_ngt_f32_e64 s0, 0xc2ce8ed0, v4
	v_fma_f32 v19, 0x3fb8aa3b, v4, -v5
	v_rndne_f32_e32 v20, v5
	s_delay_alu instid0(VALU_DEP_2) | instskip(NEXT) | instid1(VALU_DEP_2)
	v_fmamk_f32 v19, v4, 0x32a5705f, v19
	v_sub_f32_e32 v5, v5, v20
	s_delay_alu instid0(VALU_DEP_1) | instskip(SKIP_1) | instid1(VALU_DEP_2)
	v_add_f32_e32 v5, v5, v19
	v_cvt_i32_f32_e32 v19, v20
	v_exp_f32_e32 v5, v5
	s_waitcnt_depctr 0xfff
	v_ldexp_f32 v5, v5, v19
	s_delay_alu instid0(VALU_DEP_1) | instskip(SKIP_1) | instid1(VALU_DEP_1)
	v_cndmask_b32_e64 v5, 0, v5, s0
	v_cmp_nlt_f32_e64 s0, 0x42b17218, v4
	v_cndmask_b32_e64 v4, 0x7f800000, v5, s0
	s_delay_alu instid0(VALU_DEP_1)
	v_add_f32_e32 v8, v8, v4
.LBB710_33:
	s_or_b32 exec_lo, exec_lo, s5
.LBB710_34:
	s_delay_alu instid0(SALU_CYCLE_1)
	s_or_b32 exec_lo, exec_lo, s4
	v_mov_b32_e32 v5, 0
	s_and_saveexec_b32 s4, s10
	s_cbranch_execz .LBB710_38
; %bb.35:
	s_ashr_i32 s5, s1, 31
	v_add_co_u32 v2, s0, v2, s1
	s_delay_alu instid0(VALU_DEP_1) | instskip(SKIP_4) | instid1(VALU_DEP_1)
	v_add_co_ci_u32_e64 v3, s0, s5, v3, s0
	v_mov_b32_e32 v5, 0
	global_load_u8 v2, v[2:3], off offset:64
	s_waitcnt vmcnt(0)
	v_and_b32_e32 v2, 1, v2
	v_cmp_eq_u32_e64 s0, 1, v2
	s_delay_alu instid0(VALU_DEP_1) | instskip(NEXT) | instid1(SALU_CYCLE_1)
	s_xor_b32 s0, s0, -1
	s_and_saveexec_b32 s1, s0
	s_cbranch_execz .LBB710_37
; %bb.36:
	v_sub_f32_e32 v2, v10, v11
	s_delay_alu instid0(VALU_DEP_1) | instskip(NEXT) | instid1(VALU_DEP_1)
	v_mul_f32_e32 v3, 0x3fb8aa3b, v2
	v_fma_f32 v5, 0x3fb8aa3b, v2, -v3
	v_rndne_f32_e32 v10, v3
	s_delay_alu instid0(VALU_DEP_1) | instskip(NEXT) | instid1(VALU_DEP_3)
	v_sub_f32_e32 v3, v3, v10
	v_fmamk_f32 v5, v2, 0x32a5705f, v5
	v_cmp_ngt_f32_e64 s0, 0xc2ce8ed0, v2
	s_delay_alu instid0(VALU_DEP_2) | instskip(SKIP_1) | instid1(VALU_DEP_2)
	v_add_f32_e32 v3, v3, v5
	v_cvt_i32_f32_e32 v5, v10
	v_exp_f32_e32 v3, v3
	s_waitcnt_depctr 0xfff
	v_ldexp_f32 v3, v3, v5
	s_delay_alu instid0(VALU_DEP_1) | instskip(SKIP_1) | instid1(VALU_DEP_1)
	v_cndmask_b32_e64 v3, 0, v3, s0
	v_cmp_nlt_f32_e64 s0, 0x42b17218, v2
	v_cndmask_b32_e64 v5, 0x7f800000, v3, s0
	s_delay_alu instid0(VALU_DEP_1)
	v_add_f32_e32 v8, v8, v5
.LBB710_37:
	s_or_b32 exec_lo, exec_lo, s1
.LBB710_38:
	s_delay_alu instid0(SALU_CYCLE_1)
	s_or_b32 exec_lo, exec_lo, s4
	ds_bpermute_b32 v2, v12, v7
	ds_bpermute_b32 v3, v12, v8
	s_waitcnt lgkmcnt(0)
	v_dual_add_f32 v2, v7, v2 :: v_dual_add_f32 v3, v8, v3
	ds_bpermute_b32 v7, v13, v2
	ds_bpermute_b32 v8, v13, v3
	s_waitcnt lgkmcnt(0)
	v_dual_add_f32 v2, v2, v7 :: v_dual_add_f32 v3, v3, v8
	;; [unrolled: 4-line block ×5, first 2 shown]
	ds_bpermute_b32 v8, v17, v7
	ds_bpermute_b32 v3, v17, v2
	s_and_saveexec_b32 s0, vcc_lo
	s_cbranch_execz .LBB710_46
; %bb.39:
	v_add_co_u32 v0, vcc_lo, s8, v0
	v_add_co_ci_u32_e32 v1, vcc_lo, s9, v1, vcc_lo
	s_and_saveexec_b32 s1, s3
	s_cbranch_execz .LBB710_42
; %bb.40:
	s_waitcnt lgkmcnt(1)
	v_add_f32_e32 v7, v7, v8
	s_delay_alu instid0(VALU_DEP_1) | instskip(NEXT) | instid1(VALU_DEP_1)
	v_div_scale_f32 v8, null, v7, v7, v18
	v_rcp_f32_e32 v10, v8
	s_waitcnt_depctr 0xfff
	v_fma_f32 v11, -v8, v10, 1.0
	s_delay_alu instid0(VALU_DEP_1) | instskip(SKIP_1) | instid1(VALU_DEP_1)
	v_fmac_f32_e32 v10, v11, v10
	v_div_scale_f32 v11, vcc_lo, v18, v7, v18
	v_mul_f32_e32 v12, v11, v10
	s_delay_alu instid0(VALU_DEP_1) | instskip(NEXT) | instid1(VALU_DEP_1)
	v_fma_f32 v13, -v8, v12, v11
	v_fmac_f32_e32 v12, v13, v10
	v_cmp_eq_f32_e64 s0, 0, v7
	s_delay_alu instid0(VALU_DEP_2) | instskip(NEXT) | instid1(VALU_DEP_1)
	v_fma_f32 v8, -v8, v12, v11
	v_div_fmas_f32 v8, v8, v10, v12
	s_delay_alu instid0(VALU_DEP_1) | instskip(NEXT) | instid1(VALU_DEP_1)
	v_div_fixup_f32 v8, v8, v7, v18
	v_cndmask_b32_e64 v8, v8, 0x7fc00000, s0
	global_store_b32 v[0:1], v8, off
	s_and_b32 exec_lo, exec_lo, s2
	s_cbranch_execz .LBB710_42
; %bb.41:
	v_div_scale_f32 v8, null, v7, v7, v6
	s_delay_alu instid0(VALU_DEP_1) | instskip(SKIP_2) | instid1(VALU_DEP_1)
	v_rcp_f32_e32 v10, v8
	s_waitcnt_depctr 0xfff
	v_fma_f32 v11, -v8, v10, 1.0
	v_fmac_f32_e32 v10, v11, v10
	v_div_scale_f32 v11, vcc_lo, v6, v7, v6
	s_delay_alu instid0(VALU_DEP_1) | instskip(NEXT) | instid1(VALU_DEP_1)
	v_mul_f32_e32 v12, v11, v10
	v_fma_f32 v13, -v8, v12, v11
	s_delay_alu instid0(VALU_DEP_1) | instskip(NEXT) | instid1(VALU_DEP_1)
	v_fmac_f32_e32 v12, v13, v10
	v_fma_f32 v8, -v8, v12, v11
	s_delay_alu instid0(VALU_DEP_1) | instskip(NEXT) | instid1(VALU_DEP_1)
	v_div_fmas_f32 v8, v8, v10, v12
	v_div_fixup_f32 v6, v8, v7, v6
	s_delay_alu instid0(VALU_DEP_1)
	v_cndmask_b32_e64 v6, v6, 0x7fc00000, s0
	global_store_b32 v[0:1], v6, off offset:256
.LBB710_42:
	s_or_b32 exec_lo, exec_lo, s1
	v_cmp_ne_u32_e32 vcc_lo, 1, v9
	s_and_b32 exec_lo, exec_lo, vcc_lo
	s_cbranch_execz .LBB710_46
; %bb.43:
	s_and_b32 exec_lo, exec_lo, s3
	s_cbranch_execz .LBB710_46
; %bb.44:
	s_waitcnt lgkmcnt(0)
	v_add_f32_e32 v2, v2, v3
	s_mov_b32 s7, 0
	s_delay_alu instid0(SALU_CYCLE_1) | instskip(NEXT) | instid1(VALU_DEP_1)
	s_lshl_b64 s[0:1], s[6:7], 2
	v_div_scale_f32 v3, null, v2, v2, v4
	v_div_scale_f32 v8, vcc_lo, v4, v2, v4
	s_delay_alu instid0(VALU_DEP_2) | instskip(SKIP_2) | instid1(VALU_DEP_1)
	v_rcp_f32_e32 v6, v3
	s_waitcnt_depctr 0xfff
	v_fma_f32 v7, -v3, v6, 1.0
	v_fmac_f32_e32 v6, v7, v6
	s_delay_alu instid0(VALU_DEP_1) | instskip(NEXT) | instid1(VALU_DEP_1)
	v_mul_f32_e32 v7, v8, v6
	v_fma_f32 v9, -v3, v7, v8
	s_delay_alu instid0(VALU_DEP_1) | instskip(NEXT) | instid1(VALU_DEP_1)
	v_fmac_f32_e32 v7, v9, v6
	v_fma_f32 v3, -v3, v7, v8
	s_delay_alu instid0(VALU_DEP_1) | instskip(NEXT) | instid1(VALU_DEP_1)
	v_div_fmas_f32 v3, v3, v6, v7
	v_div_fixup_f32 v6, v3, v2, v4
	v_add_co_u32 v3, vcc_lo, v0, s0
	v_cmp_eq_f32_e64 s0, 0, v2
	v_add_co_ci_u32_e32 v4, vcc_lo, s1, v1, vcc_lo
	s_delay_alu instid0(VALU_DEP_2)
	v_cndmask_b32_e64 v6, v6, 0x7fc00000, s0
	global_store_b32 v[3:4], v6, off
	s_and_b32 exec_lo, exec_lo, s2
	s_cbranch_execz .LBB710_46
; %bb.45:
	v_div_scale_f32 v3, null, v2, v2, v5
	v_div_scale_f32 v7, vcc_lo, v5, v2, v5
	s_ashr_i32 s7, s6, 31
	s_delay_alu instid0(VALU_DEP_2) | instskip(SKIP_3) | instid1(VALU_DEP_1)
	v_rcp_f32_e32 v4, v3
	s_lshl_b64 s[2:3], s[6:7], 2
	s_waitcnt_depctr 0xfff
	v_fma_f32 v6, -v3, v4, 1.0
	v_fmac_f32_e32 v4, v6, v4
	s_delay_alu instid0(VALU_DEP_1) | instskip(NEXT) | instid1(VALU_DEP_1)
	v_mul_f32_e32 v6, v7, v4
	v_fma_f32 v8, -v3, v6, v7
	s_delay_alu instid0(VALU_DEP_1) | instskip(NEXT) | instid1(VALU_DEP_1)
	v_fmac_f32_e32 v6, v8, v4
	v_fma_f32 v3, -v3, v6, v7
	s_delay_alu instid0(VALU_DEP_1) | instskip(SKIP_2) | instid1(VALU_DEP_3)
	v_div_fmas_f32 v3, v3, v4, v6
	v_add_co_u32 v0, vcc_lo, v0, s2
	v_add_co_ci_u32_e32 v1, vcc_lo, s3, v1, vcc_lo
	v_div_fixup_f32 v2, v3, v2, v5
	s_delay_alu instid0(VALU_DEP_1)
	v_cndmask_b32_e64 v2, v2, 0x7fc00000, s0
	global_store_b32 v[0:1], v2, off offset:256
.LBB710_46:
	s_nop 0
	s_sendmsg sendmsg(MSG_DEALLOC_VGPRS)
	s_endpgm
	.section	.rodata,"a",@progbits
	.p2align	6, 0x0
	.amdhsa_kernel _ZN12_GLOBAL__N_120softmax_warp_forwardIfffLi7ELb0ELb1ELi64EEEvPT0_PKT_iiiPKbib
		.amdhsa_group_segment_fixed_size 0
		.amdhsa_private_segment_fixed_size 0
		.amdhsa_kernarg_size 304
		.amdhsa_user_sgpr_count 15
		.amdhsa_user_sgpr_dispatch_ptr 0
		.amdhsa_user_sgpr_queue_ptr 0
		.amdhsa_user_sgpr_kernarg_segment_ptr 1
		.amdhsa_user_sgpr_dispatch_id 0
		.amdhsa_user_sgpr_private_segment_size 0
		.amdhsa_wavefront_size32 1
		.amdhsa_uses_dynamic_stack 0
		.amdhsa_enable_private_segment 0
		.amdhsa_system_sgpr_workgroup_id_x 1
		.amdhsa_system_sgpr_workgroup_id_y 0
		.amdhsa_system_sgpr_workgroup_id_z 0
		.amdhsa_system_sgpr_workgroup_info 0
		.amdhsa_system_vgpr_workitem_id 1
		.amdhsa_next_free_vgpr 23
		.amdhsa_next_free_sgpr 18
		.amdhsa_reserve_vcc 1
		.amdhsa_float_round_mode_32 0
		.amdhsa_float_round_mode_16_64 0
		.amdhsa_float_denorm_mode_32 3
		.amdhsa_float_denorm_mode_16_64 3
		.amdhsa_dx10_clamp 1
		.amdhsa_ieee_mode 1
		.amdhsa_fp16_overflow 0
		.amdhsa_workgroup_processor_mode 1
		.amdhsa_memory_ordered 1
		.amdhsa_forward_progress 0
		.amdhsa_shared_vgpr_count 0
		.amdhsa_exception_fp_ieee_invalid_op 0
		.amdhsa_exception_fp_denorm_src 0
		.amdhsa_exception_fp_ieee_div_zero 0
		.amdhsa_exception_fp_ieee_overflow 0
		.amdhsa_exception_fp_ieee_underflow 0
		.amdhsa_exception_fp_ieee_inexact 0
		.amdhsa_exception_int_div_zero 0
	.end_amdhsa_kernel
	.section	.text._ZN12_GLOBAL__N_120softmax_warp_forwardIfffLi7ELb0ELb1ELi64EEEvPT0_PKT_iiiPKbib,"axG",@progbits,_ZN12_GLOBAL__N_120softmax_warp_forwardIfffLi7ELb0ELb1ELi64EEEvPT0_PKT_iiiPKbib,comdat
.Lfunc_end710:
	.size	_ZN12_GLOBAL__N_120softmax_warp_forwardIfffLi7ELb0ELb1ELi64EEEvPT0_PKT_iiiPKbib, .Lfunc_end710-_ZN12_GLOBAL__N_120softmax_warp_forwardIfffLi7ELb0ELb1ELi64EEEvPT0_PKT_iiiPKbib
                                        ; -- End function
	.section	.AMDGPU.csdata,"",@progbits
; Kernel info:
; codeLenInByte = 3228
; NumSgprs: 20
; NumVgprs: 23
; ScratchSize: 0
; MemoryBound: 0
; FloatMode: 240
; IeeeMode: 1
; LDSByteSize: 0 bytes/workgroup (compile time only)
; SGPRBlocks: 2
; VGPRBlocks: 2
; NumSGPRsForWavesPerEU: 20
; NumVGPRsForWavesPerEU: 23
; Occupancy: 16
; WaveLimiterHint : 0
; COMPUTE_PGM_RSRC2:SCRATCH_EN: 0
; COMPUTE_PGM_RSRC2:USER_SGPR: 15
; COMPUTE_PGM_RSRC2:TRAP_HANDLER: 0
; COMPUTE_PGM_RSRC2:TGID_X_EN: 1
; COMPUTE_PGM_RSRC2:TGID_Y_EN: 0
; COMPUTE_PGM_RSRC2:TGID_Z_EN: 0
; COMPUTE_PGM_RSRC2:TIDIG_COMP_CNT: 1
	.section	.text._ZN12_GLOBAL__N_120softmax_warp_forwardIfffLi7ELb0ELb1ELi32EEEvPT0_PKT_iiiPKbib,"axG",@progbits,_ZN12_GLOBAL__N_120softmax_warp_forwardIfffLi7ELb0ELb1ELi32EEEvPT0_PKT_iiiPKbib,comdat
	.globl	_ZN12_GLOBAL__N_120softmax_warp_forwardIfffLi7ELb0ELb1ELi32EEEvPT0_PKT_iiiPKbib ; -- Begin function _ZN12_GLOBAL__N_120softmax_warp_forwardIfffLi7ELb0ELb1ELi32EEEvPT0_PKT_iiiPKbib
	.p2align	8
	.type	_ZN12_GLOBAL__N_120softmax_warp_forwardIfffLi7ELb0ELb1ELi32EEEvPT0_PKT_iiiPKbib,@function
_ZN12_GLOBAL__N_120softmax_warp_forwardIfffLi7ELb0ELb1ELi32EEEvPT0_PKT_iiiPKbib: ; @_ZN12_GLOBAL__N_120softmax_warp_forwardIfffLi7ELb0ELb1ELi32EEEvPT0_PKT_iiiPKbib
; %bb.0:
	s_clause 0x2
	s_load_b64 s[2:3], s[0:1], 0x28
	s_load_b32 s4, s[0:1], 0x3c
	s_load_b128 s[8:11], s[0:1], 0x10
	v_bfe_u32 v1, v0, 10, 10
	v_and_b32_e32 v4, 0x3ff, v0
	s_waitcnt lgkmcnt(0)
	s_bitcmp1_b32 s3, 0
	s_cselect_b32 s20, -1, 0
	s_lshr_b32 s4, s4, 16
	s_bitcmp0_b32 s3, 0
	s_mul_i32 s15, s15, s4
	s_delay_alu instid0(SALU_CYCLE_1) | instskip(NEXT) | instid1(VALU_DEP_1)
	v_add_lshl_u32 v5, s15, v1, 1
	v_mul_lo_u32 v6, v5, s9
	s_delay_alu instid0(VALU_DEP_1) | instskip(NEXT) | instid1(VALU_DEP_1)
	v_add_nc_u32_e32 v0, v6, v4
	v_ashrrev_i32_e32 v1, 31, v0
	s_delay_alu instid0(VALU_DEP_1)
	v_dual_mov_b32 v3, v1 :: v_dual_mov_b32 v2, v0
	s_cbranch_scc1 .LBB711_2
; %bb.1:
	s_abs_i32 s3, s2
	v_sub_nc_u32_e32 v7, 0, v6
	v_cvt_f32_u32_e32 v2, s3
	s_sub_i32 s4, 0, s3
	s_delay_alu instid0(VALU_DEP_2) | instskip(NEXT) | instid1(VALU_DEP_2)
	v_max_i32_e32 v7, v6, v7
	v_rcp_iflag_f32_e32 v2, v2
	v_xor_b32_e32 v6, s2, v6
	s_delay_alu instid0(VALU_DEP_1) | instskip(SKIP_2) | instid1(VALU_DEP_1)
	v_ashrrev_i32_e32 v6, 31, v6
	s_waitcnt_depctr 0xfff
	v_mul_f32_e32 v2, 0x4f7ffffe, v2
	v_cvt_u32_f32_e32 v2, v2
	s_delay_alu instid0(VALU_DEP_1) | instskip(NEXT) | instid1(VALU_DEP_1)
	v_mul_lo_u32 v3, s4, v2
	v_mul_hi_u32 v3, v2, v3
	s_delay_alu instid0(VALU_DEP_1) | instskip(NEXT) | instid1(VALU_DEP_1)
	v_add_nc_u32_e32 v2, v2, v3
	v_mul_hi_u32 v2, v7, v2
	s_delay_alu instid0(VALU_DEP_1) | instskip(NEXT) | instid1(VALU_DEP_1)
	v_mul_lo_u32 v3, v2, s3
	v_sub_nc_u32_e32 v3, v7, v3
	v_add_nc_u32_e32 v7, 1, v2
	s_delay_alu instid0(VALU_DEP_2) | instskip(SKIP_1) | instid1(VALU_DEP_2)
	v_subrev_nc_u32_e32 v8, s3, v3
	v_cmp_le_u32_e32 vcc_lo, s3, v3
	v_dual_cndmask_b32 v3, v3, v8 :: v_dual_cndmask_b32 v2, v2, v7
	s_delay_alu instid0(VALU_DEP_1) | instskip(NEXT) | instid1(VALU_DEP_2)
	v_cmp_le_u32_e32 vcc_lo, s3, v3
	v_add_nc_u32_e32 v7, 1, v2
	s_delay_alu instid0(VALU_DEP_1) | instskip(NEXT) | instid1(VALU_DEP_1)
	v_cndmask_b32_e32 v2, v2, v7, vcc_lo
	v_xor_b32_e32 v2, v2, v6
	s_delay_alu instid0(VALU_DEP_1) | instskip(NEXT) | instid1(VALU_DEP_1)
	v_sub_nc_u32_e32 v6, v2, v6
	v_mad_u64_u32 v[2:3], null, v6, s9, v[4:5]
	s_delay_alu instid0(VALU_DEP_1)
	v_ashrrev_i32_e32 v3, 31, v2
.LBB711_2:
	s_load_b128 s[12:15], s[0:1], 0x0
	v_lshlrev_b64 v[0:1], 2, v[0:1]
	v_sub_nc_u32_e32 v9, s8, v5
	v_cmp_gt_i32_e64 s5, s10, v4
	v_dual_mov_b32 v15, 0xff800000 :: v_dual_mov_b32 v6, 0xff800000
	s_delay_alu instid0(VALU_DEP_3) | instskip(NEXT) | instid1(VALU_DEP_3)
	v_cmp_lt_i32_e32 vcc_lo, 0, v9
	s_and_b32 s19, vcc_lo, s5
	s_waitcnt lgkmcnt(0)
	v_add_co_u32 v7, s2, s14, v0
	s_delay_alu instid0(VALU_DEP_1)
	v_add_co_ci_u32_e64 v8, s2, s15, v1, s2
	s_and_saveexec_b32 s2, s19
	s_cbranch_execz .LBB711_4
; %bb.3:
	global_load_b32 v6, v[7:8], off
.LBB711_4:
	s_or_b32 exec_lo, exec_lo, s2
	v_add_nc_u32_e32 v5, 32, v4
	s_delay_alu instid0(VALU_DEP_1) | instskip(NEXT) | instid1(VALU_DEP_1)
	v_cmp_gt_i32_e64 s4, s10, v5
	s_and_b32 s18, vcc_lo, s4
	s_delay_alu instid0(SALU_CYCLE_1)
	s_and_saveexec_b32 s2, s18
	s_cbranch_execz .LBB711_6
; %bb.5:
	global_load_b32 v15, v[7:8], off offset:128
.LBB711_6:
	s_or_b32 exec_lo, exec_lo, s2
	v_dual_mov_b32 v14, 0xff800000 :: v_dual_add_nc_u32 v5, 64, v4
	v_mov_b32_e32 v13, 0xff800000
	s_delay_alu instid0(VALU_DEP_2) | instskip(NEXT) | instid1(VALU_DEP_1)
	v_cmp_gt_i32_e64 s3, s10, v5
	s_and_b32 s17, vcc_lo, s3
	s_delay_alu instid0(SALU_CYCLE_1)
	s_and_saveexec_b32 s2, s17
	s_cbranch_execz .LBB711_8
; %bb.7:
	global_load_b32 v14, v[7:8], off offset:256
.LBB711_8:
	s_or_b32 exec_lo, exec_lo, s2
	v_add_nc_u32_e32 v4, 0x60, v4
	s_delay_alu instid0(VALU_DEP_1) | instskip(NEXT) | instid1(VALU_DEP_1)
	v_cmp_gt_i32_e64 s2, s10, v4
	s_and_b32 s16, vcc_lo, s2
	s_delay_alu instid0(SALU_CYCLE_1)
	s_and_saveexec_b32 s6, s16
	s_cbranch_execz .LBB711_10
; %bb.9:
	global_load_b32 v13, v[7:8], off offset:384
.LBB711_10:
	s_or_b32 exec_lo, exec_lo, s6
	v_cmp_lt_i32_e64 s6, 1, v9
	v_dual_mov_b32 v12, 0xff800000 :: v_dual_mov_b32 v5, 0xff800000
	s_delay_alu instid0(VALU_DEP_2) | instskip(NEXT) | instid1(SALU_CYCLE_1)
	s_and_b32 s15, s6, s5
	s_and_saveexec_b32 s8, s15
	s_cbranch_execz .LBB711_12
; %bb.11:
	s_mov_b32 s11, 0
	s_delay_alu instid0(SALU_CYCLE_1) | instskip(NEXT) | instid1(SALU_CYCLE_1)
	s_lshl_b64 s[22:23], s[10:11], 2
	v_add_co_u32 v4, s7, v7, s22
	s_delay_alu instid0(VALU_DEP_1)
	v_add_co_ci_u32_e64 v5, s7, s23, v8, s7
	global_load_b32 v5, v[4:5], off
.LBB711_12:
	s_or_b32 exec_lo, exec_lo, s8
	s_and_b32 s14, s6, s4
	s_delay_alu instid0(SALU_CYCLE_1)
	s_and_saveexec_b32 s8, s14
	s_cbranch_execz .LBB711_14
; %bb.13:
	s_mov_b32 s11, 0
	s_delay_alu instid0(SALU_CYCLE_1) | instskip(NEXT) | instid1(SALU_CYCLE_1)
	s_lshl_b64 s[22:23], s[10:11], 2
	v_add_co_u32 v10, s7, v7, s22
	s_delay_alu instid0(VALU_DEP_1)
	v_add_co_ci_u32_e64 v11, s7, s23, v8, s7
	global_load_b32 v12, v[10:11], off offset:128
.LBB711_14:
	s_or_b32 exec_lo, exec_lo, s8
	v_dual_mov_b32 v10, 0xff800000 :: v_dual_mov_b32 v11, 0xff800000
	s_and_b32 s9, s6, s3
	s_delay_alu instid0(SALU_CYCLE_1)
	s_and_saveexec_b32 s8, s9
	s_cbranch_execz .LBB711_16
; %bb.15:
	s_mov_b32 s11, 0
	s_delay_alu instid0(SALU_CYCLE_1) | instskip(NEXT) | instid1(SALU_CYCLE_1)
	s_lshl_b64 s[22:23], s[10:11], 2
	v_add_co_u32 v16, s7, v7, s22
	s_delay_alu instid0(VALU_DEP_1)
	v_add_co_ci_u32_e64 v17, s7, s23, v8, s7
	global_load_b32 v11, v[16:17], off offset:256
.LBB711_16:
	s_or_b32 exec_lo, exec_lo, s8
	s_and_b32 s8, s6, s2
	s_delay_alu instid0(SALU_CYCLE_1)
	s_and_saveexec_b32 s7, s8
	s_cbranch_execz .LBB711_18
; %bb.17:
	s_mov_b32 s11, 0
	s_delay_alu instid0(SALU_CYCLE_1) | instskip(NEXT) | instid1(SALU_CYCLE_1)
	s_lshl_b64 s[22:23], s[10:11], 2
	v_add_co_u32 v7, s6, v7, s22
	s_delay_alu instid0(VALU_DEP_1)
	v_add_co_ci_u32_e64 v8, s6, s23, v8, s6
	global_load_b32 v10, v[7:8], off offset:384
.LBB711_18:
	s_or_b32 exec_lo, exec_lo, s7
	s_load_b64 s[0:1], s[0:1], 0x20
	s_waitcnt vmcnt(0)
	v_mov_b32_e32 v8, v7
	v_mov_b32_e32 v7, v6
	s_waitcnt lgkmcnt(0)
	v_add_co_u32 v2, s0, s0, v2
	s_delay_alu instid0(VALU_DEP_1)
	v_add_co_ci_u32_e64 v3, s0, s1, v3, s0
	s_mov_b32 s1, 0
	s_and_saveexec_b32 s6, s19
	s_cbranch_execnz .LBB711_22
; %bb.19:
	s_or_b32 exec_lo, exec_lo, s6
	s_and_saveexec_b32 s6, s18
	s_cbranch_execnz .LBB711_23
.LBB711_20:
	s_or_b32 exec_lo, exec_lo, s6
	s_and_saveexec_b32 s6, s17
	s_cbranch_execnz .LBB711_26
.LBB711_21:
	s_or_b32 exec_lo, exec_lo, s6
	s_and_saveexec_b32 s6, s16
	s_cbranch_execnz .LBB711_29
	s_branch .LBB711_32
.LBB711_22:
	global_load_u8 v4, v[2:3], off
	v_mov_b32_e32 v8, v7
	s_waitcnt vmcnt(0)
	v_dual_mov_b32 v7, v6 :: v_dual_and_b32 v4, 1, v4
	s_delay_alu instid0(VALU_DEP_1) | instskip(NEXT) | instid1(VALU_DEP_1)
	v_cmp_eq_u32_e64 s0, 1, v4
	s_xor_b32 s0, s0, -1
	s_delay_alu instid0(SALU_CYCLE_1)
	s_and_b32 s1, s0, exec_lo
	s_or_b32 exec_lo, exec_lo, s6
	s_and_saveexec_b32 s6, s18
	s_cbranch_execz .LBB711_20
.LBB711_23:
	global_load_u8 v4, v[2:3], off offset:32
	s_waitcnt vmcnt(0)
	v_and_b32_e32 v4, 1, v4
	s_delay_alu instid0(VALU_DEP_1) | instskip(NEXT) | instid1(VALU_DEP_1)
	v_cmp_eq_u32_e64 s0, 1, v4
	s_xor_b32 s11, s0, -1
	s_mov_b32 s0, s1
	s_and_saveexec_b32 s7, s11
; %bb.24:
	v_cmp_gt_f32_e64 s0, v7, v15
	s_delay_alu instid0(VALU_DEP_1) | instskip(NEXT) | instid1(SALU_CYCLE_1)
	s_and_b32 s0, s1, s0
	v_cndmask_b32_e64 v7, v15, v7, s0
	s_or_b32 s0, s1, exec_lo
; %bb.25:
	s_or_b32 exec_lo, exec_lo, s7
	s_delay_alu instid0(SALU_CYCLE_1) | instskip(SKIP_1) | instid1(SALU_CYCLE_1)
	s_and_not1_b32 s1, s1, exec_lo
	s_and_b32 s0, s0, exec_lo
	s_or_b32 s1, s1, s0
	s_or_b32 exec_lo, exec_lo, s6
	s_and_saveexec_b32 s6, s17
	s_cbranch_execz .LBB711_21
.LBB711_26:
	global_load_u8 v4, v[2:3], off offset:64
	s_waitcnt vmcnt(0)
	v_and_b32_e32 v4, 1, v4
	s_delay_alu instid0(VALU_DEP_1) | instskip(NEXT) | instid1(VALU_DEP_1)
	v_cmp_eq_u32_e64 s0, 1, v4
	s_xor_b32 s11, s0, -1
	s_mov_b32 s0, s1
	s_and_saveexec_b32 s7, s11
; %bb.27:
	v_cmp_gt_f32_e64 s0, v7, v14
	s_delay_alu instid0(VALU_DEP_1) | instskip(NEXT) | instid1(SALU_CYCLE_1)
	s_and_b32 s0, s1, s0
	v_cndmask_b32_e64 v7, v14, v7, s0
	s_or_b32 s0, s1, exec_lo
; %bb.28:
	s_or_b32 exec_lo, exec_lo, s7
	s_delay_alu instid0(SALU_CYCLE_1) | instskip(SKIP_1) | instid1(SALU_CYCLE_1)
	s_and_not1_b32 s1, s1, exec_lo
	s_and_b32 s0, s0, exec_lo
	s_or_b32 s1, s1, s0
	s_or_b32 exec_lo, exec_lo, s6
	s_and_saveexec_b32 s6, s16
	s_cbranch_execz .LBB711_32
.LBB711_29:
	global_load_u8 v4, v[2:3], off offset:96
	s_waitcnt vmcnt(0)
	v_and_b32_e32 v4, 1, v4
	s_delay_alu instid0(VALU_DEP_1) | instskip(NEXT) | instid1(VALU_DEP_1)
	v_cmp_eq_u32_e64 s0, 1, v4
	s_xor_b32 s11, s0, -1
	s_mov_b32 s0, s1
	s_and_saveexec_b32 s7, s11
; %bb.30:
	v_cmp_gt_f32_e64 s0, v7, v13
	s_delay_alu instid0(VALU_DEP_1) | instskip(NEXT) | instid1(SALU_CYCLE_1)
	s_and_b32 s0, s1, s0
	v_cndmask_b32_e64 v7, v13, v7, s0
	s_or_b32 s0, s1, exec_lo
; %bb.31:
	s_or_b32 exec_lo, exec_lo, s7
	s_delay_alu instid0(SALU_CYCLE_1) | instskip(SKIP_1) | instid1(SALU_CYCLE_1)
	s_and_not1_b32 s1, s1, exec_lo
	s_and_b32 s0, s0, exec_lo
	s_or_b32 s1, s1, s0
.LBB711_32:
	s_or_b32 exec_lo, exec_lo, s6
	v_cndmask_b32_e64 v4, 0xff800000, v7, s1
	v_mov_b32_e32 v8, v5
	s_and_b32 s0, s20, exec_lo
	s_mov_b32 s6, 0
	s_cselect_b32 s1, 0, s10
	v_mov_b32_e32 v7, v4
	s_and_saveexec_b32 s7, s15
	s_cbranch_execnz .LBB711_36
; %bb.33:
	s_or_b32 exec_lo, exec_lo, s7
	s_and_saveexec_b32 s7, s14
	s_cbranch_execnz .LBB711_37
.LBB711_34:
	s_or_b32 exec_lo, exec_lo, s7
	s_and_saveexec_b32 s7, s9
	s_cbranch_execnz .LBB711_40
.LBB711_35:
	s_or_b32 exec_lo, exec_lo, s7
	s_and_saveexec_b32 s7, s8
	s_cbranch_execnz .LBB711_43
	s_branch .LBB711_46
.LBB711_36:
	s_ashr_i32 s6, s1, 31
	v_add_co_u32 v7, s0, v2, s1
	s_delay_alu instid0(VALU_DEP_1) | instskip(SKIP_3) | instid1(VALU_DEP_1)
	v_add_co_ci_u32_e64 v8, s0, s6, v3, s0
	global_load_u8 v7, v[7:8], off
	s_waitcnt vmcnt(0)
	v_and_b32_e32 v7, 1, v7
	v_cmp_eq_u32_e64 s0, 1, v7
	v_dual_mov_b32 v8, v5 :: v_dual_mov_b32 v7, v4
	s_delay_alu instid0(VALU_DEP_2) | instskip(NEXT) | instid1(SALU_CYCLE_1)
	s_xor_b32 s0, s0, -1
	s_and_b32 s6, s0, exec_lo
	s_or_b32 exec_lo, exec_lo, s7
	s_and_saveexec_b32 s7, s14
	s_cbranch_execz .LBB711_34
.LBB711_37:
	s_ashr_i32 s11, s1, 31
	v_add_co_u32 v16, s0, v2, s1
	s_delay_alu instid0(VALU_DEP_1) | instskip(SKIP_3) | instid1(VALU_DEP_1)
	v_add_co_ci_u32_e64 v17, s0, s11, v3, s0
	global_load_u8 v4, v[16:17], off offset:32
	s_waitcnt vmcnt(0)
	v_and_b32_e32 v4, 1, v4
	v_cmp_eq_u32_e64 s0, 1, v4
	s_delay_alu instid0(VALU_DEP_1)
	s_xor_b32 s20, s0, -1
	s_mov_b32 s0, s6
	s_and_saveexec_b32 s11, s20
; %bb.38:
	v_cmp_gt_f32_e64 s0, v8, v12
	s_delay_alu instid0(VALU_DEP_1) | instskip(NEXT) | instid1(SALU_CYCLE_1)
	s_and_b32 s0, s6, s0
	v_cndmask_b32_e64 v8, v12, v8, s0
	s_or_b32 s0, s6, exec_lo
; %bb.39:
	s_or_b32 exec_lo, exec_lo, s11
	s_delay_alu instid0(SALU_CYCLE_1) | instskip(SKIP_1) | instid1(SALU_CYCLE_1)
	s_and_not1_b32 s6, s6, exec_lo
	s_and_b32 s0, s0, exec_lo
	s_or_b32 s6, s6, s0
	s_or_b32 exec_lo, exec_lo, s7
	s_and_saveexec_b32 s7, s9
	s_cbranch_execz .LBB711_35
.LBB711_40:
	s_ashr_i32 s11, s1, 31
	v_add_co_u32 v16, s0, v2, s1
	s_delay_alu instid0(VALU_DEP_1) | instskip(SKIP_3) | instid1(VALU_DEP_1)
	v_add_co_ci_u32_e64 v17, s0, s11, v3, s0
	global_load_u8 v4, v[16:17], off offset:64
	s_waitcnt vmcnt(0)
	v_and_b32_e32 v4, 1, v4
	v_cmp_eq_u32_e64 s0, 1, v4
	s_delay_alu instid0(VALU_DEP_1)
	s_xor_b32 s20, s0, -1
	s_mov_b32 s0, s6
	s_and_saveexec_b32 s11, s20
; %bb.41:
	v_cmp_gt_f32_e64 s0, v8, v11
	s_delay_alu instid0(VALU_DEP_1) | instskip(NEXT) | instid1(SALU_CYCLE_1)
	s_and_b32 s0, s6, s0
	v_cndmask_b32_e64 v8, v11, v8, s0
	s_or_b32 s0, s6, exec_lo
; %bb.42:
	s_or_b32 exec_lo, exec_lo, s11
	s_delay_alu instid0(SALU_CYCLE_1) | instskip(SKIP_1) | instid1(SALU_CYCLE_1)
	s_and_not1_b32 s6, s6, exec_lo
	s_and_b32 s0, s0, exec_lo
	s_or_b32 s6, s6, s0
	s_or_b32 exec_lo, exec_lo, s7
	s_and_saveexec_b32 s7, s8
	s_cbranch_execz .LBB711_46
.LBB711_43:
	s_ashr_i32 s11, s1, 31
	v_add_co_u32 v16, s0, v2, s1
	s_delay_alu instid0(VALU_DEP_1) | instskip(SKIP_3) | instid1(VALU_DEP_1)
	v_add_co_ci_u32_e64 v17, s0, s11, v3, s0
	global_load_u8 v4, v[16:17], off offset:96
	s_waitcnt vmcnt(0)
	v_and_b32_e32 v4, 1, v4
	v_cmp_eq_u32_e64 s0, 1, v4
	s_delay_alu instid0(VALU_DEP_1)
	s_xor_b32 s20, s0, -1
	s_mov_b32 s0, s6
	s_and_saveexec_b32 s11, s20
; %bb.44:
	v_cmp_gt_f32_e64 s0, v8, v10
	s_delay_alu instid0(VALU_DEP_1) | instskip(NEXT) | instid1(SALU_CYCLE_1)
	s_and_b32 s0, s6, s0
	v_cndmask_b32_e64 v8, v10, v8, s0
	s_or_b32 s0, s6, exec_lo
; %bb.45:
	s_or_b32 exec_lo, exec_lo, s11
	s_delay_alu instid0(SALU_CYCLE_1) | instskip(SKIP_1) | instid1(SALU_CYCLE_1)
	s_and_not1_b32 s6, s6, exec_lo
	s_and_b32 s0, s0, exec_lo
	s_or_b32 s6, s6, s0
.LBB711_46:
	s_or_b32 exec_lo, exec_lo, s7
	v_mbcnt_lo_u32_b32 v4, -1, 0
	v_cndmask_b32_e64 v7, v7, v7, s6
	v_cndmask_b32_e64 v8, 0xff800000, v8, s6
	s_mov_b32 s6, 0
	s_delay_alu instid0(SALU_CYCLE_1) | instskip(SKIP_2) | instid1(VALU_DEP_2)
	s_mov_b32 s7, s6
	v_xor_b32_e32 v16, 16, v4
	v_xor_b32_e32 v17, 8, v4
	v_cmp_gt_i32_e64 s0, 32, v16
	s_delay_alu instid0(VALU_DEP_1) | instskip(NEXT) | instid1(VALU_DEP_3)
	v_cndmask_b32_e64 v16, v4, v16, s0
	v_cmp_gt_i32_e64 s0, 32, v17
	s_delay_alu instid0(VALU_DEP_2) | instskip(NEXT) | instid1(VALU_DEP_2)
	v_lshlrev_b32_e32 v16, 2, v16
	v_cndmask_b32_e64 v17, v4, v17, s0
	ds_bpermute_b32 v18, v16, v7
	ds_bpermute_b32 v19, v16, v8
	v_lshlrev_b32_e32 v17, 2, v17
	s_waitcnt lgkmcnt(1)
	v_cmp_lt_f32_e64 s0, v7, v18
	s_delay_alu instid0(VALU_DEP_1)
	v_cndmask_b32_e64 v7, v7, v18, s0
	s_waitcnt lgkmcnt(0)
	v_cmp_lt_f32_e64 s0, v8, v19
	v_xor_b32_e32 v18, 4, v4
	ds_bpermute_b32 v20, v17, v7
	v_cndmask_b32_e64 v8, v8, v19, s0
	v_cmp_gt_i32_e64 s0, 32, v18
	ds_bpermute_b32 v19, v17, v8
	v_cndmask_b32_e64 v18, v4, v18, s0
	s_delay_alu instid0(VALU_DEP_1) | instskip(SKIP_2) | instid1(VALU_DEP_1)
	v_lshlrev_b32_e32 v18, 2, v18
	s_waitcnt lgkmcnt(1)
	v_cmp_lt_f32_e64 s0, v7, v20
	v_cndmask_b32_e64 v7, v7, v20, s0
	s_waitcnt lgkmcnt(0)
	v_cmp_lt_f32_e64 s0, v8, v19
	ds_bpermute_b32 v20, v18, v7
	v_cndmask_b32_e64 v8, v8, v19, s0
	v_xor_b32_e32 v19, 2, v4
	ds_bpermute_b32 v21, v18, v8
	v_cmp_gt_i32_e64 s0, 32, v19
	s_delay_alu instid0(VALU_DEP_1) | instskip(NEXT) | instid1(VALU_DEP_1)
	v_cndmask_b32_e64 v19, v4, v19, s0
	v_lshlrev_b32_e32 v19, 2, v19
	s_waitcnt lgkmcnt(1)
	v_cmp_lt_f32_e64 s0, v7, v20
	s_delay_alu instid0(VALU_DEP_1)
	v_cndmask_b32_e64 v7, v7, v20, s0
	s_waitcnt lgkmcnt(0)
	v_cmp_lt_f32_e64 s0, v8, v21
	v_xor_b32_e32 v20, 1, v4
	ds_bpermute_b32 v22, v19, v7
	v_cndmask_b32_e64 v8, v8, v21, s0
	v_cmp_gt_i32_e64 s0, 32, v20
	ds_bpermute_b32 v21, v19, v8
	v_cndmask_b32_e64 v4, v4, v20, s0
	s_delay_alu instid0(VALU_DEP_1) | instskip(SKIP_3) | instid1(VALU_DEP_1)
	v_lshlrev_b32_e32 v20, 2, v4
	v_mov_b32_e32 v4, 0
	s_waitcnt lgkmcnt(1)
	v_cmp_lt_f32_e64 s0, v7, v22
	v_cndmask_b32_e64 v24, v7, v22, s0
	s_waitcnt lgkmcnt(0)
	v_cmp_lt_f32_e64 s0, v8, v21
	ds_bpermute_b32 v25, v20, v24
	v_cndmask_b32_e64 v22, v8, v21, s0
	v_dual_mov_b32 v8, s7 :: v_dual_mov_b32 v7, s6
	v_mov_b32_e32 v21, 0
	ds_bpermute_b32 v23, v20, v22
	s_waitcnt lgkmcnt(1)
	v_cmp_lt_f32_e64 s0, v24, v25
	s_delay_alu instid0(VALU_DEP_1)
	v_cndmask_b32_e64 v24, v24, v25, s0
	s_and_saveexec_b32 s11, s19
	s_cbranch_execnz .LBB711_49
; %bb.47:
	s_or_b32 exec_lo, exec_lo, s11
	v_mov_b32_e32 v6, 0
	s_and_saveexec_b32 s6, s18
	s_cbranch_execnz .LBB711_52
.LBB711_48:
	s_or_b32 exec_lo, exec_lo, s6
	s_and_saveexec_b32 s6, s17
	s_cbranch_execnz .LBB711_55
	s_branch .LBB711_58
.LBB711_49:
	global_load_u8 v7, v[2:3], off
	v_mov_b32_e32 v21, 0
	s_waitcnt vmcnt(0)
	v_and_b32_e32 v7, 1, v7
	s_delay_alu instid0(VALU_DEP_1) | instskip(SKIP_1) | instid1(VALU_DEP_2)
	v_cmp_eq_u32_e64 s0, 1, v7
	v_dual_mov_b32 v8, s7 :: v_dual_mov_b32 v7, s6
	s_xor_b32 s0, s0, -1
	s_delay_alu instid0(SALU_CYCLE_1)
	s_and_saveexec_b32 s6, s0
	s_cbranch_execz .LBB711_51
; %bb.50:
	v_sub_f32_e32 v6, v6, v24
	s_delay_alu instid0(VALU_DEP_1) | instskip(NEXT) | instid1(VALU_DEP_1)
	v_mul_f32_e32 v7, 0x3fb8aa3b, v6
	v_fma_f32 v8, 0x3fb8aa3b, v6, -v7
	v_rndne_f32_e32 v21, v7
	s_delay_alu instid0(VALU_DEP_1) | instskip(SKIP_1) | instid1(VALU_DEP_2)
	v_dual_sub_f32 v7, v7, v21 :: v_dual_fmamk_f32 v8, v6, 0x32a5705f, v8
	v_cmp_ngt_f32_e64 s0, 0xc2ce8ed0, v6
	v_add_f32_e32 v7, v7, v8
	v_cvt_i32_f32_e32 v8, v21
	s_delay_alu instid0(VALU_DEP_2) | instskip(SKIP_3) | instid1(VALU_DEP_2)
	v_exp_f32_e32 v7, v7
	s_waitcnt_depctr 0xfff
	v_ldexp_f32 v7, v7, v8
	v_mov_b32_e32 v8, 0
	v_cndmask_b32_e64 v7, 0, v7, s0
	v_cmp_nlt_f32_e64 s0, 0x42b17218, v6
	s_delay_alu instid0(VALU_DEP_1) | instskip(NEXT) | instid1(VALU_DEP_1)
	v_cndmask_b32_e64 v7, 0x7f800000, v7, s0
	v_mov_b32_e32 v21, v7
.LBB711_51:
	s_or_b32 exec_lo, exec_lo, s6
	s_delay_alu instid0(SALU_CYCLE_1)
	s_or_b32 exec_lo, exec_lo, s11
	v_mov_b32_e32 v6, 0
	s_and_saveexec_b32 s6, s18
	s_cbranch_execz .LBB711_48
.LBB711_52:
	global_load_u8 v6, v[2:3], off offset:32
	s_waitcnt vmcnt(0)
	v_and_b32_e32 v6, 1, v6
	s_delay_alu instid0(VALU_DEP_1) | instskip(SKIP_1) | instid1(VALU_DEP_2)
	v_cmp_eq_u32_e64 s0, 1, v6
	v_mov_b32_e32 v6, 0
	s_xor_b32 s0, s0, -1
	s_delay_alu instid0(SALU_CYCLE_1)
	s_and_saveexec_b32 s7, s0
	s_cbranch_execz .LBB711_54
; %bb.53:
	v_sub_f32_e32 v6, v15, v24
	s_delay_alu instid0(VALU_DEP_1) | instskip(SKIP_1) | instid1(VALU_DEP_2)
	v_mul_f32_e32 v15, 0x3fb8aa3b, v6
	v_cmp_ngt_f32_e64 s0, 0xc2ce8ed0, v6
	v_fma_f32 v25, 0x3fb8aa3b, v6, -v15
	v_rndne_f32_e32 v26, v15
	s_delay_alu instid0(VALU_DEP_2) | instskip(NEXT) | instid1(VALU_DEP_2)
	v_fmamk_f32 v25, v6, 0x32a5705f, v25
	v_sub_f32_e32 v15, v15, v26
	s_delay_alu instid0(VALU_DEP_1) | instskip(SKIP_1) | instid1(VALU_DEP_2)
	v_add_f32_e32 v15, v15, v25
	v_cvt_i32_f32_e32 v25, v26
	v_exp_f32_e32 v15, v15
	s_waitcnt_depctr 0xfff
	v_ldexp_f32 v15, v15, v25
	s_delay_alu instid0(VALU_DEP_1) | instskip(SKIP_1) | instid1(VALU_DEP_1)
	v_cndmask_b32_e64 v15, 0, v15, s0
	v_cmp_nlt_f32_e64 s0, 0x42b17218, v6
	v_cndmask_b32_e64 v6, 0x7f800000, v15, s0
	s_delay_alu instid0(VALU_DEP_1)
	v_add_f32_e32 v7, v7, v6
.LBB711_54:
	s_or_b32 exec_lo, exec_lo, s7
	s_delay_alu instid0(SALU_CYCLE_1)
	s_or_b32 exec_lo, exec_lo, s6
	s_and_saveexec_b32 s6, s17
	s_cbranch_execz .LBB711_58
.LBB711_55:
	global_load_u8 v4, v[2:3], off offset:64
	s_waitcnt vmcnt(0)
	v_and_b32_e32 v4, 1, v4
	s_delay_alu instid0(VALU_DEP_1) | instskip(SKIP_1) | instid1(VALU_DEP_2)
	v_cmp_eq_u32_e64 s0, 1, v4
	v_mov_b32_e32 v4, 0
	s_xor_b32 s0, s0, -1
	s_delay_alu instid0(SALU_CYCLE_1)
	s_and_saveexec_b32 s7, s0
	s_cbranch_execz .LBB711_57
; %bb.56:
	v_sub_f32_e32 v4, v14, v24
	s_delay_alu instid0(VALU_DEP_1) | instskip(SKIP_1) | instid1(VALU_DEP_2)
	v_mul_f32_e32 v14, 0x3fb8aa3b, v4
	v_cmp_ngt_f32_e64 s0, 0xc2ce8ed0, v4
	v_fma_f32 v15, 0x3fb8aa3b, v4, -v14
	v_rndne_f32_e32 v25, v14
	s_delay_alu instid0(VALU_DEP_1) | instskip(NEXT) | instid1(VALU_DEP_1)
	v_dual_fmamk_f32 v15, v4, 0x32a5705f, v15 :: v_dual_sub_f32 v14, v14, v25
	v_add_f32_e32 v14, v14, v15
	v_cvt_i32_f32_e32 v15, v25
	s_delay_alu instid0(VALU_DEP_2) | instskip(SKIP_2) | instid1(VALU_DEP_1)
	v_exp_f32_e32 v14, v14
	s_waitcnt_depctr 0xfff
	v_ldexp_f32 v14, v14, v15
	v_cndmask_b32_e64 v14, 0, v14, s0
	v_cmp_nlt_f32_e64 s0, 0x42b17218, v4
	s_delay_alu instid0(VALU_DEP_1) | instskip(NEXT) | instid1(VALU_DEP_1)
	v_cndmask_b32_e64 v4, 0x7f800000, v14, s0
	v_add_f32_e32 v7, v7, v4
.LBB711_57:
	s_or_b32 exec_lo, exec_lo, s7
.LBB711_58:
	s_delay_alu instid0(SALU_CYCLE_1)
	s_or_b32 exec_lo, exec_lo, s6
	v_dual_mov_b32 v14, 0 :: v_dual_mov_b32 v15, 0
	s_and_saveexec_b32 s6, s16
	s_cbranch_execz .LBB711_62
; %bb.59:
	global_load_u8 v15, v[2:3], off offset:96
	s_waitcnt vmcnt(0)
	v_and_b32_e32 v15, 1, v15
	s_delay_alu instid0(VALU_DEP_1) | instskip(SKIP_1) | instid1(VALU_DEP_2)
	v_cmp_eq_u32_e64 s0, 1, v15
	v_mov_b32_e32 v15, 0
	s_xor_b32 s0, s0, -1
	s_delay_alu instid0(SALU_CYCLE_1)
	s_and_saveexec_b32 s7, s0
	s_cbranch_execz .LBB711_61
; %bb.60:
	v_sub_f32_e32 v13, v13, v24
	s_delay_alu instid0(VALU_DEP_1) | instskip(SKIP_1) | instid1(VALU_DEP_2)
	v_mul_f32_e32 v15, 0x3fb8aa3b, v13
	v_cmp_ngt_f32_e64 s0, 0xc2ce8ed0, v13
	v_fma_f32 v24, 0x3fb8aa3b, v13, -v15
	v_rndne_f32_e32 v25, v15
	s_delay_alu instid0(VALU_DEP_1) | instskip(NEXT) | instid1(VALU_DEP_1)
	v_dual_fmamk_f32 v24, v13, 0x32a5705f, v24 :: v_dual_sub_f32 v15, v15, v25
	v_add_f32_e32 v15, v15, v24
	v_cvt_i32_f32_e32 v24, v25
	s_delay_alu instid0(VALU_DEP_2) | instskip(SKIP_2) | instid1(VALU_DEP_1)
	v_exp_f32_e32 v15, v15
	s_waitcnt_depctr 0xfff
	v_ldexp_f32 v15, v15, v24
	v_cndmask_b32_e64 v15, 0, v15, s0
	v_cmp_nlt_f32_e64 s0, 0x42b17218, v13
	s_delay_alu instid0(VALU_DEP_1) | instskip(NEXT) | instid1(VALU_DEP_1)
	v_cndmask_b32_e64 v15, 0x7f800000, v15, s0
	v_add_f32_e32 v7, v7, v15
.LBB711_61:
	s_or_b32 exec_lo, exec_lo, s7
.LBB711_62:
	s_delay_alu instid0(SALU_CYCLE_1) | instskip(SKIP_2) | instid1(VALU_DEP_1)
	s_or_b32 exec_lo, exec_lo, s6
	s_waitcnt lgkmcnt(0)
	v_cmp_lt_f32_e64 s0, v22, v23
	v_cndmask_b32_e64 v22, v22, v23, s0
	s_and_saveexec_b32 s6, s15
	s_cbranch_execz .LBB711_66
; %bb.63:
	s_ashr_i32 s7, s1, 31
	v_add_co_u32 v13, s0, v2, s1
	s_delay_alu instid0(VALU_DEP_1) | instskip(SKIP_3) | instid1(VALU_DEP_1)
	v_add_co_ci_u32_e64 v14, s0, s7, v3, s0
	global_load_u8 v13, v[13:14], off
	s_waitcnt vmcnt(0)
	v_dual_mov_b32 v14, 0 :: v_dual_and_b32 v13, 1, v13
	v_cmp_eq_u32_e64 s0, 1, v13
	s_delay_alu instid0(VALU_DEP_1) | instskip(NEXT) | instid1(SALU_CYCLE_1)
	s_xor_b32 s0, s0, -1
	s_and_saveexec_b32 s7, s0
	s_cbranch_execz .LBB711_65
; %bb.64:
	v_sub_f32_e32 v5, v5, v22
	s_delay_alu instid0(VALU_DEP_1) | instskip(SKIP_1) | instid1(VALU_DEP_2)
	v_mul_f32_e32 v13, 0x3fb8aa3b, v5
	v_cmp_ngt_f32_e64 s0, 0xc2ce8ed0, v5
	v_fma_f32 v14, 0x3fb8aa3b, v5, -v13
	v_rndne_f32_e32 v23, v13
	s_delay_alu instid0(VALU_DEP_2) | instskip(NEXT) | instid1(VALU_DEP_2)
	v_fmamk_f32 v14, v5, 0x32a5705f, v14
	v_sub_f32_e32 v13, v13, v23
	s_delay_alu instid0(VALU_DEP_1) | instskip(SKIP_1) | instid1(VALU_DEP_2)
	v_add_f32_e32 v13, v13, v14
	v_cvt_i32_f32_e32 v14, v23
	v_exp_f32_e32 v13, v13
	s_waitcnt_depctr 0xfff
	v_ldexp_f32 v13, v13, v14
	s_delay_alu instid0(VALU_DEP_1) | instskip(SKIP_1) | instid1(VALU_DEP_1)
	v_cndmask_b32_e64 v13, 0, v13, s0
	v_cmp_nlt_f32_e64 s0, 0x42b17218, v5
	v_cndmask_b32_e64 v14, 0x7f800000, v13, s0
	s_delay_alu instid0(VALU_DEP_1)
	v_add_f32_e32 v8, v8, v14
.LBB711_65:
	s_or_b32 exec_lo, exec_lo, s7
.LBB711_66:
	s_delay_alu instid0(SALU_CYCLE_1)
	s_or_b32 exec_lo, exec_lo, s6
	v_mov_b32_e32 v5, 0
	v_mov_b32_e32 v13, 0
	s_and_saveexec_b32 s6, s14
	s_cbranch_execnz .LBB711_69
; %bb.67:
	s_or_b32 exec_lo, exec_lo, s6
	s_and_saveexec_b32 s6, s9
	s_cbranch_execnz .LBB711_72
.LBB711_68:
	s_or_b32 exec_lo, exec_lo, s6
	v_mov_b32_e32 v11, 0
	s_and_saveexec_b32 s6, s8
	s_cbranch_execnz .LBB711_75
	s_branch .LBB711_78
.LBB711_69:
	s_ashr_i32 s7, s1, 31
	v_add_co_u32 v23, s0, v2, s1
	s_delay_alu instid0(VALU_DEP_1) | instskip(SKIP_3) | instid1(VALU_DEP_1)
	v_add_co_ci_u32_e64 v24, s0, s7, v3, s0
	global_load_u8 v13, v[23:24], off offset:32
	s_waitcnt vmcnt(0)
	v_and_b32_e32 v13, 1, v13
	v_cmp_eq_u32_e64 s0, 1, v13
	v_mov_b32_e32 v13, 0
	s_delay_alu instid0(VALU_DEP_2) | instskip(NEXT) | instid1(SALU_CYCLE_1)
	s_xor_b32 s0, s0, -1
	s_and_saveexec_b32 s7, s0
	s_cbranch_execz .LBB711_71
; %bb.70:
	v_sub_f32_e32 v12, v12, v22
	s_delay_alu instid0(VALU_DEP_1) | instskip(NEXT) | instid1(VALU_DEP_1)
	v_mul_f32_e32 v13, 0x3fb8aa3b, v12
	v_fma_f32 v23, 0x3fb8aa3b, v12, -v13
	v_rndne_f32_e32 v24, v13
	s_delay_alu instid0(VALU_DEP_1) | instskip(NEXT) | instid1(VALU_DEP_3)
	v_sub_f32_e32 v13, v13, v24
	v_fmamk_f32 v23, v12, 0x32a5705f, v23
	v_cmp_ngt_f32_e64 s0, 0xc2ce8ed0, v12
	s_delay_alu instid0(VALU_DEP_2) | instskip(SKIP_1) | instid1(VALU_DEP_2)
	v_add_f32_e32 v13, v13, v23
	v_cvt_i32_f32_e32 v23, v24
	v_exp_f32_e32 v13, v13
	s_waitcnt_depctr 0xfff
	v_ldexp_f32 v13, v13, v23
	s_delay_alu instid0(VALU_DEP_1) | instskip(SKIP_1) | instid1(VALU_DEP_1)
	v_cndmask_b32_e64 v13, 0, v13, s0
	v_cmp_nlt_f32_e64 s0, 0x42b17218, v12
	v_cndmask_b32_e64 v13, 0x7f800000, v13, s0
	s_delay_alu instid0(VALU_DEP_1)
	v_add_f32_e32 v8, v8, v13
.LBB711_71:
	s_or_b32 exec_lo, exec_lo, s7
	s_delay_alu instid0(SALU_CYCLE_1)
	s_or_b32 exec_lo, exec_lo, s6
	s_and_saveexec_b32 s6, s9
	s_cbranch_execz .LBB711_68
.LBB711_72:
	s_ashr_i32 s7, s1, 31
	v_add_co_u32 v23, s0, v2, s1
	s_delay_alu instid0(VALU_DEP_1) | instskip(SKIP_3) | instid1(VALU_DEP_1)
	v_add_co_ci_u32_e64 v24, s0, s7, v3, s0
	global_load_u8 v5, v[23:24], off offset:64
	s_waitcnt vmcnt(0)
	v_and_b32_e32 v5, 1, v5
	v_cmp_eq_u32_e64 s0, 1, v5
	v_mov_b32_e32 v5, 0
	s_delay_alu instid0(VALU_DEP_2) | instskip(NEXT) | instid1(SALU_CYCLE_1)
	s_xor_b32 s0, s0, -1
	s_and_saveexec_b32 s7, s0
	s_cbranch_execz .LBB711_74
; %bb.73:
	v_sub_f32_e32 v5, v11, v22
	s_delay_alu instid0(VALU_DEP_1) | instskip(SKIP_1) | instid1(VALU_DEP_2)
	v_mul_f32_e32 v11, 0x3fb8aa3b, v5
	v_cmp_ngt_f32_e64 s0, 0xc2ce8ed0, v5
	v_fma_f32 v12, 0x3fb8aa3b, v5, -v11
	v_rndne_f32_e32 v23, v11
	s_delay_alu instid0(VALU_DEP_1) | instskip(NEXT) | instid1(VALU_DEP_1)
	v_dual_fmamk_f32 v12, v5, 0x32a5705f, v12 :: v_dual_sub_f32 v11, v11, v23
	v_add_f32_e32 v11, v11, v12
	v_cvt_i32_f32_e32 v12, v23
	s_delay_alu instid0(VALU_DEP_2) | instskip(SKIP_2) | instid1(VALU_DEP_1)
	v_exp_f32_e32 v11, v11
	s_waitcnt_depctr 0xfff
	v_ldexp_f32 v11, v11, v12
	v_cndmask_b32_e64 v11, 0, v11, s0
	v_cmp_nlt_f32_e64 s0, 0x42b17218, v5
	s_delay_alu instid0(VALU_DEP_1) | instskip(NEXT) | instid1(VALU_DEP_1)
	v_cndmask_b32_e64 v5, 0x7f800000, v11, s0
	v_add_f32_e32 v8, v8, v5
.LBB711_74:
	s_or_b32 exec_lo, exec_lo, s7
	s_delay_alu instid0(SALU_CYCLE_1)
	s_or_b32 exec_lo, exec_lo, s6
	v_mov_b32_e32 v11, 0
	s_and_saveexec_b32 s6, s8
	s_cbranch_execz .LBB711_78
.LBB711_75:
	s_ashr_i32 s7, s1, 31
	v_add_co_u32 v2, s0, v2, s1
	s_delay_alu instid0(VALU_DEP_1) | instskip(SKIP_4) | instid1(VALU_DEP_1)
	v_add_co_ci_u32_e64 v3, s0, s7, v3, s0
	v_mov_b32_e32 v11, 0
	global_load_u8 v2, v[2:3], off offset:96
	s_waitcnt vmcnt(0)
	v_and_b32_e32 v2, 1, v2
	v_cmp_eq_u32_e64 s0, 1, v2
	s_delay_alu instid0(VALU_DEP_1) | instskip(NEXT) | instid1(SALU_CYCLE_1)
	s_xor_b32 s0, s0, -1
	s_and_saveexec_b32 s1, s0
	s_cbranch_execz .LBB711_77
; %bb.76:
	v_sub_f32_e32 v2, v10, v22
	s_delay_alu instid0(VALU_DEP_1) | instskip(NEXT) | instid1(VALU_DEP_1)
	v_mul_f32_e32 v3, 0x3fb8aa3b, v2
	v_fma_f32 v10, 0x3fb8aa3b, v2, -v3
	v_rndne_f32_e32 v11, v3
	s_delay_alu instid0(VALU_DEP_1) | instskip(SKIP_1) | instid1(VALU_DEP_2)
	v_dual_sub_f32 v3, v3, v11 :: v_dual_fmamk_f32 v10, v2, 0x32a5705f, v10
	v_cmp_ngt_f32_e64 s0, 0xc2ce8ed0, v2
	v_add_f32_e32 v3, v3, v10
	v_cvt_i32_f32_e32 v10, v11
	s_delay_alu instid0(VALU_DEP_2) | instskip(SKIP_2) | instid1(VALU_DEP_1)
	v_exp_f32_e32 v3, v3
	s_waitcnt_depctr 0xfff
	v_ldexp_f32 v3, v3, v10
	v_cndmask_b32_e64 v3, 0, v3, s0
	v_cmp_nlt_f32_e64 s0, 0x42b17218, v2
	s_delay_alu instid0(VALU_DEP_1) | instskip(NEXT) | instid1(VALU_DEP_1)
	v_cndmask_b32_e64 v11, 0x7f800000, v3, s0
	v_add_f32_e32 v8, v8, v11
.LBB711_77:
	s_or_b32 exec_lo, exec_lo, s1
.LBB711_78:
	s_delay_alu instid0(SALU_CYCLE_1)
	s_or_b32 exec_lo, exec_lo, s6
	ds_bpermute_b32 v2, v16, v7
	ds_bpermute_b32 v3, v16, v8
	s_waitcnt lgkmcnt(0)
	v_dual_add_f32 v2, v7, v2 :: v_dual_add_f32 v3, v8, v3
	ds_bpermute_b32 v7, v17, v2
	ds_bpermute_b32 v8, v17, v3
	s_waitcnt lgkmcnt(0)
	v_dual_add_f32 v2, v2, v7 :: v_dual_add_f32 v3, v3, v8
	;; [unrolled: 4-line block ×4, first 2 shown]
	ds_bpermute_b32 v8, v20, v7
	ds_bpermute_b32 v3, v20, v2
	s_and_saveexec_b32 s0, vcc_lo
	s_cbranch_execz .LBB711_90
; %bb.79:
	v_add_co_u32 v0, vcc_lo, s12, v0
	v_add_co_ci_u32_e32 v1, vcc_lo, s13, v1, vcc_lo
	s_and_saveexec_b32 s1, s5
	s_cbranch_execz .LBB711_84
; %bb.80:
	s_waitcnt lgkmcnt(1)
	v_add_f32_e32 v7, v7, v8
	s_delay_alu instid0(VALU_DEP_1) | instskip(NEXT) | instid1(VALU_DEP_1)
	v_div_scale_f32 v8, null, v7, v7, v21
	v_rcp_f32_e32 v10, v8
	s_waitcnt_depctr 0xfff
	v_fma_f32 v12, -v8, v10, 1.0
	s_delay_alu instid0(VALU_DEP_1) | instskip(SKIP_2) | instid1(VALU_DEP_2)
	v_fmac_f32_e32 v10, v12, v10
	v_div_scale_f32 v12, vcc_lo, v21, v7, v21
	v_cmp_eq_f32_e64 s0, 0, v7
	v_mul_f32_e32 v16, v12, v10
	s_delay_alu instid0(VALU_DEP_1) | instskip(NEXT) | instid1(VALU_DEP_1)
	v_fma_f32 v17, -v8, v16, v12
	v_fmac_f32_e32 v16, v17, v10
	s_delay_alu instid0(VALU_DEP_1) | instskip(NEXT) | instid1(VALU_DEP_1)
	v_fma_f32 v8, -v8, v16, v12
	v_div_fmas_f32 v8, v8, v10, v16
	s_delay_alu instid0(VALU_DEP_1) | instskip(NEXT) | instid1(VALU_DEP_1)
	v_div_fixup_f32 v8, v8, v7, v21
	v_cndmask_b32_e64 v8, v8, 0x7fc00000, s0
	global_store_b32 v[0:1], v8, off
	s_and_b32 exec_lo, exec_lo, s4
	s_cbranch_execz .LBB711_84
; %bb.81:
	v_div_scale_f32 v8, null, v7, v7, v6
	s_delay_alu instid0(VALU_DEP_1) | instskip(SKIP_2) | instid1(VALU_DEP_1)
	v_rcp_f32_e32 v10, v8
	s_waitcnt_depctr 0xfff
	v_fma_f32 v12, -v8, v10, 1.0
	v_fmac_f32_e32 v10, v12, v10
	v_div_scale_f32 v12, vcc_lo, v6, v7, v6
	s_delay_alu instid0(VALU_DEP_1) | instskip(NEXT) | instid1(VALU_DEP_1)
	v_mul_f32_e32 v16, v12, v10
	v_fma_f32 v17, -v8, v16, v12
	s_delay_alu instid0(VALU_DEP_1) | instskip(NEXT) | instid1(VALU_DEP_1)
	v_fmac_f32_e32 v16, v17, v10
	v_fma_f32 v8, -v8, v16, v12
	s_delay_alu instid0(VALU_DEP_1) | instskip(NEXT) | instid1(VALU_DEP_1)
	v_div_fmas_f32 v8, v8, v10, v16
	v_div_fixup_f32 v6, v8, v7, v6
	s_delay_alu instid0(VALU_DEP_1)
	v_cndmask_b32_e64 v6, v6, 0x7fc00000, s0
	global_store_b32 v[0:1], v6, off offset:128
	s_and_b32 exec_lo, exec_lo, s3
	s_cbranch_execz .LBB711_84
; %bb.82:
	v_div_scale_f32 v6, null, v7, v7, v4
	s_delay_alu instid0(VALU_DEP_1) | instskip(SKIP_2) | instid1(VALU_DEP_1)
	v_rcp_f32_e32 v8, v6
	s_waitcnt_depctr 0xfff
	v_fma_f32 v10, -v6, v8, 1.0
	v_fmac_f32_e32 v8, v10, v8
	v_div_scale_f32 v10, vcc_lo, v4, v7, v4
	s_delay_alu instid0(VALU_DEP_1) | instskip(NEXT) | instid1(VALU_DEP_1)
	v_mul_f32_e32 v12, v10, v8
	v_fma_f32 v16, -v6, v12, v10
	s_delay_alu instid0(VALU_DEP_1) | instskip(NEXT) | instid1(VALU_DEP_1)
	v_fmac_f32_e32 v12, v16, v8
	v_fma_f32 v6, -v6, v12, v10
	s_delay_alu instid0(VALU_DEP_1) | instskip(NEXT) | instid1(VALU_DEP_1)
	v_div_fmas_f32 v6, v6, v8, v12
	v_div_fixup_f32 v4, v6, v7, v4
	s_delay_alu instid0(VALU_DEP_1)
	v_cndmask_b32_e64 v4, v4, 0x7fc00000, s0
	global_store_b32 v[0:1], v4, off offset:256
	;; [unrolled: 22-line block ×3, first 2 shown]
.LBB711_84:
	s_or_b32 exec_lo, exec_lo, s1
	v_cmp_ne_u32_e32 vcc_lo, 1, v9
	s_and_b32 exec_lo, exec_lo, vcc_lo
	s_cbranch_execz .LBB711_90
; %bb.85:
	s_and_b32 exec_lo, exec_lo, s5
	s_cbranch_execz .LBB711_90
; %bb.86:
	s_waitcnt lgkmcnt(0)
	v_add_f32_e32 v2, v2, v3
	s_ashr_i32 s11, s10, 31
	s_delay_alu instid0(SALU_CYCLE_1) | instskip(NEXT) | instid1(VALU_DEP_1)
	s_lshl_b64 s[0:1], s[10:11], 2
	v_div_scale_f32 v3, null, v2, v2, v14
	v_div_scale_f32 v7, vcc_lo, v14, v2, v14
	s_delay_alu instid0(VALU_DEP_2) | instskip(SKIP_2) | instid1(VALU_DEP_1)
	v_rcp_f32_e32 v4, v3
	s_waitcnt_depctr 0xfff
	v_fma_f32 v6, -v3, v4, 1.0
	v_fmac_f32_e32 v4, v6, v4
	s_delay_alu instid0(VALU_DEP_1) | instskip(NEXT) | instid1(VALU_DEP_1)
	v_mul_f32_e32 v6, v7, v4
	v_fma_f32 v8, -v3, v6, v7
	s_delay_alu instid0(VALU_DEP_1) | instskip(NEXT) | instid1(VALU_DEP_1)
	v_fmac_f32_e32 v6, v8, v4
	v_fma_f32 v3, -v3, v6, v7
	s_delay_alu instid0(VALU_DEP_1) | instskip(SKIP_3) | instid1(VALU_DEP_4)
	v_div_fmas_f32 v3, v3, v4, v6
	v_add_co_u32 v0, vcc_lo, v0, s0
	v_cmp_eq_f32_e64 s0, 0, v2
	v_add_co_ci_u32_e32 v1, vcc_lo, s1, v1, vcc_lo
	v_div_fixup_f32 v3, v3, v2, v14
	s_delay_alu instid0(VALU_DEP_1)
	v_cndmask_b32_e64 v3, v3, 0x7fc00000, s0
	global_store_b32 v[0:1], v3, off
	s_and_b32 exec_lo, exec_lo, s4
	s_cbranch_execz .LBB711_90
; %bb.87:
	v_div_scale_f32 v3, null, v2, v2, v13
	s_delay_alu instid0(VALU_DEP_1) | instskip(SKIP_2) | instid1(VALU_DEP_1)
	v_rcp_f32_e32 v4, v3
	s_waitcnt_depctr 0xfff
	v_fma_f32 v6, -v3, v4, 1.0
	v_fmac_f32_e32 v4, v6, v4
	v_div_scale_f32 v6, vcc_lo, v13, v2, v13
	s_delay_alu instid0(VALU_DEP_1) | instskip(NEXT) | instid1(VALU_DEP_1)
	v_mul_f32_e32 v7, v6, v4
	v_fma_f32 v8, -v3, v7, v6
	s_delay_alu instid0(VALU_DEP_1) | instskip(NEXT) | instid1(VALU_DEP_1)
	v_fmac_f32_e32 v7, v8, v4
	v_fma_f32 v3, -v3, v7, v6
	s_delay_alu instid0(VALU_DEP_1) | instskip(NEXT) | instid1(VALU_DEP_1)
	v_div_fmas_f32 v3, v3, v4, v7
	v_div_fixup_f32 v3, v3, v2, v13
	s_delay_alu instid0(VALU_DEP_1)
	v_cndmask_b32_e64 v3, v3, 0x7fc00000, s0
	global_store_b32 v[0:1], v3, off offset:128
	s_and_b32 exec_lo, exec_lo, s3
	s_cbranch_execz .LBB711_90
; %bb.88:
	v_div_scale_f32 v3, null, v2, v2, v5
	s_delay_alu instid0(VALU_DEP_1) | instskip(SKIP_2) | instid1(VALU_DEP_1)
	v_rcp_f32_e32 v4, v3
	s_waitcnt_depctr 0xfff
	v_fma_f32 v6, -v3, v4, 1.0
	v_fmac_f32_e32 v4, v6, v4
	v_div_scale_f32 v6, vcc_lo, v5, v2, v5
	s_delay_alu instid0(VALU_DEP_1) | instskip(NEXT) | instid1(VALU_DEP_1)
	v_mul_f32_e32 v7, v6, v4
	v_fma_f32 v8, -v3, v7, v6
	s_delay_alu instid0(VALU_DEP_1) | instskip(NEXT) | instid1(VALU_DEP_1)
	v_fmac_f32_e32 v7, v8, v4
	v_fma_f32 v3, -v3, v7, v6
	s_delay_alu instid0(VALU_DEP_1) | instskip(NEXT) | instid1(VALU_DEP_1)
	v_div_fmas_f32 v3, v3, v4, v7
	v_div_fixup_f32 v3, v3, v2, v5
	s_delay_alu instid0(VALU_DEP_1)
	v_cndmask_b32_e64 v3, v3, 0x7fc00000, s0
	global_store_b32 v[0:1], v3, off offset:256
	;; [unrolled: 22-line block ×3, first 2 shown]
.LBB711_90:
	s_nop 0
	s_sendmsg sendmsg(MSG_DEALLOC_VGPRS)
	s_endpgm
	.section	.rodata,"a",@progbits
	.p2align	6, 0x0
	.amdhsa_kernel _ZN12_GLOBAL__N_120softmax_warp_forwardIfffLi7ELb0ELb1ELi32EEEvPT0_PKT_iiiPKbib
		.amdhsa_group_segment_fixed_size 0
		.amdhsa_private_segment_fixed_size 0
		.amdhsa_kernarg_size 304
		.amdhsa_user_sgpr_count 15
		.amdhsa_user_sgpr_dispatch_ptr 0
		.amdhsa_user_sgpr_queue_ptr 0
		.amdhsa_user_sgpr_kernarg_segment_ptr 1
		.amdhsa_user_sgpr_dispatch_id 0
		.amdhsa_user_sgpr_private_segment_size 0
		.amdhsa_wavefront_size32 1
		.amdhsa_uses_dynamic_stack 0
		.amdhsa_enable_private_segment 0
		.amdhsa_system_sgpr_workgroup_id_x 1
		.amdhsa_system_sgpr_workgroup_id_y 0
		.amdhsa_system_sgpr_workgroup_id_z 0
		.amdhsa_system_sgpr_workgroup_info 0
		.amdhsa_system_vgpr_workitem_id 1
		.amdhsa_next_free_vgpr 27
		.amdhsa_next_free_sgpr 24
		.amdhsa_reserve_vcc 1
		.amdhsa_float_round_mode_32 0
		.amdhsa_float_round_mode_16_64 0
		.amdhsa_float_denorm_mode_32 3
		.amdhsa_float_denorm_mode_16_64 3
		.amdhsa_dx10_clamp 1
		.amdhsa_ieee_mode 1
		.amdhsa_fp16_overflow 0
		.amdhsa_workgroup_processor_mode 1
		.amdhsa_memory_ordered 1
		.amdhsa_forward_progress 0
		.amdhsa_shared_vgpr_count 0
		.amdhsa_exception_fp_ieee_invalid_op 0
		.amdhsa_exception_fp_denorm_src 0
		.amdhsa_exception_fp_ieee_div_zero 0
		.amdhsa_exception_fp_ieee_overflow 0
		.amdhsa_exception_fp_ieee_underflow 0
		.amdhsa_exception_fp_ieee_inexact 0
		.amdhsa_exception_int_div_zero 0
	.end_amdhsa_kernel
	.section	.text._ZN12_GLOBAL__N_120softmax_warp_forwardIfffLi7ELb0ELb1ELi32EEEvPT0_PKT_iiiPKbib,"axG",@progbits,_ZN12_GLOBAL__N_120softmax_warp_forwardIfffLi7ELb0ELb1ELi32EEEvPT0_PKT_iiiPKbib,comdat
.Lfunc_end711:
	.size	_ZN12_GLOBAL__N_120softmax_warp_forwardIfffLi7ELb0ELb1ELi32EEEvPT0_PKT_iiiPKbib, .Lfunc_end711-_ZN12_GLOBAL__N_120softmax_warp_forwardIfffLi7ELb0ELb1ELi32EEEvPT0_PKT_iiiPKbib
                                        ; -- End function
	.section	.AMDGPU.csdata,"",@progbits
; Kernel info:
; codeLenInByte = 5260
; NumSgprs: 26
; NumVgprs: 27
; ScratchSize: 0
; MemoryBound: 0
; FloatMode: 240
; IeeeMode: 1
; LDSByteSize: 0 bytes/workgroup (compile time only)
; SGPRBlocks: 3
; VGPRBlocks: 3
; NumSGPRsForWavesPerEU: 26
; NumVGPRsForWavesPerEU: 27
; Occupancy: 16
; WaveLimiterHint : 0
; COMPUTE_PGM_RSRC2:SCRATCH_EN: 0
; COMPUTE_PGM_RSRC2:USER_SGPR: 15
; COMPUTE_PGM_RSRC2:TRAP_HANDLER: 0
; COMPUTE_PGM_RSRC2:TGID_X_EN: 1
; COMPUTE_PGM_RSRC2:TGID_Y_EN: 0
; COMPUTE_PGM_RSRC2:TGID_Z_EN: 0
; COMPUTE_PGM_RSRC2:TIDIG_COMP_CNT: 1
	.section	.text._ZN12_GLOBAL__N_120softmax_warp_forwardIfffLi8ELb0ELb1ELi64EEEvPT0_PKT_iiiPKbib,"axG",@progbits,_ZN12_GLOBAL__N_120softmax_warp_forwardIfffLi8ELb0ELb1ELi64EEEvPT0_PKT_iiiPKbib,comdat
	.globl	_ZN12_GLOBAL__N_120softmax_warp_forwardIfffLi8ELb0ELb1ELi64EEEvPT0_PKT_iiiPKbib ; -- Begin function _ZN12_GLOBAL__N_120softmax_warp_forwardIfffLi8ELb0ELb1ELi64EEEvPT0_PKT_iiiPKbib
	.p2align	8
	.type	_ZN12_GLOBAL__N_120softmax_warp_forwardIfffLi8ELb0ELb1ELi64EEEvPT0_PKT_iiiPKbib,@function
_ZN12_GLOBAL__N_120softmax_warp_forwardIfffLi8ELb0ELb1ELi64EEEvPT0_PKT_iiiPKbib: ; @_ZN12_GLOBAL__N_120softmax_warp_forwardIfffLi8ELb0ELb1ELi64EEEvPT0_PKT_iiiPKbib
; %bb.0:
	s_clause 0x1
	s_load_b32 s2, s[0:1], 0x3c
	s_load_b128 s[4:7], s[0:1], 0x10
	v_bfe_u32 v3, v0, 10, 10
	s_waitcnt lgkmcnt(0)
	s_lshr_b32 s2, s2, 16
	s_delay_alu instid0(VALU_DEP_1) | instid1(SALU_CYCLE_1)
	v_mad_u64_u32 v[1:2], null, s15, s2, v[3:4]
	s_load_b64 s[2:3], s[0:1], 0x28
	v_and_b32_e32 v2, 0x3ff, v0
	s_delay_alu instid0(VALU_DEP_2) | instskip(NEXT) | instid1(VALU_DEP_1)
	v_mul_lo_u32 v7, v1, s5
	v_add_nc_u32_e32 v5, v7, v2
	s_delay_alu instid0(VALU_DEP_1) | instskip(SKIP_3) | instid1(VALU_DEP_2)
	v_ashrrev_i32_e32 v6, 31, v5
	v_mov_b32_e32 v3, v5
	s_waitcnt lgkmcnt(0)
	s_bitcmp0_b32 s3, 0
	v_mov_b32_e32 v4, v6
	s_cbranch_scc1 .LBB712_2
; %bb.1:
	s_abs_i32 s3, s2
	v_sub_nc_u32_e32 v4, 0, v7
	v_cvt_f32_u32_e32 v0, s3
	s_sub_i32 s7, 0, s3
	s_delay_alu instid0(VALU_DEP_2) | instskip(NEXT) | instid1(VALU_DEP_2)
	v_max_i32_e32 v4, v7, v4
	v_rcp_iflag_f32_e32 v0, v0
	s_waitcnt_depctr 0xfff
	v_mul_f32_e32 v0, 0x4f7ffffe, v0
	s_delay_alu instid0(VALU_DEP_1) | instskip(NEXT) | instid1(VALU_DEP_1)
	v_cvt_u32_f32_e32 v0, v0
	v_mul_lo_u32 v3, s7, v0
	s_delay_alu instid0(VALU_DEP_1) | instskip(NEXT) | instid1(VALU_DEP_1)
	v_mul_hi_u32 v3, v0, v3
	v_add_nc_u32_e32 v0, v0, v3
	s_delay_alu instid0(VALU_DEP_1) | instskip(NEXT) | instid1(VALU_DEP_1)
	v_mul_hi_u32 v0, v4, v0
	v_mul_lo_u32 v3, v0, s3
	s_delay_alu instid0(VALU_DEP_1) | instskip(SKIP_1) | instid1(VALU_DEP_2)
	v_sub_nc_u32_e32 v3, v4, v3
	v_add_nc_u32_e32 v4, 1, v0
	v_subrev_nc_u32_e32 v8, s3, v3
	v_cmp_le_u32_e32 vcc_lo, s3, v3
	s_delay_alu instid0(VALU_DEP_2) | instskip(NEXT) | instid1(VALU_DEP_4)
	v_cndmask_b32_e32 v3, v3, v8, vcc_lo
	v_cndmask_b32_e32 v0, v0, v4, vcc_lo
	v_xor_b32_e32 v4, s2, v7
	s_delay_alu instid0(VALU_DEP_3) | instskip(NEXT) | instid1(VALU_DEP_3)
	v_cmp_le_u32_e32 vcc_lo, s3, v3
	v_add_nc_u32_e32 v7, 1, v0
	s_delay_alu instid0(VALU_DEP_3) | instskip(NEXT) | instid1(VALU_DEP_2)
	v_ashrrev_i32_e32 v4, 31, v4
	v_cndmask_b32_e32 v0, v0, v7, vcc_lo
	s_delay_alu instid0(VALU_DEP_1) | instskip(NEXT) | instid1(VALU_DEP_1)
	v_xor_b32_e32 v0, v0, v4
	v_sub_nc_u32_e32 v0, v0, v4
	s_delay_alu instid0(VALU_DEP_1) | instskip(NEXT) | instid1(VALU_DEP_1)
	v_mad_u64_u32 v[3:4], null, v0, s5, v[2:3]
	v_ashrrev_i32_e32 v4, 31, v3
.LBB712_2:
	s_load_b128 s[8:11], s[0:1], 0x0
	v_sub_nc_u32_e32 v7, s4, v1
	v_lshlrev_b64 v[0:1], 2, v[5:6]
	v_cmp_gt_i32_e32 vcc_lo, s6, v2
	v_dual_mov_b32 v10, 0xff800000 :: v_dual_mov_b32 v11, 0xff800000
	s_delay_alu instid0(VALU_DEP_4) | instskip(SKIP_1) | instid1(VALU_DEP_4)
	v_cmp_lt_i32_e64 s5, 0, v7
	s_waitcnt lgkmcnt(0)
	v_add_co_u32 v5, s2, s10, v0
	s_delay_alu instid0(VALU_DEP_1) | instskip(NEXT) | instid1(VALU_DEP_3)
	v_add_co_ci_u32_e64 v6, s2, s11, v1, s2
	s_and_b32 s11, s5, vcc_lo
	s_delay_alu instid0(SALU_CYCLE_1)
	s_and_saveexec_b32 s2, s11
	s_cbranch_execz .LBB712_4
; %bb.3:
	global_load_b32 v11, v[5:6], off
.LBB712_4:
	s_or_b32 exec_lo, exec_lo, s2
	v_add_nc_u32_e32 v8, 64, v2
	s_delay_alu instid0(VALU_DEP_1) | instskip(NEXT) | instid1(VALU_DEP_1)
	v_cmp_gt_i32_e64 s4, s6, v8
	s_and_b32 s10, s5, s4
	s_delay_alu instid0(SALU_CYCLE_1)
	s_and_saveexec_b32 s2, s10
	s_cbranch_execz .LBB712_6
; %bb.5:
	global_load_b32 v10, v[5:6], off offset:256
.LBB712_6:
	s_or_b32 exec_lo, exec_lo, s2
	v_add_nc_u32_e32 v8, 0x80, v2
	v_mov_b32_e32 v9, 0xff800000
	s_delay_alu instid0(VALU_DEP_2) | instskip(SKIP_1) | instid1(VALU_DEP_2)
	v_cmp_gt_i32_e64 s3, s6, v8
	v_mov_b32_e32 v8, 0xff800000
	s_and_b32 s7, s5, s3
	s_delay_alu instid0(SALU_CYCLE_1)
	s_and_saveexec_b32 s2, s7
	s_cbranch_execz .LBB712_8
; %bb.7:
	global_load_b32 v9, v[5:6], off offset:512
.LBB712_8:
	s_or_b32 exec_lo, exec_lo, s2
	v_add_nc_u32_e32 v2, 0xc0, v2
	s_delay_alu instid0(VALU_DEP_1) | instskip(NEXT) | instid1(VALU_DEP_1)
	v_cmp_gt_i32_e64 s2, s6, v2
	s_and_b32 s5, s5, s2
	s_delay_alu instid0(SALU_CYCLE_1)
	s_and_saveexec_b32 s6, s5
	s_cbranch_execz .LBB712_10
; %bb.9:
	global_load_b32 v8, v[5:6], off offset:768
.LBB712_10:
	s_or_b32 exec_lo, exec_lo, s6
	s_load_b64 s[0:1], s[0:1], 0x20
	s_waitcnt lgkmcnt(0)
	v_add_co_u32 v2, s0, s0, v3
	s_delay_alu instid0(VALU_DEP_1)
	v_add_co_ci_u32_e64 v3, s0, s1, v4, s0
	s_mov_b32 s1, 0
	s_and_saveexec_b32 s6, s11
	s_cbranch_execnz .LBB712_14
; %bb.11:
	s_or_b32 exec_lo, exec_lo, s6
	s_waitcnt vmcnt(0)
	v_mov_b32_e32 v4, v11
	s_and_saveexec_b32 s6, s10
	s_cbranch_execnz .LBB712_15
.LBB712_12:
	s_or_b32 exec_lo, exec_lo, s6
	s_and_saveexec_b32 s6, s7
	s_cbranch_execnz .LBB712_18
.LBB712_13:
	s_or_b32 exec_lo, exec_lo, s6
	s_and_saveexec_b32 s6, s5
	s_cbranch_execnz .LBB712_21
	s_branch .LBB712_24
.LBB712_14:
	global_load_u8 v4, v[2:3], off
	s_waitcnt vmcnt(0)
	v_and_b32_e32 v4, 1, v4
	s_delay_alu instid0(VALU_DEP_1) | instskip(NEXT) | instid1(VALU_DEP_1)
	v_cmp_eq_u32_e64 s0, 1, v4
	s_xor_b32 s0, s0, -1
	s_delay_alu instid0(SALU_CYCLE_1)
	s_and_b32 s1, s0, exec_lo
	s_or_b32 exec_lo, exec_lo, s6
	v_mov_b32_e32 v4, v11
	s_and_saveexec_b32 s6, s10
	s_cbranch_execz .LBB712_12
.LBB712_15:
	global_load_u8 v4, v[2:3], off offset:64
	s_waitcnt vmcnt(0)
	v_and_b32_e32 v4, 1, v4
	s_delay_alu instid0(VALU_DEP_1) | instskip(SKIP_1) | instid1(VALU_DEP_2)
	v_cmp_eq_u32_e64 s0, 1, v4
	v_mov_b32_e32 v4, v11
	s_xor_b32 s13, s0, -1
	s_mov_b32 s0, s1
	s_and_saveexec_b32 s12, s13
; %bb.16:
	v_cmp_gt_f32_e64 s0, v11, v10
	s_delay_alu instid0(VALU_DEP_1) | instskip(NEXT) | instid1(SALU_CYCLE_1)
	s_and_b32 s0, s1, s0
	v_cndmask_b32_e64 v4, v10, v11, s0
	s_or_b32 s0, s1, exec_lo
; %bb.17:
	s_or_b32 exec_lo, exec_lo, s12
	s_delay_alu instid0(SALU_CYCLE_1) | instskip(SKIP_1) | instid1(SALU_CYCLE_1)
	s_and_not1_b32 s1, s1, exec_lo
	s_and_b32 s0, s0, exec_lo
	s_or_b32 s1, s1, s0
	s_or_b32 exec_lo, exec_lo, s6
	s_and_saveexec_b32 s6, s7
	s_cbranch_execz .LBB712_13
.LBB712_18:
	global_load_u8 v5, v[2:3], off offset:128
	s_waitcnt vmcnt(0)
	v_and_b32_e32 v5, 1, v5
	s_delay_alu instid0(VALU_DEP_1) | instskip(NEXT) | instid1(VALU_DEP_1)
	v_cmp_eq_u32_e64 s0, 1, v5
	s_xor_b32 s13, s0, -1
	s_mov_b32 s0, s1
	s_and_saveexec_b32 s12, s13
; %bb.19:
	v_cmp_gt_f32_e64 s0, v4, v9
	s_delay_alu instid0(VALU_DEP_1) | instskip(NEXT) | instid1(SALU_CYCLE_1)
	s_and_b32 s0, s1, s0
	v_cndmask_b32_e64 v4, v9, v4, s0
	s_or_b32 s0, s1, exec_lo
; %bb.20:
	s_or_b32 exec_lo, exec_lo, s12
	s_delay_alu instid0(SALU_CYCLE_1) | instskip(SKIP_1) | instid1(SALU_CYCLE_1)
	s_and_not1_b32 s1, s1, exec_lo
	s_and_b32 s0, s0, exec_lo
	s_or_b32 s1, s1, s0
	s_or_b32 exec_lo, exec_lo, s6
	s_and_saveexec_b32 s6, s5
	s_cbranch_execz .LBB712_24
.LBB712_21:
	global_load_u8 v5, v[2:3], off offset:192
	s_waitcnt vmcnt(0)
	v_and_b32_e32 v5, 1, v5
	s_delay_alu instid0(VALU_DEP_1) | instskip(NEXT) | instid1(VALU_DEP_1)
	v_cmp_eq_u32_e64 s0, 1, v5
	s_xor_b32 s13, s0, -1
	s_mov_b32 s0, s1
	s_and_saveexec_b32 s12, s13
; %bb.22:
	v_cmp_gt_f32_e64 s0, v4, v8
	s_delay_alu instid0(VALU_DEP_1) | instskip(NEXT) | instid1(SALU_CYCLE_1)
	s_and_b32 s0, s1, s0
	v_cndmask_b32_e64 v4, v8, v4, s0
	s_or_b32 s0, s1, exec_lo
; %bb.23:
	s_or_b32 exec_lo, exec_lo, s12
	s_delay_alu instid0(SALU_CYCLE_1) | instskip(SKIP_1) | instid1(SALU_CYCLE_1)
	s_and_not1_b32 s1, s1, exec_lo
	s_and_b32 s0, s0, exec_lo
	s_or_b32 s1, s1, s0
.LBB712_24:
	s_or_b32 exec_lo, exec_lo, s6
	v_mbcnt_lo_u32_b32 v5, -1, 0
	v_cndmask_b32_e64 v12, 0xff800000, v4, s1
	s_delay_alu instid0(VALU_DEP_2) | instskip(NEXT) | instid1(VALU_DEP_1)
	v_or_b32_e32 v6, 32, v5
	v_cmp_gt_i32_e64 s0, 64, v6
	s_delay_alu instid0(VALU_DEP_1) | instskip(NEXT) | instid1(VALU_DEP_1)
	v_cndmask_b32_e64 v6, v5, v6, s0
	v_lshlrev_b32_e32 v4, 2, v6
	v_xor_b32_e32 v6, 16, v5
	ds_bpermute_b32 v13, v4, v12
	v_cmp_gt_i32_e64 s0, 64, v6
	s_delay_alu instid0(VALU_DEP_1) | instskip(NEXT) | instid1(VALU_DEP_1)
	v_cndmask_b32_e64 v6, v5, v6, s0
	v_lshlrev_b32_e32 v6, 2, v6
	s_waitcnt lgkmcnt(0)
	v_cmp_lt_f32_e64 s0, v12, v13
	s_delay_alu instid0(VALU_DEP_1) | instskip(SKIP_3) | instid1(VALU_DEP_1)
	v_cndmask_b32_e64 v13, v12, v13, s0
	v_xor_b32_e32 v12, 8, v5
	ds_bpermute_b32 v14, v6, v13
	v_cmp_gt_i32_e64 s0, 64, v12
	v_cndmask_b32_e64 v12, v5, v12, s0
	s_delay_alu instid0(VALU_DEP_1) | instskip(SKIP_2) | instid1(VALU_DEP_1)
	v_lshlrev_b32_e32 v12, 2, v12
	s_waitcnt lgkmcnt(0)
	v_cmp_lt_f32_e64 s0, v13, v14
	v_cndmask_b32_e64 v14, v13, v14, s0
	v_xor_b32_e32 v13, 4, v5
	ds_bpermute_b32 v15, v12, v14
	v_cmp_gt_i32_e64 s0, 64, v13
	s_delay_alu instid0(VALU_DEP_1) | instskip(NEXT) | instid1(VALU_DEP_1)
	v_cndmask_b32_e64 v13, v5, v13, s0
	v_lshlrev_b32_e32 v13, 2, v13
	s_waitcnt lgkmcnt(0)
	v_cmp_lt_f32_e64 s0, v14, v15
	s_delay_alu instid0(VALU_DEP_1) | instskip(SKIP_3) | instid1(VALU_DEP_1)
	v_cndmask_b32_e64 v15, v14, v15, s0
	v_xor_b32_e32 v14, 2, v5
	ds_bpermute_b32 v16, v13, v15
	v_cmp_gt_i32_e64 s0, 64, v14
	v_cndmask_b32_e64 v14, v5, v14, s0
	s_delay_alu instid0(VALU_DEP_1) | instskip(SKIP_2) | instid1(VALU_DEP_1)
	v_lshlrev_b32_e32 v14, 2, v14
	s_waitcnt lgkmcnt(0)
	v_cmp_lt_f32_e64 s0, v15, v16
	v_cndmask_b32_e64 v15, v15, v16, s0
	v_xor_b32_e32 v16, 1, v5
	ds_bpermute_b32 v17, v14, v15
	v_cmp_gt_i32_e64 s0, 64, v16
	s_delay_alu instid0(VALU_DEP_1) | instskip(NEXT) | instid1(VALU_DEP_1)
	v_cndmask_b32_e64 v5, v5, v16, s0
	v_dual_mov_b32 v5, 0 :: v_dual_lshlrev_b32 v16, 2, v5
	s_waitcnt lgkmcnt(0)
	v_cmp_lt_f32_e64 s0, v15, v17
	s_delay_alu instid0(VALU_DEP_1) | instskip(SKIP_3) | instid1(VALU_DEP_1)
	v_cndmask_b32_e64 v15, v15, v17, s0
	ds_bpermute_b32 v17, v16, v15
	s_waitcnt lgkmcnt(0)
	v_cmp_lt_f32_e64 s0, v15, v17
	v_cndmask_b32_e64 v17, v15, v17, s0
	v_mov_b32_e32 v15, 0
	s_and_saveexec_b32 s1, s11
	s_cbranch_execz .LBB712_28
; %bb.25:
	global_load_u8 v15, v[2:3], off
	s_waitcnt vmcnt(0)
	v_and_b32_e32 v15, 1, v15
	s_delay_alu instid0(VALU_DEP_1) | instskip(SKIP_1) | instid1(VALU_DEP_2)
	v_cmp_eq_u32_e64 s0, 1, v15
	v_mov_b32_e32 v15, 0
	s_xor_b32 s0, s0, -1
	s_delay_alu instid0(SALU_CYCLE_1)
	s_and_saveexec_b32 s6, s0
	s_cbranch_execz .LBB712_27
; %bb.26:
	v_sub_f32_e32 v11, v11, v17
	s_delay_alu instid0(VALU_DEP_1) | instskip(SKIP_1) | instid1(VALU_DEP_2)
	v_mul_f32_e32 v15, 0x3fb8aa3b, v11
	v_cmp_ngt_f32_e64 s0, 0xc2ce8ed0, v11
	v_fma_f32 v18, 0x3fb8aa3b, v11, -v15
	v_rndne_f32_e32 v19, v15
	s_delay_alu instid0(VALU_DEP_2) | instskip(NEXT) | instid1(VALU_DEP_2)
	v_fmamk_f32 v18, v11, 0x32a5705f, v18
	v_sub_f32_e32 v15, v15, v19
	s_delay_alu instid0(VALU_DEP_1) | instskip(SKIP_1) | instid1(VALU_DEP_2)
	v_add_f32_e32 v15, v15, v18
	v_cvt_i32_f32_e32 v18, v19
	v_exp_f32_e32 v15, v15
	s_waitcnt_depctr 0xfff
	v_ldexp_f32 v15, v15, v18
	s_delay_alu instid0(VALU_DEP_1) | instskip(SKIP_1) | instid1(VALU_DEP_1)
	v_cndmask_b32_e64 v15, 0, v15, s0
	v_cmp_nlt_f32_e64 s0, 0x42b17218, v11
	v_cndmask_b32_e64 v15, 0x7f800000, v15, s0
.LBB712_27:
	s_or_b32 exec_lo, exec_lo, s6
.LBB712_28:
	s_delay_alu instid0(SALU_CYCLE_1) | instskip(NEXT) | instid1(VALU_DEP_1)
	s_or_b32 exec_lo, exec_lo, s1
	v_mov_b32_e32 v18, v15
	s_and_saveexec_b32 s1, s10
	s_cbranch_execz .LBB712_32
; %bb.29:
	global_load_u8 v5, v[2:3], off offset:64
	s_waitcnt vmcnt(0)
	v_dual_mov_b32 v18, v15 :: v_dual_and_b32 v5, 1, v5
	s_delay_alu instid0(VALU_DEP_1) | instskip(SKIP_1) | instid1(VALU_DEP_2)
	v_cmp_eq_u32_e64 s0, 1, v5
	v_mov_b32_e32 v5, 0
	s_xor_b32 s0, s0, -1
	s_delay_alu instid0(SALU_CYCLE_1)
	s_and_saveexec_b32 s6, s0
	s_cbranch_execz .LBB712_31
; %bb.30:
	v_sub_f32_e32 v5, v10, v17
	s_delay_alu instid0(VALU_DEP_1) | instskip(SKIP_1) | instid1(VALU_DEP_2)
	v_mul_f32_e32 v10, 0x3fb8aa3b, v5
	v_cmp_ngt_f32_e64 s0, 0xc2ce8ed0, v5
	v_fma_f32 v11, 0x3fb8aa3b, v5, -v10
	v_rndne_f32_e32 v18, v10
	s_delay_alu instid0(VALU_DEP_1) | instskip(NEXT) | instid1(VALU_DEP_1)
	v_dual_fmamk_f32 v11, v5, 0x32a5705f, v11 :: v_dual_sub_f32 v10, v10, v18
	v_add_f32_e32 v10, v10, v11
	v_cvt_i32_f32_e32 v11, v18
	s_delay_alu instid0(VALU_DEP_2) | instskip(SKIP_2) | instid1(VALU_DEP_1)
	v_exp_f32_e32 v10, v10
	s_waitcnt_depctr 0xfff
	v_ldexp_f32 v10, v10, v11
	v_cndmask_b32_e64 v10, 0, v10, s0
	v_cmp_nlt_f32_e64 s0, 0x42b17218, v5
	s_delay_alu instid0(VALU_DEP_1) | instskip(NEXT) | instid1(VALU_DEP_1)
	v_cndmask_b32_e64 v5, 0x7f800000, v10, s0
	v_add_f32_e32 v18, v15, v5
.LBB712_31:
	s_or_b32 exec_lo, exec_lo, s6
.LBB712_32:
	s_delay_alu instid0(SALU_CYCLE_1)
	s_or_b32 exec_lo, exec_lo, s1
	v_dual_mov_b32 v10, 0 :: v_dual_mov_b32 v11, 0
	s_and_saveexec_b32 s1, s7
	s_cbranch_execz .LBB712_36
; %bb.33:
	global_load_u8 v11, v[2:3], off offset:128
	s_waitcnt vmcnt(0)
	v_and_b32_e32 v11, 1, v11
	s_delay_alu instid0(VALU_DEP_1) | instskip(SKIP_1) | instid1(VALU_DEP_2)
	v_cmp_eq_u32_e64 s0, 1, v11
	v_mov_b32_e32 v11, 0
	s_xor_b32 s0, s0, -1
	s_delay_alu instid0(SALU_CYCLE_1)
	s_and_saveexec_b32 s6, s0
	s_cbranch_execz .LBB712_35
; %bb.34:
	v_sub_f32_e32 v9, v9, v17
	s_delay_alu instid0(VALU_DEP_1) | instskip(SKIP_1) | instid1(VALU_DEP_2)
	v_mul_f32_e32 v11, 0x3fb8aa3b, v9
	v_cmp_ngt_f32_e64 s0, 0xc2ce8ed0, v9
	v_fma_f32 v19, 0x3fb8aa3b, v9, -v11
	v_rndne_f32_e32 v20, v11
	s_delay_alu instid0(VALU_DEP_2) | instskip(NEXT) | instid1(VALU_DEP_2)
	v_fmamk_f32 v19, v9, 0x32a5705f, v19
	v_sub_f32_e32 v11, v11, v20
	s_delay_alu instid0(VALU_DEP_1) | instskip(SKIP_1) | instid1(VALU_DEP_2)
	v_add_f32_e32 v11, v11, v19
	v_cvt_i32_f32_e32 v19, v20
	v_exp_f32_e32 v11, v11
	s_waitcnt_depctr 0xfff
	v_ldexp_f32 v11, v11, v19
	s_delay_alu instid0(VALU_DEP_1) | instskip(SKIP_1) | instid1(VALU_DEP_1)
	v_cndmask_b32_e64 v11, 0, v11, s0
	v_cmp_nlt_f32_e64 s0, 0x42b17218, v9
	v_cndmask_b32_e64 v11, 0x7f800000, v11, s0
	s_delay_alu instid0(VALU_DEP_1)
	v_add_f32_e32 v18, v18, v11
.LBB712_35:
	s_or_b32 exec_lo, exec_lo, s6
.LBB712_36:
	s_delay_alu instid0(SALU_CYCLE_1)
	s_or_b32 exec_lo, exec_lo, s1
	s_and_saveexec_b32 s1, s5
	s_cbranch_execz .LBB712_40
; %bb.37:
	global_load_u8 v2, v[2:3], off offset:192
	v_mov_b32_e32 v10, 0
	s_waitcnt vmcnt(0)
	v_and_b32_e32 v2, 1, v2
	s_delay_alu instid0(VALU_DEP_1) | instskip(NEXT) | instid1(VALU_DEP_1)
	v_cmp_eq_u32_e64 s0, 1, v2
	s_xor_b32 s0, s0, -1
	s_delay_alu instid0(SALU_CYCLE_1)
	s_and_saveexec_b32 s5, s0
	s_cbranch_execz .LBB712_39
; %bb.38:
	v_sub_f32_e32 v2, v8, v17
	s_delay_alu instid0(VALU_DEP_1) | instskip(NEXT) | instid1(VALU_DEP_1)
	v_mul_f32_e32 v3, 0x3fb8aa3b, v2
	v_fma_f32 v8, 0x3fb8aa3b, v2, -v3
	v_rndne_f32_e32 v9, v3
	s_delay_alu instid0(VALU_DEP_1) | instskip(NEXT) | instid1(VALU_DEP_1)
	v_dual_fmamk_f32 v8, v2, 0x32a5705f, v8 :: v_dual_sub_f32 v3, v3, v9
	v_add_f32_e32 v3, v3, v8
	v_cvt_i32_f32_e32 v8, v9
	v_cmp_ngt_f32_e64 s0, 0xc2ce8ed0, v2
	s_delay_alu instid0(VALU_DEP_3) | instskip(SKIP_2) | instid1(VALU_DEP_1)
	v_exp_f32_e32 v3, v3
	s_waitcnt_depctr 0xfff
	v_ldexp_f32 v3, v3, v8
	v_cndmask_b32_e64 v3, 0, v3, s0
	v_cmp_nlt_f32_e64 s0, 0x42b17218, v2
	s_delay_alu instid0(VALU_DEP_1) | instskip(NEXT) | instid1(VALU_DEP_1)
	v_cndmask_b32_e64 v10, 0x7f800000, v3, s0
	v_add_f32_e32 v18, v18, v10
.LBB712_39:
	s_or_b32 exec_lo, exec_lo, s5
.LBB712_40:
	s_delay_alu instid0(SALU_CYCLE_1)
	s_or_b32 exec_lo, exec_lo, s1
	ds_bpermute_b32 v2, v4, v18
	s_mov_b32 s1, exec_lo
	s_waitcnt lgkmcnt(0)
	v_add_f32_e32 v2, v18, v2
	ds_bpermute_b32 v3, v6, v2
	s_waitcnt lgkmcnt(0)
	v_add_f32_e32 v2, v2, v3
	ds_bpermute_b32 v3, v12, v2
	;; [unrolled: 3-line block ×5, first 2 shown]
	v_cmpx_lt_i32_e32 0, v7
	s_cbranch_execz .LBB712_46
; %bb.41:
	s_and_b32 exec_lo, exec_lo, vcc_lo
	s_cbranch_execz .LBB712_46
; %bb.42:
	s_waitcnt lgkmcnt(0)
	v_add_f32_e32 v2, v2, v3
	s_delay_alu instid0(VALU_DEP_1) | instskip(SKIP_2) | instid1(VALU_DEP_3)
	v_div_scale_f32 v3, null, v2, v2, v15
	v_div_scale_f32 v7, vcc_lo, v15, v2, v15
	v_cmp_eq_f32_e64 s0, 0, v2
	v_rcp_f32_e32 v4, v3
	s_waitcnt_depctr 0xfff
	v_fma_f32 v6, -v3, v4, 1.0
	s_delay_alu instid0(VALU_DEP_1) | instskip(NEXT) | instid1(VALU_DEP_1)
	v_fmac_f32_e32 v4, v6, v4
	v_mul_f32_e32 v6, v7, v4
	s_delay_alu instid0(VALU_DEP_1) | instskip(NEXT) | instid1(VALU_DEP_1)
	v_fma_f32 v8, -v3, v6, v7
	v_fmac_f32_e32 v6, v8, v4
	s_delay_alu instid0(VALU_DEP_1) | instskip(NEXT) | instid1(VALU_DEP_1)
	v_fma_f32 v3, -v3, v6, v7
	v_div_fmas_f32 v3, v3, v4, v6
	v_add_co_u32 v0, vcc_lo, s8, v0
	v_add_co_ci_u32_e32 v1, vcc_lo, s9, v1, vcc_lo
	s_delay_alu instid0(VALU_DEP_3) | instskip(NEXT) | instid1(VALU_DEP_1)
	v_div_fixup_f32 v3, v3, v2, v15
	v_cndmask_b32_e64 v3, v3, 0x7fc00000, s0
	global_store_b32 v[0:1], v3, off
	s_and_b32 exec_lo, exec_lo, s4
	s_cbranch_execz .LBB712_46
; %bb.43:
	v_div_scale_f32 v3, null, v2, v2, v5
	s_delay_alu instid0(VALU_DEP_1) | instskip(SKIP_2) | instid1(VALU_DEP_1)
	v_rcp_f32_e32 v4, v3
	s_waitcnt_depctr 0xfff
	v_fma_f32 v6, -v3, v4, 1.0
	v_fmac_f32_e32 v4, v6, v4
	v_div_scale_f32 v6, vcc_lo, v5, v2, v5
	s_delay_alu instid0(VALU_DEP_1) | instskip(NEXT) | instid1(VALU_DEP_1)
	v_mul_f32_e32 v7, v6, v4
	v_fma_f32 v8, -v3, v7, v6
	s_delay_alu instid0(VALU_DEP_1) | instskip(NEXT) | instid1(VALU_DEP_1)
	v_fmac_f32_e32 v7, v8, v4
	v_fma_f32 v3, -v3, v7, v6
	s_delay_alu instid0(VALU_DEP_1) | instskip(NEXT) | instid1(VALU_DEP_1)
	v_div_fmas_f32 v3, v3, v4, v7
	v_div_fixup_f32 v3, v3, v2, v5
	s_delay_alu instid0(VALU_DEP_1)
	v_cndmask_b32_e64 v3, v3, 0x7fc00000, s0
	global_store_b32 v[0:1], v3, off offset:256
	s_and_b32 exec_lo, exec_lo, s3
	s_cbranch_execz .LBB712_46
; %bb.44:
	v_div_scale_f32 v3, null, v2, v2, v11
	s_delay_alu instid0(VALU_DEP_1) | instskip(SKIP_2) | instid1(VALU_DEP_1)
	v_rcp_f32_e32 v4, v3
	s_waitcnt_depctr 0xfff
	v_fma_f32 v5, -v3, v4, 1.0
	v_fmac_f32_e32 v4, v5, v4
	v_div_scale_f32 v5, vcc_lo, v11, v2, v11
	s_delay_alu instid0(VALU_DEP_1) | instskip(NEXT) | instid1(VALU_DEP_1)
	v_mul_f32_e32 v6, v5, v4
	v_fma_f32 v7, -v3, v6, v5
	s_delay_alu instid0(VALU_DEP_1) | instskip(NEXT) | instid1(VALU_DEP_1)
	v_fmac_f32_e32 v6, v7, v4
	v_fma_f32 v3, -v3, v6, v5
	s_delay_alu instid0(VALU_DEP_1) | instskip(NEXT) | instid1(VALU_DEP_1)
	v_div_fmas_f32 v3, v3, v4, v6
	v_div_fixup_f32 v3, v3, v2, v11
	s_delay_alu instid0(VALU_DEP_1)
	v_cndmask_b32_e64 v3, v3, 0x7fc00000, s0
	global_store_b32 v[0:1], v3, off offset:512
	;; [unrolled: 22-line block ×3, first 2 shown]
.LBB712_46:
	s_nop 0
	s_sendmsg sendmsg(MSG_DEALLOC_VGPRS)
	s_endpgm
	.section	.rodata,"a",@progbits
	.p2align	6, 0x0
	.amdhsa_kernel _ZN12_GLOBAL__N_120softmax_warp_forwardIfffLi8ELb0ELb1ELi64EEEvPT0_PKT_iiiPKbib
		.amdhsa_group_segment_fixed_size 0
		.amdhsa_private_segment_fixed_size 0
		.amdhsa_kernarg_size 304
		.amdhsa_user_sgpr_count 15
		.amdhsa_user_sgpr_dispatch_ptr 0
		.amdhsa_user_sgpr_queue_ptr 0
		.amdhsa_user_sgpr_kernarg_segment_ptr 1
		.amdhsa_user_sgpr_dispatch_id 0
		.amdhsa_user_sgpr_private_segment_size 0
		.amdhsa_wavefront_size32 1
		.amdhsa_uses_dynamic_stack 0
		.amdhsa_enable_private_segment 0
		.amdhsa_system_sgpr_workgroup_id_x 1
		.amdhsa_system_sgpr_workgroup_id_y 0
		.amdhsa_system_sgpr_workgroup_id_z 0
		.amdhsa_system_sgpr_workgroup_info 0
		.amdhsa_system_vgpr_workitem_id 1
		.amdhsa_next_free_vgpr 21
		.amdhsa_next_free_sgpr 16
		.amdhsa_reserve_vcc 1
		.amdhsa_float_round_mode_32 0
		.amdhsa_float_round_mode_16_64 0
		.amdhsa_float_denorm_mode_32 3
		.amdhsa_float_denorm_mode_16_64 3
		.amdhsa_dx10_clamp 1
		.amdhsa_ieee_mode 1
		.amdhsa_fp16_overflow 0
		.amdhsa_workgroup_processor_mode 1
		.amdhsa_memory_ordered 1
		.amdhsa_forward_progress 0
		.amdhsa_shared_vgpr_count 0
		.amdhsa_exception_fp_ieee_invalid_op 0
		.amdhsa_exception_fp_denorm_src 0
		.amdhsa_exception_fp_ieee_div_zero 0
		.amdhsa_exception_fp_ieee_overflow 0
		.amdhsa_exception_fp_ieee_underflow 0
		.amdhsa_exception_fp_ieee_inexact 0
		.amdhsa_exception_int_div_zero 0
	.end_amdhsa_kernel
	.section	.text._ZN12_GLOBAL__N_120softmax_warp_forwardIfffLi8ELb0ELb1ELi64EEEvPT0_PKT_iiiPKbib,"axG",@progbits,_ZN12_GLOBAL__N_120softmax_warp_forwardIfffLi8ELb0ELb1ELi64EEEvPT0_PKT_iiiPKbib,comdat
.Lfunc_end712:
	.size	_ZN12_GLOBAL__N_120softmax_warp_forwardIfffLi8ELb0ELb1ELi64EEEvPT0_PKT_iiiPKbib, .Lfunc_end712-_ZN12_GLOBAL__N_120softmax_warp_forwardIfffLi8ELb0ELb1ELi64EEEvPT0_PKT_iiiPKbib
                                        ; -- End function
	.section	.AMDGPU.csdata,"",@progbits
; Kernel info:
; codeLenInByte = 2804
; NumSgprs: 18
; NumVgprs: 21
; ScratchSize: 0
; MemoryBound: 0
; FloatMode: 240
; IeeeMode: 1
; LDSByteSize: 0 bytes/workgroup (compile time only)
; SGPRBlocks: 2
; VGPRBlocks: 2
; NumSGPRsForWavesPerEU: 18
; NumVGPRsForWavesPerEU: 21
; Occupancy: 16
; WaveLimiterHint : 0
; COMPUTE_PGM_RSRC2:SCRATCH_EN: 0
; COMPUTE_PGM_RSRC2:USER_SGPR: 15
; COMPUTE_PGM_RSRC2:TRAP_HANDLER: 0
; COMPUTE_PGM_RSRC2:TGID_X_EN: 1
; COMPUTE_PGM_RSRC2:TGID_Y_EN: 0
; COMPUTE_PGM_RSRC2:TGID_Z_EN: 0
; COMPUTE_PGM_RSRC2:TIDIG_COMP_CNT: 1
	.section	.text._ZN12_GLOBAL__N_120softmax_warp_forwardIfffLi8ELb0ELb1ELi32EEEvPT0_PKT_iiiPKbib,"axG",@progbits,_ZN12_GLOBAL__N_120softmax_warp_forwardIfffLi8ELb0ELb1ELi32EEEvPT0_PKT_iiiPKbib,comdat
	.globl	_ZN12_GLOBAL__N_120softmax_warp_forwardIfffLi8ELb0ELb1ELi32EEEvPT0_PKT_iiiPKbib ; -- Begin function _ZN12_GLOBAL__N_120softmax_warp_forwardIfffLi8ELb0ELb1ELi32EEEvPT0_PKT_iiiPKbib
	.p2align	8
	.type	_ZN12_GLOBAL__N_120softmax_warp_forwardIfffLi8ELb0ELb1ELi32EEEvPT0_PKT_iiiPKbib,@function
_ZN12_GLOBAL__N_120softmax_warp_forwardIfffLi8ELb0ELb1ELi32EEEvPT0_PKT_iiiPKbib: ; @_ZN12_GLOBAL__N_120softmax_warp_forwardIfffLi8ELb0ELb1ELi32EEEvPT0_PKT_iiiPKbib
; %bb.0:
	s_clause 0x1
	s_load_b32 s2, s[0:1], 0x3c
	s_load_b128 s[8:11], s[0:1], 0x10
	v_bfe_u32 v3, v0, 10, 10
	s_waitcnt lgkmcnt(0)
	s_lshr_b32 s2, s2, 16
	s_delay_alu instid0(VALU_DEP_1) | instid1(SALU_CYCLE_1)
	v_mad_u64_u32 v[1:2], null, s15, s2, v[3:4]
	s_load_b64 s[2:3], s[0:1], 0x28
	v_and_b32_e32 v2, 0x3ff, v0
	s_delay_alu instid0(VALU_DEP_2) | instskip(NEXT) | instid1(VALU_DEP_1)
	v_mul_lo_u32 v7, v1, s9
	v_add_nc_u32_e32 v5, v7, v2
	s_delay_alu instid0(VALU_DEP_1) | instskip(SKIP_3) | instid1(VALU_DEP_2)
	v_ashrrev_i32_e32 v6, 31, v5
	v_mov_b32_e32 v3, v5
	s_waitcnt lgkmcnt(0)
	s_bitcmp0_b32 s3, 0
	v_mov_b32_e32 v4, v6
	s_cbranch_scc1 .LBB713_2
; %bb.1:
	s_abs_i32 s3, s2
	v_sub_nc_u32_e32 v4, 0, v7
	v_cvt_f32_u32_e32 v0, s3
	s_sub_i32 s4, 0, s3
	s_delay_alu instid0(VALU_DEP_2) | instskip(NEXT) | instid1(VALU_DEP_2)
	v_max_i32_e32 v4, v7, v4
	v_rcp_iflag_f32_e32 v0, v0
	s_waitcnt_depctr 0xfff
	v_mul_f32_e32 v0, 0x4f7ffffe, v0
	s_delay_alu instid0(VALU_DEP_1) | instskip(NEXT) | instid1(VALU_DEP_1)
	v_cvt_u32_f32_e32 v0, v0
	v_mul_lo_u32 v3, s4, v0
	s_delay_alu instid0(VALU_DEP_1) | instskip(NEXT) | instid1(VALU_DEP_1)
	v_mul_hi_u32 v3, v0, v3
	v_add_nc_u32_e32 v0, v0, v3
	s_delay_alu instid0(VALU_DEP_1) | instskip(NEXT) | instid1(VALU_DEP_1)
	v_mul_hi_u32 v0, v4, v0
	v_mul_lo_u32 v3, v0, s3
	s_delay_alu instid0(VALU_DEP_1) | instskip(SKIP_1) | instid1(VALU_DEP_2)
	v_sub_nc_u32_e32 v3, v4, v3
	v_add_nc_u32_e32 v4, 1, v0
	v_subrev_nc_u32_e32 v8, s3, v3
	v_cmp_le_u32_e32 vcc_lo, s3, v3
	s_delay_alu instid0(VALU_DEP_2) | instskip(NEXT) | instid1(VALU_DEP_4)
	v_cndmask_b32_e32 v3, v3, v8, vcc_lo
	v_cndmask_b32_e32 v0, v0, v4, vcc_lo
	v_xor_b32_e32 v4, s2, v7
	s_delay_alu instid0(VALU_DEP_3) | instskip(NEXT) | instid1(VALU_DEP_3)
	v_cmp_le_u32_e32 vcc_lo, s3, v3
	v_add_nc_u32_e32 v7, 1, v0
	s_delay_alu instid0(VALU_DEP_3) | instskip(NEXT) | instid1(VALU_DEP_2)
	v_ashrrev_i32_e32 v4, 31, v4
	v_cndmask_b32_e32 v0, v0, v7, vcc_lo
	s_delay_alu instid0(VALU_DEP_1) | instskip(NEXT) | instid1(VALU_DEP_1)
	v_xor_b32_e32 v0, v0, v4
	v_sub_nc_u32_e32 v0, v0, v4
	s_delay_alu instid0(VALU_DEP_1) | instskip(NEXT) | instid1(VALU_DEP_1)
	v_mad_u64_u32 v[3:4], null, v0, s9, v[2:3]
	v_ashrrev_i32_e32 v4, 31, v3
.LBB713_2:
	s_load_b128 s[12:15], s[0:1], 0x0
	v_sub_nc_u32_e32 v7, s8, v1
	v_lshlrev_b64 v[0:1], 2, v[5:6]
	v_cmp_gt_i32_e32 vcc_lo, s10, v2
	v_dual_mov_b32 v14, 0xff800000 :: v_dual_mov_b32 v15, 0xff800000
	s_delay_alu instid0(VALU_DEP_4) | instskip(NEXT) | instid1(VALU_DEP_1)
	v_cmp_lt_i32_e64 s9, 0, v7
	s_and_b32 s19, s9, vcc_lo
	s_waitcnt lgkmcnt(0)
	v_add_co_u32 v5, s2, s14, v0
	s_delay_alu instid0(VALU_DEP_1)
	v_add_co_ci_u32_e64 v6, s2, s15, v1, s2
	s_and_saveexec_b32 s2, s19
	s_cbranch_execz .LBB713_4
; %bb.3:
	global_load_b32 v15, v[5:6], off
.LBB713_4:
	s_or_b32 exec_lo, exec_lo, s2
	v_add_nc_u32_e32 v8, 32, v2
	s_delay_alu instid0(VALU_DEP_1) | instskip(NEXT) | instid1(VALU_DEP_1)
	v_cmp_gt_i32_e64 s8, s10, v8
	s_and_b32 s18, s9, s8
	s_delay_alu instid0(SALU_CYCLE_1)
	s_and_saveexec_b32 s2, s18
	s_cbranch_execz .LBB713_6
; %bb.5:
	global_load_b32 v14, v[5:6], off offset:128
.LBB713_6:
	s_or_b32 exec_lo, exec_lo, s2
	v_dual_mov_b32 v13, 0xff800000 :: v_dual_add_nc_u32 v8, 64, v2
	v_mov_b32_e32 v12, 0xff800000
	s_delay_alu instid0(VALU_DEP_2) | instskip(NEXT) | instid1(VALU_DEP_1)
	v_cmp_gt_i32_e64 s7, s10, v8
	s_and_b32 s17, s9, s7
	s_delay_alu instid0(SALU_CYCLE_1)
	s_and_saveexec_b32 s2, s17
	s_cbranch_execz .LBB713_8
; %bb.7:
	global_load_b32 v13, v[5:6], off offset:256
.LBB713_8:
	s_or_b32 exec_lo, exec_lo, s2
	v_add_nc_u32_e32 v8, 0x60, v2
	s_delay_alu instid0(VALU_DEP_1) | instskip(NEXT) | instid1(VALU_DEP_1)
	v_cmp_gt_i32_e64 s6, s10, v8
	s_and_b32 s16, s9, s6
	s_delay_alu instid0(SALU_CYCLE_1)
	s_and_saveexec_b32 s2, s16
	s_cbranch_execz .LBB713_10
; %bb.9:
	global_load_b32 v12, v[5:6], off offset:384
.LBB713_10:
	s_or_b32 exec_lo, exec_lo, s2
	v_add_nc_u32_e32 v8, 0x80, v2
	v_dual_mov_b32 v10, 0xff800000 :: v_dual_mov_b32 v11, 0xff800000
	s_delay_alu instid0(VALU_DEP_2) | instskip(NEXT) | instid1(VALU_DEP_1)
	v_cmp_gt_i32_e64 s5, s10, v8
	s_and_b32 s15, s9, s5
	s_delay_alu instid0(SALU_CYCLE_1)
	s_and_saveexec_b32 s2, s15
	s_cbranch_execz .LBB713_12
; %bb.11:
	global_load_b32 v11, v[5:6], off offset:512
.LBB713_12:
	s_or_b32 exec_lo, exec_lo, s2
	v_add_nc_u32_e32 v8, 0xa0, v2
	s_delay_alu instid0(VALU_DEP_1) | instskip(NEXT) | instid1(VALU_DEP_1)
	v_cmp_gt_i32_e64 s4, s10, v8
	s_and_b32 s14, s9, s4
	s_delay_alu instid0(SALU_CYCLE_1)
	s_and_saveexec_b32 s2, s14
	s_cbranch_execz .LBB713_14
; %bb.13:
	global_load_b32 v10, v[5:6], off offset:640
.LBB713_14:
	s_or_b32 exec_lo, exec_lo, s2
	v_add_nc_u32_e32 v8, 0xc0, v2
	v_mov_b32_e32 v9, 0xff800000
	s_delay_alu instid0(VALU_DEP_2) | instskip(SKIP_1) | instid1(VALU_DEP_2)
	v_cmp_gt_i32_e64 s3, s10, v8
	v_mov_b32_e32 v8, 0xff800000
	s_and_b32 s11, s9, s3
	s_delay_alu instid0(SALU_CYCLE_1)
	s_and_saveexec_b32 s2, s11
	s_cbranch_execz .LBB713_16
; %bb.15:
	global_load_b32 v9, v[5:6], off offset:768
.LBB713_16:
	s_or_b32 exec_lo, exec_lo, s2
	v_add_nc_u32_e32 v2, 0xe0, v2
	s_delay_alu instid0(VALU_DEP_1) | instskip(NEXT) | instid1(VALU_DEP_1)
	v_cmp_gt_i32_e64 s2, s10, v2
	s_and_b32 s9, s9, s2
	s_delay_alu instid0(SALU_CYCLE_1)
	s_and_saveexec_b32 s10, s9
	s_cbranch_execz .LBB713_18
; %bb.17:
	global_load_b32 v8, v[5:6], off offset:896
.LBB713_18:
	s_or_b32 exec_lo, exec_lo, s10
	s_load_b64 s[0:1], s[0:1], 0x20
	s_waitcnt lgkmcnt(0)
	v_add_co_u32 v2, s0, s0, v3
	s_delay_alu instid0(VALU_DEP_1)
	v_add_co_ci_u32_e64 v3, s0, s1, v4, s0
	s_mov_b32 s1, 0
	s_and_saveexec_b32 s10, s19
	s_cbranch_execnz .LBB713_26
; %bb.19:
	s_or_b32 exec_lo, exec_lo, s10
	s_waitcnt vmcnt(0)
	v_mov_b32_e32 v4, v15
	s_and_saveexec_b32 s10, s18
	s_cbranch_execnz .LBB713_27
.LBB713_20:
	s_or_b32 exec_lo, exec_lo, s10
	s_and_saveexec_b32 s10, s17
	s_cbranch_execnz .LBB713_30
.LBB713_21:
	s_or_b32 exec_lo, exec_lo, s10
	s_and_saveexec_b32 s10, s16
	s_cbranch_execnz .LBB713_33
.LBB713_22:
	s_or_b32 exec_lo, exec_lo, s10
	s_and_saveexec_b32 s10, s15
	s_cbranch_execnz .LBB713_36
.LBB713_23:
	s_or_b32 exec_lo, exec_lo, s10
	s_and_saveexec_b32 s10, s14
	s_cbranch_execnz .LBB713_39
.LBB713_24:
	s_or_b32 exec_lo, exec_lo, s10
	s_and_saveexec_b32 s10, s11
	s_cbranch_execnz .LBB713_42
.LBB713_25:
	s_or_b32 exec_lo, exec_lo, s10
	s_and_saveexec_b32 s10, s9
	s_cbranch_execnz .LBB713_45
	s_branch .LBB713_48
.LBB713_26:
	global_load_u8 v4, v[2:3], off
	s_waitcnt vmcnt(0)
	v_and_b32_e32 v4, 1, v4
	s_delay_alu instid0(VALU_DEP_1) | instskip(NEXT) | instid1(VALU_DEP_1)
	v_cmp_eq_u32_e64 s0, 1, v4
	s_xor_b32 s0, s0, -1
	s_delay_alu instid0(SALU_CYCLE_1)
	s_and_b32 s1, s0, exec_lo
	s_or_b32 exec_lo, exec_lo, s10
	v_mov_b32_e32 v4, v15
	s_and_saveexec_b32 s10, s18
	s_cbranch_execz .LBB713_20
.LBB713_27:
	global_load_u8 v4, v[2:3], off offset:32
	s_waitcnt vmcnt(0)
	v_and_b32_e32 v4, 1, v4
	s_delay_alu instid0(VALU_DEP_1) | instskip(SKIP_1) | instid1(VALU_DEP_2)
	v_cmp_eq_u32_e64 s0, 1, v4
	v_mov_b32_e32 v4, v15
	s_xor_b32 s21, s0, -1
	s_mov_b32 s0, s1
	s_and_saveexec_b32 s20, s21
; %bb.28:
	v_cmp_gt_f32_e64 s0, v15, v14
	s_delay_alu instid0(VALU_DEP_1) | instskip(NEXT) | instid1(SALU_CYCLE_1)
	s_and_b32 s0, s1, s0
	v_cndmask_b32_e64 v4, v14, v15, s0
	s_or_b32 s0, s1, exec_lo
; %bb.29:
	s_or_b32 exec_lo, exec_lo, s20
	s_delay_alu instid0(SALU_CYCLE_1) | instskip(SKIP_1) | instid1(SALU_CYCLE_1)
	s_and_not1_b32 s1, s1, exec_lo
	s_and_b32 s0, s0, exec_lo
	s_or_b32 s1, s1, s0
	s_or_b32 exec_lo, exec_lo, s10
	s_and_saveexec_b32 s10, s17
	s_cbranch_execz .LBB713_21
.LBB713_30:
	global_load_u8 v5, v[2:3], off offset:64
	s_waitcnt vmcnt(0)
	v_and_b32_e32 v5, 1, v5
	s_delay_alu instid0(VALU_DEP_1) | instskip(NEXT) | instid1(VALU_DEP_1)
	v_cmp_eq_u32_e64 s0, 1, v5
	s_xor_b32 s21, s0, -1
	s_mov_b32 s0, s1
	s_and_saveexec_b32 s20, s21
; %bb.31:
	v_cmp_gt_f32_e64 s0, v4, v13
	s_delay_alu instid0(VALU_DEP_1) | instskip(NEXT) | instid1(SALU_CYCLE_1)
	s_and_b32 s0, s1, s0
	v_cndmask_b32_e64 v4, v13, v4, s0
	s_or_b32 s0, s1, exec_lo
; %bb.32:
	s_or_b32 exec_lo, exec_lo, s20
	s_delay_alu instid0(SALU_CYCLE_1) | instskip(SKIP_1) | instid1(SALU_CYCLE_1)
	s_and_not1_b32 s1, s1, exec_lo
	s_and_b32 s0, s0, exec_lo
	s_or_b32 s1, s1, s0
	s_or_b32 exec_lo, exec_lo, s10
	s_and_saveexec_b32 s10, s16
	s_cbranch_execz .LBB713_22
.LBB713_33:
	global_load_u8 v5, v[2:3], off offset:96
	s_waitcnt vmcnt(0)
	v_and_b32_e32 v5, 1, v5
	s_delay_alu instid0(VALU_DEP_1) | instskip(NEXT) | instid1(VALU_DEP_1)
	v_cmp_eq_u32_e64 s0, 1, v5
	s_xor_b32 s21, s0, -1
	s_mov_b32 s0, s1
	s_and_saveexec_b32 s20, s21
; %bb.34:
	v_cmp_gt_f32_e64 s0, v4, v12
	s_delay_alu instid0(VALU_DEP_1) | instskip(NEXT) | instid1(SALU_CYCLE_1)
	s_and_b32 s0, s1, s0
	v_cndmask_b32_e64 v4, v12, v4, s0
	s_or_b32 s0, s1, exec_lo
; %bb.35:
	s_or_b32 exec_lo, exec_lo, s20
	s_delay_alu instid0(SALU_CYCLE_1) | instskip(SKIP_1) | instid1(SALU_CYCLE_1)
	s_and_not1_b32 s1, s1, exec_lo
	s_and_b32 s0, s0, exec_lo
	s_or_b32 s1, s1, s0
	s_or_b32 exec_lo, exec_lo, s10
	s_and_saveexec_b32 s10, s15
	s_cbranch_execz .LBB713_23
.LBB713_36:
	global_load_u8 v5, v[2:3], off offset:128
	s_waitcnt vmcnt(0)
	v_and_b32_e32 v5, 1, v5
	s_delay_alu instid0(VALU_DEP_1) | instskip(NEXT) | instid1(VALU_DEP_1)
	v_cmp_eq_u32_e64 s0, 1, v5
	s_xor_b32 s21, s0, -1
	s_mov_b32 s0, s1
	s_and_saveexec_b32 s20, s21
; %bb.37:
	v_cmp_gt_f32_e64 s0, v4, v11
	s_delay_alu instid0(VALU_DEP_1) | instskip(NEXT) | instid1(SALU_CYCLE_1)
	s_and_b32 s0, s1, s0
	v_cndmask_b32_e64 v4, v11, v4, s0
	s_or_b32 s0, s1, exec_lo
; %bb.38:
	s_or_b32 exec_lo, exec_lo, s20
	s_delay_alu instid0(SALU_CYCLE_1) | instskip(SKIP_1) | instid1(SALU_CYCLE_1)
	s_and_not1_b32 s1, s1, exec_lo
	s_and_b32 s0, s0, exec_lo
	s_or_b32 s1, s1, s0
	s_or_b32 exec_lo, exec_lo, s10
	s_and_saveexec_b32 s10, s14
	s_cbranch_execz .LBB713_24
.LBB713_39:
	global_load_u8 v5, v[2:3], off offset:160
	s_waitcnt vmcnt(0)
	v_and_b32_e32 v5, 1, v5
	s_delay_alu instid0(VALU_DEP_1) | instskip(NEXT) | instid1(VALU_DEP_1)
	v_cmp_eq_u32_e64 s0, 1, v5
	s_xor_b32 s21, s0, -1
	s_mov_b32 s0, s1
	s_and_saveexec_b32 s20, s21
; %bb.40:
	v_cmp_gt_f32_e64 s0, v4, v10
	s_delay_alu instid0(VALU_DEP_1) | instskip(NEXT) | instid1(SALU_CYCLE_1)
	s_and_b32 s0, s1, s0
	v_cndmask_b32_e64 v4, v10, v4, s0
	s_or_b32 s0, s1, exec_lo
; %bb.41:
	s_or_b32 exec_lo, exec_lo, s20
	s_delay_alu instid0(SALU_CYCLE_1) | instskip(SKIP_1) | instid1(SALU_CYCLE_1)
	s_and_not1_b32 s1, s1, exec_lo
	s_and_b32 s0, s0, exec_lo
	s_or_b32 s1, s1, s0
	s_or_b32 exec_lo, exec_lo, s10
	s_and_saveexec_b32 s10, s11
	s_cbranch_execz .LBB713_25
.LBB713_42:
	global_load_u8 v5, v[2:3], off offset:192
	s_waitcnt vmcnt(0)
	v_and_b32_e32 v5, 1, v5
	s_delay_alu instid0(VALU_DEP_1) | instskip(NEXT) | instid1(VALU_DEP_1)
	v_cmp_eq_u32_e64 s0, 1, v5
	s_xor_b32 s21, s0, -1
	s_mov_b32 s0, s1
	s_and_saveexec_b32 s20, s21
; %bb.43:
	v_cmp_gt_f32_e64 s0, v4, v9
	s_delay_alu instid0(VALU_DEP_1) | instskip(NEXT) | instid1(SALU_CYCLE_1)
	s_and_b32 s0, s1, s0
	v_cndmask_b32_e64 v4, v9, v4, s0
	s_or_b32 s0, s1, exec_lo
; %bb.44:
	s_or_b32 exec_lo, exec_lo, s20
	s_delay_alu instid0(SALU_CYCLE_1) | instskip(SKIP_1) | instid1(SALU_CYCLE_1)
	s_and_not1_b32 s1, s1, exec_lo
	s_and_b32 s0, s0, exec_lo
	s_or_b32 s1, s1, s0
	s_or_b32 exec_lo, exec_lo, s10
	s_and_saveexec_b32 s10, s9
	s_cbranch_execz .LBB713_48
.LBB713_45:
	global_load_u8 v5, v[2:3], off offset:224
	s_waitcnt vmcnt(0)
	v_and_b32_e32 v5, 1, v5
	s_delay_alu instid0(VALU_DEP_1) | instskip(NEXT) | instid1(VALU_DEP_1)
	v_cmp_eq_u32_e64 s0, 1, v5
	s_xor_b32 s21, s0, -1
	s_mov_b32 s0, s1
	s_and_saveexec_b32 s20, s21
; %bb.46:
	v_cmp_gt_f32_e64 s0, v4, v8
	s_delay_alu instid0(VALU_DEP_1) | instskip(NEXT) | instid1(SALU_CYCLE_1)
	s_and_b32 s0, s1, s0
	v_cndmask_b32_e64 v4, v8, v4, s0
	s_or_b32 s0, s1, exec_lo
; %bb.47:
	s_or_b32 exec_lo, exec_lo, s20
	s_delay_alu instid0(SALU_CYCLE_1) | instskip(SKIP_1) | instid1(SALU_CYCLE_1)
	s_and_not1_b32 s1, s1, exec_lo
	s_and_b32 s0, s0, exec_lo
	s_or_b32 s1, s1, s0
.LBB713_48:
	s_or_b32 exec_lo, exec_lo, s10
	v_mbcnt_lo_u32_b32 v18, -1, 0
	v_cndmask_b32_e64 v4, 0xff800000, v4, s1
	s_delay_alu instid0(VALU_DEP_2) | instskip(SKIP_1) | instid1(VALU_DEP_2)
	v_xor_b32_e32 v5, 16, v18
	v_xor_b32_e32 v6, 8, v18
	v_cmp_gt_i32_e64 s0, 32, v5
	s_delay_alu instid0(VALU_DEP_1) | instskip(NEXT) | instid1(VALU_DEP_3)
	v_cndmask_b32_e64 v5, v18, v5, s0
	v_cmp_gt_i32_e64 s0, 32, v6
	s_delay_alu instid0(VALU_DEP_2) | instskip(NEXT) | instid1(VALU_DEP_2)
	v_lshlrev_b32_e32 v5, 2, v5
	v_cndmask_b32_e64 v6, v18, v6, s0
	ds_bpermute_b32 v16, v5, v4
	v_lshlrev_b32_e32 v6, 2, v6
	s_waitcnt lgkmcnt(0)
	v_cmp_lt_f32_e64 s0, v4, v16
	s_delay_alu instid0(VALU_DEP_1) | instskip(SKIP_3) | instid1(VALU_DEP_1)
	v_cndmask_b32_e64 v4, v4, v16, s0
	v_xor_b32_e32 v16, 4, v18
	ds_bpermute_b32 v17, v6, v4
	v_cmp_gt_i32_e64 s0, 32, v16
	v_cndmask_b32_e64 v16, v18, v16, s0
	s_delay_alu instid0(VALU_DEP_1) | instskip(SKIP_2) | instid1(VALU_DEP_1)
	v_lshlrev_b32_e32 v16, 2, v16
	s_waitcnt lgkmcnt(0)
	v_cmp_lt_f32_e64 s0, v4, v17
	v_cndmask_b32_e64 v4, v4, v17, s0
	v_xor_b32_e32 v17, 2, v18
	ds_bpermute_b32 v19, v16, v4
	v_cmp_gt_i32_e64 s0, 32, v17
	s_delay_alu instid0(VALU_DEP_1) | instskip(NEXT) | instid1(VALU_DEP_1)
	v_cndmask_b32_e64 v17, v18, v17, s0
	v_lshlrev_b32_e32 v17, 2, v17
	s_waitcnt lgkmcnt(0)
	v_cmp_lt_f32_e64 s0, v4, v19
	s_delay_alu instid0(VALU_DEP_1) | instskip(SKIP_3) | instid1(VALU_DEP_1)
	v_cndmask_b32_e64 v4, v4, v19, s0
	v_xor_b32_e32 v19, 1, v18
	ds_bpermute_b32 v20, v17, v4
	v_cmp_gt_i32_e64 s0, 32, v19
	v_cndmask_b32_e64 v18, v18, v19, s0
	s_delay_alu instid0(VALU_DEP_1) | instskip(SKIP_2) | instid1(VALU_DEP_1)
	v_lshlrev_b32_e32 v19, 2, v18
	s_waitcnt lgkmcnt(0)
	v_cmp_lt_f32_e64 s0, v4, v20
	v_cndmask_b32_e64 v18, v4, v20, s0
	v_mov_b32_e32 v4, 0
	ds_bpermute_b32 v20, v19, v18
	s_waitcnt lgkmcnt(0)
	v_cmp_lt_f32_e64 s0, v18, v20
	s_delay_alu instid0(VALU_DEP_1)
	v_cndmask_b32_e64 v20, v18, v20, s0
	v_mov_b32_e32 v18, 0
	s_and_saveexec_b32 s1, s19
	s_cbranch_execz .LBB713_52
; %bb.49:
	global_load_u8 v18, v[2:3], off
	s_waitcnt vmcnt(0)
	v_and_b32_e32 v18, 1, v18
	s_delay_alu instid0(VALU_DEP_1) | instskip(SKIP_1) | instid1(VALU_DEP_2)
	v_cmp_eq_u32_e64 s0, 1, v18
	v_mov_b32_e32 v18, 0
	s_xor_b32 s0, s0, -1
	s_delay_alu instid0(SALU_CYCLE_1)
	s_and_saveexec_b32 s10, s0
	s_cbranch_execz .LBB713_51
; %bb.50:
	v_sub_f32_e32 v15, v15, v20
	s_delay_alu instid0(VALU_DEP_1) | instskip(NEXT) | instid1(VALU_DEP_1)
	v_mul_f32_e32 v18, 0x3fb8aa3b, v15
	v_fma_f32 v21, 0x3fb8aa3b, v15, -v18
	v_rndne_f32_e32 v22, v18
	s_delay_alu instid0(VALU_DEP_1) | instskip(SKIP_1) | instid1(VALU_DEP_2)
	v_dual_sub_f32 v18, v18, v22 :: v_dual_fmamk_f32 v21, v15, 0x32a5705f, v21
	v_cmp_ngt_f32_e64 s0, 0xc2ce8ed0, v15
	v_add_f32_e32 v18, v18, v21
	v_cvt_i32_f32_e32 v21, v22
	s_delay_alu instid0(VALU_DEP_2) | instskip(SKIP_2) | instid1(VALU_DEP_1)
	v_exp_f32_e32 v18, v18
	s_waitcnt_depctr 0xfff
	v_ldexp_f32 v18, v18, v21
	v_cndmask_b32_e64 v18, 0, v18, s0
	v_cmp_nlt_f32_e64 s0, 0x42b17218, v15
	s_delay_alu instid0(VALU_DEP_1)
	v_cndmask_b32_e64 v18, 0x7f800000, v18, s0
.LBB713_51:
	s_or_b32 exec_lo, exec_lo, s10
.LBB713_52:
	s_delay_alu instid0(SALU_CYCLE_1) | instskip(NEXT) | instid1(VALU_DEP_1)
	s_or_b32 exec_lo, exec_lo, s1
	v_mov_b32_e32 v21, v18
	s_and_saveexec_b32 s1, s18
	s_cbranch_execz .LBB713_56
; %bb.53:
	global_load_u8 v4, v[2:3], off offset:32
	s_waitcnt vmcnt(0)
	v_dual_mov_b32 v21, v18 :: v_dual_and_b32 v4, 1, v4
	s_delay_alu instid0(VALU_DEP_1) | instskip(SKIP_1) | instid1(VALU_DEP_2)
	v_cmp_eq_u32_e64 s0, 1, v4
	v_mov_b32_e32 v4, 0
	s_xor_b32 s0, s0, -1
	s_delay_alu instid0(SALU_CYCLE_1)
	s_and_saveexec_b32 s10, s0
	s_cbranch_execz .LBB713_55
; %bb.54:
	v_sub_f32_e32 v4, v14, v20
	s_delay_alu instid0(VALU_DEP_1) | instskip(SKIP_1) | instid1(VALU_DEP_2)
	v_mul_f32_e32 v14, 0x3fb8aa3b, v4
	v_cmp_ngt_f32_e64 s0, 0xc2ce8ed0, v4
	v_fma_f32 v15, 0x3fb8aa3b, v4, -v14
	v_rndne_f32_e32 v21, v14
	s_delay_alu instid0(VALU_DEP_1) | instskip(NEXT) | instid1(VALU_DEP_1)
	v_dual_fmamk_f32 v15, v4, 0x32a5705f, v15 :: v_dual_sub_f32 v14, v14, v21
	v_add_f32_e32 v14, v14, v15
	v_cvt_i32_f32_e32 v15, v21
	s_delay_alu instid0(VALU_DEP_2) | instskip(SKIP_2) | instid1(VALU_DEP_1)
	v_exp_f32_e32 v14, v14
	s_waitcnt_depctr 0xfff
	v_ldexp_f32 v14, v14, v15
	v_cndmask_b32_e64 v14, 0, v14, s0
	v_cmp_nlt_f32_e64 s0, 0x42b17218, v4
	s_delay_alu instid0(VALU_DEP_1) | instskip(NEXT) | instid1(VALU_DEP_1)
	v_cndmask_b32_e64 v4, 0x7f800000, v14, s0
	v_add_f32_e32 v21, v18, v4
.LBB713_55:
	s_or_b32 exec_lo, exec_lo, s10
.LBB713_56:
	s_delay_alu instid0(SALU_CYCLE_1)
	s_or_b32 exec_lo, exec_lo, s1
	v_dual_mov_b32 v14, 0 :: v_dual_mov_b32 v15, 0
	s_and_saveexec_b32 s1, s17
	s_cbranch_execz .LBB713_60
; %bb.57:
	global_load_u8 v15, v[2:3], off offset:64
	s_waitcnt vmcnt(0)
	v_and_b32_e32 v15, 1, v15
	s_delay_alu instid0(VALU_DEP_1) | instskip(SKIP_1) | instid1(VALU_DEP_2)
	v_cmp_eq_u32_e64 s0, 1, v15
	v_mov_b32_e32 v15, 0
	s_xor_b32 s0, s0, -1
	s_delay_alu instid0(SALU_CYCLE_1)
	s_and_saveexec_b32 s10, s0
	s_cbranch_execz .LBB713_59
; %bb.58:
	v_sub_f32_e32 v13, v13, v20
	s_delay_alu instid0(VALU_DEP_1) | instskip(SKIP_1) | instid1(VALU_DEP_2)
	v_mul_f32_e32 v15, 0x3fb8aa3b, v13
	v_cmp_ngt_f32_e64 s0, 0xc2ce8ed0, v13
	v_fma_f32 v22, 0x3fb8aa3b, v13, -v15
	v_rndne_f32_e32 v23, v15
	s_delay_alu instid0(VALU_DEP_1) | instskip(NEXT) | instid1(VALU_DEP_1)
	v_dual_fmamk_f32 v22, v13, 0x32a5705f, v22 :: v_dual_sub_f32 v15, v15, v23
	v_add_f32_e32 v15, v15, v22
	v_cvt_i32_f32_e32 v22, v23
	s_delay_alu instid0(VALU_DEP_2) | instskip(SKIP_2) | instid1(VALU_DEP_1)
	v_exp_f32_e32 v15, v15
	s_waitcnt_depctr 0xfff
	v_ldexp_f32 v15, v15, v22
	v_cndmask_b32_e64 v15, 0, v15, s0
	v_cmp_nlt_f32_e64 s0, 0x42b17218, v13
	s_delay_alu instid0(VALU_DEP_1) | instskip(NEXT) | instid1(VALU_DEP_1)
	v_cndmask_b32_e64 v15, 0x7f800000, v15, s0
	v_add_f32_e32 v21, v21, v15
.LBB713_59:
	s_or_b32 exec_lo, exec_lo, s10
.LBB713_60:
	s_delay_alu instid0(SALU_CYCLE_1)
	s_or_b32 exec_lo, exec_lo, s1
	s_and_saveexec_b32 s1, s16
	s_cbranch_execz .LBB713_64
; %bb.61:
	global_load_u8 v13, v[2:3], off offset:96
	s_waitcnt vmcnt(0)
	v_dual_mov_b32 v14, 0 :: v_dual_and_b32 v13, 1, v13
	s_delay_alu instid0(VALU_DEP_1) | instskip(NEXT) | instid1(VALU_DEP_1)
	v_cmp_eq_u32_e64 s0, 1, v13
	s_xor_b32 s0, s0, -1
	s_delay_alu instid0(SALU_CYCLE_1)
	s_and_saveexec_b32 s10, s0
	s_cbranch_execz .LBB713_63
; %bb.62:
	v_sub_f32_e32 v12, v12, v20
	s_delay_alu instid0(VALU_DEP_1) | instskip(NEXT) | instid1(VALU_DEP_1)
	v_mul_f32_e32 v13, 0x3fb8aa3b, v12
	v_fma_f32 v14, 0x3fb8aa3b, v12, -v13
	v_rndne_f32_e32 v22, v13
	s_delay_alu instid0(VALU_DEP_1) | instskip(SKIP_1) | instid1(VALU_DEP_2)
	v_dual_sub_f32 v13, v13, v22 :: v_dual_fmamk_f32 v14, v12, 0x32a5705f, v14
	v_cmp_ngt_f32_e64 s0, 0xc2ce8ed0, v12
	v_add_f32_e32 v13, v13, v14
	v_cvt_i32_f32_e32 v14, v22
	s_delay_alu instid0(VALU_DEP_2) | instskip(SKIP_2) | instid1(VALU_DEP_1)
	v_exp_f32_e32 v13, v13
	s_waitcnt_depctr 0xfff
	v_ldexp_f32 v13, v13, v14
	v_cndmask_b32_e64 v13, 0, v13, s0
	v_cmp_nlt_f32_e64 s0, 0x42b17218, v12
	s_delay_alu instid0(VALU_DEP_1) | instskip(NEXT) | instid1(VALU_DEP_1)
	v_cndmask_b32_e64 v14, 0x7f800000, v13, s0
	v_add_f32_e32 v21, v21, v14
.LBB713_63:
	s_or_b32 exec_lo, exec_lo, s10
.LBB713_64:
	s_delay_alu instid0(SALU_CYCLE_1)
	s_or_b32 exec_lo, exec_lo, s1
	v_dual_mov_b32 v12, 0 :: v_dual_mov_b32 v13, 0
	s_and_saveexec_b32 s1, s15
	s_cbranch_execz .LBB713_68
; %bb.65:
	global_load_u8 v13, v[2:3], off offset:128
	s_waitcnt vmcnt(0)
	v_and_b32_e32 v13, 1, v13
	s_delay_alu instid0(VALU_DEP_1) | instskip(SKIP_1) | instid1(VALU_DEP_2)
	v_cmp_eq_u32_e64 s0, 1, v13
	v_mov_b32_e32 v13, 0
	s_xor_b32 s0, s0, -1
	s_delay_alu instid0(SALU_CYCLE_1)
	s_and_saveexec_b32 s10, s0
	s_cbranch_execz .LBB713_67
; %bb.66:
	v_sub_f32_e32 v11, v11, v20
	s_delay_alu instid0(VALU_DEP_1) | instskip(SKIP_1) | instid1(VALU_DEP_2)
	v_mul_f32_e32 v13, 0x3fb8aa3b, v11
	v_cmp_ngt_f32_e64 s0, 0xc2ce8ed0, v11
	v_fma_f32 v22, 0x3fb8aa3b, v11, -v13
	v_rndne_f32_e32 v23, v13
	s_delay_alu instid0(VALU_DEP_1) | instskip(NEXT) | instid1(VALU_DEP_1)
	v_dual_fmamk_f32 v22, v11, 0x32a5705f, v22 :: v_dual_sub_f32 v13, v13, v23
	v_add_f32_e32 v13, v13, v22
	v_cvt_i32_f32_e32 v22, v23
	s_delay_alu instid0(VALU_DEP_2) | instskip(SKIP_2) | instid1(VALU_DEP_1)
	v_exp_f32_e32 v13, v13
	s_waitcnt_depctr 0xfff
	v_ldexp_f32 v13, v13, v22
	v_cndmask_b32_e64 v13, 0, v13, s0
	v_cmp_nlt_f32_e64 s0, 0x42b17218, v11
	s_delay_alu instid0(VALU_DEP_1) | instskip(NEXT) | instid1(VALU_DEP_1)
	v_cndmask_b32_e64 v13, 0x7f800000, v13, s0
	v_add_f32_e32 v21, v21, v13
.LBB713_67:
	s_or_b32 exec_lo, exec_lo, s10
.LBB713_68:
	s_delay_alu instid0(SALU_CYCLE_1)
	s_or_b32 exec_lo, exec_lo, s1
	s_and_saveexec_b32 s1, s14
	s_cbranch_execz .LBB713_72
; %bb.69:
	global_load_u8 v11, v[2:3], off offset:160
	s_waitcnt vmcnt(0)
	v_dual_mov_b32 v12, 0 :: v_dual_and_b32 v11, 1, v11
	s_delay_alu instid0(VALU_DEP_1) | instskip(NEXT) | instid1(VALU_DEP_1)
	v_cmp_eq_u32_e64 s0, 1, v11
	s_xor_b32 s0, s0, -1
	s_delay_alu instid0(SALU_CYCLE_1)
	s_and_saveexec_b32 s10, s0
	s_cbranch_execz .LBB713_71
; %bb.70:
	v_sub_f32_e32 v10, v10, v20
	s_delay_alu instid0(VALU_DEP_1) | instskip(NEXT) | instid1(VALU_DEP_1)
	v_mul_f32_e32 v11, 0x3fb8aa3b, v10
	v_fma_f32 v12, 0x3fb8aa3b, v10, -v11
	v_rndne_f32_e32 v22, v11
	s_delay_alu instid0(VALU_DEP_1) | instskip(SKIP_1) | instid1(VALU_DEP_2)
	v_dual_sub_f32 v11, v11, v22 :: v_dual_fmamk_f32 v12, v10, 0x32a5705f, v12
	v_cmp_ngt_f32_e64 s0, 0xc2ce8ed0, v10
	v_add_f32_e32 v11, v11, v12
	v_cvt_i32_f32_e32 v12, v22
	s_delay_alu instid0(VALU_DEP_2) | instskip(SKIP_2) | instid1(VALU_DEP_1)
	v_exp_f32_e32 v11, v11
	s_waitcnt_depctr 0xfff
	v_ldexp_f32 v11, v11, v12
	v_cndmask_b32_e64 v11, 0, v11, s0
	v_cmp_nlt_f32_e64 s0, 0x42b17218, v10
	s_delay_alu instid0(VALU_DEP_1) | instskip(NEXT) | instid1(VALU_DEP_1)
	v_cndmask_b32_e64 v12, 0x7f800000, v11, s0
	v_add_f32_e32 v21, v21, v12
.LBB713_71:
	s_or_b32 exec_lo, exec_lo, s10
.LBB713_72:
	s_delay_alu instid0(SALU_CYCLE_1)
	s_or_b32 exec_lo, exec_lo, s1
	v_dual_mov_b32 v10, 0 :: v_dual_mov_b32 v11, 0
	s_and_saveexec_b32 s1, s11
	s_cbranch_execz .LBB713_76
; %bb.73:
	global_load_u8 v11, v[2:3], off offset:192
	s_waitcnt vmcnt(0)
	v_and_b32_e32 v11, 1, v11
	s_delay_alu instid0(VALU_DEP_1) | instskip(SKIP_1) | instid1(VALU_DEP_2)
	v_cmp_eq_u32_e64 s0, 1, v11
	v_mov_b32_e32 v11, 0
	s_xor_b32 s0, s0, -1
	s_delay_alu instid0(SALU_CYCLE_1)
	s_and_saveexec_b32 s10, s0
	s_cbranch_execz .LBB713_75
; %bb.74:
	v_sub_f32_e32 v9, v9, v20
	s_delay_alu instid0(VALU_DEP_1) | instskip(SKIP_1) | instid1(VALU_DEP_2)
	v_mul_f32_e32 v11, 0x3fb8aa3b, v9
	v_cmp_ngt_f32_e64 s0, 0xc2ce8ed0, v9
	v_fma_f32 v22, 0x3fb8aa3b, v9, -v11
	v_rndne_f32_e32 v23, v11
	s_delay_alu instid0(VALU_DEP_1) | instskip(NEXT) | instid1(VALU_DEP_1)
	v_dual_fmamk_f32 v22, v9, 0x32a5705f, v22 :: v_dual_sub_f32 v11, v11, v23
	v_add_f32_e32 v11, v11, v22
	v_cvt_i32_f32_e32 v22, v23
	s_delay_alu instid0(VALU_DEP_2) | instskip(SKIP_2) | instid1(VALU_DEP_1)
	v_exp_f32_e32 v11, v11
	s_waitcnt_depctr 0xfff
	v_ldexp_f32 v11, v11, v22
	v_cndmask_b32_e64 v11, 0, v11, s0
	v_cmp_nlt_f32_e64 s0, 0x42b17218, v9
	s_delay_alu instid0(VALU_DEP_1) | instskip(NEXT) | instid1(VALU_DEP_1)
	v_cndmask_b32_e64 v11, 0x7f800000, v11, s0
	v_add_f32_e32 v21, v21, v11
.LBB713_75:
	s_or_b32 exec_lo, exec_lo, s10
.LBB713_76:
	s_delay_alu instid0(SALU_CYCLE_1)
	s_or_b32 exec_lo, exec_lo, s1
	s_and_saveexec_b32 s1, s9
	s_cbranch_execz .LBB713_80
; %bb.77:
	global_load_u8 v2, v[2:3], off offset:224
	v_mov_b32_e32 v10, 0
	s_waitcnt vmcnt(0)
	v_and_b32_e32 v2, 1, v2
	s_delay_alu instid0(VALU_DEP_1) | instskip(NEXT) | instid1(VALU_DEP_1)
	v_cmp_eq_u32_e64 s0, 1, v2
	s_xor_b32 s0, s0, -1
	s_delay_alu instid0(SALU_CYCLE_1)
	s_and_saveexec_b32 s9, s0
	s_cbranch_execz .LBB713_79
; %bb.78:
	v_sub_f32_e32 v2, v8, v20
	s_delay_alu instid0(VALU_DEP_1) | instskip(NEXT) | instid1(VALU_DEP_1)
	v_mul_f32_e32 v3, 0x3fb8aa3b, v2
	v_fma_f32 v8, 0x3fb8aa3b, v2, -v3
	v_rndne_f32_e32 v9, v3
	s_delay_alu instid0(VALU_DEP_1) | instskip(SKIP_1) | instid1(VALU_DEP_2)
	v_dual_sub_f32 v3, v3, v9 :: v_dual_fmamk_f32 v8, v2, 0x32a5705f, v8
	v_cmp_ngt_f32_e64 s0, 0xc2ce8ed0, v2
	v_add_f32_e32 v3, v3, v8
	v_cvt_i32_f32_e32 v8, v9
	s_delay_alu instid0(VALU_DEP_2) | instskip(SKIP_2) | instid1(VALU_DEP_1)
	v_exp_f32_e32 v3, v3
	s_waitcnt_depctr 0xfff
	v_ldexp_f32 v3, v3, v8
	v_cndmask_b32_e64 v3, 0, v3, s0
	v_cmp_nlt_f32_e64 s0, 0x42b17218, v2
	s_delay_alu instid0(VALU_DEP_1) | instskip(NEXT) | instid1(VALU_DEP_1)
	v_cndmask_b32_e64 v10, 0x7f800000, v3, s0
	v_add_f32_e32 v21, v21, v10
.LBB713_79:
	s_or_b32 exec_lo, exec_lo, s9
.LBB713_80:
	s_delay_alu instid0(SALU_CYCLE_1)
	s_or_b32 exec_lo, exec_lo, s1
	ds_bpermute_b32 v2, v5, v21
	s_mov_b32 s1, exec_lo
	s_waitcnt lgkmcnt(0)
	v_add_f32_e32 v2, v21, v2
	ds_bpermute_b32 v3, v6, v2
	s_waitcnt lgkmcnt(0)
	v_add_f32_e32 v2, v2, v3
	ds_bpermute_b32 v3, v16, v2
	;; [unrolled: 3-line block ×4, first 2 shown]
	v_cmpx_lt_i32_e32 0, v7
	s_cbranch_execz .LBB713_90
; %bb.81:
	s_and_b32 exec_lo, exec_lo, vcc_lo
	s_cbranch_execz .LBB713_90
; %bb.82:
	s_waitcnt lgkmcnt(0)
	v_add_f32_e32 v2, v2, v3
	s_delay_alu instid0(VALU_DEP_1) | instskip(SKIP_2) | instid1(VALU_DEP_3)
	v_div_scale_f32 v3, null, v2, v2, v18
	v_div_scale_f32 v7, vcc_lo, v18, v2, v18
	v_cmp_eq_f32_e64 s0, 0, v2
	v_rcp_f32_e32 v5, v3
	s_waitcnt_depctr 0xfff
	v_fma_f32 v6, -v3, v5, 1.0
	s_delay_alu instid0(VALU_DEP_1) | instskip(NEXT) | instid1(VALU_DEP_1)
	v_fmac_f32_e32 v5, v6, v5
	v_mul_f32_e32 v6, v7, v5
	s_delay_alu instid0(VALU_DEP_1) | instskip(NEXT) | instid1(VALU_DEP_1)
	v_fma_f32 v8, -v3, v6, v7
	v_fmac_f32_e32 v6, v8, v5
	s_delay_alu instid0(VALU_DEP_1) | instskip(NEXT) | instid1(VALU_DEP_1)
	v_fma_f32 v3, -v3, v6, v7
	v_div_fmas_f32 v3, v3, v5, v6
	v_add_co_u32 v0, vcc_lo, s12, v0
	v_add_co_ci_u32_e32 v1, vcc_lo, s13, v1, vcc_lo
	s_delay_alu instid0(VALU_DEP_3) | instskip(NEXT) | instid1(VALU_DEP_1)
	v_div_fixup_f32 v3, v3, v2, v18
	v_cndmask_b32_e64 v3, v3, 0x7fc00000, s0
	global_store_b32 v[0:1], v3, off
	s_and_b32 exec_lo, exec_lo, s8
	s_cbranch_execz .LBB713_90
; %bb.83:
	v_div_scale_f32 v3, null, v2, v2, v4
	s_delay_alu instid0(VALU_DEP_1) | instskip(SKIP_2) | instid1(VALU_DEP_1)
	v_rcp_f32_e32 v5, v3
	s_waitcnt_depctr 0xfff
	v_fma_f32 v6, -v3, v5, 1.0
	v_fmac_f32_e32 v5, v6, v5
	v_div_scale_f32 v6, vcc_lo, v4, v2, v4
	s_delay_alu instid0(VALU_DEP_1) | instskip(NEXT) | instid1(VALU_DEP_1)
	v_mul_f32_e32 v7, v6, v5
	v_fma_f32 v8, -v3, v7, v6
	s_delay_alu instid0(VALU_DEP_1) | instskip(NEXT) | instid1(VALU_DEP_1)
	v_fmac_f32_e32 v7, v8, v5
	v_fma_f32 v3, -v3, v7, v6
	s_delay_alu instid0(VALU_DEP_1) | instskip(NEXT) | instid1(VALU_DEP_1)
	v_div_fmas_f32 v3, v3, v5, v7
	v_div_fixup_f32 v3, v3, v2, v4
	s_delay_alu instid0(VALU_DEP_1)
	v_cndmask_b32_e64 v3, v3, 0x7fc00000, s0
	global_store_b32 v[0:1], v3, off offset:128
	s_and_b32 exec_lo, exec_lo, s7
	s_cbranch_execz .LBB713_90
; %bb.84:
	v_div_scale_f32 v3, null, v2, v2, v15
	s_delay_alu instid0(VALU_DEP_1) | instskip(SKIP_2) | instid1(VALU_DEP_1)
	v_rcp_f32_e32 v4, v3
	s_waitcnt_depctr 0xfff
	v_fma_f32 v5, -v3, v4, 1.0
	v_fmac_f32_e32 v4, v5, v4
	v_div_scale_f32 v5, vcc_lo, v15, v2, v15
	s_delay_alu instid0(VALU_DEP_1) | instskip(NEXT) | instid1(VALU_DEP_1)
	v_mul_f32_e32 v6, v5, v4
	v_fma_f32 v7, -v3, v6, v5
	s_delay_alu instid0(VALU_DEP_1) | instskip(NEXT) | instid1(VALU_DEP_1)
	v_fmac_f32_e32 v6, v7, v4
	v_fma_f32 v3, -v3, v6, v5
	s_delay_alu instid0(VALU_DEP_1) | instskip(NEXT) | instid1(VALU_DEP_1)
	v_div_fmas_f32 v3, v3, v4, v6
	v_div_fixup_f32 v3, v3, v2, v15
	s_delay_alu instid0(VALU_DEP_1)
	v_cndmask_b32_e64 v3, v3, 0x7fc00000, s0
	global_store_b32 v[0:1], v3, off offset:256
	;; [unrolled: 22-line block ×7, first 2 shown]
.LBB713_90:
	s_nop 0
	s_sendmsg sendmsg(MSG_DEALLOC_VGPRS)
	s_endpgm
	.section	.rodata,"a",@progbits
	.p2align	6, 0x0
	.amdhsa_kernel _ZN12_GLOBAL__N_120softmax_warp_forwardIfffLi8ELb0ELb1ELi32EEEvPT0_PKT_iiiPKbib
		.amdhsa_group_segment_fixed_size 0
		.amdhsa_private_segment_fixed_size 0
		.amdhsa_kernarg_size 304
		.amdhsa_user_sgpr_count 15
		.amdhsa_user_sgpr_dispatch_ptr 0
		.amdhsa_user_sgpr_queue_ptr 0
		.amdhsa_user_sgpr_kernarg_segment_ptr 1
		.amdhsa_user_sgpr_dispatch_id 0
		.amdhsa_user_sgpr_private_segment_size 0
		.amdhsa_wavefront_size32 1
		.amdhsa_uses_dynamic_stack 0
		.amdhsa_enable_private_segment 0
		.amdhsa_system_sgpr_workgroup_id_x 1
		.amdhsa_system_sgpr_workgroup_id_y 0
		.amdhsa_system_sgpr_workgroup_id_z 0
		.amdhsa_system_sgpr_workgroup_info 0
		.amdhsa_system_vgpr_workitem_id 1
		.amdhsa_next_free_vgpr 24
		.amdhsa_next_free_sgpr 22
		.amdhsa_reserve_vcc 1
		.amdhsa_float_round_mode_32 0
		.amdhsa_float_round_mode_16_64 0
		.amdhsa_float_denorm_mode_32 3
		.amdhsa_float_denorm_mode_16_64 3
		.amdhsa_dx10_clamp 1
		.amdhsa_ieee_mode 1
		.amdhsa_fp16_overflow 0
		.amdhsa_workgroup_processor_mode 1
		.amdhsa_memory_ordered 1
		.amdhsa_forward_progress 0
		.amdhsa_shared_vgpr_count 0
		.amdhsa_exception_fp_ieee_invalid_op 0
		.amdhsa_exception_fp_denorm_src 0
		.amdhsa_exception_fp_ieee_div_zero 0
		.amdhsa_exception_fp_ieee_overflow 0
		.amdhsa_exception_fp_ieee_underflow 0
		.amdhsa_exception_fp_ieee_inexact 0
		.amdhsa_exception_int_div_zero 0
	.end_amdhsa_kernel
	.section	.text._ZN12_GLOBAL__N_120softmax_warp_forwardIfffLi8ELb0ELb1ELi32EEEvPT0_PKT_iiiPKbib,"axG",@progbits,_ZN12_GLOBAL__N_120softmax_warp_forwardIfffLi8ELb0ELb1ELi32EEEvPT0_PKT_iiiPKbib,comdat
.Lfunc_end713:
	.size	_ZN12_GLOBAL__N_120softmax_warp_forwardIfffLi8ELb0ELb1ELi32EEEvPT0_PKT_iiiPKbib, .Lfunc_end713-_ZN12_GLOBAL__N_120softmax_warp_forwardIfffLi8ELb0ELb1ELi32EEEvPT0_PKT_iiiPKbib
                                        ; -- End function
	.section	.AMDGPU.csdata,"",@progbits
; Kernel info:
; codeLenInByte = 4684
; NumSgprs: 24
; NumVgprs: 24
; ScratchSize: 0
; MemoryBound: 0
; FloatMode: 240
; IeeeMode: 1
; LDSByteSize: 0 bytes/workgroup (compile time only)
; SGPRBlocks: 2
; VGPRBlocks: 2
; NumSGPRsForWavesPerEU: 24
; NumVGPRsForWavesPerEU: 24
; Occupancy: 16
; WaveLimiterHint : 0
; COMPUTE_PGM_RSRC2:SCRATCH_EN: 0
; COMPUTE_PGM_RSRC2:USER_SGPR: 15
; COMPUTE_PGM_RSRC2:TRAP_HANDLER: 0
; COMPUTE_PGM_RSRC2:TGID_X_EN: 1
; COMPUTE_PGM_RSRC2:TGID_Y_EN: 0
; COMPUTE_PGM_RSRC2:TGID_Z_EN: 0
; COMPUTE_PGM_RSRC2:TIDIG_COMP_CNT: 1
	.section	.text._ZN12_GLOBAL__N_120softmax_warp_forwardIfffLi9ELb0ELb1ELi64EEEvPT0_PKT_iiiPKbib,"axG",@progbits,_ZN12_GLOBAL__N_120softmax_warp_forwardIfffLi9ELb0ELb1ELi64EEEvPT0_PKT_iiiPKbib,comdat
	.globl	_ZN12_GLOBAL__N_120softmax_warp_forwardIfffLi9ELb0ELb1ELi64EEEvPT0_PKT_iiiPKbib ; -- Begin function _ZN12_GLOBAL__N_120softmax_warp_forwardIfffLi9ELb0ELb1ELi64EEEvPT0_PKT_iiiPKbib
	.p2align	8
	.type	_ZN12_GLOBAL__N_120softmax_warp_forwardIfffLi9ELb0ELb1ELi64EEEvPT0_PKT_iiiPKbib,@function
_ZN12_GLOBAL__N_120softmax_warp_forwardIfffLi9ELb0ELb1ELi64EEEvPT0_PKT_iiiPKbib: ; @_ZN12_GLOBAL__N_120softmax_warp_forwardIfffLi9ELb0ELb1ELi64EEEvPT0_PKT_iiiPKbib
; %bb.0:
	s_clause 0x1
	s_load_b32 s2, s[0:1], 0x3c
	s_load_b128 s[8:11], s[0:1], 0x10
	v_bfe_u32 v3, v0, 10, 10
	s_waitcnt lgkmcnt(0)
	s_lshr_b32 s2, s2, 16
	s_delay_alu instid0(VALU_DEP_1) | instid1(SALU_CYCLE_1)
	v_mad_u64_u32 v[1:2], null, s15, s2, v[3:4]
	s_load_b64 s[2:3], s[0:1], 0x28
	v_and_b32_e32 v2, 0x3ff, v0
	s_delay_alu instid0(VALU_DEP_2) | instskip(NEXT) | instid1(VALU_DEP_1)
	v_mul_lo_u32 v7, v1, s9
	v_add_nc_u32_e32 v5, v7, v2
	s_delay_alu instid0(VALU_DEP_1) | instskip(SKIP_3) | instid1(VALU_DEP_2)
	v_ashrrev_i32_e32 v6, 31, v5
	v_mov_b32_e32 v3, v5
	s_waitcnt lgkmcnt(0)
	s_bitcmp0_b32 s3, 0
	v_mov_b32_e32 v4, v6
	s_cbranch_scc1 .LBB714_2
; %bb.1:
	s_abs_i32 s3, s2
	v_sub_nc_u32_e32 v4, 0, v7
	v_cvt_f32_u32_e32 v0, s3
	s_sub_i32 s4, 0, s3
	s_delay_alu instid0(VALU_DEP_2) | instskip(NEXT) | instid1(VALU_DEP_2)
	v_max_i32_e32 v4, v7, v4
	v_rcp_iflag_f32_e32 v0, v0
	s_waitcnt_depctr 0xfff
	v_mul_f32_e32 v0, 0x4f7ffffe, v0
	s_delay_alu instid0(VALU_DEP_1) | instskip(NEXT) | instid1(VALU_DEP_1)
	v_cvt_u32_f32_e32 v0, v0
	v_mul_lo_u32 v3, s4, v0
	s_delay_alu instid0(VALU_DEP_1) | instskip(NEXT) | instid1(VALU_DEP_1)
	v_mul_hi_u32 v3, v0, v3
	v_add_nc_u32_e32 v0, v0, v3
	s_delay_alu instid0(VALU_DEP_1) | instskip(NEXT) | instid1(VALU_DEP_1)
	v_mul_hi_u32 v0, v4, v0
	v_mul_lo_u32 v3, v0, s3
	s_delay_alu instid0(VALU_DEP_1) | instskip(SKIP_1) | instid1(VALU_DEP_2)
	v_sub_nc_u32_e32 v3, v4, v3
	v_add_nc_u32_e32 v4, 1, v0
	v_subrev_nc_u32_e32 v8, s3, v3
	v_cmp_le_u32_e32 vcc_lo, s3, v3
	s_delay_alu instid0(VALU_DEP_2) | instskip(NEXT) | instid1(VALU_DEP_4)
	v_cndmask_b32_e32 v3, v3, v8, vcc_lo
	v_cndmask_b32_e32 v0, v0, v4, vcc_lo
	v_xor_b32_e32 v4, s2, v7
	s_delay_alu instid0(VALU_DEP_3) | instskip(NEXT) | instid1(VALU_DEP_3)
	v_cmp_le_u32_e32 vcc_lo, s3, v3
	v_add_nc_u32_e32 v7, 1, v0
	s_delay_alu instid0(VALU_DEP_3) | instskip(NEXT) | instid1(VALU_DEP_2)
	v_ashrrev_i32_e32 v4, 31, v4
	v_cndmask_b32_e32 v0, v0, v7, vcc_lo
	s_delay_alu instid0(VALU_DEP_1) | instskip(NEXT) | instid1(VALU_DEP_1)
	v_xor_b32_e32 v0, v0, v4
	v_sub_nc_u32_e32 v0, v0, v4
	s_delay_alu instid0(VALU_DEP_1) | instskip(NEXT) | instid1(VALU_DEP_1)
	v_mad_u64_u32 v[3:4], null, v0, s9, v[2:3]
	v_ashrrev_i32_e32 v4, 31, v3
.LBB714_2:
	s_load_b128 s[12:15], s[0:1], 0x0
	v_sub_nc_u32_e32 v7, s8, v1
	v_lshlrev_b64 v[0:1], 2, v[5:6]
	v_cmp_gt_i32_e32 vcc_lo, s10, v2
	v_dual_mov_b32 v14, 0xff800000 :: v_dual_mov_b32 v15, 0xff800000
	s_delay_alu instid0(VALU_DEP_4) | instskip(NEXT) | instid1(VALU_DEP_1)
	v_cmp_lt_i32_e64 s9, 0, v7
	s_and_b32 s19, s9, vcc_lo
	s_waitcnt lgkmcnt(0)
	v_add_co_u32 v5, s2, s14, v0
	s_delay_alu instid0(VALU_DEP_1)
	v_add_co_ci_u32_e64 v6, s2, s15, v1, s2
	s_and_saveexec_b32 s2, s19
	s_cbranch_execz .LBB714_4
; %bb.3:
	global_load_b32 v15, v[5:6], off
.LBB714_4:
	s_or_b32 exec_lo, exec_lo, s2
	v_add_nc_u32_e32 v8, 64, v2
	s_delay_alu instid0(VALU_DEP_1) | instskip(NEXT) | instid1(VALU_DEP_1)
	v_cmp_gt_i32_e64 s8, s10, v8
	s_and_b32 s18, s9, s8
	s_delay_alu instid0(SALU_CYCLE_1)
	s_and_saveexec_b32 s2, s18
	s_cbranch_execz .LBB714_6
; %bb.5:
	global_load_b32 v14, v[5:6], off offset:256
.LBB714_6:
	s_or_b32 exec_lo, exec_lo, s2
	v_add_nc_u32_e32 v8, 0x80, v2
	v_dual_mov_b32 v12, 0xff800000 :: v_dual_mov_b32 v13, 0xff800000
	s_delay_alu instid0(VALU_DEP_2) | instskip(NEXT) | instid1(VALU_DEP_1)
	v_cmp_gt_i32_e64 s7, s10, v8
	s_and_b32 s17, s9, s7
	s_delay_alu instid0(SALU_CYCLE_1)
	s_and_saveexec_b32 s2, s17
	s_cbranch_execz .LBB714_8
; %bb.7:
	global_load_b32 v13, v[5:6], off offset:512
.LBB714_8:
	s_or_b32 exec_lo, exec_lo, s2
	v_add_nc_u32_e32 v8, 0xc0, v2
	s_delay_alu instid0(VALU_DEP_1) | instskip(NEXT) | instid1(VALU_DEP_1)
	v_cmp_gt_i32_e64 s6, s10, v8
	s_and_b32 s16, s9, s6
	s_delay_alu instid0(SALU_CYCLE_1)
	s_and_saveexec_b32 s2, s16
	s_cbranch_execz .LBB714_10
; %bb.9:
	global_load_b32 v12, v[5:6], off offset:768
.LBB714_10:
	s_or_b32 exec_lo, exec_lo, s2
	v_add_nc_u32_e32 v8, 0x100, v2
	v_dual_mov_b32 v10, 0xff800000 :: v_dual_mov_b32 v11, 0xff800000
	s_delay_alu instid0(VALU_DEP_2) | instskip(NEXT) | instid1(VALU_DEP_1)
	v_cmp_gt_i32_e64 s5, s10, v8
	s_and_b32 s15, s9, s5
	s_delay_alu instid0(SALU_CYCLE_1)
	s_and_saveexec_b32 s2, s15
	s_cbranch_execz .LBB714_12
; %bb.11:
	global_load_b32 v11, v[5:6], off offset:1024
.LBB714_12:
	s_or_b32 exec_lo, exec_lo, s2
	v_add_nc_u32_e32 v8, 0x140, v2
	s_delay_alu instid0(VALU_DEP_1) | instskip(NEXT) | instid1(VALU_DEP_1)
	v_cmp_gt_i32_e64 s4, s10, v8
	s_and_b32 s14, s9, s4
	s_delay_alu instid0(SALU_CYCLE_1)
	s_and_saveexec_b32 s2, s14
	s_cbranch_execz .LBB714_14
; %bb.13:
	global_load_b32 v10, v[5:6], off offset:1280
.LBB714_14:
	s_or_b32 exec_lo, exec_lo, s2
	v_add_nc_u32_e32 v8, 0x180, v2
	v_mov_b32_e32 v9, 0xff800000
	s_delay_alu instid0(VALU_DEP_2) | instskip(SKIP_1) | instid1(VALU_DEP_2)
	v_cmp_gt_i32_e64 s3, s10, v8
	v_mov_b32_e32 v8, 0xff800000
	s_and_b32 s11, s9, s3
	s_delay_alu instid0(SALU_CYCLE_1)
	s_and_saveexec_b32 s2, s11
	s_cbranch_execz .LBB714_16
; %bb.15:
	global_load_b32 v9, v[5:6], off offset:1536
.LBB714_16:
	s_or_b32 exec_lo, exec_lo, s2
	v_add_nc_u32_e32 v2, 0x1c0, v2
	s_delay_alu instid0(VALU_DEP_1) | instskip(NEXT) | instid1(VALU_DEP_1)
	v_cmp_gt_i32_e64 s2, s10, v2
	s_and_b32 s9, s9, s2
	s_delay_alu instid0(SALU_CYCLE_1)
	s_and_saveexec_b32 s10, s9
	s_cbranch_execz .LBB714_18
; %bb.17:
	global_load_b32 v8, v[5:6], off offset:1792
.LBB714_18:
	s_or_b32 exec_lo, exec_lo, s10
	s_load_b64 s[0:1], s[0:1], 0x20
	s_waitcnt lgkmcnt(0)
	v_add_co_u32 v2, s0, s0, v3
	s_delay_alu instid0(VALU_DEP_1)
	v_add_co_ci_u32_e64 v3, s0, s1, v4, s0
	s_mov_b32 s1, 0
	s_and_saveexec_b32 s10, s19
	s_cbranch_execnz .LBB714_26
; %bb.19:
	s_or_b32 exec_lo, exec_lo, s10
	s_waitcnt vmcnt(0)
	v_mov_b32_e32 v4, v15
	s_and_saveexec_b32 s10, s18
	s_cbranch_execnz .LBB714_27
.LBB714_20:
	s_or_b32 exec_lo, exec_lo, s10
	s_and_saveexec_b32 s10, s17
	s_cbranch_execnz .LBB714_30
.LBB714_21:
	s_or_b32 exec_lo, exec_lo, s10
	s_and_saveexec_b32 s10, s16
	s_cbranch_execnz .LBB714_33
.LBB714_22:
	s_or_b32 exec_lo, exec_lo, s10
	s_and_saveexec_b32 s10, s15
	s_cbranch_execnz .LBB714_36
.LBB714_23:
	s_or_b32 exec_lo, exec_lo, s10
	s_and_saveexec_b32 s10, s14
	s_cbranch_execnz .LBB714_39
.LBB714_24:
	s_or_b32 exec_lo, exec_lo, s10
	s_and_saveexec_b32 s10, s11
	s_cbranch_execnz .LBB714_42
.LBB714_25:
	s_or_b32 exec_lo, exec_lo, s10
	s_and_saveexec_b32 s10, s9
	s_cbranch_execnz .LBB714_45
	s_branch .LBB714_48
.LBB714_26:
	global_load_u8 v4, v[2:3], off
	s_waitcnt vmcnt(0)
	v_and_b32_e32 v4, 1, v4
	s_delay_alu instid0(VALU_DEP_1) | instskip(NEXT) | instid1(VALU_DEP_1)
	v_cmp_eq_u32_e64 s0, 1, v4
	s_xor_b32 s0, s0, -1
	s_delay_alu instid0(SALU_CYCLE_1)
	s_and_b32 s1, s0, exec_lo
	s_or_b32 exec_lo, exec_lo, s10
	v_mov_b32_e32 v4, v15
	s_and_saveexec_b32 s10, s18
	s_cbranch_execz .LBB714_20
.LBB714_27:
	global_load_u8 v4, v[2:3], off offset:64
	s_waitcnt vmcnt(0)
	v_and_b32_e32 v4, 1, v4
	s_delay_alu instid0(VALU_DEP_1) | instskip(SKIP_1) | instid1(VALU_DEP_2)
	v_cmp_eq_u32_e64 s0, 1, v4
	v_mov_b32_e32 v4, v15
	s_xor_b32 s21, s0, -1
	s_mov_b32 s0, s1
	s_and_saveexec_b32 s20, s21
; %bb.28:
	v_cmp_gt_f32_e64 s0, v15, v14
	s_delay_alu instid0(VALU_DEP_1) | instskip(NEXT) | instid1(SALU_CYCLE_1)
	s_and_b32 s0, s1, s0
	v_cndmask_b32_e64 v4, v14, v15, s0
	s_or_b32 s0, s1, exec_lo
; %bb.29:
	s_or_b32 exec_lo, exec_lo, s20
	s_delay_alu instid0(SALU_CYCLE_1) | instskip(SKIP_1) | instid1(SALU_CYCLE_1)
	s_and_not1_b32 s1, s1, exec_lo
	s_and_b32 s0, s0, exec_lo
	s_or_b32 s1, s1, s0
	s_or_b32 exec_lo, exec_lo, s10
	s_and_saveexec_b32 s10, s17
	s_cbranch_execz .LBB714_21
.LBB714_30:
	global_load_u8 v5, v[2:3], off offset:128
	s_waitcnt vmcnt(0)
	v_and_b32_e32 v5, 1, v5
	s_delay_alu instid0(VALU_DEP_1) | instskip(NEXT) | instid1(VALU_DEP_1)
	v_cmp_eq_u32_e64 s0, 1, v5
	s_xor_b32 s21, s0, -1
	s_mov_b32 s0, s1
	s_and_saveexec_b32 s20, s21
; %bb.31:
	v_cmp_gt_f32_e64 s0, v4, v13
	s_delay_alu instid0(VALU_DEP_1) | instskip(NEXT) | instid1(SALU_CYCLE_1)
	s_and_b32 s0, s1, s0
	v_cndmask_b32_e64 v4, v13, v4, s0
	s_or_b32 s0, s1, exec_lo
; %bb.32:
	s_or_b32 exec_lo, exec_lo, s20
	s_delay_alu instid0(SALU_CYCLE_1) | instskip(SKIP_1) | instid1(SALU_CYCLE_1)
	s_and_not1_b32 s1, s1, exec_lo
	s_and_b32 s0, s0, exec_lo
	s_or_b32 s1, s1, s0
	s_or_b32 exec_lo, exec_lo, s10
	s_and_saveexec_b32 s10, s16
	s_cbranch_execz .LBB714_22
.LBB714_33:
	global_load_u8 v5, v[2:3], off offset:192
	s_waitcnt vmcnt(0)
	v_and_b32_e32 v5, 1, v5
	s_delay_alu instid0(VALU_DEP_1) | instskip(NEXT) | instid1(VALU_DEP_1)
	v_cmp_eq_u32_e64 s0, 1, v5
	s_xor_b32 s21, s0, -1
	s_mov_b32 s0, s1
	s_and_saveexec_b32 s20, s21
; %bb.34:
	v_cmp_gt_f32_e64 s0, v4, v12
	s_delay_alu instid0(VALU_DEP_1) | instskip(NEXT) | instid1(SALU_CYCLE_1)
	s_and_b32 s0, s1, s0
	v_cndmask_b32_e64 v4, v12, v4, s0
	s_or_b32 s0, s1, exec_lo
; %bb.35:
	s_or_b32 exec_lo, exec_lo, s20
	s_delay_alu instid0(SALU_CYCLE_1) | instskip(SKIP_1) | instid1(SALU_CYCLE_1)
	s_and_not1_b32 s1, s1, exec_lo
	s_and_b32 s0, s0, exec_lo
	s_or_b32 s1, s1, s0
	s_or_b32 exec_lo, exec_lo, s10
	s_and_saveexec_b32 s10, s15
	s_cbranch_execz .LBB714_23
.LBB714_36:
	global_load_u8 v5, v[2:3], off offset:256
	s_waitcnt vmcnt(0)
	v_and_b32_e32 v5, 1, v5
	s_delay_alu instid0(VALU_DEP_1) | instskip(NEXT) | instid1(VALU_DEP_1)
	v_cmp_eq_u32_e64 s0, 1, v5
	s_xor_b32 s21, s0, -1
	s_mov_b32 s0, s1
	s_and_saveexec_b32 s20, s21
; %bb.37:
	v_cmp_gt_f32_e64 s0, v4, v11
	s_delay_alu instid0(VALU_DEP_1) | instskip(NEXT) | instid1(SALU_CYCLE_1)
	s_and_b32 s0, s1, s0
	v_cndmask_b32_e64 v4, v11, v4, s0
	s_or_b32 s0, s1, exec_lo
; %bb.38:
	s_or_b32 exec_lo, exec_lo, s20
	s_delay_alu instid0(SALU_CYCLE_1) | instskip(SKIP_1) | instid1(SALU_CYCLE_1)
	s_and_not1_b32 s1, s1, exec_lo
	s_and_b32 s0, s0, exec_lo
	s_or_b32 s1, s1, s0
	s_or_b32 exec_lo, exec_lo, s10
	s_and_saveexec_b32 s10, s14
	s_cbranch_execz .LBB714_24
.LBB714_39:
	global_load_u8 v5, v[2:3], off offset:320
	s_waitcnt vmcnt(0)
	v_and_b32_e32 v5, 1, v5
	s_delay_alu instid0(VALU_DEP_1) | instskip(NEXT) | instid1(VALU_DEP_1)
	v_cmp_eq_u32_e64 s0, 1, v5
	s_xor_b32 s21, s0, -1
	s_mov_b32 s0, s1
	s_and_saveexec_b32 s20, s21
; %bb.40:
	v_cmp_gt_f32_e64 s0, v4, v10
	s_delay_alu instid0(VALU_DEP_1) | instskip(NEXT) | instid1(SALU_CYCLE_1)
	s_and_b32 s0, s1, s0
	v_cndmask_b32_e64 v4, v10, v4, s0
	s_or_b32 s0, s1, exec_lo
; %bb.41:
	s_or_b32 exec_lo, exec_lo, s20
	s_delay_alu instid0(SALU_CYCLE_1) | instskip(SKIP_1) | instid1(SALU_CYCLE_1)
	s_and_not1_b32 s1, s1, exec_lo
	s_and_b32 s0, s0, exec_lo
	s_or_b32 s1, s1, s0
	s_or_b32 exec_lo, exec_lo, s10
	s_and_saveexec_b32 s10, s11
	s_cbranch_execz .LBB714_25
.LBB714_42:
	global_load_u8 v5, v[2:3], off offset:384
	s_waitcnt vmcnt(0)
	v_and_b32_e32 v5, 1, v5
	s_delay_alu instid0(VALU_DEP_1) | instskip(NEXT) | instid1(VALU_DEP_1)
	v_cmp_eq_u32_e64 s0, 1, v5
	s_xor_b32 s21, s0, -1
	s_mov_b32 s0, s1
	s_and_saveexec_b32 s20, s21
; %bb.43:
	v_cmp_gt_f32_e64 s0, v4, v9
	s_delay_alu instid0(VALU_DEP_1) | instskip(NEXT) | instid1(SALU_CYCLE_1)
	s_and_b32 s0, s1, s0
	v_cndmask_b32_e64 v4, v9, v4, s0
	s_or_b32 s0, s1, exec_lo
; %bb.44:
	s_or_b32 exec_lo, exec_lo, s20
	s_delay_alu instid0(SALU_CYCLE_1) | instskip(SKIP_1) | instid1(SALU_CYCLE_1)
	s_and_not1_b32 s1, s1, exec_lo
	s_and_b32 s0, s0, exec_lo
	s_or_b32 s1, s1, s0
	s_or_b32 exec_lo, exec_lo, s10
	s_and_saveexec_b32 s10, s9
	s_cbranch_execz .LBB714_48
.LBB714_45:
	global_load_u8 v5, v[2:3], off offset:448
	s_waitcnt vmcnt(0)
	v_and_b32_e32 v5, 1, v5
	s_delay_alu instid0(VALU_DEP_1) | instskip(NEXT) | instid1(VALU_DEP_1)
	v_cmp_eq_u32_e64 s0, 1, v5
	s_xor_b32 s21, s0, -1
	s_mov_b32 s0, s1
	s_and_saveexec_b32 s20, s21
; %bb.46:
	v_cmp_gt_f32_e64 s0, v4, v8
	s_delay_alu instid0(VALU_DEP_1) | instskip(NEXT) | instid1(SALU_CYCLE_1)
	s_and_b32 s0, s1, s0
	v_cndmask_b32_e64 v4, v8, v4, s0
	s_or_b32 s0, s1, exec_lo
; %bb.47:
	s_or_b32 exec_lo, exec_lo, s20
	s_delay_alu instid0(SALU_CYCLE_1) | instskip(SKIP_1) | instid1(SALU_CYCLE_1)
	s_and_not1_b32 s1, s1, exec_lo
	s_and_b32 s0, s0, exec_lo
	s_or_b32 s1, s1, s0
.LBB714_48:
	s_or_b32 exec_lo, exec_lo, s10
	v_mbcnt_lo_u32_b32 v5, -1, 0
	v_cndmask_b32_e64 v16, 0xff800000, v4, s1
	s_delay_alu instid0(VALU_DEP_2) | instskip(NEXT) | instid1(VALU_DEP_1)
	v_or_b32_e32 v6, 32, v5
	v_cmp_gt_i32_e64 s0, 64, v6
	s_delay_alu instid0(VALU_DEP_1) | instskip(NEXT) | instid1(VALU_DEP_1)
	v_cndmask_b32_e64 v6, v5, v6, s0
	v_lshlrev_b32_e32 v4, 2, v6
	v_xor_b32_e32 v6, 16, v5
	ds_bpermute_b32 v17, v4, v16
	v_cmp_gt_i32_e64 s0, 64, v6
	s_delay_alu instid0(VALU_DEP_1) | instskip(NEXT) | instid1(VALU_DEP_1)
	v_cndmask_b32_e64 v6, v5, v6, s0
	v_lshlrev_b32_e32 v6, 2, v6
	s_waitcnt lgkmcnt(0)
	v_cmp_lt_f32_e64 s0, v16, v17
	s_delay_alu instid0(VALU_DEP_1) | instskip(SKIP_3) | instid1(VALU_DEP_1)
	v_cndmask_b32_e64 v17, v16, v17, s0
	v_xor_b32_e32 v16, 8, v5
	ds_bpermute_b32 v18, v6, v17
	v_cmp_gt_i32_e64 s0, 64, v16
	v_cndmask_b32_e64 v16, v5, v16, s0
	s_delay_alu instid0(VALU_DEP_1) | instskip(SKIP_2) | instid1(VALU_DEP_1)
	v_lshlrev_b32_e32 v16, 2, v16
	s_waitcnt lgkmcnt(0)
	v_cmp_lt_f32_e64 s0, v17, v18
	v_cndmask_b32_e64 v18, v17, v18, s0
	v_xor_b32_e32 v17, 4, v5
	ds_bpermute_b32 v19, v16, v18
	v_cmp_gt_i32_e64 s0, 64, v17
	s_delay_alu instid0(VALU_DEP_1) | instskip(NEXT) | instid1(VALU_DEP_1)
	v_cndmask_b32_e64 v17, v5, v17, s0
	v_lshlrev_b32_e32 v17, 2, v17
	s_waitcnt lgkmcnt(0)
	v_cmp_lt_f32_e64 s0, v18, v19
	s_delay_alu instid0(VALU_DEP_1) | instskip(SKIP_3) | instid1(VALU_DEP_1)
	v_cndmask_b32_e64 v19, v18, v19, s0
	v_xor_b32_e32 v18, 2, v5
	ds_bpermute_b32 v20, v17, v19
	v_cmp_gt_i32_e64 s0, 64, v18
	v_cndmask_b32_e64 v18, v5, v18, s0
	s_delay_alu instid0(VALU_DEP_1) | instskip(SKIP_2) | instid1(VALU_DEP_1)
	v_lshlrev_b32_e32 v18, 2, v18
	s_waitcnt lgkmcnt(0)
	v_cmp_lt_f32_e64 s0, v19, v20
	v_cndmask_b32_e64 v19, v19, v20, s0
	v_xor_b32_e32 v20, 1, v5
	ds_bpermute_b32 v21, v18, v19
	v_cmp_gt_i32_e64 s0, 64, v20
	s_delay_alu instid0(VALU_DEP_1) | instskip(NEXT) | instid1(VALU_DEP_1)
	v_cndmask_b32_e64 v5, v5, v20, s0
	v_dual_mov_b32 v5, 0 :: v_dual_lshlrev_b32 v20, 2, v5
	s_waitcnt lgkmcnt(0)
	v_cmp_lt_f32_e64 s0, v19, v21
	s_delay_alu instid0(VALU_DEP_1) | instskip(SKIP_3) | instid1(VALU_DEP_1)
	v_cndmask_b32_e64 v19, v19, v21, s0
	ds_bpermute_b32 v21, v20, v19
	s_waitcnt lgkmcnt(0)
	v_cmp_lt_f32_e64 s0, v19, v21
	v_cndmask_b32_e64 v21, v19, v21, s0
	v_mov_b32_e32 v19, 0
	s_and_saveexec_b32 s1, s19
	s_cbranch_execz .LBB714_52
; %bb.49:
	global_load_u8 v19, v[2:3], off
	s_waitcnt vmcnt(0)
	v_and_b32_e32 v19, 1, v19
	s_delay_alu instid0(VALU_DEP_1) | instskip(SKIP_1) | instid1(VALU_DEP_2)
	v_cmp_eq_u32_e64 s0, 1, v19
	v_mov_b32_e32 v19, 0
	s_xor_b32 s0, s0, -1
	s_delay_alu instid0(SALU_CYCLE_1)
	s_and_saveexec_b32 s10, s0
	s_cbranch_execz .LBB714_51
; %bb.50:
	v_sub_f32_e32 v15, v15, v21
	s_delay_alu instid0(VALU_DEP_1) | instskip(SKIP_1) | instid1(VALU_DEP_2)
	v_mul_f32_e32 v19, 0x3fb8aa3b, v15
	v_cmp_ngt_f32_e64 s0, 0xc2ce8ed0, v15
	v_fma_f32 v22, 0x3fb8aa3b, v15, -v19
	v_rndne_f32_e32 v23, v19
	s_delay_alu instid0(VALU_DEP_2) | instskip(NEXT) | instid1(VALU_DEP_2)
	v_fmamk_f32 v22, v15, 0x32a5705f, v22
	v_sub_f32_e32 v19, v19, v23
	s_delay_alu instid0(VALU_DEP_1) | instskip(SKIP_1) | instid1(VALU_DEP_2)
	v_add_f32_e32 v19, v19, v22
	v_cvt_i32_f32_e32 v22, v23
	v_exp_f32_e32 v19, v19
	s_waitcnt_depctr 0xfff
	v_ldexp_f32 v19, v19, v22
	s_delay_alu instid0(VALU_DEP_1) | instskip(SKIP_1) | instid1(VALU_DEP_1)
	v_cndmask_b32_e64 v19, 0, v19, s0
	v_cmp_nlt_f32_e64 s0, 0x42b17218, v15
	v_cndmask_b32_e64 v19, 0x7f800000, v19, s0
.LBB714_51:
	s_or_b32 exec_lo, exec_lo, s10
.LBB714_52:
	s_delay_alu instid0(SALU_CYCLE_1) | instskip(NEXT) | instid1(VALU_DEP_1)
	s_or_b32 exec_lo, exec_lo, s1
	v_mov_b32_e32 v22, v19
	s_and_saveexec_b32 s1, s18
	s_cbranch_execz .LBB714_56
; %bb.53:
	global_load_u8 v5, v[2:3], off offset:64
	s_waitcnt vmcnt(0)
	v_dual_mov_b32 v22, v19 :: v_dual_and_b32 v5, 1, v5
	s_delay_alu instid0(VALU_DEP_1) | instskip(SKIP_1) | instid1(VALU_DEP_2)
	v_cmp_eq_u32_e64 s0, 1, v5
	v_mov_b32_e32 v5, 0
	s_xor_b32 s0, s0, -1
	s_delay_alu instid0(SALU_CYCLE_1)
	s_and_saveexec_b32 s10, s0
	s_cbranch_execz .LBB714_55
; %bb.54:
	v_sub_f32_e32 v5, v14, v21
	s_delay_alu instid0(VALU_DEP_1) | instskip(SKIP_1) | instid1(VALU_DEP_2)
	v_mul_f32_e32 v14, 0x3fb8aa3b, v5
	v_cmp_ngt_f32_e64 s0, 0xc2ce8ed0, v5
	v_fma_f32 v15, 0x3fb8aa3b, v5, -v14
	v_rndne_f32_e32 v22, v14
	s_delay_alu instid0(VALU_DEP_1) | instskip(NEXT) | instid1(VALU_DEP_1)
	v_dual_fmamk_f32 v15, v5, 0x32a5705f, v15 :: v_dual_sub_f32 v14, v14, v22
	v_add_f32_e32 v14, v14, v15
	v_cvt_i32_f32_e32 v15, v22
	s_delay_alu instid0(VALU_DEP_2) | instskip(SKIP_2) | instid1(VALU_DEP_1)
	v_exp_f32_e32 v14, v14
	s_waitcnt_depctr 0xfff
	v_ldexp_f32 v14, v14, v15
	v_cndmask_b32_e64 v14, 0, v14, s0
	v_cmp_nlt_f32_e64 s0, 0x42b17218, v5
	s_delay_alu instid0(VALU_DEP_1) | instskip(NEXT) | instid1(VALU_DEP_1)
	v_cndmask_b32_e64 v5, 0x7f800000, v14, s0
	v_add_f32_e32 v22, v19, v5
.LBB714_55:
	s_or_b32 exec_lo, exec_lo, s10
.LBB714_56:
	s_delay_alu instid0(SALU_CYCLE_1)
	s_or_b32 exec_lo, exec_lo, s1
	v_dual_mov_b32 v14, 0 :: v_dual_mov_b32 v15, 0
	s_and_saveexec_b32 s1, s17
	s_cbranch_execz .LBB714_60
; %bb.57:
	global_load_u8 v15, v[2:3], off offset:128
	s_waitcnt vmcnt(0)
	v_and_b32_e32 v15, 1, v15
	s_delay_alu instid0(VALU_DEP_1) | instskip(SKIP_1) | instid1(VALU_DEP_2)
	v_cmp_eq_u32_e64 s0, 1, v15
	v_mov_b32_e32 v15, 0
	s_xor_b32 s0, s0, -1
	s_delay_alu instid0(SALU_CYCLE_1)
	s_and_saveexec_b32 s10, s0
	s_cbranch_execz .LBB714_59
; %bb.58:
	v_sub_f32_e32 v13, v13, v21
	s_delay_alu instid0(VALU_DEP_1) | instskip(SKIP_1) | instid1(VALU_DEP_2)
	v_mul_f32_e32 v15, 0x3fb8aa3b, v13
	v_cmp_ngt_f32_e64 s0, 0xc2ce8ed0, v13
	v_fma_f32 v23, 0x3fb8aa3b, v13, -v15
	v_rndne_f32_e32 v24, v15
	s_delay_alu instid0(VALU_DEP_2) | instskip(NEXT) | instid1(VALU_DEP_2)
	v_fmamk_f32 v23, v13, 0x32a5705f, v23
	v_sub_f32_e32 v15, v15, v24
	s_delay_alu instid0(VALU_DEP_1) | instskip(SKIP_1) | instid1(VALU_DEP_2)
	v_add_f32_e32 v15, v15, v23
	v_cvt_i32_f32_e32 v23, v24
	v_exp_f32_e32 v15, v15
	s_waitcnt_depctr 0xfff
	v_ldexp_f32 v15, v15, v23
	s_delay_alu instid0(VALU_DEP_1) | instskip(SKIP_1) | instid1(VALU_DEP_1)
	v_cndmask_b32_e64 v15, 0, v15, s0
	v_cmp_nlt_f32_e64 s0, 0x42b17218, v13
	v_cndmask_b32_e64 v15, 0x7f800000, v15, s0
	s_delay_alu instid0(VALU_DEP_1)
	v_add_f32_e32 v22, v22, v15
.LBB714_59:
	s_or_b32 exec_lo, exec_lo, s10
.LBB714_60:
	s_delay_alu instid0(SALU_CYCLE_1)
	s_or_b32 exec_lo, exec_lo, s1
	s_and_saveexec_b32 s1, s16
	s_cbranch_execz .LBB714_64
; %bb.61:
	global_load_u8 v13, v[2:3], off offset:192
	s_waitcnt vmcnt(0)
	v_dual_mov_b32 v14, 0 :: v_dual_and_b32 v13, 1, v13
	s_delay_alu instid0(VALU_DEP_1) | instskip(NEXT) | instid1(VALU_DEP_1)
	v_cmp_eq_u32_e64 s0, 1, v13
	s_xor_b32 s0, s0, -1
	s_delay_alu instid0(SALU_CYCLE_1)
	s_and_saveexec_b32 s10, s0
	s_cbranch_execz .LBB714_63
; %bb.62:
	v_sub_f32_e32 v12, v12, v21
	s_delay_alu instid0(VALU_DEP_1) | instskip(NEXT) | instid1(VALU_DEP_1)
	v_mul_f32_e32 v13, 0x3fb8aa3b, v12
	v_fma_f32 v14, 0x3fb8aa3b, v12, -v13
	v_rndne_f32_e32 v23, v13
	s_delay_alu instid0(VALU_DEP_1) | instskip(SKIP_1) | instid1(VALU_DEP_2)
	v_dual_sub_f32 v13, v13, v23 :: v_dual_fmamk_f32 v14, v12, 0x32a5705f, v14
	v_cmp_ngt_f32_e64 s0, 0xc2ce8ed0, v12
	v_add_f32_e32 v13, v13, v14
	v_cvt_i32_f32_e32 v14, v23
	s_delay_alu instid0(VALU_DEP_2) | instskip(SKIP_2) | instid1(VALU_DEP_1)
	v_exp_f32_e32 v13, v13
	s_waitcnt_depctr 0xfff
	v_ldexp_f32 v13, v13, v14
	v_cndmask_b32_e64 v13, 0, v13, s0
	v_cmp_nlt_f32_e64 s0, 0x42b17218, v12
	s_delay_alu instid0(VALU_DEP_1) | instskip(NEXT) | instid1(VALU_DEP_1)
	v_cndmask_b32_e64 v14, 0x7f800000, v13, s0
	v_add_f32_e32 v22, v22, v14
.LBB714_63:
	s_or_b32 exec_lo, exec_lo, s10
.LBB714_64:
	s_delay_alu instid0(SALU_CYCLE_1)
	s_or_b32 exec_lo, exec_lo, s1
	v_dual_mov_b32 v12, 0 :: v_dual_mov_b32 v13, 0
	s_and_saveexec_b32 s1, s15
	s_cbranch_execz .LBB714_68
; %bb.65:
	global_load_u8 v13, v[2:3], off offset:256
	s_waitcnt vmcnt(0)
	v_and_b32_e32 v13, 1, v13
	s_delay_alu instid0(VALU_DEP_1) | instskip(SKIP_1) | instid1(VALU_DEP_2)
	v_cmp_eq_u32_e64 s0, 1, v13
	v_mov_b32_e32 v13, 0
	s_xor_b32 s0, s0, -1
	s_delay_alu instid0(SALU_CYCLE_1)
	s_and_saveexec_b32 s10, s0
	s_cbranch_execz .LBB714_67
; %bb.66:
	v_sub_f32_e32 v11, v11, v21
	s_delay_alu instid0(VALU_DEP_1) | instskip(SKIP_1) | instid1(VALU_DEP_2)
	v_mul_f32_e32 v13, 0x3fb8aa3b, v11
	v_cmp_ngt_f32_e64 s0, 0xc2ce8ed0, v11
	v_fma_f32 v23, 0x3fb8aa3b, v11, -v13
	v_rndne_f32_e32 v24, v13
	s_delay_alu instid0(VALU_DEP_2) | instskip(NEXT) | instid1(VALU_DEP_2)
	v_fmamk_f32 v23, v11, 0x32a5705f, v23
	v_sub_f32_e32 v13, v13, v24
	s_delay_alu instid0(VALU_DEP_1) | instskip(SKIP_1) | instid1(VALU_DEP_2)
	v_add_f32_e32 v13, v13, v23
	v_cvt_i32_f32_e32 v23, v24
	v_exp_f32_e32 v13, v13
	s_waitcnt_depctr 0xfff
	v_ldexp_f32 v13, v13, v23
	s_delay_alu instid0(VALU_DEP_1) | instskip(SKIP_1) | instid1(VALU_DEP_1)
	v_cndmask_b32_e64 v13, 0, v13, s0
	v_cmp_nlt_f32_e64 s0, 0x42b17218, v11
	v_cndmask_b32_e64 v13, 0x7f800000, v13, s0
	s_delay_alu instid0(VALU_DEP_1)
	v_add_f32_e32 v22, v22, v13
.LBB714_67:
	s_or_b32 exec_lo, exec_lo, s10
.LBB714_68:
	s_delay_alu instid0(SALU_CYCLE_1)
	s_or_b32 exec_lo, exec_lo, s1
	s_and_saveexec_b32 s1, s14
	s_cbranch_execz .LBB714_72
; %bb.69:
	global_load_u8 v11, v[2:3], off offset:320
	s_waitcnt vmcnt(0)
	v_dual_mov_b32 v12, 0 :: v_dual_and_b32 v11, 1, v11
	s_delay_alu instid0(VALU_DEP_1) | instskip(NEXT) | instid1(VALU_DEP_1)
	v_cmp_eq_u32_e64 s0, 1, v11
	s_xor_b32 s0, s0, -1
	s_delay_alu instid0(SALU_CYCLE_1)
	s_and_saveexec_b32 s10, s0
	s_cbranch_execz .LBB714_71
; %bb.70:
	v_sub_f32_e32 v10, v10, v21
	s_delay_alu instid0(VALU_DEP_1) | instskip(NEXT) | instid1(VALU_DEP_1)
	v_mul_f32_e32 v11, 0x3fb8aa3b, v10
	v_fma_f32 v12, 0x3fb8aa3b, v10, -v11
	v_rndne_f32_e32 v23, v11
	s_delay_alu instid0(VALU_DEP_1) | instskip(SKIP_1) | instid1(VALU_DEP_2)
	v_dual_sub_f32 v11, v11, v23 :: v_dual_fmamk_f32 v12, v10, 0x32a5705f, v12
	v_cmp_ngt_f32_e64 s0, 0xc2ce8ed0, v10
	v_add_f32_e32 v11, v11, v12
	v_cvt_i32_f32_e32 v12, v23
	s_delay_alu instid0(VALU_DEP_2) | instskip(SKIP_2) | instid1(VALU_DEP_1)
	v_exp_f32_e32 v11, v11
	s_waitcnt_depctr 0xfff
	v_ldexp_f32 v11, v11, v12
	v_cndmask_b32_e64 v11, 0, v11, s0
	v_cmp_nlt_f32_e64 s0, 0x42b17218, v10
	s_delay_alu instid0(VALU_DEP_1) | instskip(NEXT) | instid1(VALU_DEP_1)
	v_cndmask_b32_e64 v12, 0x7f800000, v11, s0
	v_add_f32_e32 v22, v22, v12
.LBB714_71:
	s_or_b32 exec_lo, exec_lo, s10
.LBB714_72:
	s_delay_alu instid0(SALU_CYCLE_1)
	s_or_b32 exec_lo, exec_lo, s1
	v_dual_mov_b32 v10, 0 :: v_dual_mov_b32 v11, 0
	s_and_saveexec_b32 s1, s11
	s_cbranch_execz .LBB714_76
; %bb.73:
	global_load_u8 v11, v[2:3], off offset:384
	s_waitcnt vmcnt(0)
	v_and_b32_e32 v11, 1, v11
	s_delay_alu instid0(VALU_DEP_1) | instskip(SKIP_1) | instid1(VALU_DEP_2)
	v_cmp_eq_u32_e64 s0, 1, v11
	v_mov_b32_e32 v11, 0
	s_xor_b32 s0, s0, -1
	s_delay_alu instid0(SALU_CYCLE_1)
	s_and_saveexec_b32 s10, s0
	s_cbranch_execz .LBB714_75
; %bb.74:
	v_sub_f32_e32 v9, v9, v21
	s_delay_alu instid0(VALU_DEP_1) | instskip(SKIP_1) | instid1(VALU_DEP_2)
	v_mul_f32_e32 v11, 0x3fb8aa3b, v9
	v_cmp_ngt_f32_e64 s0, 0xc2ce8ed0, v9
	v_fma_f32 v23, 0x3fb8aa3b, v9, -v11
	v_rndne_f32_e32 v24, v11
	s_delay_alu instid0(VALU_DEP_2) | instskip(NEXT) | instid1(VALU_DEP_2)
	v_fmamk_f32 v23, v9, 0x32a5705f, v23
	v_sub_f32_e32 v11, v11, v24
	s_delay_alu instid0(VALU_DEP_1) | instskip(SKIP_1) | instid1(VALU_DEP_2)
	v_add_f32_e32 v11, v11, v23
	v_cvt_i32_f32_e32 v23, v24
	v_exp_f32_e32 v11, v11
	s_waitcnt_depctr 0xfff
	v_ldexp_f32 v11, v11, v23
	s_delay_alu instid0(VALU_DEP_1) | instskip(SKIP_1) | instid1(VALU_DEP_1)
	v_cndmask_b32_e64 v11, 0, v11, s0
	v_cmp_nlt_f32_e64 s0, 0x42b17218, v9
	v_cndmask_b32_e64 v11, 0x7f800000, v11, s0
	s_delay_alu instid0(VALU_DEP_1)
	v_add_f32_e32 v22, v22, v11
.LBB714_75:
	s_or_b32 exec_lo, exec_lo, s10
.LBB714_76:
	s_delay_alu instid0(SALU_CYCLE_1)
	s_or_b32 exec_lo, exec_lo, s1
	s_and_saveexec_b32 s1, s9
	s_cbranch_execz .LBB714_80
; %bb.77:
	global_load_u8 v2, v[2:3], off offset:448
	v_mov_b32_e32 v10, 0
	s_waitcnt vmcnt(0)
	v_and_b32_e32 v2, 1, v2
	s_delay_alu instid0(VALU_DEP_1) | instskip(NEXT) | instid1(VALU_DEP_1)
	v_cmp_eq_u32_e64 s0, 1, v2
	s_xor_b32 s0, s0, -1
	s_delay_alu instid0(SALU_CYCLE_1)
	s_and_saveexec_b32 s9, s0
	s_cbranch_execz .LBB714_79
; %bb.78:
	v_sub_f32_e32 v2, v8, v21
	s_delay_alu instid0(VALU_DEP_1) | instskip(NEXT) | instid1(VALU_DEP_1)
	v_mul_f32_e32 v3, 0x3fb8aa3b, v2
	v_fma_f32 v8, 0x3fb8aa3b, v2, -v3
	v_rndne_f32_e32 v9, v3
	s_delay_alu instid0(VALU_DEP_1) | instskip(NEXT) | instid1(VALU_DEP_1)
	v_dual_fmamk_f32 v8, v2, 0x32a5705f, v8 :: v_dual_sub_f32 v3, v3, v9
	v_add_f32_e32 v3, v3, v8
	v_cvt_i32_f32_e32 v8, v9
	v_cmp_ngt_f32_e64 s0, 0xc2ce8ed0, v2
	s_delay_alu instid0(VALU_DEP_3) | instskip(SKIP_2) | instid1(VALU_DEP_1)
	v_exp_f32_e32 v3, v3
	s_waitcnt_depctr 0xfff
	v_ldexp_f32 v3, v3, v8
	v_cndmask_b32_e64 v3, 0, v3, s0
	v_cmp_nlt_f32_e64 s0, 0x42b17218, v2
	s_delay_alu instid0(VALU_DEP_1) | instskip(NEXT) | instid1(VALU_DEP_1)
	v_cndmask_b32_e64 v10, 0x7f800000, v3, s0
	v_add_f32_e32 v22, v22, v10
.LBB714_79:
	s_or_b32 exec_lo, exec_lo, s9
.LBB714_80:
	s_delay_alu instid0(SALU_CYCLE_1)
	s_or_b32 exec_lo, exec_lo, s1
	ds_bpermute_b32 v2, v4, v22
	s_mov_b32 s1, exec_lo
	s_waitcnt lgkmcnt(0)
	v_add_f32_e32 v2, v22, v2
	ds_bpermute_b32 v3, v6, v2
	s_waitcnt lgkmcnt(0)
	v_add_f32_e32 v2, v2, v3
	ds_bpermute_b32 v3, v16, v2
	;; [unrolled: 3-line block ×5, first 2 shown]
	v_cmpx_lt_i32_e32 0, v7
	s_cbranch_execz .LBB714_90
; %bb.81:
	s_and_b32 exec_lo, exec_lo, vcc_lo
	s_cbranch_execz .LBB714_90
; %bb.82:
	s_waitcnt lgkmcnt(0)
	v_add_f32_e32 v2, v2, v3
	s_delay_alu instid0(VALU_DEP_1) | instskip(SKIP_2) | instid1(VALU_DEP_3)
	v_div_scale_f32 v3, null, v2, v2, v19
	v_div_scale_f32 v7, vcc_lo, v19, v2, v19
	v_cmp_eq_f32_e64 s0, 0, v2
	v_rcp_f32_e32 v4, v3
	s_waitcnt_depctr 0xfff
	v_fma_f32 v6, -v3, v4, 1.0
	s_delay_alu instid0(VALU_DEP_1) | instskip(NEXT) | instid1(VALU_DEP_1)
	v_fmac_f32_e32 v4, v6, v4
	v_mul_f32_e32 v6, v7, v4
	s_delay_alu instid0(VALU_DEP_1) | instskip(NEXT) | instid1(VALU_DEP_1)
	v_fma_f32 v8, -v3, v6, v7
	v_fmac_f32_e32 v6, v8, v4
	s_delay_alu instid0(VALU_DEP_1) | instskip(NEXT) | instid1(VALU_DEP_1)
	v_fma_f32 v3, -v3, v6, v7
	v_div_fmas_f32 v3, v3, v4, v6
	v_add_co_u32 v0, vcc_lo, s12, v0
	v_add_co_ci_u32_e32 v1, vcc_lo, s13, v1, vcc_lo
	s_delay_alu instid0(VALU_DEP_3) | instskip(NEXT) | instid1(VALU_DEP_1)
	v_div_fixup_f32 v3, v3, v2, v19
	v_cndmask_b32_e64 v3, v3, 0x7fc00000, s0
	global_store_b32 v[0:1], v3, off
	s_and_b32 exec_lo, exec_lo, s8
	s_cbranch_execz .LBB714_90
; %bb.83:
	v_div_scale_f32 v3, null, v2, v2, v5
	s_delay_alu instid0(VALU_DEP_1) | instskip(SKIP_2) | instid1(VALU_DEP_1)
	v_rcp_f32_e32 v4, v3
	s_waitcnt_depctr 0xfff
	v_fma_f32 v6, -v3, v4, 1.0
	v_fmac_f32_e32 v4, v6, v4
	v_div_scale_f32 v6, vcc_lo, v5, v2, v5
	s_delay_alu instid0(VALU_DEP_1) | instskip(NEXT) | instid1(VALU_DEP_1)
	v_mul_f32_e32 v7, v6, v4
	v_fma_f32 v8, -v3, v7, v6
	s_delay_alu instid0(VALU_DEP_1) | instskip(NEXT) | instid1(VALU_DEP_1)
	v_fmac_f32_e32 v7, v8, v4
	v_fma_f32 v3, -v3, v7, v6
	s_delay_alu instid0(VALU_DEP_1) | instskip(NEXT) | instid1(VALU_DEP_1)
	v_div_fmas_f32 v3, v3, v4, v7
	v_div_fixup_f32 v3, v3, v2, v5
	s_delay_alu instid0(VALU_DEP_1)
	v_cndmask_b32_e64 v3, v3, 0x7fc00000, s0
	global_store_b32 v[0:1], v3, off offset:256
	s_and_b32 exec_lo, exec_lo, s7
	s_cbranch_execz .LBB714_90
; %bb.84:
	v_div_scale_f32 v3, null, v2, v2, v15
	s_delay_alu instid0(VALU_DEP_1) | instskip(SKIP_2) | instid1(VALU_DEP_1)
	v_rcp_f32_e32 v4, v3
	s_waitcnt_depctr 0xfff
	v_fma_f32 v5, -v3, v4, 1.0
	v_fmac_f32_e32 v4, v5, v4
	v_div_scale_f32 v5, vcc_lo, v15, v2, v15
	s_delay_alu instid0(VALU_DEP_1) | instskip(NEXT) | instid1(VALU_DEP_1)
	v_mul_f32_e32 v6, v5, v4
	v_fma_f32 v7, -v3, v6, v5
	s_delay_alu instid0(VALU_DEP_1) | instskip(NEXT) | instid1(VALU_DEP_1)
	v_fmac_f32_e32 v6, v7, v4
	v_fma_f32 v3, -v3, v6, v5
	s_delay_alu instid0(VALU_DEP_1) | instskip(NEXT) | instid1(VALU_DEP_1)
	v_div_fmas_f32 v3, v3, v4, v6
	v_div_fixup_f32 v3, v3, v2, v15
	s_delay_alu instid0(VALU_DEP_1)
	v_cndmask_b32_e64 v3, v3, 0x7fc00000, s0
	global_store_b32 v[0:1], v3, off offset:512
	;; [unrolled: 22-line block ×7, first 2 shown]
.LBB714_90:
	s_nop 0
	s_sendmsg sendmsg(MSG_DEALLOC_VGPRS)
	s_endpgm
	.section	.rodata,"a",@progbits
	.p2align	6, 0x0
	.amdhsa_kernel _ZN12_GLOBAL__N_120softmax_warp_forwardIfffLi9ELb0ELb1ELi64EEEvPT0_PKT_iiiPKbib
		.amdhsa_group_segment_fixed_size 0
		.amdhsa_private_segment_fixed_size 0
		.amdhsa_kernarg_size 304
		.amdhsa_user_sgpr_count 15
		.amdhsa_user_sgpr_dispatch_ptr 0
		.amdhsa_user_sgpr_queue_ptr 0
		.amdhsa_user_sgpr_kernarg_segment_ptr 1
		.amdhsa_user_sgpr_dispatch_id 0
		.amdhsa_user_sgpr_private_segment_size 0
		.amdhsa_wavefront_size32 1
		.amdhsa_uses_dynamic_stack 0
		.amdhsa_enable_private_segment 0
		.amdhsa_system_sgpr_workgroup_id_x 1
		.amdhsa_system_sgpr_workgroup_id_y 0
		.amdhsa_system_sgpr_workgroup_id_z 0
		.amdhsa_system_sgpr_workgroup_info 0
		.amdhsa_system_vgpr_workitem_id 1
		.amdhsa_next_free_vgpr 25
		.amdhsa_next_free_sgpr 22
		.amdhsa_reserve_vcc 1
		.amdhsa_float_round_mode_32 0
		.amdhsa_float_round_mode_16_64 0
		.amdhsa_float_denorm_mode_32 3
		.amdhsa_float_denorm_mode_16_64 3
		.amdhsa_dx10_clamp 1
		.amdhsa_ieee_mode 1
		.amdhsa_fp16_overflow 0
		.amdhsa_workgroup_processor_mode 1
		.amdhsa_memory_ordered 1
		.amdhsa_forward_progress 0
		.amdhsa_shared_vgpr_count 0
		.amdhsa_exception_fp_ieee_invalid_op 0
		.amdhsa_exception_fp_denorm_src 0
		.amdhsa_exception_fp_ieee_div_zero 0
		.amdhsa_exception_fp_ieee_overflow 0
		.amdhsa_exception_fp_ieee_underflow 0
		.amdhsa_exception_fp_ieee_inexact 0
		.amdhsa_exception_int_div_zero 0
	.end_amdhsa_kernel
	.section	.text._ZN12_GLOBAL__N_120softmax_warp_forwardIfffLi9ELb0ELb1ELi64EEEvPT0_PKT_iiiPKbib,"axG",@progbits,_ZN12_GLOBAL__N_120softmax_warp_forwardIfffLi9ELb0ELb1ELi64EEEvPT0_PKT_iiiPKbib,comdat
.Lfunc_end714:
	.size	_ZN12_GLOBAL__N_120softmax_warp_forwardIfffLi9ELb0ELb1ELi64EEEvPT0_PKT_iiiPKbib, .Lfunc_end714-_ZN12_GLOBAL__N_120softmax_warp_forwardIfffLi9ELb0ELb1ELi64EEEvPT0_PKT_iiiPKbib
                                        ; -- End function
	.section	.AMDGPU.csdata,"",@progbits
; Kernel info:
; codeLenInByte = 4768
; NumSgprs: 24
; NumVgprs: 25
; ScratchSize: 0
; MemoryBound: 0
; FloatMode: 240
; IeeeMode: 1
; LDSByteSize: 0 bytes/workgroup (compile time only)
; SGPRBlocks: 2
; VGPRBlocks: 3
; NumSGPRsForWavesPerEU: 24
; NumVGPRsForWavesPerEU: 25
; Occupancy: 16
; WaveLimiterHint : 0
; COMPUTE_PGM_RSRC2:SCRATCH_EN: 0
; COMPUTE_PGM_RSRC2:USER_SGPR: 15
; COMPUTE_PGM_RSRC2:TRAP_HANDLER: 0
; COMPUTE_PGM_RSRC2:TGID_X_EN: 1
; COMPUTE_PGM_RSRC2:TGID_Y_EN: 0
; COMPUTE_PGM_RSRC2:TGID_Z_EN: 0
; COMPUTE_PGM_RSRC2:TIDIG_COMP_CNT: 1
	.section	.text._ZN12_GLOBAL__N_120softmax_warp_forwardIfffLi9ELb0ELb1ELi32EEEvPT0_PKT_iiiPKbib,"axG",@progbits,_ZN12_GLOBAL__N_120softmax_warp_forwardIfffLi9ELb0ELb1ELi32EEEvPT0_PKT_iiiPKbib,comdat
	.globl	_ZN12_GLOBAL__N_120softmax_warp_forwardIfffLi9ELb0ELb1ELi32EEEvPT0_PKT_iiiPKbib ; -- Begin function _ZN12_GLOBAL__N_120softmax_warp_forwardIfffLi9ELb0ELb1ELi32EEEvPT0_PKT_iiiPKbib
	.p2align	8
	.type	_ZN12_GLOBAL__N_120softmax_warp_forwardIfffLi9ELb0ELb1ELi32EEEvPT0_PKT_iiiPKbib,@function
_ZN12_GLOBAL__N_120softmax_warp_forwardIfffLi9ELb0ELb1ELi32EEEvPT0_PKT_iiiPKbib: ; @_ZN12_GLOBAL__N_120softmax_warp_forwardIfffLi9ELb0ELb1ELi32EEEvPT0_PKT_iiiPKbib
; %bb.0:
	s_clause 0x1
	s_load_b32 s2, s[0:1], 0x3c
	s_load_b128 s[16:19], s[0:1], 0x10
	v_bfe_u32 v3, v0, 10, 10
	s_waitcnt lgkmcnt(0)
	s_lshr_b32 s2, s2, 16
	s_delay_alu instid0(VALU_DEP_1) | instid1(SALU_CYCLE_1)
	v_mad_u64_u32 v[1:2], null, s15, s2, v[3:4]
	s_load_b64 s[2:3], s[0:1], 0x28
	v_and_b32_e32 v2, 0x3ff, v0
	s_delay_alu instid0(VALU_DEP_2) | instskip(NEXT) | instid1(VALU_DEP_1)
	v_mul_lo_u32 v7, v1, s17
	v_add_nc_u32_e32 v5, v7, v2
	s_delay_alu instid0(VALU_DEP_1) | instskip(SKIP_3) | instid1(VALU_DEP_2)
	v_ashrrev_i32_e32 v6, 31, v5
	v_mov_b32_e32 v3, v5
	s_waitcnt lgkmcnt(0)
	s_bitcmp0_b32 s3, 0
	v_mov_b32_e32 v4, v6
	s_cbranch_scc1 .LBB715_2
; %bb.1:
	s_abs_i32 s3, s2
	v_sub_nc_u32_e32 v4, 0, v7
	v_cvt_f32_u32_e32 v0, s3
	s_sub_i32 s4, 0, s3
	s_delay_alu instid0(VALU_DEP_2) | instskip(NEXT) | instid1(VALU_DEP_2)
	v_max_i32_e32 v4, v7, v4
	v_rcp_iflag_f32_e32 v0, v0
	s_waitcnt_depctr 0xfff
	v_mul_f32_e32 v0, 0x4f7ffffe, v0
	s_delay_alu instid0(VALU_DEP_1) | instskip(NEXT) | instid1(VALU_DEP_1)
	v_cvt_u32_f32_e32 v0, v0
	v_mul_lo_u32 v3, s4, v0
	s_delay_alu instid0(VALU_DEP_1) | instskip(NEXT) | instid1(VALU_DEP_1)
	v_mul_hi_u32 v3, v0, v3
	v_add_nc_u32_e32 v0, v0, v3
	s_delay_alu instid0(VALU_DEP_1) | instskip(NEXT) | instid1(VALU_DEP_1)
	v_mul_hi_u32 v0, v4, v0
	v_mul_lo_u32 v3, v0, s3
	s_delay_alu instid0(VALU_DEP_1) | instskip(SKIP_1) | instid1(VALU_DEP_2)
	v_sub_nc_u32_e32 v3, v4, v3
	v_add_nc_u32_e32 v4, 1, v0
	v_subrev_nc_u32_e32 v8, s3, v3
	v_cmp_le_u32_e32 vcc_lo, s3, v3
	s_delay_alu instid0(VALU_DEP_2) | instskip(NEXT) | instid1(VALU_DEP_4)
	v_cndmask_b32_e32 v3, v3, v8, vcc_lo
	v_cndmask_b32_e32 v0, v0, v4, vcc_lo
	v_xor_b32_e32 v4, s2, v7
	s_delay_alu instid0(VALU_DEP_3) | instskip(NEXT) | instid1(VALU_DEP_3)
	v_cmp_le_u32_e32 vcc_lo, s3, v3
	v_add_nc_u32_e32 v7, 1, v0
	s_delay_alu instid0(VALU_DEP_3) | instskip(NEXT) | instid1(VALU_DEP_2)
	v_ashrrev_i32_e32 v4, 31, v4
	v_cndmask_b32_e32 v0, v0, v7, vcc_lo
	s_delay_alu instid0(VALU_DEP_1) | instskip(NEXT) | instid1(VALU_DEP_1)
	v_xor_b32_e32 v0, v0, v4
	v_sub_nc_u32_e32 v0, v0, v4
	s_delay_alu instid0(VALU_DEP_1) | instskip(NEXT) | instid1(VALU_DEP_1)
	v_mad_u64_u32 v[3:4], null, v0, s17, v[2:3]
	v_ashrrev_i32_e32 v4, 31, v3
.LBB715_2:
	s_load_b128 s[20:23], s[0:1], 0x0
	v_sub_nc_u32_e32 v7, s16, v1
	v_lshlrev_b64 v[0:1], 2, v[5:6]
	v_cmp_gt_i32_e32 vcc_lo, s18, v2
	v_dual_mov_b32 v22, 0xff800000 :: v_dual_mov_b32 v23, 0xff800000
	s_delay_alu instid0(VALU_DEP_4) | instskip(NEXT) | instid1(VALU_DEP_1)
	v_cmp_lt_i32_e64 s17, 0, v7
	s_and_b32 s36, s17, vcc_lo
	s_waitcnt lgkmcnt(0)
	v_add_co_u32 v5, s2, s22, v0
	s_delay_alu instid0(VALU_DEP_1)
	v_add_co_ci_u32_e64 v6, s2, s23, v1, s2
	s_and_saveexec_b32 s2, s36
	s_cbranch_execz .LBB715_4
; %bb.3:
	global_load_b32 v23, v[5:6], off
.LBB715_4:
	s_or_b32 exec_lo, exec_lo, s2
	v_add_nc_u32_e32 v8, 32, v2
	s_delay_alu instid0(VALU_DEP_1) | instskip(NEXT) | instid1(VALU_DEP_1)
	v_cmp_gt_i32_e64 s16, s18, v8
	s_and_b32 s35, s17, s16
	s_delay_alu instid0(SALU_CYCLE_1)
	s_and_saveexec_b32 s2, s35
	s_cbranch_execz .LBB715_6
; %bb.5:
	global_load_b32 v22, v[5:6], off offset:128
.LBB715_6:
	s_or_b32 exec_lo, exec_lo, s2
	v_dual_mov_b32 v21, 0xff800000 :: v_dual_add_nc_u32 v8, 64, v2
	v_mov_b32_e32 v20, 0xff800000
	s_delay_alu instid0(VALU_DEP_2) | instskip(NEXT) | instid1(VALU_DEP_1)
	v_cmp_gt_i32_e64 s15, s18, v8
	s_and_b32 s34, s17, s15
	s_delay_alu instid0(SALU_CYCLE_1)
	s_and_saveexec_b32 s2, s34
	s_cbranch_execz .LBB715_8
; %bb.7:
	global_load_b32 v21, v[5:6], off offset:256
.LBB715_8:
	s_or_b32 exec_lo, exec_lo, s2
	v_add_nc_u32_e32 v8, 0x60, v2
	s_delay_alu instid0(VALU_DEP_1) | instskip(NEXT) | instid1(VALU_DEP_1)
	v_cmp_gt_i32_e64 s14, s18, v8
	s_and_b32 s33, s17, s14
	s_delay_alu instid0(SALU_CYCLE_1)
	s_and_saveexec_b32 s2, s33
	s_cbranch_execz .LBB715_10
; %bb.9:
	global_load_b32 v20, v[5:6], off offset:384
.LBB715_10:
	s_or_b32 exec_lo, exec_lo, s2
	v_add_nc_u32_e32 v8, 0x80, v2
	v_dual_mov_b32 v18, 0xff800000 :: v_dual_mov_b32 v19, 0xff800000
	s_delay_alu instid0(VALU_DEP_2) | instskip(NEXT) | instid1(VALU_DEP_1)
	v_cmp_gt_i32_e64 s13, s18, v8
	s_and_b32 s31, s17, s13
	s_delay_alu instid0(SALU_CYCLE_1)
	s_and_saveexec_b32 s2, s31
	s_cbranch_execz .LBB715_12
; %bb.11:
	global_load_b32 v19, v[5:6], off offset:512
.LBB715_12:
	s_or_b32 exec_lo, exec_lo, s2
	v_add_nc_u32_e32 v8, 0xa0, v2
	s_delay_alu instid0(VALU_DEP_1) | instskip(NEXT) | instid1(VALU_DEP_1)
	v_cmp_gt_i32_e64 s12, s18, v8
	s_and_b32 s30, s17, s12
	s_delay_alu instid0(SALU_CYCLE_1)
	s_and_saveexec_b32 s2, s30
	s_cbranch_execz .LBB715_14
; %bb.13:
	global_load_b32 v18, v[5:6], off offset:640
.LBB715_14:
	s_or_b32 exec_lo, exec_lo, s2
	v_add_nc_u32_e32 v8, 0xc0, v2
	v_dual_mov_b32 v16, 0xff800000 :: v_dual_mov_b32 v17, 0xff800000
	;; [unrolled: 23-line block ×5, first 2 shown]
	s_delay_alu instid0(VALU_DEP_2) | instskip(NEXT) | instid1(VALU_DEP_1)
	v_cmp_gt_i32_e64 s5, s18, v8
	s_and_b32 s23, s17, s5
	s_delay_alu instid0(SALU_CYCLE_1)
	s_and_saveexec_b32 s2, s23
	s_cbranch_execz .LBB715_28
; %bb.27:
	global_load_b32 v11, v[5:6], off offset:1536
.LBB715_28:
	s_or_b32 exec_lo, exec_lo, s2
	v_add_nc_u32_e32 v8, 0x1a0, v2
	s_delay_alu instid0(VALU_DEP_1) | instskip(NEXT) | instid1(VALU_DEP_1)
	v_cmp_gt_i32_e64 s4, s18, v8
	s_and_b32 s22, s17, s4
	s_delay_alu instid0(SALU_CYCLE_1)
	s_and_saveexec_b32 s2, s22
	s_cbranch_execz .LBB715_30
; %bb.29:
	global_load_b32 v10, v[5:6], off offset:1664
.LBB715_30:
	s_or_b32 exec_lo, exec_lo, s2
	v_add_nc_u32_e32 v8, 0x1c0, v2
	v_mov_b32_e32 v9, 0xff800000
	s_delay_alu instid0(VALU_DEP_2) | instskip(SKIP_1) | instid1(VALU_DEP_2)
	v_cmp_gt_i32_e64 s3, s18, v8
	v_mov_b32_e32 v8, 0xff800000
	s_and_b32 s19, s17, s3
	s_delay_alu instid0(SALU_CYCLE_1)
	s_and_saveexec_b32 s2, s19
	s_cbranch_execz .LBB715_32
; %bb.31:
	global_load_b32 v9, v[5:6], off offset:1792
.LBB715_32:
	s_or_b32 exec_lo, exec_lo, s2
	v_add_nc_u32_e32 v2, 0x1e0, v2
	s_delay_alu instid0(VALU_DEP_1) | instskip(NEXT) | instid1(VALU_DEP_1)
	v_cmp_gt_i32_e64 s2, s18, v2
	s_and_b32 s17, s17, s2
	s_delay_alu instid0(SALU_CYCLE_1)
	s_and_saveexec_b32 s18, s17
	s_cbranch_execz .LBB715_34
; %bb.33:
	global_load_b32 v8, v[5:6], off offset:1920
.LBB715_34:
	s_or_b32 exec_lo, exec_lo, s18
	s_load_b64 s[0:1], s[0:1], 0x20
	s_waitcnt lgkmcnt(0)
	v_add_co_u32 v2, s0, s0, v3
	s_delay_alu instid0(VALU_DEP_1)
	v_add_co_ci_u32_e64 v3, s0, s1, v4, s0
	s_mov_b32 s1, 0
	s_and_saveexec_b32 s18, s36
	s_cbranch_execnz .LBB715_50
; %bb.35:
	s_or_b32 exec_lo, exec_lo, s18
	s_waitcnt vmcnt(0)
	v_mov_b32_e32 v4, v23
	s_and_saveexec_b32 s18, s35
	s_cbranch_execnz .LBB715_51
.LBB715_36:
	s_or_b32 exec_lo, exec_lo, s18
	s_and_saveexec_b32 s18, s34
	s_cbranch_execnz .LBB715_54
.LBB715_37:
	s_or_b32 exec_lo, exec_lo, s18
	s_and_saveexec_b32 s18, s33
	s_cbranch_execnz .LBB715_57
.LBB715_38:
	s_or_b32 exec_lo, exec_lo, s18
	s_and_saveexec_b32 s18, s31
	s_cbranch_execnz .LBB715_60
.LBB715_39:
	s_or_b32 exec_lo, exec_lo, s18
	s_and_saveexec_b32 s18, s30
	s_cbranch_execnz .LBB715_63
.LBB715_40:
	s_or_b32 exec_lo, exec_lo, s18
	s_and_saveexec_b32 s18, s29
	s_cbranch_execnz .LBB715_66
.LBB715_41:
	s_or_b32 exec_lo, exec_lo, s18
	s_and_saveexec_b32 s18, s28
	s_cbranch_execnz .LBB715_69
.LBB715_42:
	s_or_b32 exec_lo, exec_lo, s18
	s_and_saveexec_b32 s18, s27
	s_cbranch_execnz .LBB715_72
.LBB715_43:
	s_or_b32 exec_lo, exec_lo, s18
	s_and_saveexec_b32 s18, s26
	s_cbranch_execnz .LBB715_75
.LBB715_44:
	s_or_b32 exec_lo, exec_lo, s18
	s_and_saveexec_b32 s18, s25
	s_cbranch_execnz .LBB715_78
.LBB715_45:
	s_or_b32 exec_lo, exec_lo, s18
	s_and_saveexec_b32 s18, s24
	s_cbranch_execnz .LBB715_81
.LBB715_46:
	s_or_b32 exec_lo, exec_lo, s18
	s_and_saveexec_b32 s18, s23
	s_cbranch_execnz .LBB715_84
.LBB715_47:
	s_or_b32 exec_lo, exec_lo, s18
	s_and_saveexec_b32 s18, s22
	s_cbranch_execnz .LBB715_87
.LBB715_48:
	s_or_b32 exec_lo, exec_lo, s18
	s_and_saveexec_b32 s18, s19
	s_cbranch_execnz .LBB715_90
.LBB715_49:
	s_or_b32 exec_lo, exec_lo, s18
	s_and_saveexec_b32 s18, s17
	s_cbranch_execnz .LBB715_93
	s_branch .LBB715_96
.LBB715_50:
	global_load_u8 v4, v[2:3], off
	s_waitcnt vmcnt(0)
	v_and_b32_e32 v4, 1, v4
	s_delay_alu instid0(VALU_DEP_1) | instskip(NEXT) | instid1(VALU_DEP_1)
	v_cmp_eq_u32_e64 s0, 1, v4
	s_xor_b32 s0, s0, -1
	s_delay_alu instid0(SALU_CYCLE_1)
	s_and_b32 s1, s0, exec_lo
	s_or_b32 exec_lo, exec_lo, s18
	v_mov_b32_e32 v4, v23
	s_and_saveexec_b32 s18, s35
	s_cbranch_execz .LBB715_36
.LBB715_51:
	global_load_u8 v4, v[2:3], off offset:32
	s_waitcnt vmcnt(0)
	v_and_b32_e32 v4, 1, v4
	s_delay_alu instid0(VALU_DEP_1) | instskip(SKIP_1) | instid1(VALU_DEP_2)
	v_cmp_eq_u32_e64 s0, 1, v4
	v_mov_b32_e32 v4, v23
	s_xor_b32 s38, s0, -1
	s_mov_b32 s0, s1
	s_and_saveexec_b32 s37, s38
; %bb.52:
	v_cmp_gt_f32_e64 s0, v23, v22
	s_delay_alu instid0(VALU_DEP_1) | instskip(NEXT) | instid1(SALU_CYCLE_1)
	s_and_b32 s0, s1, s0
	v_cndmask_b32_e64 v4, v22, v23, s0
	s_or_b32 s0, s1, exec_lo
; %bb.53:
	s_or_b32 exec_lo, exec_lo, s37
	s_delay_alu instid0(SALU_CYCLE_1) | instskip(SKIP_1) | instid1(SALU_CYCLE_1)
	s_and_not1_b32 s1, s1, exec_lo
	s_and_b32 s0, s0, exec_lo
	s_or_b32 s1, s1, s0
	s_or_b32 exec_lo, exec_lo, s18
	s_and_saveexec_b32 s18, s34
	s_cbranch_execz .LBB715_37
.LBB715_54:
	global_load_u8 v5, v[2:3], off offset:64
	s_waitcnt vmcnt(0)
	v_and_b32_e32 v5, 1, v5
	s_delay_alu instid0(VALU_DEP_1) | instskip(NEXT) | instid1(VALU_DEP_1)
	v_cmp_eq_u32_e64 s0, 1, v5
	s_xor_b32 s38, s0, -1
	s_mov_b32 s0, s1
	s_and_saveexec_b32 s37, s38
; %bb.55:
	v_cmp_gt_f32_e64 s0, v4, v21
	s_delay_alu instid0(VALU_DEP_1) | instskip(NEXT) | instid1(SALU_CYCLE_1)
	s_and_b32 s0, s1, s0
	v_cndmask_b32_e64 v4, v21, v4, s0
	s_or_b32 s0, s1, exec_lo
; %bb.56:
	s_or_b32 exec_lo, exec_lo, s37
	s_delay_alu instid0(SALU_CYCLE_1) | instskip(SKIP_1) | instid1(SALU_CYCLE_1)
	s_and_not1_b32 s1, s1, exec_lo
	s_and_b32 s0, s0, exec_lo
	s_or_b32 s1, s1, s0
	s_or_b32 exec_lo, exec_lo, s18
	s_and_saveexec_b32 s18, s33
	s_cbranch_execz .LBB715_38
.LBB715_57:
	global_load_u8 v5, v[2:3], off offset:96
	s_waitcnt vmcnt(0)
	v_and_b32_e32 v5, 1, v5
	s_delay_alu instid0(VALU_DEP_1) | instskip(NEXT) | instid1(VALU_DEP_1)
	v_cmp_eq_u32_e64 s0, 1, v5
	s_xor_b32 s38, s0, -1
	s_mov_b32 s0, s1
	s_and_saveexec_b32 s37, s38
; %bb.58:
	v_cmp_gt_f32_e64 s0, v4, v20
	s_delay_alu instid0(VALU_DEP_1) | instskip(NEXT) | instid1(SALU_CYCLE_1)
	s_and_b32 s0, s1, s0
	v_cndmask_b32_e64 v4, v20, v4, s0
	s_or_b32 s0, s1, exec_lo
; %bb.59:
	s_or_b32 exec_lo, exec_lo, s37
	s_delay_alu instid0(SALU_CYCLE_1) | instskip(SKIP_1) | instid1(SALU_CYCLE_1)
	s_and_not1_b32 s1, s1, exec_lo
	s_and_b32 s0, s0, exec_lo
	s_or_b32 s1, s1, s0
	s_or_b32 exec_lo, exec_lo, s18
	s_and_saveexec_b32 s18, s31
	s_cbranch_execz .LBB715_39
.LBB715_60:
	global_load_u8 v5, v[2:3], off offset:128
	s_waitcnt vmcnt(0)
	v_and_b32_e32 v5, 1, v5
	s_delay_alu instid0(VALU_DEP_1) | instskip(NEXT) | instid1(VALU_DEP_1)
	v_cmp_eq_u32_e64 s0, 1, v5
	s_xor_b32 s38, s0, -1
	s_mov_b32 s0, s1
	s_and_saveexec_b32 s37, s38
; %bb.61:
	v_cmp_gt_f32_e64 s0, v4, v19
	s_delay_alu instid0(VALU_DEP_1) | instskip(NEXT) | instid1(SALU_CYCLE_1)
	s_and_b32 s0, s1, s0
	v_cndmask_b32_e64 v4, v19, v4, s0
	s_or_b32 s0, s1, exec_lo
; %bb.62:
	s_or_b32 exec_lo, exec_lo, s37
	s_delay_alu instid0(SALU_CYCLE_1) | instskip(SKIP_1) | instid1(SALU_CYCLE_1)
	s_and_not1_b32 s1, s1, exec_lo
	s_and_b32 s0, s0, exec_lo
	s_or_b32 s1, s1, s0
	s_or_b32 exec_lo, exec_lo, s18
	s_and_saveexec_b32 s18, s30
	s_cbranch_execz .LBB715_40
.LBB715_63:
	global_load_u8 v5, v[2:3], off offset:160
	s_waitcnt vmcnt(0)
	v_and_b32_e32 v5, 1, v5
	s_delay_alu instid0(VALU_DEP_1) | instskip(NEXT) | instid1(VALU_DEP_1)
	v_cmp_eq_u32_e64 s0, 1, v5
	s_xor_b32 s38, s0, -1
	s_mov_b32 s0, s1
	s_and_saveexec_b32 s37, s38
; %bb.64:
	v_cmp_gt_f32_e64 s0, v4, v18
	s_delay_alu instid0(VALU_DEP_1) | instskip(NEXT) | instid1(SALU_CYCLE_1)
	s_and_b32 s0, s1, s0
	v_cndmask_b32_e64 v4, v18, v4, s0
	s_or_b32 s0, s1, exec_lo
; %bb.65:
	s_or_b32 exec_lo, exec_lo, s37
	s_delay_alu instid0(SALU_CYCLE_1) | instskip(SKIP_1) | instid1(SALU_CYCLE_1)
	s_and_not1_b32 s1, s1, exec_lo
	s_and_b32 s0, s0, exec_lo
	s_or_b32 s1, s1, s0
	s_or_b32 exec_lo, exec_lo, s18
	s_and_saveexec_b32 s18, s29
	s_cbranch_execz .LBB715_41
.LBB715_66:
	global_load_u8 v5, v[2:3], off offset:192
	s_waitcnt vmcnt(0)
	v_and_b32_e32 v5, 1, v5
	s_delay_alu instid0(VALU_DEP_1) | instskip(NEXT) | instid1(VALU_DEP_1)
	v_cmp_eq_u32_e64 s0, 1, v5
	s_xor_b32 s38, s0, -1
	s_mov_b32 s0, s1
	s_and_saveexec_b32 s37, s38
; %bb.67:
	v_cmp_gt_f32_e64 s0, v4, v17
	s_delay_alu instid0(VALU_DEP_1) | instskip(NEXT) | instid1(SALU_CYCLE_1)
	s_and_b32 s0, s1, s0
	v_cndmask_b32_e64 v4, v17, v4, s0
	s_or_b32 s0, s1, exec_lo
; %bb.68:
	s_or_b32 exec_lo, exec_lo, s37
	s_delay_alu instid0(SALU_CYCLE_1) | instskip(SKIP_1) | instid1(SALU_CYCLE_1)
	s_and_not1_b32 s1, s1, exec_lo
	s_and_b32 s0, s0, exec_lo
	s_or_b32 s1, s1, s0
	s_or_b32 exec_lo, exec_lo, s18
	s_and_saveexec_b32 s18, s28
	s_cbranch_execz .LBB715_42
.LBB715_69:
	global_load_u8 v5, v[2:3], off offset:224
	s_waitcnt vmcnt(0)
	v_and_b32_e32 v5, 1, v5
	s_delay_alu instid0(VALU_DEP_1) | instskip(NEXT) | instid1(VALU_DEP_1)
	v_cmp_eq_u32_e64 s0, 1, v5
	s_xor_b32 s38, s0, -1
	s_mov_b32 s0, s1
	s_and_saveexec_b32 s37, s38
; %bb.70:
	v_cmp_gt_f32_e64 s0, v4, v16
	s_delay_alu instid0(VALU_DEP_1) | instskip(NEXT) | instid1(SALU_CYCLE_1)
	s_and_b32 s0, s1, s0
	v_cndmask_b32_e64 v4, v16, v4, s0
	s_or_b32 s0, s1, exec_lo
; %bb.71:
	s_or_b32 exec_lo, exec_lo, s37
	s_delay_alu instid0(SALU_CYCLE_1) | instskip(SKIP_1) | instid1(SALU_CYCLE_1)
	s_and_not1_b32 s1, s1, exec_lo
	s_and_b32 s0, s0, exec_lo
	s_or_b32 s1, s1, s0
	s_or_b32 exec_lo, exec_lo, s18
	s_and_saveexec_b32 s18, s27
	s_cbranch_execz .LBB715_43
.LBB715_72:
	global_load_u8 v5, v[2:3], off offset:256
	s_waitcnt vmcnt(0)
	v_and_b32_e32 v5, 1, v5
	s_delay_alu instid0(VALU_DEP_1) | instskip(NEXT) | instid1(VALU_DEP_1)
	v_cmp_eq_u32_e64 s0, 1, v5
	s_xor_b32 s38, s0, -1
	s_mov_b32 s0, s1
	s_and_saveexec_b32 s37, s38
; %bb.73:
	v_cmp_gt_f32_e64 s0, v4, v15
	s_delay_alu instid0(VALU_DEP_1) | instskip(NEXT) | instid1(SALU_CYCLE_1)
	s_and_b32 s0, s1, s0
	v_cndmask_b32_e64 v4, v15, v4, s0
	s_or_b32 s0, s1, exec_lo
; %bb.74:
	s_or_b32 exec_lo, exec_lo, s37
	s_delay_alu instid0(SALU_CYCLE_1) | instskip(SKIP_1) | instid1(SALU_CYCLE_1)
	s_and_not1_b32 s1, s1, exec_lo
	s_and_b32 s0, s0, exec_lo
	s_or_b32 s1, s1, s0
	s_or_b32 exec_lo, exec_lo, s18
	s_and_saveexec_b32 s18, s26
	s_cbranch_execz .LBB715_44
.LBB715_75:
	global_load_u8 v5, v[2:3], off offset:288
	s_waitcnt vmcnt(0)
	v_and_b32_e32 v5, 1, v5
	s_delay_alu instid0(VALU_DEP_1) | instskip(NEXT) | instid1(VALU_DEP_1)
	v_cmp_eq_u32_e64 s0, 1, v5
	s_xor_b32 s38, s0, -1
	s_mov_b32 s0, s1
	s_and_saveexec_b32 s37, s38
; %bb.76:
	v_cmp_gt_f32_e64 s0, v4, v14
	s_delay_alu instid0(VALU_DEP_1) | instskip(NEXT) | instid1(SALU_CYCLE_1)
	s_and_b32 s0, s1, s0
	v_cndmask_b32_e64 v4, v14, v4, s0
	s_or_b32 s0, s1, exec_lo
; %bb.77:
	s_or_b32 exec_lo, exec_lo, s37
	s_delay_alu instid0(SALU_CYCLE_1) | instskip(SKIP_1) | instid1(SALU_CYCLE_1)
	s_and_not1_b32 s1, s1, exec_lo
	s_and_b32 s0, s0, exec_lo
	s_or_b32 s1, s1, s0
	s_or_b32 exec_lo, exec_lo, s18
	s_and_saveexec_b32 s18, s25
	s_cbranch_execz .LBB715_45
.LBB715_78:
	global_load_u8 v5, v[2:3], off offset:320
	s_waitcnt vmcnt(0)
	v_and_b32_e32 v5, 1, v5
	s_delay_alu instid0(VALU_DEP_1) | instskip(NEXT) | instid1(VALU_DEP_1)
	v_cmp_eq_u32_e64 s0, 1, v5
	s_xor_b32 s38, s0, -1
	s_mov_b32 s0, s1
	s_and_saveexec_b32 s37, s38
; %bb.79:
	v_cmp_gt_f32_e64 s0, v4, v13
	s_delay_alu instid0(VALU_DEP_1) | instskip(NEXT) | instid1(SALU_CYCLE_1)
	s_and_b32 s0, s1, s0
	v_cndmask_b32_e64 v4, v13, v4, s0
	s_or_b32 s0, s1, exec_lo
; %bb.80:
	s_or_b32 exec_lo, exec_lo, s37
	s_delay_alu instid0(SALU_CYCLE_1) | instskip(SKIP_1) | instid1(SALU_CYCLE_1)
	s_and_not1_b32 s1, s1, exec_lo
	s_and_b32 s0, s0, exec_lo
	s_or_b32 s1, s1, s0
	s_or_b32 exec_lo, exec_lo, s18
	s_and_saveexec_b32 s18, s24
	s_cbranch_execz .LBB715_46
.LBB715_81:
	global_load_u8 v5, v[2:3], off offset:352
	s_waitcnt vmcnt(0)
	v_and_b32_e32 v5, 1, v5
	s_delay_alu instid0(VALU_DEP_1) | instskip(NEXT) | instid1(VALU_DEP_1)
	v_cmp_eq_u32_e64 s0, 1, v5
	s_xor_b32 s38, s0, -1
	s_mov_b32 s0, s1
	s_and_saveexec_b32 s37, s38
; %bb.82:
	v_cmp_gt_f32_e64 s0, v4, v12
	s_delay_alu instid0(VALU_DEP_1) | instskip(NEXT) | instid1(SALU_CYCLE_1)
	s_and_b32 s0, s1, s0
	v_cndmask_b32_e64 v4, v12, v4, s0
	s_or_b32 s0, s1, exec_lo
; %bb.83:
	s_or_b32 exec_lo, exec_lo, s37
	s_delay_alu instid0(SALU_CYCLE_1) | instskip(SKIP_1) | instid1(SALU_CYCLE_1)
	s_and_not1_b32 s1, s1, exec_lo
	s_and_b32 s0, s0, exec_lo
	s_or_b32 s1, s1, s0
	s_or_b32 exec_lo, exec_lo, s18
	s_and_saveexec_b32 s18, s23
	s_cbranch_execz .LBB715_47
.LBB715_84:
	global_load_u8 v5, v[2:3], off offset:384
	s_waitcnt vmcnt(0)
	v_and_b32_e32 v5, 1, v5
	s_delay_alu instid0(VALU_DEP_1) | instskip(NEXT) | instid1(VALU_DEP_1)
	v_cmp_eq_u32_e64 s0, 1, v5
	s_xor_b32 s38, s0, -1
	s_mov_b32 s0, s1
	s_and_saveexec_b32 s37, s38
; %bb.85:
	v_cmp_gt_f32_e64 s0, v4, v11
	s_delay_alu instid0(VALU_DEP_1) | instskip(NEXT) | instid1(SALU_CYCLE_1)
	s_and_b32 s0, s1, s0
	v_cndmask_b32_e64 v4, v11, v4, s0
	s_or_b32 s0, s1, exec_lo
; %bb.86:
	s_or_b32 exec_lo, exec_lo, s37
	s_delay_alu instid0(SALU_CYCLE_1) | instskip(SKIP_1) | instid1(SALU_CYCLE_1)
	s_and_not1_b32 s1, s1, exec_lo
	s_and_b32 s0, s0, exec_lo
	s_or_b32 s1, s1, s0
	s_or_b32 exec_lo, exec_lo, s18
	s_and_saveexec_b32 s18, s22
	s_cbranch_execz .LBB715_48
.LBB715_87:
	global_load_u8 v5, v[2:3], off offset:416
	s_waitcnt vmcnt(0)
	v_and_b32_e32 v5, 1, v5
	s_delay_alu instid0(VALU_DEP_1) | instskip(NEXT) | instid1(VALU_DEP_1)
	v_cmp_eq_u32_e64 s0, 1, v5
	s_xor_b32 s38, s0, -1
	s_mov_b32 s0, s1
	s_and_saveexec_b32 s37, s38
; %bb.88:
	v_cmp_gt_f32_e64 s0, v4, v10
	s_delay_alu instid0(VALU_DEP_1) | instskip(NEXT) | instid1(SALU_CYCLE_1)
	s_and_b32 s0, s1, s0
	v_cndmask_b32_e64 v4, v10, v4, s0
	s_or_b32 s0, s1, exec_lo
; %bb.89:
	s_or_b32 exec_lo, exec_lo, s37
	s_delay_alu instid0(SALU_CYCLE_1) | instskip(SKIP_1) | instid1(SALU_CYCLE_1)
	s_and_not1_b32 s1, s1, exec_lo
	s_and_b32 s0, s0, exec_lo
	s_or_b32 s1, s1, s0
	s_or_b32 exec_lo, exec_lo, s18
	s_and_saveexec_b32 s18, s19
	s_cbranch_execz .LBB715_49
.LBB715_90:
	global_load_u8 v5, v[2:3], off offset:448
	s_waitcnt vmcnt(0)
	v_and_b32_e32 v5, 1, v5
	s_delay_alu instid0(VALU_DEP_1) | instskip(NEXT) | instid1(VALU_DEP_1)
	v_cmp_eq_u32_e64 s0, 1, v5
	s_xor_b32 s38, s0, -1
	s_mov_b32 s0, s1
	s_and_saveexec_b32 s37, s38
; %bb.91:
	v_cmp_gt_f32_e64 s0, v4, v9
	s_delay_alu instid0(VALU_DEP_1) | instskip(NEXT) | instid1(SALU_CYCLE_1)
	s_and_b32 s0, s1, s0
	v_cndmask_b32_e64 v4, v9, v4, s0
	s_or_b32 s0, s1, exec_lo
; %bb.92:
	s_or_b32 exec_lo, exec_lo, s37
	s_delay_alu instid0(SALU_CYCLE_1) | instskip(SKIP_1) | instid1(SALU_CYCLE_1)
	s_and_not1_b32 s1, s1, exec_lo
	s_and_b32 s0, s0, exec_lo
	s_or_b32 s1, s1, s0
	s_or_b32 exec_lo, exec_lo, s18
	s_and_saveexec_b32 s18, s17
	s_cbranch_execz .LBB715_96
.LBB715_93:
	global_load_u8 v5, v[2:3], off offset:480
	s_waitcnt vmcnt(0)
	v_and_b32_e32 v5, 1, v5
	s_delay_alu instid0(VALU_DEP_1) | instskip(NEXT) | instid1(VALU_DEP_1)
	v_cmp_eq_u32_e64 s0, 1, v5
	s_xor_b32 s38, s0, -1
	s_mov_b32 s0, s1
	s_and_saveexec_b32 s37, s38
; %bb.94:
	v_cmp_gt_f32_e64 s0, v4, v8
	s_delay_alu instid0(VALU_DEP_1) | instskip(NEXT) | instid1(SALU_CYCLE_1)
	s_and_b32 s0, s1, s0
	v_cndmask_b32_e64 v4, v8, v4, s0
	s_or_b32 s0, s1, exec_lo
; %bb.95:
	s_or_b32 exec_lo, exec_lo, s37
	s_delay_alu instid0(SALU_CYCLE_1) | instskip(SKIP_1) | instid1(SALU_CYCLE_1)
	s_and_not1_b32 s1, s1, exec_lo
	s_and_b32 s0, s0, exec_lo
	s_or_b32 s1, s1, s0
.LBB715_96:
	s_or_b32 exec_lo, exec_lo, s18
	v_mbcnt_lo_u32_b32 v26, -1, 0
	v_cndmask_b32_e64 v4, 0xff800000, v4, s1
	s_delay_alu instid0(VALU_DEP_2) | instskip(SKIP_1) | instid1(VALU_DEP_2)
	v_xor_b32_e32 v5, 16, v26
	v_xor_b32_e32 v6, 8, v26
	v_cmp_gt_i32_e64 s0, 32, v5
	s_delay_alu instid0(VALU_DEP_1) | instskip(NEXT) | instid1(VALU_DEP_3)
	v_cndmask_b32_e64 v5, v26, v5, s0
	v_cmp_gt_i32_e64 s0, 32, v6
	s_delay_alu instid0(VALU_DEP_2) | instskip(NEXT) | instid1(VALU_DEP_2)
	v_lshlrev_b32_e32 v5, 2, v5
	v_cndmask_b32_e64 v6, v26, v6, s0
	ds_bpermute_b32 v24, v5, v4
	v_lshlrev_b32_e32 v6, 2, v6
	s_waitcnt lgkmcnt(0)
	v_cmp_lt_f32_e64 s0, v4, v24
	s_delay_alu instid0(VALU_DEP_1) | instskip(SKIP_3) | instid1(VALU_DEP_1)
	v_cndmask_b32_e64 v4, v4, v24, s0
	v_xor_b32_e32 v24, 4, v26
	ds_bpermute_b32 v25, v6, v4
	v_cmp_gt_i32_e64 s0, 32, v24
	v_cndmask_b32_e64 v24, v26, v24, s0
	s_delay_alu instid0(VALU_DEP_1) | instskip(SKIP_2) | instid1(VALU_DEP_1)
	v_lshlrev_b32_e32 v24, 2, v24
	s_waitcnt lgkmcnt(0)
	v_cmp_lt_f32_e64 s0, v4, v25
	v_cndmask_b32_e64 v4, v4, v25, s0
	v_xor_b32_e32 v25, 2, v26
	ds_bpermute_b32 v27, v24, v4
	v_cmp_gt_i32_e64 s0, 32, v25
	s_delay_alu instid0(VALU_DEP_1) | instskip(NEXT) | instid1(VALU_DEP_1)
	v_cndmask_b32_e64 v25, v26, v25, s0
	v_lshlrev_b32_e32 v25, 2, v25
	s_waitcnt lgkmcnt(0)
	v_cmp_lt_f32_e64 s0, v4, v27
	s_delay_alu instid0(VALU_DEP_1) | instskip(SKIP_3) | instid1(VALU_DEP_1)
	v_cndmask_b32_e64 v4, v4, v27, s0
	v_xor_b32_e32 v27, 1, v26
	ds_bpermute_b32 v28, v25, v4
	v_cmp_gt_i32_e64 s0, 32, v27
	v_cndmask_b32_e64 v26, v26, v27, s0
	s_delay_alu instid0(VALU_DEP_1) | instskip(SKIP_2) | instid1(VALU_DEP_1)
	v_lshlrev_b32_e32 v27, 2, v26
	s_waitcnt lgkmcnt(0)
	v_cmp_lt_f32_e64 s0, v4, v28
	v_cndmask_b32_e64 v26, v4, v28, s0
	v_mov_b32_e32 v4, 0
	ds_bpermute_b32 v28, v27, v26
	s_waitcnt lgkmcnt(0)
	v_cmp_lt_f32_e64 s0, v26, v28
	s_delay_alu instid0(VALU_DEP_1)
	v_cndmask_b32_e64 v28, v26, v28, s0
	v_mov_b32_e32 v26, 0
	s_and_saveexec_b32 s1, s36
	s_cbranch_execz .LBB715_100
; %bb.97:
	global_load_u8 v26, v[2:3], off
	s_waitcnt vmcnt(0)
	v_and_b32_e32 v26, 1, v26
	s_delay_alu instid0(VALU_DEP_1) | instskip(SKIP_1) | instid1(VALU_DEP_2)
	v_cmp_eq_u32_e64 s0, 1, v26
	v_mov_b32_e32 v26, 0
	s_xor_b32 s0, s0, -1
	s_delay_alu instid0(SALU_CYCLE_1)
	s_and_saveexec_b32 s18, s0
	s_cbranch_execz .LBB715_99
; %bb.98:
	v_sub_f32_e32 v23, v23, v28
	s_delay_alu instid0(VALU_DEP_1) | instskip(NEXT) | instid1(VALU_DEP_1)
	v_mul_f32_e32 v26, 0x3fb8aa3b, v23
	v_fma_f32 v29, 0x3fb8aa3b, v23, -v26
	v_rndne_f32_e32 v30, v26
	s_delay_alu instid0(VALU_DEP_1) | instskip(SKIP_1) | instid1(VALU_DEP_2)
	v_dual_sub_f32 v26, v26, v30 :: v_dual_fmamk_f32 v29, v23, 0x32a5705f, v29
	v_cmp_ngt_f32_e64 s0, 0xc2ce8ed0, v23
	v_add_f32_e32 v26, v26, v29
	v_cvt_i32_f32_e32 v29, v30
	s_delay_alu instid0(VALU_DEP_2) | instskip(SKIP_2) | instid1(VALU_DEP_1)
	v_exp_f32_e32 v26, v26
	s_waitcnt_depctr 0xfff
	v_ldexp_f32 v26, v26, v29
	v_cndmask_b32_e64 v26, 0, v26, s0
	v_cmp_nlt_f32_e64 s0, 0x42b17218, v23
	s_delay_alu instid0(VALU_DEP_1)
	v_cndmask_b32_e64 v26, 0x7f800000, v26, s0
.LBB715_99:
	s_or_b32 exec_lo, exec_lo, s18
.LBB715_100:
	s_delay_alu instid0(SALU_CYCLE_1) | instskip(NEXT) | instid1(VALU_DEP_1)
	s_or_b32 exec_lo, exec_lo, s1
	v_mov_b32_e32 v29, v26
	s_and_saveexec_b32 s1, s35
	s_cbranch_execz .LBB715_104
; %bb.101:
	global_load_u8 v4, v[2:3], off offset:32
	s_waitcnt vmcnt(0)
	v_dual_mov_b32 v29, v26 :: v_dual_and_b32 v4, 1, v4
	s_delay_alu instid0(VALU_DEP_1) | instskip(SKIP_1) | instid1(VALU_DEP_2)
	v_cmp_eq_u32_e64 s0, 1, v4
	v_mov_b32_e32 v4, 0
	s_xor_b32 s0, s0, -1
	s_delay_alu instid0(SALU_CYCLE_1)
	s_and_saveexec_b32 s18, s0
	s_cbranch_execz .LBB715_103
; %bb.102:
	v_sub_f32_e32 v4, v22, v28
	s_delay_alu instid0(VALU_DEP_1) | instskip(SKIP_1) | instid1(VALU_DEP_2)
	v_mul_f32_e32 v22, 0x3fb8aa3b, v4
	v_cmp_ngt_f32_e64 s0, 0xc2ce8ed0, v4
	v_fma_f32 v23, 0x3fb8aa3b, v4, -v22
	v_rndne_f32_e32 v29, v22
	s_delay_alu instid0(VALU_DEP_1) | instskip(NEXT) | instid1(VALU_DEP_1)
	v_dual_fmamk_f32 v23, v4, 0x32a5705f, v23 :: v_dual_sub_f32 v22, v22, v29
	v_add_f32_e32 v22, v22, v23
	v_cvt_i32_f32_e32 v23, v29
	s_delay_alu instid0(VALU_DEP_2) | instskip(SKIP_2) | instid1(VALU_DEP_1)
	v_exp_f32_e32 v22, v22
	s_waitcnt_depctr 0xfff
	v_ldexp_f32 v22, v22, v23
	v_cndmask_b32_e64 v22, 0, v22, s0
	v_cmp_nlt_f32_e64 s0, 0x42b17218, v4
	s_delay_alu instid0(VALU_DEP_1) | instskip(NEXT) | instid1(VALU_DEP_1)
	v_cndmask_b32_e64 v4, 0x7f800000, v22, s0
	v_add_f32_e32 v29, v26, v4
.LBB715_103:
	s_or_b32 exec_lo, exec_lo, s18
.LBB715_104:
	s_delay_alu instid0(SALU_CYCLE_1)
	s_or_b32 exec_lo, exec_lo, s1
	v_dual_mov_b32 v22, 0 :: v_dual_mov_b32 v23, 0
	s_and_saveexec_b32 s1, s34
	s_cbranch_execz .LBB715_108
; %bb.105:
	global_load_u8 v23, v[2:3], off offset:64
	s_waitcnt vmcnt(0)
	v_and_b32_e32 v23, 1, v23
	s_delay_alu instid0(VALU_DEP_1) | instskip(SKIP_1) | instid1(VALU_DEP_2)
	v_cmp_eq_u32_e64 s0, 1, v23
	v_mov_b32_e32 v23, 0
	s_xor_b32 s0, s0, -1
	s_delay_alu instid0(SALU_CYCLE_1)
	s_and_saveexec_b32 s18, s0
	s_cbranch_execz .LBB715_107
; %bb.106:
	v_sub_f32_e32 v21, v21, v28
	s_delay_alu instid0(VALU_DEP_1) | instskip(SKIP_1) | instid1(VALU_DEP_2)
	v_mul_f32_e32 v23, 0x3fb8aa3b, v21
	v_cmp_ngt_f32_e64 s0, 0xc2ce8ed0, v21
	v_fma_f32 v30, 0x3fb8aa3b, v21, -v23
	v_rndne_f32_e32 v31, v23
	s_delay_alu instid0(VALU_DEP_1) | instskip(NEXT) | instid1(VALU_DEP_1)
	v_dual_fmamk_f32 v30, v21, 0x32a5705f, v30 :: v_dual_sub_f32 v23, v23, v31
	v_add_f32_e32 v23, v23, v30
	v_cvt_i32_f32_e32 v30, v31
	s_delay_alu instid0(VALU_DEP_2) | instskip(SKIP_2) | instid1(VALU_DEP_1)
	v_exp_f32_e32 v23, v23
	s_waitcnt_depctr 0xfff
	v_ldexp_f32 v23, v23, v30
	v_cndmask_b32_e64 v23, 0, v23, s0
	v_cmp_nlt_f32_e64 s0, 0x42b17218, v21
	s_delay_alu instid0(VALU_DEP_1) | instskip(NEXT) | instid1(VALU_DEP_1)
	v_cndmask_b32_e64 v23, 0x7f800000, v23, s0
	v_add_f32_e32 v29, v29, v23
.LBB715_107:
	s_or_b32 exec_lo, exec_lo, s18
.LBB715_108:
	s_delay_alu instid0(SALU_CYCLE_1)
	s_or_b32 exec_lo, exec_lo, s1
	s_and_saveexec_b32 s1, s33
	s_cbranch_execz .LBB715_112
; %bb.109:
	global_load_u8 v21, v[2:3], off offset:96
	s_waitcnt vmcnt(0)
	v_dual_mov_b32 v22, 0 :: v_dual_and_b32 v21, 1, v21
	s_delay_alu instid0(VALU_DEP_1) | instskip(NEXT) | instid1(VALU_DEP_1)
	v_cmp_eq_u32_e64 s0, 1, v21
	s_xor_b32 s0, s0, -1
	s_delay_alu instid0(SALU_CYCLE_1)
	s_and_saveexec_b32 s18, s0
	s_cbranch_execz .LBB715_111
; %bb.110:
	v_sub_f32_e32 v20, v20, v28
	s_delay_alu instid0(VALU_DEP_1) | instskip(NEXT) | instid1(VALU_DEP_1)
	v_mul_f32_e32 v21, 0x3fb8aa3b, v20
	v_fma_f32 v22, 0x3fb8aa3b, v20, -v21
	v_rndne_f32_e32 v30, v21
	s_delay_alu instid0(VALU_DEP_1) | instskip(SKIP_1) | instid1(VALU_DEP_2)
	v_dual_sub_f32 v21, v21, v30 :: v_dual_fmamk_f32 v22, v20, 0x32a5705f, v22
	v_cmp_ngt_f32_e64 s0, 0xc2ce8ed0, v20
	v_add_f32_e32 v21, v21, v22
	v_cvt_i32_f32_e32 v22, v30
	s_delay_alu instid0(VALU_DEP_2) | instskip(SKIP_2) | instid1(VALU_DEP_1)
	v_exp_f32_e32 v21, v21
	s_waitcnt_depctr 0xfff
	v_ldexp_f32 v21, v21, v22
	v_cndmask_b32_e64 v21, 0, v21, s0
	v_cmp_nlt_f32_e64 s0, 0x42b17218, v20
	s_delay_alu instid0(VALU_DEP_1) | instskip(NEXT) | instid1(VALU_DEP_1)
	v_cndmask_b32_e64 v22, 0x7f800000, v21, s0
	v_add_f32_e32 v29, v29, v22
.LBB715_111:
	s_or_b32 exec_lo, exec_lo, s18
.LBB715_112:
	s_delay_alu instid0(SALU_CYCLE_1)
	s_or_b32 exec_lo, exec_lo, s1
	v_dual_mov_b32 v20, 0 :: v_dual_mov_b32 v21, 0
	s_and_saveexec_b32 s1, s31
	s_cbranch_execz .LBB715_116
; %bb.113:
	global_load_u8 v21, v[2:3], off offset:128
	s_waitcnt vmcnt(0)
	v_and_b32_e32 v21, 1, v21
	s_delay_alu instid0(VALU_DEP_1) | instskip(SKIP_1) | instid1(VALU_DEP_2)
	v_cmp_eq_u32_e64 s0, 1, v21
	v_mov_b32_e32 v21, 0
	s_xor_b32 s0, s0, -1
	s_delay_alu instid0(SALU_CYCLE_1)
	s_and_saveexec_b32 s18, s0
	s_cbranch_execz .LBB715_115
; %bb.114:
	v_sub_f32_e32 v19, v19, v28
	s_delay_alu instid0(VALU_DEP_1) | instskip(SKIP_1) | instid1(VALU_DEP_2)
	v_mul_f32_e32 v21, 0x3fb8aa3b, v19
	v_cmp_ngt_f32_e64 s0, 0xc2ce8ed0, v19
	v_fma_f32 v30, 0x3fb8aa3b, v19, -v21
	v_rndne_f32_e32 v31, v21
	s_delay_alu instid0(VALU_DEP_1) | instskip(NEXT) | instid1(VALU_DEP_1)
	v_dual_fmamk_f32 v30, v19, 0x32a5705f, v30 :: v_dual_sub_f32 v21, v21, v31
	v_add_f32_e32 v21, v21, v30
	v_cvt_i32_f32_e32 v30, v31
	s_delay_alu instid0(VALU_DEP_2) | instskip(SKIP_2) | instid1(VALU_DEP_1)
	v_exp_f32_e32 v21, v21
	s_waitcnt_depctr 0xfff
	v_ldexp_f32 v21, v21, v30
	v_cndmask_b32_e64 v21, 0, v21, s0
	v_cmp_nlt_f32_e64 s0, 0x42b17218, v19
	s_delay_alu instid0(VALU_DEP_1) | instskip(NEXT) | instid1(VALU_DEP_1)
	v_cndmask_b32_e64 v21, 0x7f800000, v21, s0
	v_add_f32_e32 v29, v29, v21
.LBB715_115:
	s_or_b32 exec_lo, exec_lo, s18
.LBB715_116:
	s_delay_alu instid0(SALU_CYCLE_1)
	s_or_b32 exec_lo, exec_lo, s1
	s_and_saveexec_b32 s1, s30
	s_cbranch_execz .LBB715_120
; %bb.117:
	global_load_u8 v19, v[2:3], off offset:160
	s_waitcnt vmcnt(0)
	v_dual_mov_b32 v20, 0 :: v_dual_and_b32 v19, 1, v19
	s_delay_alu instid0(VALU_DEP_1) | instskip(NEXT) | instid1(VALU_DEP_1)
	v_cmp_eq_u32_e64 s0, 1, v19
	s_xor_b32 s0, s0, -1
	s_delay_alu instid0(SALU_CYCLE_1)
	s_and_saveexec_b32 s18, s0
	s_cbranch_execz .LBB715_119
; %bb.118:
	v_sub_f32_e32 v18, v18, v28
	s_delay_alu instid0(VALU_DEP_1) | instskip(NEXT) | instid1(VALU_DEP_1)
	v_mul_f32_e32 v19, 0x3fb8aa3b, v18
	v_fma_f32 v20, 0x3fb8aa3b, v18, -v19
	v_rndne_f32_e32 v30, v19
	s_delay_alu instid0(VALU_DEP_1) | instskip(SKIP_1) | instid1(VALU_DEP_2)
	v_dual_sub_f32 v19, v19, v30 :: v_dual_fmamk_f32 v20, v18, 0x32a5705f, v20
	v_cmp_ngt_f32_e64 s0, 0xc2ce8ed0, v18
	v_add_f32_e32 v19, v19, v20
	v_cvt_i32_f32_e32 v20, v30
	s_delay_alu instid0(VALU_DEP_2) | instskip(SKIP_2) | instid1(VALU_DEP_1)
	v_exp_f32_e32 v19, v19
	s_waitcnt_depctr 0xfff
	v_ldexp_f32 v19, v19, v20
	v_cndmask_b32_e64 v19, 0, v19, s0
	v_cmp_nlt_f32_e64 s0, 0x42b17218, v18
	s_delay_alu instid0(VALU_DEP_1) | instskip(NEXT) | instid1(VALU_DEP_1)
	v_cndmask_b32_e64 v20, 0x7f800000, v19, s0
	v_add_f32_e32 v29, v29, v20
.LBB715_119:
	s_or_b32 exec_lo, exec_lo, s18
.LBB715_120:
	s_delay_alu instid0(SALU_CYCLE_1)
	s_or_b32 exec_lo, exec_lo, s1
	v_dual_mov_b32 v18, 0 :: v_dual_mov_b32 v19, 0
	s_and_saveexec_b32 s1, s29
	s_cbranch_execz .LBB715_124
; %bb.121:
	global_load_u8 v19, v[2:3], off offset:192
	s_waitcnt vmcnt(0)
	v_and_b32_e32 v19, 1, v19
	s_delay_alu instid0(VALU_DEP_1) | instskip(SKIP_1) | instid1(VALU_DEP_2)
	v_cmp_eq_u32_e64 s0, 1, v19
	v_mov_b32_e32 v19, 0
	s_xor_b32 s0, s0, -1
	s_delay_alu instid0(SALU_CYCLE_1)
	s_and_saveexec_b32 s18, s0
	s_cbranch_execz .LBB715_123
; %bb.122:
	v_sub_f32_e32 v17, v17, v28
	s_delay_alu instid0(VALU_DEP_1) | instskip(SKIP_1) | instid1(VALU_DEP_2)
	v_mul_f32_e32 v19, 0x3fb8aa3b, v17
	v_cmp_ngt_f32_e64 s0, 0xc2ce8ed0, v17
	v_fma_f32 v30, 0x3fb8aa3b, v17, -v19
	v_rndne_f32_e32 v31, v19
	s_delay_alu instid0(VALU_DEP_1) | instskip(NEXT) | instid1(VALU_DEP_1)
	v_dual_fmamk_f32 v30, v17, 0x32a5705f, v30 :: v_dual_sub_f32 v19, v19, v31
	v_add_f32_e32 v19, v19, v30
	v_cvt_i32_f32_e32 v30, v31
	s_delay_alu instid0(VALU_DEP_2) | instskip(SKIP_2) | instid1(VALU_DEP_1)
	v_exp_f32_e32 v19, v19
	s_waitcnt_depctr 0xfff
	v_ldexp_f32 v19, v19, v30
	v_cndmask_b32_e64 v19, 0, v19, s0
	v_cmp_nlt_f32_e64 s0, 0x42b17218, v17
	s_delay_alu instid0(VALU_DEP_1) | instskip(NEXT) | instid1(VALU_DEP_1)
	v_cndmask_b32_e64 v19, 0x7f800000, v19, s0
	v_add_f32_e32 v29, v29, v19
.LBB715_123:
	s_or_b32 exec_lo, exec_lo, s18
.LBB715_124:
	s_delay_alu instid0(SALU_CYCLE_1)
	s_or_b32 exec_lo, exec_lo, s1
	s_and_saveexec_b32 s1, s28
	s_cbranch_execz .LBB715_128
; %bb.125:
	global_load_u8 v17, v[2:3], off offset:224
	s_waitcnt vmcnt(0)
	v_dual_mov_b32 v18, 0 :: v_dual_and_b32 v17, 1, v17
	s_delay_alu instid0(VALU_DEP_1) | instskip(NEXT) | instid1(VALU_DEP_1)
	v_cmp_eq_u32_e64 s0, 1, v17
	s_xor_b32 s0, s0, -1
	s_delay_alu instid0(SALU_CYCLE_1)
	s_and_saveexec_b32 s18, s0
	s_cbranch_execz .LBB715_127
; %bb.126:
	v_sub_f32_e32 v16, v16, v28
	s_delay_alu instid0(VALU_DEP_1) | instskip(NEXT) | instid1(VALU_DEP_1)
	v_mul_f32_e32 v17, 0x3fb8aa3b, v16
	v_fma_f32 v18, 0x3fb8aa3b, v16, -v17
	v_rndne_f32_e32 v30, v17
	s_delay_alu instid0(VALU_DEP_1) | instskip(SKIP_1) | instid1(VALU_DEP_2)
	v_dual_sub_f32 v17, v17, v30 :: v_dual_fmamk_f32 v18, v16, 0x32a5705f, v18
	v_cmp_ngt_f32_e64 s0, 0xc2ce8ed0, v16
	v_add_f32_e32 v17, v17, v18
	v_cvt_i32_f32_e32 v18, v30
	s_delay_alu instid0(VALU_DEP_2) | instskip(SKIP_2) | instid1(VALU_DEP_1)
	v_exp_f32_e32 v17, v17
	s_waitcnt_depctr 0xfff
	v_ldexp_f32 v17, v17, v18
	v_cndmask_b32_e64 v17, 0, v17, s0
	v_cmp_nlt_f32_e64 s0, 0x42b17218, v16
	s_delay_alu instid0(VALU_DEP_1) | instskip(NEXT) | instid1(VALU_DEP_1)
	v_cndmask_b32_e64 v18, 0x7f800000, v17, s0
	v_add_f32_e32 v29, v29, v18
.LBB715_127:
	s_or_b32 exec_lo, exec_lo, s18
.LBB715_128:
	s_delay_alu instid0(SALU_CYCLE_1)
	s_or_b32 exec_lo, exec_lo, s1
	v_dual_mov_b32 v16, 0 :: v_dual_mov_b32 v17, 0
	s_and_saveexec_b32 s1, s27
	s_cbranch_execz .LBB715_132
; %bb.129:
	global_load_u8 v17, v[2:3], off offset:256
	s_waitcnt vmcnt(0)
	v_and_b32_e32 v17, 1, v17
	s_delay_alu instid0(VALU_DEP_1) | instskip(SKIP_1) | instid1(VALU_DEP_2)
	v_cmp_eq_u32_e64 s0, 1, v17
	v_mov_b32_e32 v17, 0
	s_xor_b32 s0, s0, -1
	s_delay_alu instid0(SALU_CYCLE_1)
	s_and_saveexec_b32 s18, s0
	s_cbranch_execz .LBB715_131
; %bb.130:
	v_sub_f32_e32 v15, v15, v28
	s_delay_alu instid0(VALU_DEP_1) | instskip(SKIP_1) | instid1(VALU_DEP_2)
	v_mul_f32_e32 v17, 0x3fb8aa3b, v15
	v_cmp_ngt_f32_e64 s0, 0xc2ce8ed0, v15
	v_fma_f32 v30, 0x3fb8aa3b, v15, -v17
	v_rndne_f32_e32 v31, v17
	s_delay_alu instid0(VALU_DEP_1) | instskip(NEXT) | instid1(VALU_DEP_1)
	v_dual_fmamk_f32 v30, v15, 0x32a5705f, v30 :: v_dual_sub_f32 v17, v17, v31
	v_add_f32_e32 v17, v17, v30
	v_cvt_i32_f32_e32 v30, v31
	s_delay_alu instid0(VALU_DEP_2) | instskip(SKIP_2) | instid1(VALU_DEP_1)
	v_exp_f32_e32 v17, v17
	s_waitcnt_depctr 0xfff
	v_ldexp_f32 v17, v17, v30
	v_cndmask_b32_e64 v17, 0, v17, s0
	v_cmp_nlt_f32_e64 s0, 0x42b17218, v15
	s_delay_alu instid0(VALU_DEP_1) | instskip(NEXT) | instid1(VALU_DEP_1)
	v_cndmask_b32_e64 v17, 0x7f800000, v17, s0
	v_add_f32_e32 v29, v29, v17
.LBB715_131:
	s_or_b32 exec_lo, exec_lo, s18
.LBB715_132:
	s_delay_alu instid0(SALU_CYCLE_1)
	s_or_b32 exec_lo, exec_lo, s1
	s_and_saveexec_b32 s1, s26
	s_cbranch_execz .LBB715_136
; %bb.133:
	global_load_u8 v15, v[2:3], off offset:288
	s_waitcnt vmcnt(0)
	v_dual_mov_b32 v16, 0 :: v_dual_and_b32 v15, 1, v15
	s_delay_alu instid0(VALU_DEP_1) | instskip(NEXT) | instid1(VALU_DEP_1)
	v_cmp_eq_u32_e64 s0, 1, v15
	s_xor_b32 s0, s0, -1
	s_delay_alu instid0(SALU_CYCLE_1)
	s_and_saveexec_b32 s18, s0
	s_cbranch_execz .LBB715_135
; %bb.134:
	v_sub_f32_e32 v14, v14, v28
	s_delay_alu instid0(VALU_DEP_1) | instskip(NEXT) | instid1(VALU_DEP_1)
	v_mul_f32_e32 v15, 0x3fb8aa3b, v14
	v_fma_f32 v16, 0x3fb8aa3b, v14, -v15
	v_rndne_f32_e32 v30, v15
	s_delay_alu instid0(VALU_DEP_1) | instskip(SKIP_1) | instid1(VALU_DEP_2)
	v_dual_sub_f32 v15, v15, v30 :: v_dual_fmamk_f32 v16, v14, 0x32a5705f, v16
	v_cmp_ngt_f32_e64 s0, 0xc2ce8ed0, v14
	v_add_f32_e32 v15, v15, v16
	v_cvt_i32_f32_e32 v16, v30
	s_delay_alu instid0(VALU_DEP_2) | instskip(SKIP_2) | instid1(VALU_DEP_1)
	v_exp_f32_e32 v15, v15
	s_waitcnt_depctr 0xfff
	v_ldexp_f32 v15, v15, v16
	v_cndmask_b32_e64 v15, 0, v15, s0
	v_cmp_nlt_f32_e64 s0, 0x42b17218, v14
	s_delay_alu instid0(VALU_DEP_1) | instskip(NEXT) | instid1(VALU_DEP_1)
	v_cndmask_b32_e64 v16, 0x7f800000, v15, s0
	v_add_f32_e32 v29, v29, v16
.LBB715_135:
	s_or_b32 exec_lo, exec_lo, s18
.LBB715_136:
	s_delay_alu instid0(SALU_CYCLE_1)
	s_or_b32 exec_lo, exec_lo, s1
	v_dual_mov_b32 v14, 0 :: v_dual_mov_b32 v15, 0
	s_and_saveexec_b32 s1, s25
	s_cbranch_execz .LBB715_140
; %bb.137:
	global_load_u8 v15, v[2:3], off offset:320
	s_waitcnt vmcnt(0)
	v_and_b32_e32 v15, 1, v15
	s_delay_alu instid0(VALU_DEP_1) | instskip(SKIP_1) | instid1(VALU_DEP_2)
	v_cmp_eq_u32_e64 s0, 1, v15
	v_mov_b32_e32 v15, 0
	s_xor_b32 s0, s0, -1
	s_delay_alu instid0(SALU_CYCLE_1)
	s_and_saveexec_b32 s18, s0
	s_cbranch_execz .LBB715_139
; %bb.138:
	v_sub_f32_e32 v13, v13, v28
	s_delay_alu instid0(VALU_DEP_1) | instskip(SKIP_1) | instid1(VALU_DEP_2)
	v_mul_f32_e32 v15, 0x3fb8aa3b, v13
	v_cmp_ngt_f32_e64 s0, 0xc2ce8ed0, v13
	v_fma_f32 v30, 0x3fb8aa3b, v13, -v15
	v_rndne_f32_e32 v31, v15
	s_delay_alu instid0(VALU_DEP_1) | instskip(NEXT) | instid1(VALU_DEP_1)
	v_dual_fmamk_f32 v30, v13, 0x32a5705f, v30 :: v_dual_sub_f32 v15, v15, v31
	v_add_f32_e32 v15, v15, v30
	v_cvt_i32_f32_e32 v30, v31
	s_delay_alu instid0(VALU_DEP_2) | instskip(SKIP_2) | instid1(VALU_DEP_1)
	v_exp_f32_e32 v15, v15
	s_waitcnt_depctr 0xfff
	v_ldexp_f32 v15, v15, v30
	v_cndmask_b32_e64 v15, 0, v15, s0
	v_cmp_nlt_f32_e64 s0, 0x42b17218, v13
	s_delay_alu instid0(VALU_DEP_1) | instskip(NEXT) | instid1(VALU_DEP_1)
	v_cndmask_b32_e64 v15, 0x7f800000, v15, s0
	v_add_f32_e32 v29, v29, v15
.LBB715_139:
	s_or_b32 exec_lo, exec_lo, s18
.LBB715_140:
	s_delay_alu instid0(SALU_CYCLE_1)
	s_or_b32 exec_lo, exec_lo, s1
	s_and_saveexec_b32 s1, s24
	s_cbranch_execz .LBB715_144
; %bb.141:
	global_load_u8 v13, v[2:3], off offset:352
	s_waitcnt vmcnt(0)
	v_dual_mov_b32 v14, 0 :: v_dual_and_b32 v13, 1, v13
	s_delay_alu instid0(VALU_DEP_1) | instskip(NEXT) | instid1(VALU_DEP_1)
	v_cmp_eq_u32_e64 s0, 1, v13
	s_xor_b32 s0, s0, -1
	s_delay_alu instid0(SALU_CYCLE_1)
	s_and_saveexec_b32 s18, s0
	s_cbranch_execz .LBB715_143
; %bb.142:
	v_sub_f32_e32 v12, v12, v28
	s_delay_alu instid0(VALU_DEP_1) | instskip(NEXT) | instid1(VALU_DEP_1)
	v_mul_f32_e32 v13, 0x3fb8aa3b, v12
	v_fma_f32 v14, 0x3fb8aa3b, v12, -v13
	v_rndne_f32_e32 v30, v13
	s_delay_alu instid0(VALU_DEP_1) | instskip(SKIP_1) | instid1(VALU_DEP_2)
	v_dual_sub_f32 v13, v13, v30 :: v_dual_fmamk_f32 v14, v12, 0x32a5705f, v14
	v_cmp_ngt_f32_e64 s0, 0xc2ce8ed0, v12
	v_add_f32_e32 v13, v13, v14
	v_cvt_i32_f32_e32 v14, v30
	s_delay_alu instid0(VALU_DEP_2) | instskip(SKIP_2) | instid1(VALU_DEP_1)
	v_exp_f32_e32 v13, v13
	s_waitcnt_depctr 0xfff
	v_ldexp_f32 v13, v13, v14
	v_cndmask_b32_e64 v13, 0, v13, s0
	v_cmp_nlt_f32_e64 s0, 0x42b17218, v12
	s_delay_alu instid0(VALU_DEP_1) | instskip(NEXT) | instid1(VALU_DEP_1)
	v_cndmask_b32_e64 v14, 0x7f800000, v13, s0
	v_add_f32_e32 v29, v29, v14
.LBB715_143:
	s_or_b32 exec_lo, exec_lo, s18
.LBB715_144:
	s_delay_alu instid0(SALU_CYCLE_1)
	s_or_b32 exec_lo, exec_lo, s1
	v_dual_mov_b32 v12, 0 :: v_dual_mov_b32 v13, 0
	s_and_saveexec_b32 s1, s23
	s_cbranch_execz .LBB715_148
; %bb.145:
	global_load_u8 v13, v[2:3], off offset:384
	s_waitcnt vmcnt(0)
	v_and_b32_e32 v13, 1, v13
	s_delay_alu instid0(VALU_DEP_1) | instskip(SKIP_1) | instid1(VALU_DEP_2)
	v_cmp_eq_u32_e64 s0, 1, v13
	v_mov_b32_e32 v13, 0
	s_xor_b32 s0, s0, -1
	s_delay_alu instid0(SALU_CYCLE_1)
	s_and_saveexec_b32 s18, s0
	s_cbranch_execz .LBB715_147
; %bb.146:
	v_sub_f32_e32 v11, v11, v28
	s_delay_alu instid0(VALU_DEP_1) | instskip(SKIP_1) | instid1(VALU_DEP_2)
	v_mul_f32_e32 v13, 0x3fb8aa3b, v11
	v_cmp_ngt_f32_e64 s0, 0xc2ce8ed0, v11
	v_fma_f32 v30, 0x3fb8aa3b, v11, -v13
	v_rndne_f32_e32 v31, v13
	s_delay_alu instid0(VALU_DEP_1) | instskip(NEXT) | instid1(VALU_DEP_1)
	v_dual_fmamk_f32 v30, v11, 0x32a5705f, v30 :: v_dual_sub_f32 v13, v13, v31
	v_add_f32_e32 v13, v13, v30
	v_cvt_i32_f32_e32 v30, v31
	s_delay_alu instid0(VALU_DEP_2) | instskip(SKIP_2) | instid1(VALU_DEP_1)
	v_exp_f32_e32 v13, v13
	s_waitcnt_depctr 0xfff
	v_ldexp_f32 v13, v13, v30
	v_cndmask_b32_e64 v13, 0, v13, s0
	v_cmp_nlt_f32_e64 s0, 0x42b17218, v11
	s_delay_alu instid0(VALU_DEP_1) | instskip(NEXT) | instid1(VALU_DEP_1)
	v_cndmask_b32_e64 v13, 0x7f800000, v13, s0
	v_add_f32_e32 v29, v29, v13
.LBB715_147:
	s_or_b32 exec_lo, exec_lo, s18
.LBB715_148:
	s_delay_alu instid0(SALU_CYCLE_1)
	s_or_b32 exec_lo, exec_lo, s1
	s_and_saveexec_b32 s1, s22
	s_cbranch_execz .LBB715_152
; %bb.149:
	global_load_u8 v11, v[2:3], off offset:416
	s_waitcnt vmcnt(0)
	v_dual_mov_b32 v12, 0 :: v_dual_and_b32 v11, 1, v11
	s_delay_alu instid0(VALU_DEP_1) | instskip(NEXT) | instid1(VALU_DEP_1)
	v_cmp_eq_u32_e64 s0, 1, v11
	s_xor_b32 s0, s0, -1
	s_delay_alu instid0(SALU_CYCLE_1)
	s_and_saveexec_b32 s18, s0
	s_cbranch_execz .LBB715_151
; %bb.150:
	v_sub_f32_e32 v10, v10, v28
	s_delay_alu instid0(VALU_DEP_1) | instskip(NEXT) | instid1(VALU_DEP_1)
	v_mul_f32_e32 v11, 0x3fb8aa3b, v10
	v_fma_f32 v12, 0x3fb8aa3b, v10, -v11
	v_rndne_f32_e32 v30, v11
	s_delay_alu instid0(VALU_DEP_1) | instskip(SKIP_1) | instid1(VALU_DEP_2)
	v_dual_sub_f32 v11, v11, v30 :: v_dual_fmamk_f32 v12, v10, 0x32a5705f, v12
	v_cmp_ngt_f32_e64 s0, 0xc2ce8ed0, v10
	v_add_f32_e32 v11, v11, v12
	v_cvt_i32_f32_e32 v12, v30
	s_delay_alu instid0(VALU_DEP_2) | instskip(SKIP_2) | instid1(VALU_DEP_1)
	v_exp_f32_e32 v11, v11
	s_waitcnt_depctr 0xfff
	v_ldexp_f32 v11, v11, v12
	v_cndmask_b32_e64 v11, 0, v11, s0
	v_cmp_nlt_f32_e64 s0, 0x42b17218, v10
	s_delay_alu instid0(VALU_DEP_1) | instskip(NEXT) | instid1(VALU_DEP_1)
	v_cndmask_b32_e64 v12, 0x7f800000, v11, s0
	v_add_f32_e32 v29, v29, v12
.LBB715_151:
	s_or_b32 exec_lo, exec_lo, s18
.LBB715_152:
	s_delay_alu instid0(SALU_CYCLE_1)
	s_or_b32 exec_lo, exec_lo, s1
	v_dual_mov_b32 v10, 0 :: v_dual_mov_b32 v11, 0
	s_and_saveexec_b32 s1, s19
	s_cbranch_execz .LBB715_156
; %bb.153:
	global_load_u8 v11, v[2:3], off offset:448
	s_waitcnt vmcnt(0)
	v_and_b32_e32 v11, 1, v11
	s_delay_alu instid0(VALU_DEP_1) | instskip(SKIP_1) | instid1(VALU_DEP_2)
	v_cmp_eq_u32_e64 s0, 1, v11
	v_mov_b32_e32 v11, 0
	s_xor_b32 s0, s0, -1
	s_delay_alu instid0(SALU_CYCLE_1)
	s_and_saveexec_b32 s18, s0
	s_cbranch_execz .LBB715_155
; %bb.154:
	v_sub_f32_e32 v9, v9, v28
	s_delay_alu instid0(VALU_DEP_1) | instskip(SKIP_1) | instid1(VALU_DEP_2)
	v_mul_f32_e32 v11, 0x3fb8aa3b, v9
	v_cmp_ngt_f32_e64 s0, 0xc2ce8ed0, v9
	v_fma_f32 v30, 0x3fb8aa3b, v9, -v11
	v_rndne_f32_e32 v31, v11
	s_delay_alu instid0(VALU_DEP_1) | instskip(NEXT) | instid1(VALU_DEP_1)
	v_dual_fmamk_f32 v30, v9, 0x32a5705f, v30 :: v_dual_sub_f32 v11, v11, v31
	v_add_f32_e32 v11, v11, v30
	v_cvt_i32_f32_e32 v30, v31
	s_delay_alu instid0(VALU_DEP_2) | instskip(SKIP_2) | instid1(VALU_DEP_1)
	v_exp_f32_e32 v11, v11
	s_waitcnt_depctr 0xfff
	v_ldexp_f32 v11, v11, v30
	v_cndmask_b32_e64 v11, 0, v11, s0
	v_cmp_nlt_f32_e64 s0, 0x42b17218, v9
	s_delay_alu instid0(VALU_DEP_1) | instskip(NEXT) | instid1(VALU_DEP_1)
	v_cndmask_b32_e64 v11, 0x7f800000, v11, s0
	v_add_f32_e32 v29, v29, v11
.LBB715_155:
	s_or_b32 exec_lo, exec_lo, s18
.LBB715_156:
	s_delay_alu instid0(SALU_CYCLE_1)
	s_or_b32 exec_lo, exec_lo, s1
	s_and_saveexec_b32 s1, s17
	s_cbranch_execz .LBB715_160
; %bb.157:
	global_load_u8 v2, v[2:3], off offset:480
	v_mov_b32_e32 v10, 0
	s_waitcnt vmcnt(0)
	v_and_b32_e32 v2, 1, v2
	s_delay_alu instid0(VALU_DEP_1) | instskip(NEXT) | instid1(VALU_DEP_1)
	v_cmp_eq_u32_e64 s0, 1, v2
	s_xor_b32 s0, s0, -1
	s_delay_alu instid0(SALU_CYCLE_1)
	s_and_saveexec_b32 s17, s0
	s_cbranch_execz .LBB715_159
; %bb.158:
	v_sub_f32_e32 v2, v8, v28
	s_delay_alu instid0(VALU_DEP_1) | instskip(NEXT) | instid1(VALU_DEP_1)
	v_mul_f32_e32 v3, 0x3fb8aa3b, v2
	v_fma_f32 v8, 0x3fb8aa3b, v2, -v3
	v_rndne_f32_e32 v9, v3
	s_delay_alu instid0(VALU_DEP_1) | instskip(SKIP_1) | instid1(VALU_DEP_2)
	v_dual_sub_f32 v3, v3, v9 :: v_dual_fmamk_f32 v8, v2, 0x32a5705f, v8
	v_cmp_ngt_f32_e64 s0, 0xc2ce8ed0, v2
	v_add_f32_e32 v3, v3, v8
	v_cvt_i32_f32_e32 v8, v9
	s_delay_alu instid0(VALU_DEP_2) | instskip(SKIP_2) | instid1(VALU_DEP_1)
	v_exp_f32_e32 v3, v3
	s_waitcnt_depctr 0xfff
	v_ldexp_f32 v3, v3, v8
	v_cndmask_b32_e64 v3, 0, v3, s0
	v_cmp_nlt_f32_e64 s0, 0x42b17218, v2
	s_delay_alu instid0(VALU_DEP_1) | instskip(NEXT) | instid1(VALU_DEP_1)
	v_cndmask_b32_e64 v10, 0x7f800000, v3, s0
	v_add_f32_e32 v29, v29, v10
.LBB715_159:
	s_or_b32 exec_lo, exec_lo, s17
.LBB715_160:
	s_delay_alu instid0(SALU_CYCLE_1)
	s_or_b32 exec_lo, exec_lo, s1
	ds_bpermute_b32 v2, v5, v29
	s_mov_b32 s1, exec_lo
	s_waitcnt lgkmcnt(0)
	v_add_f32_e32 v2, v29, v2
	ds_bpermute_b32 v3, v6, v2
	s_waitcnt lgkmcnt(0)
	v_add_f32_e32 v2, v2, v3
	ds_bpermute_b32 v3, v24, v2
	;; [unrolled: 3-line block ×4, first 2 shown]
	v_cmpx_lt_i32_e32 0, v7
	s_cbranch_execz .LBB715_178
; %bb.161:
	s_and_b32 exec_lo, exec_lo, vcc_lo
	s_cbranch_execz .LBB715_178
; %bb.162:
	s_waitcnt lgkmcnt(0)
	v_add_f32_e32 v2, v2, v3
	s_delay_alu instid0(VALU_DEP_1) | instskip(SKIP_2) | instid1(VALU_DEP_3)
	v_div_scale_f32 v3, null, v2, v2, v26
	v_div_scale_f32 v7, vcc_lo, v26, v2, v26
	v_cmp_eq_f32_e64 s0, 0, v2
	v_rcp_f32_e32 v5, v3
	s_waitcnt_depctr 0xfff
	v_fma_f32 v6, -v3, v5, 1.0
	s_delay_alu instid0(VALU_DEP_1) | instskip(NEXT) | instid1(VALU_DEP_1)
	v_fmac_f32_e32 v5, v6, v5
	v_mul_f32_e32 v6, v7, v5
	s_delay_alu instid0(VALU_DEP_1) | instskip(NEXT) | instid1(VALU_DEP_1)
	v_fma_f32 v8, -v3, v6, v7
	v_fmac_f32_e32 v6, v8, v5
	s_delay_alu instid0(VALU_DEP_1) | instskip(NEXT) | instid1(VALU_DEP_1)
	v_fma_f32 v3, -v3, v6, v7
	v_div_fmas_f32 v3, v3, v5, v6
	v_add_co_u32 v0, vcc_lo, s20, v0
	v_add_co_ci_u32_e32 v1, vcc_lo, s21, v1, vcc_lo
	s_delay_alu instid0(VALU_DEP_3) | instskip(NEXT) | instid1(VALU_DEP_1)
	v_div_fixup_f32 v3, v3, v2, v26
	v_cndmask_b32_e64 v3, v3, 0x7fc00000, s0
	global_store_b32 v[0:1], v3, off
	s_and_b32 exec_lo, exec_lo, s16
	s_cbranch_execz .LBB715_178
; %bb.163:
	v_div_scale_f32 v3, null, v2, v2, v4
	s_delay_alu instid0(VALU_DEP_1) | instskip(SKIP_2) | instid1(VALU_DEP_1)
	v_rcp_f32_e32 v5, v3
	s_waitcnt_depctr 0xfff
	v_fma_f32 v6, -v3, v5, 1.0
	v_fmac_f32_e32 v5, v6, v5
	v_div_scale_f32 v6, vcc_lo, v4, v2, v4
	s_delay_alu instid0(VALU_DEP_1) | instskip(NEXT) | instid1(VALU_DEP_1)
	v_mul_f32_e32 v7, v6, v5
	v_fma_f32 v8, -v3, v7, v6
	s_delay_alu instid0(VALU_DEP_1) | instskip(NEXT) | instid1(VALU_DEP_1)
	v_fmac_f32_e32 v7, v8, v5
	v_fma_f32 v3, -v3, v7, v6
	s_delay_alu instid0(VALU_DEP_1) | instskip(NEXT) | instid1(VALU_DEP_1)
	v_div_fmas_f32 v3, v3, v5, v7
	v_div_fixup_f32 v3, v3, v2, v4
	s_delay_alu instid0(VALU_DEP_1)
	v_cndmask_b32_e64 v3, v3, 0x7fc00000, s0
	global_store_b32 v[0:1], v3, off offset:128
	s_and_b32 exec_lo, exec_lo, s15
	s_cbranch_execz .LBB715_178
; %bb.164:
	v_div_scale_f32 v3, null, v2, v2, v23
	s_delay_alu instid0(VALU_DEP_1) | instskip(SKIP_2) | instid1(VALU_DEP_1)
	v_rcp_f32_e32 v4, v3
	s_waitcnt_depctr 0xfff
	v_fma_f32 v5, -v3, v4, 1.0
	v_fmac_f32_e32 v4, v5, v4
	v_div_scale_f32 v5, vcc_lo, v23, v2, v23
	s_delay_alu instid0(VALU_DEP_1) | instskip(NEXT) | instid1(VALU_DEP_1)
	v_mul_f32_e32 v6, v5, v4
	v_fma_f32 v7, -v3, v6, v5
	s_delay_alu instid0(VALU_DEP_1) | instskip(NEXT) | instid1(VALU_DEP_1)
	v_fmac_f32_e32 v6, v7, v4
	v_fma_f32 v3, -v3, v6, v5
	s_delay_alu instid0(VALU_DEP_1) | instskip(NEXT) | instid1(VALU_DEP_1)
	v_div_fmas_f32 v3, v3, v4, v6
	v_div_fixup_f32 v3, v3, v2, v23
	s_delay_alu instid0(VALU_DEP_1)
	v_cndmask_b32_e64 v3, v3, 0x7fc00000, s0
	global_store_b32 v[0:1], v3, off offset:256
	;; [unrolled: 22-line block ×15, first 2 shown]
.LBB715_178:
	s_nop 0
	s_sendmsg sendmsg(MSG_DEALLOC_VGPRS)
	s_endpgm
	.section	.rodata,"a",@progbits
	.p2align	6, 0x0
	.amdhsa_kernel _ZN12_GLOBAL__N_120softmax_warp_forwardIfffLi9ELb0ELb1ELi32EEEvPT0_PKT_iiiPKbib
		.amdhsa_group_segment_fixed_size 0
		.amdhsa_private_segment_fixed_size 0
		.amdhsa_kernarg_size 304
		.amdhsa_user_sgpr_count 15
		.amdhsa_user_sgpr_dispatch_ptr 0
		.amdhsa_user_sgpr_queue_ptr 0
		.amdhsa_user_sgpr_kernarg_segment_ptr 1
		.amdhsa_user_sgpr_dispatch_id 0
		.amdhsa_user_sgpr_private_segment_size 0
		.amdhsa_wavefront_size32 1
		.amdhsa_uses_dynamic_stack 0
		.amdhsa_enable_private_segment 0
		.amdhsa_system_sgpr_workgroup_id_x 1
		.amdhsa_system_sgpr_workgroup_id_y 0
		.amdhsa_system_sgpr_workgroup_id_z 0
		.amdhsa_system_sgpr_workgroup_info 0
		.amdhsa_system_vgpr_workitem_id 1
		.amdhsa_next_free_vgpr 32
		.amdhsa_next_free_sgpr 39
		.amdhsa_reserve_vcc 1
		.amdhsa_float_round_mode_32 0
		.amdhsa_float_round_mode_16_64 0
		.amdhsa_float_denorm_mode_32 3
		.amdhsa_float_denorm_mode_16_64 3
		.amdhsa_dx10_clamp 1
		.amdhsa_ieee_mode 1
		.amdhsa_fp16_overflow 0
		.amdhsa_workgroup_processor_mode 1
		.amdhsa_memory_ordered 1
		.amdhsa_forward_progress 0
		.amdhsa_shared_vgpr_count 0
		.amdhsa_exception_fp_ieee_invalid_op 0
		.amdhsa_exception_fp_denorm_src 0
		.amdhsa_exception_fp_ieee_div_zero 0
		.amdhsa_exception_fp_ieee_overflow 0
		.amdhsa_exception_fp_ieee_underflow 0
		.amdhsa_exception_fp_ieee_inexact 0
		.amdhsa_exception_int_div_zero 0
	.end_amdhsa_kernel
	.section	.text._ZN12_GLOBAL__N_120softmax_warp_forwardIfffLi9ELb0ELb1ELi32EEEvPT0_PKT_iiiPKbib,"axG",@progbits,_ZN12_GLOBAL__N_120softmax_warp_forwardIfffLi9ELb0ELb1ELi32EEEvPT0_PKT_iiiPKbib,comdat
.Lfunc_end715:
	.size	_ZN12_GLOBAL__N_120softmax_warp_forwardIfffLi9ELb0ELb1ELi32EEEvPT0_PKT_iiiPKbib, .Lfunc_end715-_ZN12_GLOBAL__N_120softmax_warp_forwardIfffLi9ELb0ELb1ELi32EEEvPT0_PKT_iiiPKbib
                                        ; -- End function
	.section	.AMDGPU.csdata,"",@progbits
; Kernel info:
; codeLenInByte = 8604
; NumSgprs: 41
; NumVgprs: 32
; ScratchSize: 0
; MemoryBound: 0
; FloatMode: 240
; IeeeMode: 1
; LDSByteSize: 0 bytes/workgroup (compile time only)
; SGPRBlocks: 5
; VGPRBlocks: 3
; NumSGPRsForWavesPerEU: 41
; NumVGPRsForWavesPerEU: 32
; Occupancy: 16
; WaveLimiterHint : 0
; COMPUTE_PGM_RSRC2:SCRATCH_EN: 0
; COMPUTE_PGM_RSRC2:USER_SGPR: 15
; COMPUTE_PGM_RSRC2:TRAP_HANDLER: 0
; COMPUTE_PGM_RSRC2:TGID_X_EN: 1
; COMPUTE_PGM_RSRC2:TGID_Y_EN: 0
; COMPUTE_PGM_RSRC2:TGID_Z_EN: 0
; COMPUTE_PGM_RSRC2:TIDIG_COMP_CNT: 1
	.section	.text._ZN12_GLOBAL__N_120softmax_warp_forwardIfffLi10ELb0ELb1ELi64EEEvPT0_PKT_iiiPKbib,"axG",@progbits,_ZN12_GLOBAL__N_120softmax_warp_forwardIfffLi10ELb0ELb1ELi64EEEvPT0_PKT_iiiPKbib,comdat
	.globl	_ZN12_GLOBAL__N_120softmax_warp_forwardIfffLi10ELb0ELb1ELi64EEEvPT0_PKT_iiiPKbib ; -- Begin function _ZN12_GLOBAL__N_120softmax_warp_forwardIfffLi10ELb0ELb1ELi64EEEvPT0_PKT_iiiPKbib
	.p2align	8
	.type	_ZN12_GLOBAL__N_120softmax_warp_forwardIfffLi10ELb0ELb1ELi64EEEvPT0_PKT_iiiPKbib,@function
_ZN12_GLOBAL__N_120softmax_warp_forwardIfffLi10ELb0ELb1ELi64EEEvPT0_PKT_iiiPKbib: ; @_ZN12_GLOBAL__N_120softmax_warp_forwardIfffLi10ELb0ELb1ELi64EEEvPT0_PKT_iiiPKbib
; %bb.0:
	s_clause 0x1
	s_load_b32 s2, s[0:1], 0x3c
	s_load_b128 s[16:19], s[0:1], 0x10
	v_bfe_u32 v3, v0, 10, 10
	s_waitcnt lgkmcnt(0)
	s_lshr_b32 s2, s2, 16
	s_delay_alu instid0(VALU_DEP_1) | instid1(SALU_CYCLE_1)
	v_mad_u64_u32 v[1:2], null, s15, s2, v[3:4]
	s_load_b64 s[2:3], s[0:1], 0x28
	v_and_b32_e32 v2, 0x3ff, v0
	s_delay_alu instid0(VALU_DEP_2) | instskip(NEXT) | instid1(VALU_DEP_1)
	v_mul_lo_u32 v7, v1, s17
	v_add_nc_u32_e32 v5, v7, v2
	s_delay_alu instid0(VALU_DEP_1) | instskip(SKIP_3) | instid1(VALU_DEP_2)
	v_ashrrev_i32_e32 v6, 31, v5
	v_mov_b32_e32 v3, v5
	s_waitcnt lgkmcnt(0)
	s_bitcmp0_b32 s3, 0
	v_mov_b32_e32 v4, v6
	s_cbranch_scc1 .LBB716_2
; %bb.1:
	s_abs_i32 s3, s2
	v_sub_nc_u32_e32 v4, 0, v7
	v_cvt_f32_u32_e32 v0, s3
	s_sub_i32 s4, 0, s3
	s_delay_alu instid0(VALU_DEP_2) | instskip(NEXT) | instid1(VALU_DEP_2)
	v_max_i32_e32 v4, v7, v4
	v_rcp_iflag_f32_e32 v0, v0
	s_waitcnt_depctr 0xfff
	v_mul_f32_e32 v0, 0x4f7ffffe, v0
	s_delay_alu instid0(VALU_DEP_1) | instskip(NEXT) | instid1(VALU_DEP_1)
	v_cvt_u32_f32_e32 v0, v0
	v_mul_lo_u32 v3, s4, v0
	s_delay_alu instid0(VALU_DEP_1) | instskip(NEXT) | instid1(VALU_DEP_1)
	v_mul_hi_u32 v3, v0, v3
	v_add_nc_u32_e32 v0, v0, v3
	s_delay_alu instid0(VALU_DEP_1) | instskip(NEXT) | instid1(VALU_DEP_1)
	v_mul_hi_u32 v0, v4, v0
	v_mul_lo_u32 v3, v0, s3
	s_delay_alu instid0(VALU_DEP_1) | instskip(SKIP_1) | instid1(VALU_DEP_2)
	v_sub_nc_u32_e32 v3, v4, v3
	v_add_nc_u32_e32 v4, 1, v0
	v_subrev_nc_u32_e32 v8, s3, v3
	v_cmp_le_u32_e32 vcc_lo, s3, v3
	s_delay_alu instid0(VALU_DEP_2) | instskip(NEXT) | instid1(VALU_DEP_4)
	v_cndmask_b32_e32 v3, v3, v8, vcc_lo
	v_cndmask_b32_e32 v0, v0, v4, vcc_lo
	v_xor_b32_e32 v4, s2, v7
	s_delay_alu instid0(VALU_DEP_3) | instskip(NEXT) | instid1(VALU_DEP_3)
	v_cmp_le_u32_e32 vcc_lo, s3, v3
	v_add_nc_u32_e32 v7, 1, v0
	s_delay_alu instid0(VALU_DEP_3) | instskip(NEXT) | instid1(VALU_DEP_2)
	v_ashrrev_i32_e32 v4, 31, v4
	v_cndmask_b32_e32 v0, v0, v7, vcc_lo
	s_delay_alu instid0(VALU_DEP_1) | instskip(NEXT) | instid1(VALU_DEP_1)
	v_xor_b32_e32 v0, v0, v4
	v_sub_nc_u32_e32 v0, v0, v4
	s_delay_alu instid0(VALU_DEP_1) | instskip(NEXT) | instid1(VALU_DEP_1)
	v_mad_u64_u32 v[3:4], null, v0, s17, v[2:3]
	v_ashrrev_i32_e32 v4, 31, v3
.LBB716_2:
	s_load_b128 s[20:23], s[0:1], 0x0
	v_sub_nc_u32_e32 v7, s16, v1
	v_lshlrev_b64 v[0:1], 2, v[5:6]
	v_cmp_gt_i32_e32 vcc_lo, s18, v2
	v_dual_mov_b32 v22, 0xff800000 :: v_dual_mov_b32 v23, 0xff800000
	s_delay_alu instid0(VALU_DEP_4) | instskip(NEXT) | instid1(VALU_DEP_1)
	v_cmp_lt_i32_e64 s17, 0, v7
	s_and_b32 s36, s17, vcc_lo
	s_waitcnt lgkmcnt(0)
	v_add_co_u32 v5, s2, s22, v0
	s_delay_alu instid0(VALU_DEP_1)
	v_add_co_ci_u32_e64 v6, s2, s23, v1, s2
	s_and_saveexec_b32 s2, s36
	s_cbranch_execz .LBB716_4
; %bb.3:
	global_load_b32 v23, v[5:6], off
.LBB716_4:
	s_or_b32 exec_lo, exec_lo, s2
	v_add_nc_u32_e32 v8, 64, v2
	s_delay_alu instid0(VALU_DEP_1) | instskip(NEXT) | instid1(VALU_DEP_1)
	v_cmp_gt_i32_e64 s16, s18, v8
	s_and_b32 s35, s17, s16
	s_delay_alu instid0(SALU_CYCLE_1)
	s_and_saveexec_b32 s2, s35
	s_cbranch_execz .LBB716_6
; %bb.5:
	global_load_b32 v22, v[5:6], off offset:256
.LBB716_6:
	s_or_b32 exec_lo, exec_lo, s2
	v_add_nc_u32_e32 v8, 0x80, v2
	v_dual_mov_b32 v20, 0xff800000 :: v_dual_mov_b32 v21, 0xff800000
	s_delay_alu instid0(VALU_DEP_2) | instskip(NEXT) | instid1(VALU_DEP_1)
	v_cmp_gt_i32_e64 s15, s18, v8
	s_and_b32 s34, s17, s15
	s_delay_alu instid0(SALU_CYCLE_1)
	s_and_saveexec_b32 s2, s34
	s_cbranch_execz .LBB716_8
; %bb.7:
	global_load_b32 v21, v[5:6], off offset:512
.LBB716_8:
	s_or_b32 exec_lo, exec_lo, s2
	v_add_nc_u32_e32 v8, 0xc0, v2
	s_delay_alu instid0(VALU_DEP_1) | instskip(NEXT) | instid1(VALU_DEP_1)
	v_cmp_gt_i32_e64 s14, s18, v8
	s_and_b32 s33, s17, s14
	s_delay_alu instid0(SALU_CYCLE_1)
	s_and_saveexec_b32 s2, s33
	s_cbranch_execz .LBB716_10
; %bb.9:
	global_load_b32 v20, v[5:6], off offset:768
.LBB716_10:
	s_or_b32 exec_lo, exec_lo, s2
	v_add_nc_u32_e32 v8, 0x100, v2
	v_dual_mov_b32 v18, 0xff800000 :: v_dual_mov_b32 v19, 0xff800000
	s_delay_alu instid0(VALU_DEP_2) | instskip(NEXT) | instid1(VALU_DEP_1)
	v_cmp_gt_i32_e64 s13, s18, v8
	s_and_b32 s31, s17, s13
	s_delay_alu instid0(SALU_CYCLE_1)
	s_and_saveexec_b32 s2, s31
	s_cbranch_execz .LBB716_12
; %bb.11:
	global_load_b32 v19, v[5:6], off offset:1024
.LBB716_12:
	;; [unrolled: 23-line block ×6, first 2 shown]
	s_or_b32 exec_lo, exec_lo, s2
	v_add_nc_u32_e32 v8, 0x340, v2
	s_delay_alu instid0(VALU_DEP_1) | instskip(NEXT) | instid1(VALU_DEP_1)
	v_cmp_gt_i32_e64 s4, s18, v8
	s_and_b32 s22, s17, s4
	s_delay_alu instid0(SALU_CYCLE_1)
	s_and_saveexec_b32 s2, s22
	s_cbranch_execz .LBB716_30
; %bb.29:
	global_load_b32 v10, v[5:6], off offset:3328
.LBB716_30:
	s_or_b32 exec_lo, exec_lo, s2
	v_add_nc_u32_e32 v8, 0x380, v2
	v_mov_b32_e32 v9, 0xff800000
	s_delay_alu instid0(VALU_DEP_2) | instskip(SKIP_1) | instid1(VALU_DEP_2)
	v_cmp_gt_i32_e64 s3, s18, v8
	v_mov_b32_e32 v8, 0xff800000
	s_and_b32 s19, s17, s3
	s_delay_alu instid0(SALU_CYCLE_1)
	s_and_saveexec_b32 s2, s19
	s_cbranch_execz .LBB716_32
; %bb.31:
	global_load_b32 v9, v[5:6], off offset:3584
.LBB716_32:
	s_or_b32 exec_lo, exec_lo, s2
	v_add_nc_u32_e32 v2, 0x3c0, v2
	s_delay_alu instid0(VALU_DEP_1) | instskip(NEXT) | instid1(VALU_DEP_1)
	v_cmp_gt_i32_e64 s2, s18, v2
	s_and_b32 s17, s17, s2
	s_delay_alu instid0(SALU_CYCLE_1)
	s_and_saveexec_b32 s18, s17
	s_cbranch_execz .LBB716_34
; %bb.33:
	global_load_b32 v8, v[5:6], off offset:3840
.LBB716_34:
	s_or_b32 exec_lo, exec_lo, s18
	s_load_b64 s[0:1], s[0:1], 0x20
	s_waitcnt lgkmcnt(0)
	v_add_co_u32 v2, s0, s0, v3
	s_delay_alu instid0(VALU_DEP_1)
	v_add_co_ci_u32_e64 v3, s0, s1, v4, s0
	s_mov_b32 s1, 0
	s_and_saveexec_b32 s18, s36
	s_cbranch_execnz .LBB716_50
; %bb.35:
	s_or_b32 exec_lo, exec_lo, s18
	s_waitcnt vmcnt(0)
	v_mov_b32_e32 v4, v23
	s_and_saveexec_b32 s18, s35
	s_cbranch_execnz .LBB716_51
.LBB716_36:
	s_or_b32 exec_lo, exec_lo, s18
	s_and_saveexec_b32 s18, s34
	s_cbranch_execnz .LBB716_54
.LBB716_37:
	s_or_b32 exec_lo, exec_lo, s18
	s_and_saveexec_b32 s18, s33
	s_cbranch_execnz .LBB716_57
.LBB716_38:
	s_or_b32 exec_lo, exec_lo, s18
	s_and_saveexec_b32 s18, s31
	s_cbranch_execnz .LBB716_60
.LBB716_39:
	s_or_b32 exec_lo, exec_lo, s18
	s_and_saveexec_b32 s18, s30
	s_cbranch_execnz .LBB716_63
.LBB716_40:
	s_or_b32 exec_lo, exec_lo, s18
	s_and_saveexec_b32 s18, s29
	s_cbranch_execnz .LBB716_66
.LBB716_41:
	s_or_b32 exec_lo, exec_lo, s18
	s_and_saveexec_b32 s18, s28
	s_cbranch_execnz .LBB716_69
.LBB716_42:
	s_or_b32 exec_lo, exec_lo, s18
	s_and_saveexec_b32 s18, s27
	s_cbranch_execnz .LBB716_72
.LBB716_43:
	s_or_b32 exec_lo, exec_lo, s18
	s_and_saveexec_b32 s18, s26
	s_cbranch_execnz .LBB716_75
.LBB716_44:
	s_or_b32 exec_lo, exec_lo, s18
	s_and_saveexec_b32 s18, s25
	s_cbranch_execnz .LBB716_78
.LBB716_45:
	s_or_b32 exec_lo, exec_lo, s18
	s_and_saveexec_b32 s18, s24
	s_cbranch_execnz .LBB716_81
.LBB716_46:
	s_or_b32 exec_lo, exec_lo, s18
	s_and_saveexec_b32 s18, s23
	s_cbranch_execnz .LBB716_84
.LBB716_47:
	s_or_b32 exec_lo, exec_lo, s18
	s_and_saveexec_b32 s18, s22
	s_cbranch_execnz .LBB716_87
.LBB716_48:
	s_or_b32 exec_lo, exec_lo, s18
	s_and_saveexec_b32 s18, s19
	s_cbranch_execnz .LBB716_90
.LBB716_49:
	s_or_b32 exec_lo, exec_lo, s18
	s_and_saveexec_b32 s18, s17
	s_cbranch_execnz .LBB716_93
	s_branch .LBB716_96
.LBB716_50:
	global_load_u8 v4, v[2:3], off
	s_waitcnt vmcnt(0)
	v_and_b32_e32 v4, 1, v4
	s_delay_alu instid0(VALU_DEP_1) | instskip(NEXT) | instid1(VALU_DEP_1)
	v_cmp_eq_u32_e64 s0, 1, v4
	s_xor_b32 s0, s0, -1
	s_delay_alu instid0(SALU_CYCLE_1)
	s_and_b32 s1, s0, exec_lo
	s_or_b32 exec_lo, exec_lo, s18
	v_mov_b32_e32 v4, v23
	s_and_saveexec_b32 s18, s35
	s_cbranch_execz .LBB716_36
.LBB716_51:
	global_load_u8 v4, v[2:3], off offset:64
	s_waitcnt vmcnt(0)
	v_and_b32_e32 v4, 1, v4
	s_delay_alu instid0(VALU_DEP_1) | instskip(SKIP_1) | instid1(VALU_DEP_2)
	v_cmp_eq_u32_e64 s0, 1, v4
	v_mov_b32_e32 v4, v23
	s_xor_b32 s38, s0, -1
	s_mov_b32 s0, s1
	s_and_saveexec_b32 s37, s38
; %bb.52:
	v_cmp_gt_f32_e64 s0, v23, v22
	s_delay_alu instid0(VALU_DEP_1) | instskip(NEXT) | instid1(SALU_CYCLE_1)
	s_and_b32 s0, s1, s0
	v_cndmask_b32_e64 v4, v22, v23, s0
	s_or_b32 s0, s1, exec_lo
; %bb.53:
	s_or_b32 exec_lo, exec_lo, s37
	s_delay_alu instid0(SALU_CYCLE_1) | instskip(SKIP_1) | instid1(SALU_CYCLE_1)
	s_and_not1_b32 s1, s1, exec_lo
	s_and_b32 s0, s0, exec_lo
	s_or_b32 s1, s1, s0
	s_or_b32 exec_lo, exec_lo, s18
	s_and_saveexec_b32 s18, s34
	s_cbranch_execz .LBB716_37
.LBB716_54:
	global_load_u8 v5, v[2:3], off offset:128
	s_waitcnt vmcnt(0)
	v_and_b32_e32 v5, 1, v5
	s_delay_alu instid0(VALU_DEP_1) | instskip(NEXT) | instid1(VALU_DEP_1)
	v_cmp_eq_u32_e64 s0, 1, v5
	s_xor_b32 s38, s0, -1
	s_mov_b32 s0, s1
	s_and_saveexec_b32 s37, s38
; %bb.55:
	v_cmp_gt_f32_e64 s0, v4, v21
	s_delay_alu instid0(VALU_DEP_1) | instskip(NEXT) | instid1(SALU_CYCLE_1)
	s_and_b32 s0, s1, s0
	v_cndmask_b32_e64 v4, v21, v4, s0
	s_or_b32 s0, s1, exec_lo
; %bb.56:
	s_or_b32 exec_lo, exec_lo, s37
	s_delay_alu instid0(SALU_CYCLE_1) | instskip(SKIP_1) | instid1(SALU_CYCLE_1)
	s_and_not1_b32 s1, s1, exec_lo
	s_and_b32 s0, s0, exec_lo
	s_or_b32 s1, s1, s0
	s_or_b32 exec_lo, exec_lo, s18
	s_and_saveexec_b32 s18, s33
	s_cbranch_execz .LBB716_38
.LBB716_57:
	global_load_u8 v5, v[2:3], off offset:192
	s_waitcnt vmcnt(0)
	v_and_b32_e32 v5, 1, v5
	s_delay_alu instid0(VALU_DEP_1) | instskip(NEXT) | instid1(VALU_DEP_1)
	v_cmp_eq_u32_e64 s0, 1, v5
	s_xor_b32 s38, s0, -1
	s_mov_b32 s0, s1
	s_and_saveexec_b32 s37, s38
; %bb.58:
	v_cmp_gt_f32_e64 s0, v4, v20
	s_delay_alu instid0(VALU_DEP_1) | instskip(NEXT) | instid1(SALU_CYCLE_1)
	s_and_b32 s0, s1, s0
	v_cndmask_b32_e64 v4, v20, v4, s0
	s_or_b32 s0, s1, exec_lo
; %bb.59:
	s_or_b32 exec_lo, exec_lo, s37
	s_delay_alu instid0(SALU_CYCLE_1) | instskip(SKIP_1) | instid1(SALU_CYCLE_1)
	s_and_not1_b32 s1, s1, exec_lo
	s_and_b32 s0, s0, exec_lo
	s_or_b32 s1, s1, s0
	s_or_b32 exec_lo, exec_lo, s18
	s_and_saveexec_b32 s18, s31
	s_cbranch_execz .LBB716_39
.LBB716_60:
	global_load_u8 v5, v[2:3], off offset:256
	s_waitcnt vmcnt(0)
	v_and_b32_e32 v5, 1, v5
	s_delay_alu instid0(VALU_DEP_1) | instskip(NEXT) | instid1(VALU_DEP_1)
	v_cmp_eq_u32_e64 s0, 1, v5
	s_xor_b32 s38, s0, -1
	s_mov_b32 s0, s1
	s_and_saveexec_b32 s37, s38
; %bb.61:
	v_cmp_gt_f32_e64 s0, v4, v19
	s_delay_alu instid0(VALU_DEP_1) | instskip(NEXT) | instid1(SALU_CYCLE_1)
	s_and_b32 s0, s1, s0
	v_cndmask_b32_e64 v4, v19, v4, s0
	s_or_b32 s0, s1, exec_lo
; %bb.62:
	s_or_b32 exec_lo, exec_lo, s37
	s_delay_alu instid0(SALU_CYCLE_1) | instskip(SKIP_1) | instid1(SALU_CYCLE_1)
	s_and_not1_b32 s1, s1, exec_lo
	s_and_b32 s0, s0, exec_lo
	s_or_b32 s1, s1, s0
	s_or_b32 exec_lo, exec_lo, s18
	s_and_saveexec_b32 s18, s30
	s_cbranch_execz .LBB716_40
.LBB716_63:
	global_load_u8 v5, v[2:3], off offset:320
	s_waitcnt vmcnt(0)
	v_and_b32_e32 v5, 1, v5
	s_delay_alu instid0(VALU_DEP_1) | instskip(NEXT) | instid1(VALU_DEP_1)
	v_cmp_eq_u32_e64 s0, 1, v5
	s_xor_b32 s38, s0, -1
	s_mov_b32 s0, s1
	s_and_saveexec_b32 s37, s38
; %bb.64:
	v_cmp_gt_f32_e64 s0, v4, v18
	s_delay_alu instid0(VALU_DEP_1) | instskip(NEXT) | instid1(SALU_CYCLE_1)
	s_and_b32 s0, s1, s0
	v_cndmask_b32_e64 v4, v18, v4, s0
	s_or_b32 s0, s1, exec_lo
; %bb.65:
	s_or_b32 exec_lo, exec_lo, s37
	s_delay_alu instid0(SALU_CYCLE_1) | instskip(SKIP_1) | instid1(SALU_CYCLE_1)
	s_and_not1_b32 s1, s1, exec_lo
	s_and_b32 s0, s0, exec_lo
	s_or_b32 s1, s1, s0
	s_or_b32 exec_lo, exec_lo, s18
	s_and_saveexec_b32 s18, s29
	s_cbranch_execz .LBB716_41
.LBB716_66:
	global_load_u8 v5, v[2:3], off offset:384
	s_waitcnt vmcnt(0)
	v_and_b32_e32 v5, 1, v5
	s_delay_alu instid0(VALU_DEP_1) | instskip(NEXT) | instid1(VALU_DEP_1)
	v_cmp_eq_u32_e64 s0, 1, v5
	s_xor_b32 s38, s0, -1
	s_mov_b32 s0, s1
	s_and_saveexec_b32 s37, s38
; %bb.67:
	v_cmp_gt_f32_e64 s0, v4, v17
	s_delay_alu instid0(VALU_DEP_1) | instskip(NEXT) | instid1(SALU_CYCLE_1)
	s_and_b32 s0, s1, s0
	v_cndmask_b32_e64 v4, v17, v4, s0
	s_or_b32 s0, s1, exec_lo
; %bb.68:
	s_or_b32 exec_lo, exec_lo, s37
	s_delay_alu instid0(SALU_CYCLE_1) | instskip(SKIP_1) | instid1(SALU_CYCLE_1)
	s_and_not1_b32 s1, s1, exec_lo
	s_and_b32 s0, s0, exec_lo
	s_or_b32 s1, s1, s0
	s_or_b32 exec_lo, exec_lo, s18
	s_and_saveexec_b32 s18, s28
	s_cbranch_execz .LBB716_42
.LBB716_69:
	global_load_u8 v5, v[2:3], off offset:448
	s_waitcnt vmcnt(0)
	v_and_b32_e32 v5, 1, v5
	s_delay_alu instid0(VALU_DEP_1) | instskip(NEXT) | instid1(VALU_DEP_1)
	v_cmp_eq_u32_e64 s0, 1, v5
	s_xor_b32 s38, s0, -1
	s_mov_b32 s0, s1
	s_and_saveexec_b32 s37, s38
; %bb.70:
	v_cmp_gt_f32_e64 s0, v4, v16
	s_delay_alu instid0(VALU_DEP_1) | instskip(NEXT) | instid1(SALU_CYCLE_1)
	s_and_b32 s0, s1, s0
	v_cndmask_b32_e64 v4, v16, v4, s0
	s_or_b32 s0, s1, exec_lo
; %bb.71:
	s_or_b32 exec_lo, exec_lo, s37
	s_delay_alu instid0(SALU_CYCLE_1) | instskip(SKIP_1) | instid1(SALU_CYCLE_1)
	s_and_not1_b32 s1, s1, exec_lo
	s_and_b32 s0, s0, exec_lo
	s_or_b32 s1, s1, s0
	s_or_b32 exec_lo, exec_lo, s18
	s_and_saveexec_b32 s18, s27
	s_cbranch_execz .LBB716_43
.LBB716_72:
	global_load_u8 v5, v[2:3], off offset:512
	s_waitcnt vmcnt(0)
	v_and_b32_e32 v5, 1, v5
	s_delay_alu instid0(VALU_DEP_1) | instskip(NEXT) | instid1(VALU_DEP_1)
	v_cmp_eq_u32_e64 s0, 1, v5
	s_xor_b32 s38, s0, -1
	s_mov_b32 s0, s1
	s_and_saveexec_b32 s37, s38
; %bb.73:
	v_cmp_gt_f32_e64 s0, v4, v15
	s_delay_alu instid0(VALU_DEP_1) | instskip(NEXT) | instid1(SALU_CYCLE_1)
	s_and_b32 s0, s1, s0
	v_cndmask_b32_e64 v4, v15, v4, s0
	s_or_b32 s0, s1, exec_lo
; %bb.74:
	s_or_b32 exec_lo, exec_lo, s37
	s_delay_alu instid0(SALU_CYCLE_1) | instskip(SKIP_1) | instid1(SALU_CYCLE_1)
	s_and_not1_b32 s1, s1, exec_lo
	s_and_b32 s0, s0, exec_lo
	s_or_b32 s1, s1, s0
	s_or_b32 exec_lo, exec_lo, s18
	s_and_saveexec_b32 s18, s26
	s_cbranch_execz .LBB716_44
.LBB716_75:
	global_load_u8 v5, v[2:3], off offset:576
	s_waitcnt vmcnt(0)
	v_and_b32_e32 v5, 1, v5
	s_delay_alu instid0(VALU_DEP_1) | instskip(NEXT) | instid1(VALU_DEP_1)
	v_cmp_eq_u32_e64 s0, 1, v5
	s_xor_b32 s38, s0, -1
	s_mov_b32 s0, s1
	s_and_saveexec_b32 s37, s38
; %bb.76:
	v_cmp_gt_f32_e64 s0, v4, v14
	s_delay_alu instid0(VALU_DEP_1) | instskip(NEXT) | instid1(SALU_CYCLE_1)
	s_and_b32 s0, s1, s0
	v_cndmask_b32_e64 v4, v14, v4, s0
	s_or_b32 s0, s1, exec_lo
; %bb.77:
	s_or_b32 exec_lo, exec_lo, s37
	s_delay_alu instid0(SALU_CYCLE_1) | instskip(SKIP_1) | instid1(SALU_CYCLE_1)
	s_and_not1_b32 s1, s1, exec_lo
	s_and_b32 s0, s0, exec_lo
	s_or_b32 s1, s1, s0
	s_or_b32 exec_lo, exec_lo, s18
	s_and_saveexec_b32 s18, s25
	s_cbranch_execz .LBB716_45
.LBB716_78:
	global_load_u8 v5, v[2:3], off offset:640
	s_waitcnt vmcnt(0)
	v_and_b32_e32 v5, 1, v5
	s_delay_alu instid0(VALU_DEP_1) | instskip(NEXT) | instid1(VALU_DEP_1)
	v_cmp_eq_u32_e64 s0, 1, v5
	s_xor_b32 s38, s0, -1
	s_mov_b32 s0, s1
	s_and_saveexec_b32 s37, s38
; %bb.79:
	v_cmp_gt_f32_e64 s0, v4, v13
	s_delay_alu instid0(VALU_DEP_1) | instskip(NEXT) | instid1(SALU_CYCLE_1)
	s_and_b32 s0, s1, s0
	v_cndmask_b32_e64 v4, v13, v4, s0
	s_or_b32 s0, s1, exec_lo
; %bb.80:
	s_or_b32 exec_lo, exec_lo, s37
	s_delay_alu instid0(SALU_CYCLE_1) | instskip(SKIP_1) | instid1(SALU_CYCLE_1)
	s_and_not1_b32 s1, s1, exec_lo
	s_and_b32 s0, s0, exec_lo
	s_or_b32 s1, s1, s0
	s_or_b32 exec_lo, exec_lo, s18
	s_and_saveexec_b32 s18, s24
	s_cbranch_execz .LBB716_46
.LBB716_81:
	global_load_u8 v5, v[2:3], off offset:704
	s_waitcnt vmcnt(0)
	v_and_b32_e32 v5, 1, v5
	s_delay_alu instid0(VALU_DEP_1) | instskip(NEXT) | instid1(VALU_DEP_1)
	v_cmp_eq_u32_e64 s0, 1, v5
	s_xor_b32 s38, s0, -1
	s_mov_b32 s0, s1
	s_and_saveexec_b32 s37, s38
; %bb.82:
	v_cmp_gt_f32_e64 s0, v4, v12
	s_delay_alu instid0(VALU_DEP_1) | instskip(NEXT) | instid1(SALU_CYCLE_1)
	s_and_b32 s0, s1, s0
	v_cndmask_b32_e64 v4, v12, v4, s0
	s_or_b32 s0, s1, exec_lo
; %bb.83:
	s_or_b32 exec_lo, exec_lo, s37
	s_delay_alu instid0(SALU_CYCLE_1) | instskip(SKIP_1) | instid1(SALU_CYCLE_1)
	s_and_not1_b32 s1, s1, exec_lo
	s_and_b32 s0, s0, exec_lo
	s_or_b32 s1, s1, s0
	s_or_b32 exec_lo, exec_lo, s18
	s_and_saveexec_b32 s18, s23
	s_cbranch_execz .LBB716_47
.LBB716_84:
	global_load_u8 v5, v[2:3], off offset:768
	s_waitcnt vmcnt(0)
	v_and_b32_e32 v5, 1, v5
	s_delay_alu instid0(VALU_DEP_1) | instskip(NEXT) | instid1(VALU_DEP_1)
	v_cmp_eq_u32_e64 s0, 1, v5
	s_xor_b32 s38, s0, -1
	s_mov_b32 s0, s1
	s_and_saveexec_b32 s37, s38
; %bb.85:
	v_cmp_gt_f32_e64 s0, v4, v11
	s_delay_alu instid0(VALU_DEP_1) | instskip(NEXT) | instid1(SALU_CYCLE_1)
	s_and_b32 s0, s1, s0
	v_cndmask_b32_e64 v4, v11, v4, s0
	s_or_b32 s0, s1, exec_lo
; %bb.86:
	s_or_b32 exec_lo, exec_lo, s37
	s_delay_alu instid0(SALU_CYCLE_1) | instskip(SKIP_1) | instid1(SALU_CYCLE_1)
	s_and_not1_b32 s1, s1, exec_lo
	s_and_b32 s0, s0, exec_lo
	s_or_b32 s1, s1, s0
	s_or_b32 exec_lo, exec_lo, s18
	s_and_saveexec_b32 s18, s22
	s_cbranch_execz .LBB716_48
.LBB716_87:
	global_load_u8 v5, v[2:3], off offset:832
	s_waitcnt vmcnt(0)
	v_and_b32_e32 v5, 1, v5
	s_delay_alu instid0(VALU_DEP_1) | instskip(NEXT) | instid1(VALU_DEP_1)
	v_cmp_eq_u32_e64 s0, 1, v5
	s_xor_b32 s38, s0, -1
	s_mov_b32 s0, s1
	s_and_saveexec_b32 s37, s38
; %bb.88:
	v_cmp_gt_f32_e64 s0, v4, v10
	s_delay_alu instid0(VALU_DEP_1) | instskip(NEXT) | instid1(SALU_CYCLE_1)
	s_and_b32 s0, s1, s0
	v_cndmask_b32_e64 v4, v10, v4, s0
	s_or_b32 s0, s1, exec_lo
; %bb.89:
	s_or_b32 exec_lo, exec_lo, s37
	s_delay_alu instid0(SALU_CYCLE_1) | instskip(SKIP_1) | instid1(SALU_CYCLE_1)
	s_and_not1_b32 s1, s1, exec_lo
	s_and_b32 s0, s0, exec_lo
	s_or_b32 s1, s1, s0
	s_or_b32 exec_lo, exec_lo, s18
	s_and_saveexec_b32 s18, s19
	s_cbranch_execz .LBB716_49
.LBB716_90:
	global_load_u8 v5, v[2:3], off offset:896
	s_waitcnt vmcnt(0)
	v_and_b32_e32 v5, 1, v5
	s_delay_alu instid0(VALU_DEP_1) | instskip(NEXT) | instid1(VALU_DEP_1)
	v_cmp_eq_u32_e64 s0, 1, v5
	s_xor_b32 s38, s0, -1
	s_mov_b32 s0, s1
	s_and_saveexec_b32 s37, s38
; %bb.91:
	v_cmp_gt_f32_e64 s0, v4, v9
	s_delay_alu instid0(VALU_DEP_1) | instskip(NEXT) | instid1(SALU_CYCLE_1)
	s_and_b32 s0, s1, s0
	v_cndmask_b32_e64 v4, v9, v4, s0
	s_or_b32 s0, s1, exec_lo
; %bb.92:
	s_or_b32 exec_lo, exec_lo, s37
	s_delay_alu instid0(SALU_CYCLE_1) | instskip(SKIP_1) | instid1(SALU_CYCLE_1)
	s_and_not1_b32 s1, s1, exec_lo
	s_and_b32 s0, s0, exec_lo
	s_or_b32 s1, s1, s0
	s_or_b32 exec_lo, exec_lo, s18
	s_and_saveexec_b32 s18, s17
	s_cbranch_execz .LBB716_96
.LBB716_93:
	global_load_u8 v5, v[2:3], off offset:960
	s_waitcnt vmcnt(0)
	v_and_b32_e32 v5, 1, v5
	s_delay_alu instid0(VALU_DEP_1) | instskip(NEXT) | instid1(VALU_DEP_1)
	v_cmp_eq_u32_e64 s0, 1, v5
	s_xor_b32 s38, s0, -1
	s_mov_b32 s0, s1
	s_and_saveexec_b32 s37, s38
; %bb.94:
	v_cmp_gt_f32_e64 s0, v4, v8
	s_delay_alu instid0(VALU_DEP_1) | instskip(NEXT) | instid1(SALU_CYCLE_1)
	s_and_b32 s0, s1, s0
	v_cndmask_b32_e64 v4, v8, v4, s0
	s_or_b32 s0, s1, exec_lo
; %bb.95:
	s_or_b32 exec_lo, exec_lo, s37
	s_delay_alu instid0(SALU_CYCLE_1) | instskip(SKIP_1) | instid1(SALU_CYCLE_1)
	s_and_not1_b32 s1, s1, exec_lo
	s_and_b32 s0, s0, exec_lo
	s_or_b32 s1, s1, s0
.LBB716_96:
	s_or_b32 exec_lo, exec_lo, s18
	v_mbcnt_lo_u32_b32 v5, -1, 0
	v_cndmask_b32_e64 v24, 0xff800000, v4, s1
	s_delay_alu instid0(VALU_DEP_2) | instskip(NEXT) | instid1(VALU_DEP_1)
	v_or_b32_e32 v6, 32, v5
	v_cmp_gt_i32_e64 s0, 64, v6
	s_delay_alu instid0(VALU_DEP_1) | instskip(NEXT) | instid1(VALU_DEP_1)
	v_cndmask_b32_e64 v6, v5, v6, s0
	v_lshlrev_b32_e32 v4, 2, v6
	v_xor_b32_e32 v6, 16, v5
	ds_bpermute_b32 v25, v4, v24
	v_cmp_gt_i32_e64 s0, 64, v6
	s_delay_alu instid0(VALU_DEP_1) | instskip(NEXT) | instid1(VALU_DEP_1)
	v_cndmask_b32_e64 v6, v5, v6, s0
	v_lshlrev_b32_e32 v6, 2, v6
	s_waitcnt lgkmcnt(0)
	v_cmp_lt_f32_e64 s0, v24, v25
	s_delay_alu instid0(VALU_DEP_1) | instskip(SKIP_3) | instid1(VALU_DEP_1)
	v_cndmask_b32_e64 v25, v24, v25, s0
	v_xor_b32_e32 v24, 8, v5
	ds_bpermute_b32 v26, v6, v25
	v_cmp_gt_i32_e64 s0, 64, v24
	v_cndmask_b32_e64 v24, v5, v24, s0
	s_delay_alu instid0(VALU_DEP_1) | instskip(SKIP_2) | instid1(VALU_DEP_1)
	v_lshlrev_b32_e32 v24, 2, v24
	s_waitcnt lgkmcnt(0)
	v_cmp_lt_f32_e64 s0, v25, v26
	v_cndmask_b32_e64 v26, v25, v26, s0
	v_xor_b32_e32 v25, 4, v5
	ds_bpermute_b32 v27, v24, v26
	v_cmp_gt_i32_e64 s0, 64, v25
	s_delay_alu instid0(VALU_DEP_1) | instskip(NEXT) | instid1(VALU_DEP_1)
	v_cndmask_b32_e64 v25, v5, v25, s0
	v_lshlrev_b32_e32 v25, 2, v25
	s_waitcnt lgkmcnt(0)
	v_cmp_lt_f32_e64 s0, v26, v27
	s_delay_alu instid0(VALU_DEP_1) | instskip(SKIP_3) | instid1(VALU_DEP_1)
	v_cndmask_b32_e64 v27, v26, v27, s0
	v_xor_b32_e32 v26, 2, v5
	ds_bpermute_b32 v28, v25, v27
	v_cmp_gt_i32_e64 s0, 64, v26
	v_cndmask_b32_e64 v26, v5, v26, s0
	s_delay_alu instid0(VALU_DEP_1) | instskip(SKIP_2) | instid1(VALU_DEP_1)
	v_lshlrev_b32_e32 v26, 2, v26
	s_waitcnt lgkmcnt(0)
	v_cmp_lt_f32_e64 s0, v27, v28
	v_cndmask_b32_e64 v27, v27, v28, s0
	v_xor_b32_e32 v28, 1, v5
	ds_bpermute_b32 v29, v26, v27
	v_cmp_gt_i32_e64 s0, 64, v28
	s_delay_alu instid0(VALU_DEP_1) | instskip(NEXT) | instid1(VALU_DEP_1)
	v_cndmask_b32_e64 v5, v5, v28, s0
	v_dual_mov_b32 v5, 0 :: v_dual_lshlrev_b32 v28, 2, v5
	s_waitcnt lgkmcnt(0)
	v_cmp_lt_f32_e64 s0, v27, v29
	s_delay_alu instid0(VALU_DEP_1) | instskip(SKIP_3) | instid1(VALU_DEP_1)
	v_cndmask_b32_e64 v27, v27, v29, s0
	ds_bpermute_b32 v29, v28, v27
	s_waitcnt lgkmcnt(0)
	v_cmp_lt_f32_e64 s0, v27, v29
	v_cndmask_b32_e64 v29, v27, v29, s0
	v_mov_b32_e32 v27, 0
	s_and_saveexec_b32 s1, s36
	s_cbranch_execz .LBB716_100
; %bb.97:
	global_load_u8 v27, v[2:3], off
	s_waitcnt vmcnt(0)
	v_and_b32_e32 v27, 1, v27
	s_delay_alu instid0(VALU_DEP_1) | instskip(SKIP_1) | instid1(VALU_DEP_2)
	v_cmp_eq_u32_e64 s0, 1, v27
	v_mov_b32_e32 v27, 0
	s_xor_b32 s0, s0, -1
	s_delay_alu instid0(SALU_CYCLE_1)
	s_and_saveexec_b32 s18, s0
	s_cbranch_execz .LBB716_99
; %bb.98:
	v_sub_f32_e32 v23, v23, v29
	s_delay_alu instid0(VALU_DEP_1) | instskip(SKIP_1) | instid1(VALU_DEP_2)
	v_mul_f32_e32 v27, 0x3fb8aa3b, v23
	v_cmp_ngt_f32_e64 s0, 0xc2ce8ed0, v23
	v_fma_f32 v30, 0x3fb8aa3b, v23, -v27
	v_rndne_f32_e32 v31, v27
	s_delay_alu instid0(VALU_DEP_2) | instskip(NEXT) | instid1(VALU_DEP_2)
	v_fmamk_f32 v30, v23, 0x32a5705f, v30
	v_sub_f32_e32 v27, v27, v31
	s_delay_alu instid0(VALU_DEP_1) | instskip(SKIP_1) | instid1(VALU_DEP_2)
	v_add_f32_e32 v27, v27, v30
	v_cvt_i32_f32_e32 v30, v31
	v_exp_f32_e32 v27, v27
	s_waitcnt_depctr 0xfff
	v_ldexp_f32 v27, v27, v30
	s_delay_alu instid0(VALU_DEP_1) | instskip(SKIP_1) | instid1(VALU_DEP_1)
	v_cndmask_b32_e64 v27, 0, v27, s0
	v_cmp_nlt_f32_e64 s0, 0x42b17218, v23
	v_cndmask_b32_e64 v27, 0x7f800000, v27, s0
.LBB716_99:
	s_or_b32 exec_lo, exec_lo, s18
.LBB716_100:
	s_delay_alu instid0(SALU_CYCLE_1) | instskip(NEXT) | instid1(VALU_DEP_1)
	s_or_b32 exec_lo, exec_lo, s1
	v_mov_b32_e32 v30, v27
	s_and_saveexec_b32 s1, s35
	s_cbranch_execz .LBB716_104
; %bb.101:
	global_load_u8 v5, v[2:3], off offset:64
	s_waitcnt vmcnt(0)
	v_dual_mov_b32 v30, v27 :: v_dual_and_b32 v5, 1, v5
	s_delay_alu instid0(VALU_DEP_1) | instskip(SKIP_1) | instid1(VALU_DEP_2)
	v_cmp_eq_u32_e64 s0, 1, v5
	v_mov_b32_e32 v5, 0
	s_xor_b32 s0, s0, -1
	s_delay_alu instid0(SALU_CYCLE_1)
	s_and_saveexec_b32 s18, s0
	s_cbranch_execz .LBB716_103
; %bb.102:
	v_sub_f32_e32 v5, v22, v29
	s_delay_alu instid0(VALU_DEP_1) | instskip(SKIP_1) | instid1(VALU_DEP_2)
	v_mul_f32_e32 v22, 0x3fb8aa3b, v5
	v_cmp_ngt_f32_e64 s0, 0xc2ce8ed0, v5
	v_fma_f32 v23, 0x3fb8aa3b, v5, -v22
	v_rndne_f32_e32 v30, v22
	s_delay_alu instid0(VALU_DEP_1) | instskip(NEXT) | instid1(VALU_DEP_1)
	v_dual_fmamk_f32 v23, v5, 0x32a5705f, v23 :: v_dual_sub_f32 v22, v22, v30
	v_add_f32_e32 v22, v22, v23
	v_cvt_i32_f32_e32 v23, v30
	s_delay_alu instid0(VALU_DEP_2) | instskip(SKIP_2) | instid1(VALU_DEP_1)
	v_exp_f32_e32 v22, v22
	s_waitcnt_depctr 0xfff
	v_ldexp_f32 v22, v22, v23
	v_cndmask_b32_e64 v22, 0, v22, s0
	v_cmp_nlt_f32_e64 s0, 0x42b17218, v5
	s_delay_alu instid0(VALU_DEP_1) | instskip(NEXT) | instid1(VALU_DEP_1)
	v_cndmask_b32_e64 v5, 0x7f800000, v22, s0
	v_add_f32_e32 v30, v27, v5
.LBB716_103:
	s_or_b32 exec_lo, exec_lo, s18
.LBB716_104:
	s_delay_alu instid0(SALU_CYCLE_1)
	s_or_b32 exec_lo, exec_lo, s1
	v_dual_mov_b32 v22, 0 :: v_dual_mov_b32 v23, 0
	s_and_saveexec_b32 s1, s34
	s_cbranch_execz .LBB716_108
; %bb.105:
	global_load_u8 v23, v[2:3], off offset:128
	s_waitcnt vmcnt(0)
	v_and_b32_e32 v23, 1, v23
	s_delay_alu instid0(VALU_DEP_1) | instskip(SKIP_1) | instid1(VALU_DEP_2)
	v_cmp_eq_u32_e64 s0, 1, v23
	v_mov_b32_e32 v23, 0
	s_xor_b32 s0, s0, -1
	s_delay_alu instid0(SALU_CYCLE_1)
	s_and_saveexec_b32 s18, s0
	s_cbranch_execz .LBB716_107
; %bb.106:
	v_sub_f32_e32 v21, v21, v29
	s_delay_alu instid0(VALU_DEP_1) | instskip(SKIP_1) | instid1(VALU_DEP_2)
	v_mul_f32_e32 v23, 0x3fb8aa3b, v21
	v_cmp_ngt_f32_e64 s0, 0xc2ce8ed0, v21
	v_fma_f32 v31, 0x3fb8aa3b, v21, -v23
	v_rndne_f32_e32 v32, v23
	s_delay_alu instid0(VALU_DEP_2) | instskip(NEXT) | instid1(VALU_DEP_2)
	v_fmamk_f32 v31, v21, 0x32a5705f, v31
	v_sub_f32_e32 v23, v23, v32
	s_delay_alu instid0(VALU_DEP_1) | instskip(SKIP_1) | instid1(VALU_DEP_2)
	v_add_f32_e32 v23, v23, v31
	v_cvt_i32_f32_e32 v31, v32
	v_exp_f32_e32 v23, v23
	s_waitcnt_depctr 0xfff
	v_ldexp_f32 v23, v23, v31
	s_delay_alu instid0(VALU_DEP_1) | instskip(SKIP_1) | instid1(VALU_DEP_1)
	v_cndmask_b32_e64 v23, 0, v23, s0
	v_cmp_nlt_f32_e64 s0, 0x42b17218, v21
	v_cndmask_b32_e64 v23, 0x7f800000, v23, s0
	s_delay_alu instid0(VALU_DEP_1)
	v_add_f32_e32 v30, v30, v23
.LBB716_107:
	s_or_b32 exec_lo, exec_lo, s18
.LBB716_108:
	s_delay_alu instid0(SALU_CYCLE_1)
	s_or_b32 exec_lo, exec_lo, s1
	s_and_saveexec_b32 s1, s33
	s_cbranch_execz .LBB716_112
; %bb.109:
	global_load_u8 v21, v[2:3], off offset:192
	s_waitcnt vmcnt(0)
	v_dual_mov_b32 v22, 0 :: v_dual_and_b32 v21, 1, v21
	s_delay_alu instid0(VALU_DEP_1) | instskip(NEXT) | instid1(VALU_DEP_1)
	v_cmp_eq_u32_e64 s0, 1, v21
	s_xor_b32 s0, s0, -1
	s_delay_alu instid0(SALU_CYCLE_1)
	s_and_saveexec_b32 s18, s0
	s_cbranch_execz .LBB716_111
; %bb.110:
	v_sub_f32_e32 v20, v20, v29
	s_delay_alu instid0(VALU_DEP_1) | instskip(NEXT) | instid1(VALU_DEP_1)
	v_mul_f32_e32 v21, 0x3fb8aa3b, v20
	v_fma_f32 v22, 0x3fb8aa3b, v20, -v21
	v_rndne_f32_e32 v31, v21
	s_delay_alu instid0(VALU_DEP_1) | instskip(SKIP_1) | instid1(VALU_DEP_2)
	v_dual_sub_f32 v21, v21, v31 :: v_dual_fmamk_f32 v22, v20, 0x32a5705f, v22
	v_cmp_ngt_f32_e64 s0, 0xc2ce8ed0, v20
	v_add_f32_e32 v21, v21, v22
	v_cvt_i32_f32_e32 v22, v31
	s_delay_alu instid0(VALU_DEP_2) | instskip(SKIP_2) | instid1(VALU_DEP_1)
	v_exp_f32_e32 v21, v21
	s_waitcnt_depctr 0xfff
	v_ldexp_f32 v21, v21, v22
	v_cndmask_b32_e64 v21, 0, v21, s0
	v_cmp_nlt_f32_e64 s0, 0x42b17218, v20
	s_delay_alu instid0(VALU_DEP_1) | instskip(NEXT) | instid1(VALU_DEP_1)
	v_cndmask_b32_e64 v22, 0x7f800000, v21, s0
	v_add_f32_e32 v30, v30, v22
.LBB716_111:
	s_or_b32 exec_lo, exec_lo, s18
.LBB716_112:
	s_delay_alu instid0(SALU_CYCLE_1)
	s_or_b32 exec_lo, exec_lo, s1
	v_dual_mov_b32 v20, 0 :: v_dual_mov_b32 v21, 0
	s_and_saveexec_b32 s1, s31
	s_cbranch_execz .LBB716_116
; %bb.113:
	global_load_u8 v21, v[2:3], off offset:256
	s_waitcnt vmcnt(0)
	v_and_b32_e32 v21, 1, v21
	s_delay_alu instid0(VALU_DEP_1) | instskip(SKIP_1) | instid1(VALU_DEP_2)
	v_cmp_eq_u32_e64 s0, 1, v21
	v_mov_b32_e32 v21, 0
	s_xor_b32 s0, s0, -1
	s_delay_alu instid0(SALU_CYCLE_1)
	s_and_saveexec_b32 s18, s0
	s_cbranch_execz .LBB716_115
; %bb.114:
	v_sub_f32_e32 v19, v19, v29
	s_delay_alu instid0(VALU_DEP_1) | instskip(SKIP_1) | instid1(VALU_DEP_2)
	v_mul_f32_e32 v21, 0x3fb8aa3b, v19
	v_cmp_ngt_f32_e64 s0, 0xc2ce8ed0, v19
	v_fma_f32 v31, 0x3fb8aa3b, v19, -v21
	v_rndne_f32_e32 v32, v21
	s_delay_alu instid0(VALU_DEP_2) | instskip(NEXT) | instid1(VALU_DEP_2)
	v_fmamk_f32 v31, v19, 0x32a5705f, v31
	v_sub_f32_e32 v21, v21, v32
	s_delay_alu instid0(VALU_DEP_1) | instskip(SKIP_1) | instid1(VALU_DEP_2)
	v_add_f32_e32 v21, v21, v31
	v_cvt_i32_f32_e32 v31, v32
	v_exp_f32_e32 v21, v21
	s_waitcnt_depctr 0xfff
	v_ldexp_f32 v21, v21, v31
	s_delay_alu instid0(VALU_DEP_1) | instskip(SKIP_1) | instid1(VALU_DEP_1)
	v_cndmask_b32_e64 v21, 0, v21, s0
	v_cmp_nlt_f32_e64 s0, 0x42b17218, v19
	v_cndmask_b32_e64 v21, 0x7f800000, v21, s0
	s_delay_alu instid0(VALU_DEP_1)
	v_add_f32_e32 v30, v30, v21
.LBB716_115:
	s_or_b32 exec_lo, exec_lo, s18
.LBB716_116:
	s_delay_alu instid0(SALU_CYCLE_1)
	s_or_b32 exec_lo, exec_lo, s1
	s_and_saveexec_b32 s1, s30
	s_cbranch_execz .LBB716_120
; %bb.117:
	global_load_u8 v19, v[2:3], off offset:320
	s_waitcnt vmcnt(0)
	v_dual_mov_b32 v20, 0 :: v_dual_and_b32 v19, 1, v19
	s_delay_alu instid0(VALU_DEP_1) | instskip(NEXT) | instid1(VALU_DEP_1)
	v_cmp_eq_u32_e64 s0, 1, v19
	s_xor_b32 s0, s0, -1
	s_delay_alu instid0(SALU_CYCLE_1)
	s_and_saveexec_b32 s18, s0
	s_cbranch_execz .LBB716_119
; %bb.118:
	v_sub_f32_e32 v18, v18, v29
	s_delay_alu instid0(VALU_DEP_1) | instskip(NEXT) | instid1(VALU_DEP_1)
	v_mul_f32_e32 v19, 0x3fb8aa3b, v18
	v_fma_f32 v20, 0x3fb8aa3b, v18, -v19
	v_rndne_f32_e32 v31, v19
	s_delay_alu instid0(VALU_DEP_1) | instskip(SKIP_1) | instid1(VALU_DEP_2)
	v_dual_sub_f32 v19, v19, v31 :: v_dual_fmamk_f32 v20, v18, 0x32a5705f, v20
	v_cmp_ngt_f32_e64 s0, 0xc2ce8ed0, v18
	v_add_f32_e32 v19, v19, v20
	v_cvt_i32_f32_e32 v20, v31
	s_delay_alu instid0(VALU_DEP_2) | instskip(SKIP_2) | instid1(VALU_DEP_1)
	v_exp_f32_e32 v19, v19
	s_waitcnt_depctr 0xfff
	v_ldexp_f32 v19, v19, v20
	v_cndmask_b32_e64 v19, 0, v19, s0
	v_cmp_nlt_f32_e64 s0, 0x42b17218, v18
	s_delay_alu instid0(VALU_DEP_1) | instskip(NEXT) | instid1(VALU_DEP_1)
	v_cndmask_b32_e64 v20, 0x7f800000, v19, s0
	v_add_f32_e32 v30, v30, v20
.LBB716_119:
	s_or_b32 exec_lo, exec_lo, s18
.LBB716_120:
	s_delay_alu instid0(SALU_CYCLE_1)
	s_or_b32 exec_lo, exec_lo, s1
	v_dual_mov_b32 v18, 0 :: v_dual_mov_b32 v19, 0
	s_and_saveexec_b32 s1, s29
	s_cbranch_execz .LBB716_124
; %bb.121:
	global_load_u8 v19, v[2:3], off offset:384
	s_waitcnt vmcnt(0)
	v_and_b32_e32 v19, 1, v19
	s_delay_alu instid0(VALU_DEP_1) | instskip(SKIP_1) | instid1(VALU_DEP_2)
	v_cmp_eq_u32_e64 s0, 1, v19
	v_mov_b32_e32 v19, 0
	s_xor_b32 s0, s0, -1
	s_delay_alu instid0(SALU_CYCLE_1)
	s_and_saveexec_b32 s18, s0
	s_cbranch_execz .LBB716_123
; %bb.122:
	v_sub_f32_e32 v17, v17, v29
	s_delay_alu instid0(VALU_DEP_1) | instskip(SKIP_1) | instid1(VALU_DEP_2)
	v_mul_f32_e32 v19, 0x3fb8aa3b, v17
	v_cmp_ngt_f32_e64 s0, 0xc2ce8ed0, v17
	v_fma_f32 v31, 0x3fb8aa3b, v17, -v19
	v_rndne_f32_e32 v32, v19
	s_delay_alu instid0(VALU_DEP_2) | instskip(NEXT) | instid1(VALU_DEP_2)
	v_fmamk_f32 v31, v17, 0x32a5705f, v31
	v_sub_f32_e32 v19, v19, v32
	s_delay_alu instid0(VALU_DEP_1) | instskip(SKIP_1) | instid1(VALU_DEP_2)
	v_add_f32_e32 v19, v19, v31
	v_cvt_i32_f32_e32 v31, v32
	v_exp_f32_e32 v19, v19
	s_waitcnt_depctr 0xfff
	v_ldexp_f32 v19, v19, v31
	s_delay_alu instid0(VALU_DEP_1) | instskip(SKIP_1) | instid1(VALU_DEP_1)
	v_cndmask_b32_e64 v19, 0, v19, s0
	v_cmp_nlt_f32_e64 s0, 0x42b17218, v17
	v_cndmask_b32_e64 v19, 0x7f800000, v19, s0
	s_delay_alu instid0(VALU_DEP_1)
	v_add_f32_e32 v30, v30, v19
.LBB716_123:
	s_or_b32 exec_lo, exec_lo, s18
.LBB716_124:
	s_delay_alu instid0(SALU_CYCLE_1)
	s_or_b32 exec_lo, exec_lo, s1
	s_and_saveexec_b32 s1, s28
	s_cbranch_execz .LBB716_128
; %bb.125:
	global_load_u8 v17, v[2:3], off offset:448
	s_waitcnt vmcnt(0)
	v_dual_mov_b32 v18, 0 :: v_dual_and_b32 v17, 1, v17
	s_delay_alu instid0(VALU_DEP_1) | instskip(NEXT) | instid1(VALU_DEP_1)
	v_cmp_eq_u32_e64 s0, 1, v17
	s_xor_b32 s0, s0, -1
	s_delay_alu instid0(SALU_CYCLE_1)
	s_and_saveexec_b32 s18, s0
	s_cbranch_execz .LBB716_127
; %bb.126:
	v_sub_f32_e32 v16, v16, v29
	s_delay_alu instid0(VALU_DEP_1) | instskip(NEXT) | instid1(VALU_DEP_1)
	v_mul_f32_e32 v17, 0x3fb8aa3b, v16
	v_fma_f32 v18, 0x3fb8aa3b, v16, -v17
	v_rndne_f32_e32 v31, v17
	s_delay_alu instid0(VALU_DEP_1) | instskip(SKIP_1) | instid1(VALU_DEP_2)
	v_dual_sub_f32 v17, v17, v31 :: v_dual_fmamk_f32 v18, v16, 0x32a5705f, v18
	v_cmp_ngt_f32_e64 s0, 0xc2ce8ed0, v16
	v_add_f32_e32 v17, v17, v18
	v_cvt_i32_f32_e32 v18, v31
	s_delay_alu instid0(VALU_DEP_2) | instskip(SKIP_2) | instid1(VALU_DEP_1)
	v_exp_f32_e32 v17, v17
	s_waitcnt_depctr 0xfff
	v_ldexp_f32 v17, v17, v18
	v_cndmask_b32_e64 v17, 0, v17, s0
	v_cmp_nlt_f32_e64 s0, 0x42b17218, v16
	s_delay_alu instid0(VALU_DEP_1) | instskip(NEXT) | instid1(VALU_DEP_1)
	v_cndmask_b32_e64 v18, 0x7f800000, v17, s0
	v_add_f32_e32 v30, v30, v18
.LBB716_127:
	s_or_b32 exec_lo, exec_lo, s18
.LBB716_128:
	s_delay_alu instid0(SALU_CYCLE_1)
	s_or_b32 exec_lo, exec_lo, s1
	v_dual_mov_b32 v16, 0 :: v_dual_mov_b32 v17, 0
	s_and_saveexec_b32 s1, s27
	s_cbranch_execz .LBB716_132
; %bb.129:
	global_load_u8 v17, v[2:3], off offset:512
	s_waitcnt vmcnt(0)
	v_and_b32_e32 v17, 1, v17
	s_delay_alu instid0(VALU_DEP_1) | instskip(SKIP_1) | instid1(VALU_DEP_2)
	v_cmp_eq_u32_e64 s0, 1, v17
	v_mov_b32_e32 v17, 0
	s_xor_b32 s0, s0, -1
	s_delay_alu instid0(SALU_CYCLE_1)
	s_and_saveexec_b32 s18, s0
	s_cbranch_execz .LBB716_131
; %bb.130:
	v_sub_f32_e32 v15, v15, v29
	s_delay_alu instid0(VALU_DEP_1) | instskip(SKIP_1) | instid1(VALU_DEP_2)
	v_mul_f32_e32 v17, 0x3fb8aa3b, v15
	v_cmp_ngt_f32_e64 s0, 0xc2ce8ed0, v15
	v_fma_f32 v31, 0x3fb8aa3b, v15, -v17
	v_rndne_f32_e32 v32, v17
	s_delay_alu instid0(VALU_DEP_2) | instskip(NEXT) | instid1(VALU_DEP_2)
	v_fmamk_f32 v31, v15, 0x32a5705f, v31
	v_sub_f32_e32 v17, v17, v32
	s_delay_alu instid0(VALU_DEP_1) | instskip(SKIP_1) | instid1(VALU_DEP_2)
	v_add_f32_e32 v17, v17, v31
	v_cvt_i32_f32_e32 v31, v32
	v_exp_f32_e32 v17, v17
	s_waitcnt_depctr 0xfff
	v_ldexp_f32 v17, v17, v31
	s_delay_alu instid0(VALU_DEP_1) | instskip(SKIP_1) | instid1(VALU_DEP_1)
	v_cndmask_b32_e64 v17, 0, v17, s0
	v_cmp_nlt_f32_e64 s0, 0x42b17218, v15
	v_cndmask_b32_e64 v17, 0x7f800000, v17, s0
	s_delay_alu instid0(VALU_DEP_1)
	v_add_f32_e32 v30, v30, v17
.LBB716_131:
	s_or_b32 exec_lo, exec_lo, s18
.LBB716_132:
	s_delay_alu instid0(SALU_CYCLE_1)
	s_or_b32 exec_lo, exec_lo, s1
	s_and_saveexec_b32 s1, s26
	s_cbranch_execz .LBB716_136
; %bb.133:
	global_load_u8 v15, v[2:3], off offset:576
	s_waitcnt vmcnt(0)
	v_dual_mov_b32 v16, 0 :: v_dual_and_b32 v15, 1, v15
	s_delay_alu instid0(VALU_DEP_1) | instskip(NEXT) | instid1(VALU_DEP_1)
	v_cmp_eq_u32_e64 s0, 1, v15
	s_xor_b32 s0, s0, -1
	s_delay_alu instid0(SALU_CYCLE_1)
	s_and_saveexec_b32 s18, s0
	s_cbranch_execz .LBB716_135
; %bb.134:
	v_sub_f32_e32 v14, v14, v29
	s_delay_alu instid0(VALU_DEP_1) | instskip(NEXT) | instid1(VALU_DEP_1)
	v_mul_f32_e32 v15, 0x3fb8aa3b, v14
	v_fma_f32 v16, 0x3fb8aa3b, v14, -v15
	v_rndne_f32_e32 v31, v15
	s_delay_alu instid0(VALU_DEP_1) | instskip(SKIP_1) | instid1(VALU_DEP_2)
	v_dual_sub_f32 v15, v15, v31 :: v_dual_fmamk_f32 v16, v14, 0x32a5705f, v16
	v_cmp_ngt_f32_e64 s0, 0xc2ce8ed0, v14
	v_add_f32_e32 v15, v15, v16
	v_cvt_i32_f32_e32 v16, v31
	s_delay_alu instid0(VALU_DEP_2) | instskip(SKIP_2) | instid1(VALU_DEP_1)
	v_exp_f32_e32 v15, v15
	s_waitcnt_depctr 0xfff
	v_ldexp_f32 v15, v15, v16
	v_cndmask_b32_e64 v15, 0, v15, s0
	v_cmp_nlt_f32_e64 s0, 0x42b17218, v14
	s_delay_alu instid0(VALU_DEP_1) | instskip(NEXT) | instid1(VALU_DEP_1)
	v_cndmask_b32_e64 v16, 0x7f800000, v15, s0
	v_add_f32_e32 v30, v30, v16
.LBB716_135:
	s_or_b32 exec_lo, exec_lo, s18
.LBB716_136:
	s_delay_alu instid0(SALU_CYCLE_1)
	s_or_b32 exec_lo, exec_lo, s1
	v_dual_mov_b32 v14, 0 :: v_dual_mov_b32 v15, 0
	s_and_saveexec_b32 s1, s25
	s_cbranch_execz .LBB716_140
; %bb.137:
	global_load_u8 v15, v[2:3], off offset:640
	s_waitcnt vmcnt(0)
	v_and_b32_e32 v15, 1, v15
	s_delay_alu instid0(VALU_DEP_1) | instskip(SKIP_1) | instid1(VALU_DEP_2)
	v_cmp_eq_u32_e64 s0, 1, v15
	v_mov_b32_e32 v15, 0
	s_xor_b32 s0, s0, -1
	s_delay_alu instid0(SALU_CYCLE_1)
	s_and_saveexec_b32 s18, s0
	s_cbranch_execz .LBB716_139
; %bb.138:
	v_sub_f32_e32 v13, v13, v29
	s_delay_alu instid0(VALU_DEP_1) | instskip(SKIP_1) | instid1(VALU_DEP_2)
	v_mul_f32_e32 v15, 0x3fb8aa3b, v13
	v_cmp_ngt_f32_e64 s0, 0xc2ce8ed0, v13
	v_fma_f32 v31, 0x3fb8aa3b, v13, -v15
	v_rndne_f32_e32 v32, v15
	s_delay_alu instid0(VALU_DEP_2) | instskip(NEXT) | instid1(VALU_DEP_2)
	v_fmamk_f32 v31, v13, 0x32a5705f, v31
	v_sub_f32_e32 v15, v15, v32
	s_delay_alu instid0(VALU_DEP_1) | instskip(SKIP_1) | instid1(VALU_DEP_2)
	v_add_f32_e32 v15, v15, v31
	v_cvt_i32_f32_e32 v31, v32
	v_exp_f32_e32 v15, v15
	s_waitcnt_depctr 0xfff
	v_ldexp_f32 v15, v15, v31
	s_delay_alu instid0(VALU_DEP_1) | instskip(SKIP_1) | instid1(VALU_DEP_1)
	v_cndmask_b32_e64 v15, 0, v15, s0
	v_cmp_nlt_f32_e64 s0, 0x42b17218, v13
	v_cndmask_b32_e64 v15, 0x7f800000, v15, s0
	s_delay_alu instid0(VALU_DEP_1)
	v_add_f32_e32 v30, v30, v15
.LBB716_139:
	s_or_b32 exec_lo, exec_lo, s18
.LBB716_140:
	s_delay_alu instid0(SALU_CYCLE_1)
	s_or_b32 exec_lo, exec_lo, s1
	s_and_saveexec_b32 s1, s24
	s_cbranch_execz .LBB716_144
; %bb.141:
	global_load_u8 v13, v[2:3], off offset:704
	s_waitcnt vmcnt(0)
	v_dual_mov_b32 v14, 0 :: v_dual_and_b32 v13, 1, v13
	s_delay_alu instid0(VALU_DEP_1) | instskip(NEXT) | instid1(VALU_DEP_1)
	v_cmp_eq_u32_e64 s0, 1, v13
	s_xor_b32 s0, s0, -1
	s_delay_alu instid0(SALU_CYCLE_1)
	s_and_saveexec_b32 s18, s0
	s_cbranch_execz .LBB716_143
; %bb.142:
	v_sub_f32_e32 v12, v12, v29
	s_delay_alu instid0(VALU_DEP_1) | instskip(NEXT) | instid1(VALU_DEP_1)
	v_mul_f32_e32 v13, 0x3fb8aa3b, v12
	v_fma_f32 v14, 0x3fb8aa3b, v12, -v13
	v_rndne_f32_e32 v31, v13
	s_delay_alu instid0(VALU_DEP_1) | instskip(SKIP_1) | instid1(VALU_DEP_2)
	v_dual_sub_f32 v13, v13, v31 :: v_dual_fmamk_f32 v14, v12, 0x32a5705f, v14
	v_cmp_ngt_f32_e64 s0, 0xc2ce8ed0, v12
	v_add_f32_e32 v13, v13, v14
	v_cvt_i32_f32_e32 v14, v31
	s_delay_alu instid0(VALU_DEP_2) | instskip(SKIP_2) | instid1(VALU_DEP_1)
	v_exp_f32_e32 v13, v13
	s_waitcnt_depctr 0xfff
	v_ldexp_f32 v13, v13, v14
	v_cndmask_b32_e64 v13, 0, v13, s0
	v_cmp_nlt_f32_e64 s0, 0x42b17218, v12
	s_delay_alu instid0(VALU_DEP_1) | instskip(NEXT) | instid1(VALU_DEP_1)
	v_cndmask_b32_e64 v14, 0x7f800000, v13, s0
	v_add_f32_e32 v30, v30, v14
.LBB716_143:
	s_or_b32 exec_lo, exec_lo, s18
.LBB716_144:
	s_delay_alu instid0(SALU_CYCLE_1)
	s_or_b32 exec_lo, exec_lo, s1
	v_dual_mov_b32 v12, 0 :: v_dual_mov_b32 v13, 0
	s_and_saveexec_b32 s1, s23
	s_cbranch_execz .LBB716_148
; %bb.145:
	global_load_u8 v13, v[2:3], off offset:768
	s_waitcnt vmcnt(0)
	v_and_b32_e32 v13, 1, v13
	s_delay_alu instid0(VALU_DEP_1) | instskip(SKIP_1) | instid1(VALU_DEP_2)
	v_cmp_eq_u32_e64 s0, 1, v13
	v_mov_b32_e32 v13, 0
	s_xor_b32 s0, s0, -1
	s_delay_alu instid0(SALU_CYCLE_1)
	s_and_saveexec_b32 s18, s0
	s_cbranch_execz .LBB716_147
; %bb.146:
	v_sub_f32_e32 v11, v11, v29
	s_delay_alu instid0(VALU_DEP_1) | instskip(SKIP_1) | instid1(VALU_DEP_2)
	v_mul_f32_e32 v13, 0x3fb8aa3b, v11
	v_cmp_ngt_f32_e64 s0, 0xc2ce8ed0, v11
	v_fma_f32 v31, 0x3fb8aa3b, v11, -v13
	v_rndne_f32_e32 v32, v13
	s_delay_alu instid0(VALU_DEP_2) | instskip(NEXT) | instid1(VALU_DEP_2)
	v_fmamk_f32 v31, v11, 0x32a5705f, v31
	v_sub_f32_e32 v13, v13, v32
	s_delay_alu instid0(VALU_DEP_1) | instskip(SKIP_1) | instid1(VALU_DEP_2)
	v_add_f32_e32 v13, v13, v31
	v_cvt_i32_f32_e32 v31, v32
	v_exp_f32_e32 v13, v13
	s_waitcnt_depctr 0xfff
	v_ldexp_f32 v13, v13, v31
	s_delay_alu instid0(VALU_DEP_1) | instskip(SKIP_1) | instid1(VALU_DEP_1)
	v_cndmask_b32_e64 v13, 0, v13, s0
	v_cmp_nlt_f32_e64 s0, 0x42b17218, v11
	v_cndmask_b32_e64 v13, 0x7f800000, v13, s0
	s_delay_alu instid0(VALU_DEP_1)
	v_add_f32_e32 v30, v30, v13
.LBB716_147:
	s_or_b32 exec_lo, exec_lo, s18
.LBB716_148:
	s_delay_alu instid0(SALU_CYCLE_1)
	s_or_b32 exec_lo, exec_lo, s1
	s_and_saveexec_b32 s1, s22
	s_cbranch_execz .LBB716_152
; %bb.149:
	global_load_u8 v11, v[2:3], off offset:832
	s_waitcnt vmcnt(0)
	v_dual_mov_b32 v12, 0 :: v_dual_and_b32 v11, 1, v11
	s_delay_alu instid0(VALU_DEP_1) | instskip(NEXT) | instid1(VALU_DEP_1)
	v_cmp_eq_u32_e64 s0, 1, v11
	s_xor_b32 s0, s0, -1
	s_delay_alu instid0(SALU_CYCLE_1)
	s_and_saveexec_b32 s18, s0
	s_cbranch_execz .LBB716_151
; %bb.150:
	v_sub_f32_e32 v10, v10, v29
	s_delay_alu instid0(VALU_DEP_1) | instskip(NEXT) | instid1(VALU_DEP_1)
	v_mul_f32_e32 v11, 0x3fb8aa3b, v10
	v_fma_f32 v12, 0x3fb8aa3b, v10, -v11
	v_rndne_f32_e32 v31, v11
	s_delay_alu instid0(VALU_DEP_1) | instskip(SKIP_1) | instid1(VALU_DEP_2)
	v_dual_sub_f32 v11, v11, v31 :: v_dual_fmamk_f32 v12, v10, 0x32a5705f, v12
	v_cmp_ngt_f32_e64 s0, 0xc2ce8ed0, v10
	v_add_f32_e32 v11, v11, v12
	v_cvt_i32_f32_e32 v12, v31
	s_delay_alu instid0(VALU_DEP_2) | instskip(SKIP_2) | instid1(VALU_DEP_1)
	v_exp_f32_e32 v11, v11
	s_waitcnt_depctr 0xfff
	v_ldexp_f32 v11, v11, v12
	v_cndmask_b32_e64 v11, 0, v11, s0
	v_cmp_nlt_f32_e64 s0, 0x42b17218, v10
	s_delay_alu instid0(VALU_DEP_1) | instskip(NEXT) | instid1(VALU_DEP_1)
	v_cndmask_b32_e64 v12, 0x7f800000, v11, s0
	v_add_f32_e32 v30, v30, v12
.LBB716_151:
	s_or_b32 exec_lo, exec_lo, s18
.LBB716_152:
	s_delay_alu instid0(SALU_CYCLE_1)
	s_or_b32 exec_lo, exec_lo, s1
	v_dual_mov_b32 v10, 0 :: v_dual_mov_b32 v11, 0
	s_and_saveexec_b32 s1, s19
	s_cbranch_execz .LBB716_156
; %bb.153:
	global_load_u8 v11, v[2:3], off offset:896
	s_waitcnt vmcnt(0)
	v_and_b32_e32 v11, 1, v11
	s_delay_alu instid0(VALU_DEP_1) | instskip(SKIP_1) | instid1(VALU_DEP_2)
	v_cmp_eq_u32_e64 s0, 1, v11
	v_mov_b32_e32 v11, 0
	s_xor_b32 s0, s0, -1
	s_delay_alu instid0(SALU_CYCLE_1)
	s_and_saveexec_b32 s18, s0
	s_cbranch_execz .LBB716_155
; %bb.154:
	v_sub_f32_e32 v9, v9, v29
	s_delay_alu instid0(VALU_DEP_1) | instskip(SKIP_1) | instid1(VALU_DEP_2)
	v_mul_f32_e32 v11, 0x3fb8aa3b, v9
	v_cmp_ngt_f32_e64 s0, 0xc2ce8ed0, v9
	v_fma_f32 v31, 0x3fb8aa3b, v9, -v11
	v_rndne_f32_e32 v32, v11
	s_delay_alu instid0(VALU_DEP_2) | instskip(NEXT) | instid1(VALU_DEP_2)
	v_fmamk_f32 v31, v9, 0x32a5705f, v31
	v_sub_f32_e32 v11, v11, v32
	s_delay_alu instid0(VALU_DEP_1) | instskip(SKIP_1) | instid1(VALU_DEP_2)
	v_add_f32_e32 v11, v11, v31
	v_cvt_i32_f32_e32 v31, v32
	v_exp_f32_e32 v11, v11
	s_waitcnt_depctr 0xfff
	v_ldexp_f32 v11, v11, v31
	s_delay_alu instid0(VALU_DEP_1) | instskip(SKIP_1) | instid1(VALU_DEP_1)
	v_cndmask_b32_e64 v11, 0, v11, s0
	v_cmp_nlt_f32_e64 s0, 0x42b17218, v9
	v_cndmask_b32_e64 v11, 0x7f800000, v11, s0
	s_delay_alu instid0(VALU_DEP_1)
	v_add_f32_e32 v30, v30, v11
.LBB716_155:
	s_or_b32 exec_lo, exec_lo, s18
.LBB716_156:
	s_delay_alu instid0(SALU_CYCLE_1)
	s_or_b32 exec_lo, exec_lo, s1
	s_and_saveexec_b32 s1, s17
	s_cbranch_execz .LBB716_160
; %bb.157:
	global_load_u8 v2, v[2:3], off offset:960
	v_mov_b32_e32 v10, 0
	s_waitcnt vmcnt(0)
	v_and_b32_e32 v2, 1, v2
	s_delay_alu instid0(VALU_DEP_1) | instskip(NEXT) | instid1(VALU_DEP_1)
	v_cmp_eq_u32_e64 s0, 1, v2
	s_xor_b32 s0, s0, -1
	s_delay_alu instid0(SALU_CYCLE_1)
	s_and_saveexec_b32 s17, s0
	s_cbranch_execz .LBB716_159
; %bb.158:
	v_sub_f32_e32 v2, v8, v29
	s_delay_alu instid0(VALU_DEP_1) | instskip(NEXT) | instid1(VALU_DEP_1)
	v_mul_f32_e32 v3, 0x3fb8aa3b, v2
	v_fma_f32 v8, 0x3fb8aa3b, v2, -v3
	v_rndne_f32_e32 v9, v3
	s_delay_alu instid0(VALU_DEP_1) | instskip(NEXT) | instid1(VALU_DEP_1)
	v_dual_fmamk_f32 v8, v2, 0x32a5705f, v8 :: v_dual_sub_f32 v3, v3, v9
	v_add_f32_e32 v3, v3, v8
	v_cvt_i32_f32_e32 v8, v9
	v_cmp_ngt_f32_e64 s0, 0xc2ce8ed0, v2
	s_delay_alu instid0(VALU_DEP_3) | instskip(SKIP_2) | instid1(VALU_DEP_1)
	v_exp_f32_e32 v3, v3
	s_waitcnt_depctr 0xfff
	v_ldexp_f32 v3, v3, v8
	v_cndmask_b32_e64 v3, 0, v3, s0
	v_cmp_nlt_f32_e64 s0, 0x42b17218, v2
	s_delay_alu instid0(VALU_DEP_1) | instskip(NEXT) | instid1(VALU_DEP_1)
	v_cndmask_b32_e64 v10, 0x7f800000, v3, s0
	v_add_f32_e32 v30, v30, v10
.LBB716_159:
	s_or_b32 exec_lo, exec_lo, s17
.LBB716_160:
	s_delay_alu instid0(SALU_CYCLE_1)
	s_or_b32 exec_lo, exec_lo, s1
	ds_bpermute_b32 v2, v4, v30
	s_mov_b32 s1, exec_lo
	s_waitcnt lgkmcnt(0)
	v_add_f32_e32 v2, v30, v2
	ds_bpermute_b32 v3, v6, v2
	s_waitcnt lgkmcnt(0)
	v_add_f32_e32 v2, v2, v3
	ds_bpermute_b32 v3, v24, v2
	;; [unrolled: 3-line block ×5, first 2 shown]
	v_cmpx_lt_i32_e32 0, v7
	s_cbranch_execz .LBB716_178
; %bb.161:
	s_and_b32 exec_lo, exec_lo, vcc_lo
	s_cbranch_execz .LBB716_178
; %bb.162:
	s_waitcnt lgkmcnt(0)
	v_add_f32_e32 v2, v2, v3
	s_delay_alu instid0(VALU_DEP_1) | instskip(SKIP_2) | instid1(VALU_DEP_3)
	v_div_scale_f32 v3, null, v2, v2, v27
	v_div_scale_f32 v7, vcc_lo, v27, v2, v27
	v_cmp_eq_f32_e64 s0, 0, v2
	v_rcp_f32_e32 v4, v3
	s_waitcnt_depctr 0xfff
	v_fma_f32 v6, -v3, v4, 1.0
	s_delay_alu instid0(VALU_DEP_1) | instskip(NEXT) | instid1(VALU_DEP_1)
	v_fmac_f32_e32 v4, v6, v4
	v_mul_f32_e32 v6, v7, v4
	s_delay_alu instid0(VALU_DEP_1) | instskip(NEXT) | instid1(VALU_DEP_1)
	v_fma_f32 v8, -v3, v6, v7
	v_fmac_f32_e32 v6, v8, v4
	s_delay_alu instid0(VALU_DEP_1) | instskip(NEXT) | instid1(VALU_DEP_1)
	v_fma_f32 v3, -v3, v6, v7
	v_div_fmas_f32 v3, v3, v4, v6
	v_add_co_u32 v0, vcc_lo, s20, v0
	v_add_co_ci_u32_e32 v1, vcc_lo, s21, v1, vcc_lo
	s_delay_alu instid0(VALU_DEP_3) | instskip(NEXT) | instid1(VALU_DEP_1)
	v_div_fixup_f32 v3, v3, v2, v27
	v_cndmask_b32_e64 v3, v3, 0x7fc00000, s0
	global_store_b32 v[0:1], v3, off
	s_and_b32 exec_lo, exec_lo, s16
	s_cbranch_execz .LBB716_178
; %bb.163:
	v_div_scale_f32 v3, null, v2, v2, v5
	s_delay_alu instid0(VALU_DEP_1) | instskip(SKIP_2) | instid1(VALU_DEP_1)
	v_rcp_f32_e32 v4, v3
	s_waitcnt_depctr 0xfff
	v_fma_f32 v6, -v3, v4, 1.0
	v_fmac_f32_e32 v4, v6, v4
	v_div_scale_f32 v6, vcc_lo, v5, v2, v5
	s_delay_alu instid0(VALU_DEP_1) | instskip(NEXT) | instid1(VALU_DEP_1)
	v_mul_f32_e32 v7, v6, v4
	v_fma_f32 v8, -v3, v7, v6
	s_delay_alu instid0(VALU_DEP_1) | instskip(NEXT) | instid1(VALU_DEP_1)
	v_fmac_f32_e32 v7, v8, v4
	v_fma_f32 v3, -v3, v7, v6
	s_delay_alu instid0(VALU_DEP_1) | instskip(NEXT) | instid1(VALU_DEP_1)
	v_div_fmas_f32 v3, v3, v4, v7
	v_div_fixup_f32 v3, v3, v2, v5
	s_delay_alu instid0(VALU_DEP_1)
	v_cndmask_b32_e64 v3, v3, 0x7fc00000, s0
	global_store_b32 v[0:1], v3, off offset:256
	s_and_b32 exec_lo, exec_lo, s15
	s_cbranch_execz .LBB716_178
; %bb.164:
	v_div_scale_f32 v3, null, v2, v2, v23
	s_delay_alu instid0(VALU_DEP_1) | instskip(SKIP_2) | instid1(VALU_DEP_1)
	v_rcp_f32_e32 v4, v3
	s_waitcnt_depctr 0xfff
	v_fma_f32 v5, -v3, v4, 1.0
	v_fmac_f32_e32 v4, v5, v4
	v_div_scale_f32 v5, vcc_lo, v23, v2, v23
	s_delay_alu instid0(VALU_DEP_1) | instskip(NEXT) | instid1(VALU_DEP_1)
	v_mul_f32_e32 v6, v5, v4
	v_fma_f32 v7, -v3, v6, v5
	s_delay_alu instid0(VALU_DEP_1) | instskip(NEXT) | instid1(VALU_DEP_1)
	v_fmac_f32_e32 v6, v7, v4
	v_fma_f32 v3, -v3, v6, v5
	s_delay_alu instid0(VALU_DEP_1) | instskip(NEXT) | instid1(VALU_DEP_1)
	v_div_fmas_f32 v3, v3, v4, v6
	v_div_fixup_f32 v3, v3, v2, v23
	s_delay_alu instid0(VALU_DEP_1)
	v_cndmask_b32_e64 v3, v3, 0x7fc00000, s0
	global_store_b32 v[0:1], v3, off offset:512
	;; [unrolled: 22-line block ×15, first 2 shown]
.LBB716_178:
	s_nop 0
	s_sendmsg sendmsg(MSG_DEALLOC_VGPRS)
	s_endpgm
	.section	.rodata,"a",@progbits
	.p2align	6, 0x0
	.amdhsa_kernel _ZN12_GLOBAL__N_120softmax_warp_forwardIfffLi10ELb0ELb1ELi64EEEvPT0_PKT_iiiPKbib
		.amdhsa_group_segment_fixed_size 0
		.amdhsa_private_segment_fixed_size 0
		.amdhsa_kernarg_size 304
		.amdhsa_user_sgpr_count 15
		.amdhsa_user_sgpr_dispatch_ptr 0
		.amdhsa_user_sgpr_queue_ptr 0
		.amdhsa_user_sgpr_kernarg_segment_ptr 1
		.amdhsa_user_sgpr_dispatch_id 0
		.amdhsa_user_sgpr_private_segment_size 0
		.amdhsa_wavefront_size32 1
		.amdhsa_uses_dynamic_stack 0
		.amdhsa_enable_private_segment 0
		.amdhsa_system_sgpr_workgroup_id_x 1
		.amdhsa_system_sgpr_workgroup_id_y 0
		.amdhsa_system_sgpr_workgroup_id_z 0
		.amdhsa_system_sgpr_workgroup_info 0
		.amdhsa_system_vgpr_workitem_id 1
		.amdhsa_next_free_vgpr 33
		.amdhsa_next_free_sgpr 39
		.amdhsa_reserve_vcc 1
		.amdhsa_float_round_mode_32 0
		.amdhsa_float_round_mode_16_64 0
		.amdhsa_float_denorm_mode_32 3
		.amdhsa_float_denorm_mode_16_64 3
		.amdhsa_dx10_clamp 1
		.amdhsa_ieee_mode 1
		.amdhsa_fp16_overflow 0
		.amdhsa_workgroup_processor_mode 1
		.amdhsa_memory_ordered 1
		.amdhsa_forward_progress 0
		.amdhsa_shared_vgpr_count 0
		.amdhsa_exception_fp_ieee_invalid_op 0
		.amdhsa_exception_fp_denorm_src 0
		.amdhsa_exception_fp_ieee_div_zero 0
		.amdhsa_exception_fp_ieee_overflow 0
		.amdhsa_exception_fp_ieee_underflow 0
		.amdhsa_exception_fp_ieee_inexact 0
		.amdhsa_exception_int_div_zero 0
	.end_amdhsa_kernel
	.section	.text._ZN12_GLOBAL__N_120softmax_warp_forwardIfffLi10ELb0ELb1ELi64EEEvPT0_PKT_iiiPKbib,"axG",@progbits,_ZN12_GLOBAL__N_120softmax_warp_forwardIfffLi10ELb0ELb1ELi64EEEvPT0_PKT_iiiPKbib,comdat
.Lfunc_end716:
	.size	_ZN12_GLOBAL__N_120softmax_warp_forwardIfffLi10ELb0ELb1ELi64EEEvPT0_PKT_iiiPKbib, .Lfunc_end716-_ZN12_GLOBAL__N_120softmax_warp_forwardIfffLi10ELb0ELb1ELi64EEEvPT0_PKT_iiiPKbib
                                        ; -- End function
	.section	.AMDGPU.csdata,"",@progbits
; Kernel info:
; codeLenInByte = 8704
; NumSgprs: 41
; NumVgprs: 33
; ScratchSize: 0
; MemoryBound: 0
; FloatMode: 240
; IeeeMode: 1
; LDSByteSize: 0 bytes/workgroup (compile time only)
; SGPRBlocks: 5
; VGPRBlocks: 4
; NumSGPRsForWavesPerEU: 41
; NumVGPRsForWavesPerEU: 33
; Occupancy: 16
; WaveLimiterHint : 0
; COMPUTE_PGM_RSRC2:SCRATCH_EN: 0
; COMPUTE_PGM_RSRC2:USER_SGPR: 15
; COMPUTE_PGM_RSRC2:TRAP_HANDLER: 0
; COMPUTE_PGM_RSRC2:TGID_X_EN: 1
; COMPUTE_PGM_RSRC2:TGID_Y_EN: 0
; COMPUTE_PGM_RSRC2:TGID_Z_EN: 0
; COMPUTE_PGM_RSRC2:TIDIG_COMP_CNT: 1
	.section	.text._ZN12_GLOBAL__N_120softmax_warp_forwardIfffLi10ELb0ELb1ELi32EEEvPT0_PKT_iiiPKbib,"axG",@progbits,_ZN12_GLOBAL__N_120softmax_warp_forwardIfffLi10ELb0ELb1ELi32EEEvPT0_PKT_iiiPKbib,comdat
	.globl	_ZN12_GLOBAL__N_120softmax_warp_forwardIfffLi10ELb0ELb1ELi32EEEvPT0_PKT_iiiPKbib ; -- Begin function _ZN12_GLOBAL__N_120softmax_warp_forwardIfffLi10ELb0ELb1ELi32EEEvPT0_PKT_iiiPKbib
	.p2align	8
	.type	_ZN12_GLOBAL__N_120softmax_warp_forwardIfffLi10ELb0ELb1ELi32EEEvPT0_PKT_iiiPKbib,@function
_ZN12_GLOBAL__N_120softmax_warp_forwardIfffLi10ELb0ELb1ELi32EEEvPT0_PKT_iiiPKbib: ; @_ZN12_GLOBAL__N_120softmax_warp_forwardIfffLi10ELb0ELb1ELi32EEEvPT0_PKT_iiiPKbib
; %bb.0:
	s_clause 0x1
	s_load_b32 s2, s[0:1], 0x3c
	s_load_b128 s[40:43], s[0:1], 0x10
	v_bfe_u32 v3, v0, 10, 10
	s_waitcnt lgkmcnt(0)
	s_lshr_b32 s2, s2, 16
	s_delay_alu instid0(VALU_DEP_1) | instid1(SALU_CYCLE_1)
	v_mad_u64_u32 v[1:2], null, s15, s2, v[3:4]
	s_load_b64 s[2:3], s[0:1], 0x28
	v_and_b32_e32 v2, 0x3ff, v0
	s_delay_alu instid0(VALU_DEP_2) | instskip(NEXT) | instid1(VALU_DEP_1)
	v_mul_lo_u32 v7, v1, s41
	v_add_nc_u32_e32 v5, v7, v2
	s_delay_alu instid0(VALU_DEP_1) | instskip(SKIP_3) | instid1(VALU_DEP_2)
	v_ashrrev_i32_e32 v6, 31, v5
	v_mov_b32_e32 v3, v5
	s_waitcnt lgkmcnt(0)
	s_bitcmp0_b32 s3, 0
	v_mov_b32_e32 v4, v6
	s_cbranch_scc1 .LBB717_2
; %bb.1:
	s_abs_i32 s3, s2
	v_sub_nc_u32_e32 v4, 0, v7
	v_cvt_f32_u32_e32 v0, s3
	s_sub_i32 s4, 0, s3
	s_delay_alu instid0(VALU_DEP_2) | instskip(NEXT) | instid1(VALU_DEP_2)
	v_max_i32_e32 v4, v7, v4
	v_rcp_iflag_f32_e32 v0, v0
	s_waitcnt_depctr 0xfff
	v_mul_f32_e32 v0, 0x4f7ffffe, v0
	s_delay_alu instid0(VALU_DEP_1) | instskip(NEXT) | instid1(VALU_DEP_1)
	v_cvt_u32_f32_e32 v0, v0
	v_mul_lo_u32 v3, s4, v0
	s_delay_alu instid0(VALU_DEP_1) | instskip(NEXT) | instid1(VALU_DEP_1)
	v_mul_hi_u32 v3, v0, v3
	v_add_nc_u32_e32 v0, v0, v3
	s_delay_alu instid0(VALU_DEP_1) | instskip(NEXT) | instid1(VALU_DEP_1)
	v_mul_hi_u32 v0, v4, v0
	v_mul_lo_u32 v3, v0, s3
	s_delay_alu instid0(VALU_DEP_1) | instskip(SKIP_1) | instid1(VALU_DEP_2)
	v_sub_nc_u32_e32 v3, v4, v3
	v_add_nc_u32_e32 v4, 1, v0
	v_subrev_nc_u32_e32 v8, s3, v3
	v_cmp_le_u32_e32 vcc_lo, s3, v3
	s_delay_alu instid0(VALU_DEP_2) | instskip(NEXT) | instid1(VALU_DEP_4)
	v_cndmask_b32_e32 v3, v3, v8, vcc_lo
	v_cndmask_b32_e32 v0, v0, v4, vcc_lo
	v_xor_b32_e32 v4, s2, v7
	s_delay_alu instid0(VALU_DEP_3) | instskip(NEXT) | instid1(VALU_DEP_3)
	v_cmp_le_u32_e32 vcc_lo, s3, v3
	v_add_nc_u32_e32 v7, 1, v0
	s_delay_alu instid0(VALU_DEP_3) | instskip(NEXT) | instid1(VALU_DEP_2)
	v_ashrrev_i32_e32 v4, 31, v4
	v_cndmask_b32_e32 v0, v0, v7, vcc_lo
	s_delay_alu instid0(VALU_DEP_1) | instskip(NEXT) | instid1(VALU_DEP_1)
	v_xor_b32_e32 v0, v0, v4
	v_sub_nc_u32_e32 v0, v0, v4
	s_delay_alu instid0(VALU_DEP_1) | instskip(NEXT) | instid1(VALU_DEP_1)
	v_mad_u64_u32 v[3:4], null, v0, s41, v[2:3]
	v_ashrrev_i32_e32 v4, 31, v3
.LBB717_2:
	s_load_b128 s[36:39], s[0:1], 0x0
	v_sub_nc_u32_e32 v7, s40, v1
	v_lshlrev_b64 v[0:1], 2, v[5:6]
	v_cmp_gt_i32_e32 vcc_lo, s42, v2
	v_dual_mov_b32 v38, 0xff800000 :: v_dual_mov_b32 v39, 0xff800000
	s_delay_alu instid0(VALU_DEP_4) | instskip(NEXT) | instid1(VALU_DEP_1)
	v_cmp_lt_i32_e64 s34, 0, v7
	s_and_b32 s68, s34, vcc_lo
	s_waitcnt lgkmcnt(0)
	v_add_co_u32 v5, s2, s38, v0
	s_delay_alu instid0(VALU_DEP_1)
	v_add_co_ci_u32_e64 v6, s2, s39, v1, s2
	s_and_saveexec_b32 s2, s68
	s_cbranch_execz .LBB717_4
; %bb.3:
	global_load_b32 v39, v[5:6], off
.LBB717_4:
	s_or_b32 exec_lo, exec_lo, s2
	v_add_nc_u32_e32 v8, 32, v2
	s_delay_alu instid0(VALU_DEP_1) | instskip(NEXT) | instid1(VALU_DEP_1)
	v_cmp_gt_i32_e64 s33, s42, v8
	s_and_b32 s67, s34, s33
	s_delay_alu instid0(SALU_CYCLE_1)
	s_and_saveexec_b32 s2, s67
	s_cbranch_execz .LBB717_6
; %bb.5:
	global_load_b32 v38, v[5:6], off offset:128
.LBB717_6:
	s_or_b32 exec_lo, exec_lo, s2
	v_dual_mov_b32 v37, 0xff800000 :: v_dual_add_nc_u32 v8, 64, v2
	v_mov_b32_e32 v36, 0xff800000
	s_delay_alu instid0(VALU_DEP_2) | instskip(NEXT) | instid1(VALU_DEP_1)
	v_cmp_gt_i32_e64 s31, s42, v8
	s_and_b32 s66, s34, s31
	s_delay_alu instid0(SALU_CYCLE_1)
	s_and_saveexec_b32 s2, s66
	s_cbranch_execz .LBB717_8
; %bb.7:
	global_load_b32 v37, v[5:6], off offset:256
.LBB717_8:
	s_or_b32 exec_lo, exec_lo, s2
	v_add_nc_u32_e32 v8, 0x60, v2
	s_delay_alu instid0(VALU_DEP_1) | instskip(NEXT) | instid1(VALU_DEP_1)
	v_cmp_gt_i32_e64 s30, s42, v8
	s_and_b32 s65, s34, s30
	s_delay_alu instid0(SALU_CYCLE_1)
	s_and_saveexec_b32 s2, s65
	s_cbranch_execz .LBB717_10
; %bb.9:
	global_load_b32 v36, v[5:6], off offset:384
.LBB717_10:
	s_or_b32 exec_lo, exec_lo, s2
	v_add_nc_u32_e32 v8, 0x80, v2
	v_dual_mov_b32 v34, 0xff800000 :: v_dual_mov_b32 v35, 0xff800000
	s_delay_alu instid0(VALU_DEP_2) | instskip(NEXT) | instid1(VALU_DEP_1)
	v_cmp_gt_i32_e64 s29, s42, v8
	s_and_b32 s64, s34, s29
	s_delay_alu instid0(SALU_CYCLE_1)
	s_and_saveexec_b32 s2, s64
	s_cbranch_execz .LBB717_12
; %bb.11:
	global_load_b32 v35, v[5:6], off offset:512
.LBB717_12:
	s_or_b32 exec_lo, exec_lo, s2
	v_add_nc_u32_e32 v8, 0xa0, v2
	s_delay_alu instid0(VALU_DEP_1) | instskip(NEXT) | instid1(VALU_DEP_1)
	v_cmp_gt_i32_e64 s28, s42, v8
	s_and_b32 s63, s34, s28
	s_delay_alu instid0(SALU_CYCLE_1)
	s_and_saveexec_b32 s2, s63
	s_cbranch_execz .LBB717_14
; %bb.13:
	global_load_b32 v34, v[5:6], off offset:640
.LBB717_14:
	s_or_b32 exec_lo, exec_lo, s2
	v_add_nc_u32_e32 v8, 0xc0, v2
	v_dual_mov_b32 v32, 0xff800000 :: v_dual_mov_b32 v33, 0xff800000
	;; [unrolled: 23-line block ×13, first 2 shown]
	s_delay_alu instid0(VALU_DEP_2) | instskip(NEXT) | instid1(VALU_DEP_1)
	v_cmp_gt_i32_e64 s5, s42, v8
	s_and_b32 s39, s34, s5
	s_delay_alu instid0(SALU_CYCLE_1)
	s_and_saveexec_b32 s2, s39
	s_cbranch_execz .LBB717_60
; %bb.59:
	global_load_b32 v11, v[5:6], off offset:3584
.LBB717_60:
	s_or_b32 exec_lo, exec_lo, s2
	v_add_nc_u32_e32 v8, 0x3a0, v2
	s_delay_alu instid0(VALU_DEP_1) | instskip(NEXT) | instid1(VALU_DEP_1)
	v_cmp_gt_i32_e64 s4, s42, v8
	s_and_b32 s38, s34, s4
	s_delay_alu instid0(SALU_CYCLE_1)
	s_and_saveexec_b32 s2, s38
	s_cbranch_execz .LBB717_62
; %bb.61:
	global_load_b32 v10, v[5:6], off offset:3712
.LBB717_62:
	s_or_b32 exec_lo, exec_lo, s2
	v_add_nc_u32_e32 v8, 0x3c0, v2
	v_mov_b32_e32 v9, 0xff800000
	s_delay_alu instid0(VALU_DEP_2) | instskip(SKIP_1) | instid1(VALU_DEP_2)
	v_cmp_gt_i32_e64 s3, s42, v8
	v_mov_b32_e32 v8, 0xff800000
	s_and_b32 s35, s34, s3
	s_delay_alu instid0(SALU_CYCLE_1)
	s_and_saveexec_b32 s2, s35
	s_cbranch_execz .LBB717_64
; %bb.63:
	global_load_b32 v9, v[5:6], off offset:3840
.LBB717_64:
	s_or_b32 exec_lo, exec_lo, s2
	v_add_nc_u32_e32 v2, 0x3e0, v2
	s_delay_alu instid0(VALU_DEP_1) | instskip(NEXT) | instid1(VALU_DEP_1)
	v_cmp_gt_i32_e64 s2, s42, v2
	s_and_b32 s34, s34, s2
	s_delay_alu instid0(SALU_CYCLE_1)
	s_and_saveexec_b32 s42, s34
	s_cbranch_execz .LBB717_66
; %bb.65:
	global_load_b32 v8, v[5:6], off offset:3968
.LBB717_66:
	s_or_b32 exec_lo, exec_lo, s42
	s_load_b64 s[0:1], s[0:1], 0x20
	s_waitcnt lgkmcnt(0)
	v_add_co_u32 v2, s0, s0, v3
	s_delay_alu instid0(VALU_DEP_1)
	v_add_co_ci_u32_e64 v3, s0, s1, v4, s0
	s_mov_b32 s1, 0
	s_and_saveexec_b32 s42, s68
	s_cbranch_execnz .LBB717_98
; %bb.67:
	s_or_b32 exec_lo, exec_lo, s42
	s_waitcnt vmcnt(0)
	v_mov_b32_e32 v4, v39
	s_and_saveexec_b32 s42, s67
	s_cbranch_execnz .LBB717_99
.LBB717_68:
	s_or_b32 exec_lo, exec_lo, s42
	s_and_saveexec_b32 s42, s66
	s_cbranch_execnz .LBB717_102
.LBB717_69:
	s_or_b32 exec_lo, exec_lo, s42
	s_and_saveexec_b32 s42, s65
	s_cbranch_execnz .LBB717_105
.LBB717_70:
	s_or_b32 exec_lo, exec_lo, s42
	s_and_saveexec_b32 s42, s64
	s_cbranch_execnz .LBB717_108
.LBB717_71:
	s_or_b32 exec_lo, exec_lo, s42
	s_and_saveexec_b32 s42, s63
	s_cbranch_execnz .LBB717_111
.LBB717_72:
	s_or_b32 exec_lo, exec_lo, s42
	s_and_saveexec_b32 s42, s62
	s_cbranch_execnz .LBB717_114
.LBB717_73:
	s_or_b32 exec_lo, exec_lo, s42
	s_and_saveexec_b32 s42, s61
	s_cbranch_execnz .LBB717_117
.LBB717_74:
	s_or_b32 exec_lo, exec_lo, s42
	s_and_saveexec_b32 s42, s60
	s_cbranch_execnz .LBB717_120
.LBB717_75:
	s_or_b32 exec_lo, exec_lo, s42
	s_and_saveexec_b32 s42, s59
	s_cbranch_execnz .LBB717_123
.LBB717_76:
	s_or_b32 exec_lo, exec_lo, s42
	s_and_saveexec_b32 s42, s58
	s_cbranch_execnz .LBB717_126
.LBB717_77:
	s_or_b32 exec_lo, exec_lo, s42
	s_and_saveexec_b32 s42, s57
	s_cbranch_execnz .LBB717_129
.LBB717_78:
	s_or_b32 exec_lo, exec_lo, s42
	s_and_saveexec_b32 s42, s56
	s_cbranch_execnz .LBB717_132
.LBB717_79:
	s_or_b32 exec_lo, exec_lo, s42
	s_and_saveexec_b32 s42, s55
	s_cbranch_execnz .LBB717_135
.LBB717_80:
	s_or_b32 exec_lo, exec_lo, s42
	s_and_saveexec_b32 s42, s54
	s_cbranch_execnz .LBB717_138
.LBB717_81:
	s_or_b32 exec_lo, exec_lo, s42
	s_and_saveexec_b32 s42, s53
	s_cbranch_execnz .LBB717_141
.LBB717_82:
	s_or_b32 exec_lo, exec_lo, s42
	s_and_saveexec_b32 s42, s52
	s_cbranch_execnz .LBB717_144
.LBB717_83:
	s_or_b32 exec_lo, exec_lo, s42
	s_and_saveexec_b32 s42, s51
	s_cbranch_execnz .LBB717_147
.LBB717_84:
	s_or_b32 exec_lo, exec_lo, s42
	s_and_saveexec_b32 s42, s50
	s_cbranch_execnz .LBB717_150
.LBB717_85:
	s_or_b32 exec_lo, exec_lo, s42
	s_and_saveexec_b32 s42, s49
	s_cbranch_execnz .LBB717_153
.LBB717_86:
	s_or_b32 exec_lo, exec_lo, s42
	s_and_saveexec_b32 s42, s48
	s_cbranch_execnz .LBB717_156
.LBB717_87:
	s_or_b32 exec_lo, exec_lo, s42
	s_and_saveexec_b32 s42, s47
	s_cbranch_execnz .LBB717_159
.LBB717_88:
	s_or_b32 exec_lo, exec_lo, s42
	s_and_saveexec_b32 s42, s46
	s_cbranch_execnz .LBB717_162
.LBB717_89:
	s_or_b32 exec_lo, exec_lo, s42
	s_and_saveexec_b32 s42, s45
	s_cbranch_execnz .LBB717_165
.LBB717_90:
	s_or_b32 exec_lo, exec_lo, s42
	s_and_saveexec_b32 s42, s44
	s_cbranch_execnz .LBB717_168
.LBB717_91:
	s_or_b32 exec_lo, exec_lo, s42
	s_and_saveexec_b32 s42, s43
	s_cbranch_execnz .LBB717_171
.LBB717_92:
	s_or_b32 exec_lo, exec_lo, s42
	s_and_saveexec_b32 s42, s41
	s_cbranch_execnz .LBB717_174
.LBB717_93:
	s_or_b32 exec_lo, exec_lo, s42
	s_and_saveexec_b32 s42, s40
	s_cbranch_execnz .LBB717_177
.LBB717_94:
	s_or_b32 exec_lo, exec_lo, s42
	s_and_saveexec_b32 s42, s39
	s_cbranch_execnz .LBB717_180
.LBB717_95:
	s_or_b32 exec_lo, exec_lo, s42
	s_and_saveexec_b32 s42, s38
	s_cbranch_execnz .LBB717_183
.LBB717_96:
	s_or_b32 exec_lo, exec_lo, s42
	s_and_saveexec_b32 s42, s35
	s_cbranch_execnz .LBB717_186
.LBB717_97:
	s_or_b32 exec_lo, exec_lo, s42
	s_and_saveexec_b32 s42, s34
	s_cbranch_execnz .LBB717_189
	s_branch .LBB717_192
.LBB717_98:
	global_load_u8 v4, v[2:3], off
	s_waitcnt vmcnt(0)
	v_and_b32_e32 v4, 1, v4
	s_delay_alu instid0(VALU_DEP_1) | instskip(NEXT) | instid1(VALU_DEP_1)
	v_cmp_eq_u32_e64 s0, 1, v4
	s_xor_b32 s0, s0, -1
	s_delay_alu instid0(SALU_CYCLE_1)
	s_and_b32 s1, s0, exec_lo
	s_or_b32 exec_lo, exec_lo, s42
	v_mov_b32_e32 v4, v39
	s_and_saveexec_b32 s42, s67
	s_cbranch_execz .LBB717_68
.LBB717_99:
	global_load_u8 v4, v[2:3], off offset:32
	s_waitcnt vmcnt(0)
	v_and_b32_e32 v4, 1, v4
	s_delay_alu instid0(VALU_DEP_1) | instskip(SKIP_1) | instid1(VALU_DEP_2)
	v_cmp_eq_u32_e64 s0, 1, v4
	v_mov_b32_e32 v4, v39
	s_xor_b32 s70, s0, -1
	s_mov_b32 s0, s1
	s_and_saveexec_b32 s69, s70
; %bb.100:
	v_cmp_gt_f32_e64 s0, v39, v38
	s_delay_alu instid0(VALU_DEP_1) | instskip(NEXT) | instid1(SALU_CYCLE_1)
	s_and_b32 s0, s1, s0
	v_cndmask_b32_e64 v4, v38, v39, s0
	s_or_b32 s0, s1, exec_lo
; %bb.101:
	s_or_b32 exec_lo, exec_lo, s69
	s_delay_alu instid0(SALU_CYCLE_1) | instskip(SKIP_1) | instid1(SALU_CYCLE_1)
	s_and_not1_b32 s1, s1, exec_lo
	s_and_b32 s0, s0, exec_lo
	s_or_b32 s1, s1, s0
	s_or_b32 exec_lo, exec_lo, s42
	s_and_saveexec_b32 s42, s66
	s_cbranch_execz .LBB717_69
.LBB717_102:
	global_load_u8 v5, v[2:3], off offset:64
	s_waitcnt vmcnt(0)
	v_and_b32_e32 v5, 1, v5
	s_delay_alu instid0(VALU_DEP_1) | instskip(NEXT) | instid1(VALU_DEP_1)
	v_cmp_eq_u32_e64 s0, 1, v5
	s_xor_b32 s70, s0, -1
	s_mov_b32 s0, s1
	s_and_saveexec_b32 s69, s70
; %bb.103:
	v_cmp_gt_f32_e64 s0, v4, v37
	s_delay_alu instid0(VALU_DEP_1) | instskip(NEXT) | instid1(SALU_CYCLE_1)
	s_and_b32 s0, s1, s0
	v_cndmask_b32_e64 v4, v37, v4, s0
	s_or_b32 s0, s1, exec_lo
; %bb.104:
	s_or_b32 exec_lo, exec_lo, s69
	s_delay_alu instid0(SALU_CYCLE_1) | instskip(SKIP_1) | instid1(SALU_CYCLE_1)
	s_and_not1_b32 s1, s1, exec_lo
	s_and_b32 s0, s0, exec_lo
	s_or_b32 s1, s1, s0
	s_or_b32 exec_lo, exec_lo, s42
	s_and_saveexec_b32 s42, s65
	s_cbranch_execz .LBB717_70
.LBB717_105:
	global_load_u8 v5, v[2:3], off offset:96
	s_waitcnt vmcnt(0)
	v_and_b32_e32 v5, 1, v5
	s_delay_alu instid0(VALU_DEP_1) | instskip(NEXT) | instid1(VALU_DEP_1)
	v_cmp_eq_u32_e64 s0, 1, v5
	s_xor_b32 s70, s0, -1
	s_mov_b32 s0, s1
	s_and_saveexec_b32 s69, s70
; %bb.106:
	v_cmp_gt_f32_e64 s0, v4, v36
	s_delay_alu instid0(VALU_DEP_1) | instskip(NEXT) | instid1(SALU_CYCLE_1)
	s_and_b32 s0, s1, s0
	v_cndmask_b32_e64 v4, v36, v4, s0
	s_or_b32 s0, s1, exec_lo
; %bb.107:
	s_or_b32 exec_lo, exec_lo, s69
	s_delay_alu instid0(SALU_CYCLE_1) | instskip(SKIP_1) | instid1(SALU_CYCLE_1)
	s_and_not1_b32 s1, s1, exec_lo
	s_and_b32 s0, s0, exec_lo
	s_or_b32 s1, s1, s0
	s_or_b32 exec_lo, exec_lo, s42
	s_and_saveexec_b32 s42, s64
	s_cbranch_execz .LBB717_71
.LBB717_108:
	global_load_u8 v5, v[2:3], off offset:128
	s_waitcnt vmcnt(0)
	v_and_b32_e32 v5, 1, v5
	s_delay_alu instid0(VALU_DEP_1) | instskip(NEXT) | instid1(VALU_DEP_1)
	v_cmp_eq_u32_e64 s0, 1, v5
	s_xor_b32 s70, s0, -1
	s_mov_b32 s0, s1
	s_and_saveexec_b32 s69, s70
; %bb.109:
	v_cmp_gt_f32_e64 s0, v4, v35
	s_delay_alu instid0(VALU_DEP_1) | instskip(NEXT) | instid1(SALU_CYCLE_1)
	s_and_b32 s0, s1, s0
	v_cndmask_b32_e64 v4, v35, v4, s0
	s_or_b32 s0, s1, exec_lo
; %bb.110:
	s_or_b32 exec_lo, exec_lo, s69
	s_delay_alu instid0(SALU_CYCLE_1) | instskip(SKIP_1) | instid1(SALU_CYCLE_1)
	s_and_not1_b32 s1, s1, exec_lo
	s_and_b32 s0, s0, exec_lo
	s_or_b32 s1, s1, s0
	s_or_b32 exec_lo, exec_lo, s42
	s_and_saveexec_b32 s42, s63
	s_cbranch_execz .LBB717_72
.LBB717_111:
	global_load_u8 v5, v[2:3], off offset:160
	s_waitcnt vmcnt(0)
	v_and_b32_e32 v5, 1, v5
	s_delay_alu instid0(VALU_DEP_1) | instskip(NEXT) | instid1(VALU_DEP_1)
	v_cmp_eq_u32_e64 s0, 1, v5
	s_xor_b32 s70, s0, -1
	s_mov_b32 s0, s1
	s_and_saveexec_b32 s69, s70
; %bb.112:
	v_cmp_gt_f32_e64 s0, v4, v34
	s_delay_alu instid0(VALU_DEP_1) | instskip(NEXT) | instid1(SALU_CYCLE_1)
	s_and_b32 s0, s1, s0
	v_cndmask_b32_e64 v4, v34, v4, s0
	s_or_b32 s0, s1, exec_lo
; %bb.113:
	s_or_b32 exec_lo, exec_lo, s69
	s_delay_alu instid0(SALU_CYCLE_1) | instskip(SKIP_1) | instid1(SALU_CYCLE_1)
	s_and_not1_b32 s1, s1, exec_lo
	s_and_b32 s0, s0, exec_lo
	s_or_b32 s1, s1, s0
	s_or_b32 exec_lo, exec_lo, s42
	s_and_saveexec_b32 s42, s62
	s_cbranch_execz .LBB717_73
.LBB717_114:
	global_load_u8 v5, v[2:3], off offset:192
	s_waitcnt vmcnt(0)
	v_and_b32_e32 v5, 1, v5
	s_delay_alu instid0(VALU_DEP_1) | instskip(NEXT) | instid1(VALU_DEP_1)
	v_cmp_eq_u32_e64 s0, 1, v5
	s_xor_b32 s70, s0, -1
	s_mov_b32 s0, s1
	s_and_saveexec_b32 s69, s70
; %bb.115:
	v_cmp_gt_f32_e64 s0, v4, v33
	s_delay_alu instid0(VALU_DEP_1) | instskip(NEXT) | instid1(SALU_CYCLE_1)
	s_and_b32 s0, s1, s0
	v_cndmask_b32_e64 v4, v33, v4, s0
	s_or_b32 s0, s1, exec_lo
; %bb.116:
	s_or_b32 exec_lo, exec_lo, s69
	s_delay_alu instid0(SALU_CYCLE_1) | instskip(SKIP_1) | instid1(SALU_CYCLE_1)
	s_and_not1_b32 s1, s1, exec_lo
	s_and_b32 s0, s0, exec_lo
	s_or_b32 s1, s1, s0
	s_or_b32 exec_lo, exec_lo, s42
	s_and_saveexec_b32 s42, s61
	s_cbranch_execz .LBB717_74
.LBB717_117:
	global_load_u8 v5, v[2:3], off offset:224
	s_waitcnt vmcnt(0)
	v_and_b32_e32 v5, 1, v5
	s_delay_alu instid0(VALU_DEP_1) | instskip(NEXT) | instid1(VALU_DEP_1)
	v_cmp_eq_u32_e64 s0, 1, v5
	s_xor_b32 s70, s0, -1
	s_mov_b32 s0, s1
	s_and_saveexec_b32 s69, s70
; %bb.118:
	v_cmp_gt_f32_e64 s0, v4, v32
	s_delay_alu instid0(VALU_DEP_1) | instskip(NEXT) | instid1(SALU_CYCLE_1)
	s_and_b32 s0, s1, s0
	v_cndmask_b32_e64 v4, v32, v4, s0
	s_or_b32 s0, s1, exec_lo
; %bb.119:
	s_or_b32 exec_lo, exec_lo, s69
	s_delay_alu instid0(SALU_CYCLE_1) | instskip(SKIP_1) | instid1(SALU_CYCLE_1)
	s_and_not1_b32 s1, s1, exec_lo
	s_and_b32 s0, s0, exec_lo
	s_or_b32 s1, s1, s0
	s_or_b32 exec_lo, exec_lo, s42
	s_and_saveexec_b32 s42, s60
	s_cbranch_execz .LBB717_75
.LBB717_120:
	global_load_u8 v5, v[2:3], off offset:256
	s_waitcnt vmcnt(0)
	v_and_b32_e32 v5, 1, v5
	s_delay_alu instid0(VALU_DEP_1) | instskip(NEXT) | instid1(VALU_DEP_1)
	v_cmp_eq_u32_e64 s0, 1, v5
	s_xor_b32 s70, s0, -1
	s_mov_b32 s0, s1
	s_and_saveexec_b32 s69, s70
; %bb.121:
	v_cmp_gt_f32_e64 s0, v4, v31
	s_delay_alu instid0(VALU_DEP_1) | instskip(NEXT) | instid1(SALU_CYCLE_1)
	s_and_b32 s0, s1, s0
	v_cndmask_b32_e64 v4, v31, v4, s0
	s_or_b32 s0, s1, exec_lo
; %bb.122:
	s_or_b32 exec_lo, exec_lo, s69
	s_delay_alu instid0(SALU_CYCLE_1) | instskip(SKIP_1) | instid1(SALU_CYCLE_1)
	s_and_not1_b32 s1, s1, exec_lo
	s_and_b32 s0, s0, exec_lo
	s_or_b32 s1, s1, s0
	s_or_b32 exec_lo, exec_lo, s42
	s_and_saveexec_b32 s42, s59
	s_cbranch_execz .LBB717_76
.LBB717_123:
	global_load_u8 v5, v[2:3], off offset:288
	s_waitcnt vmcnt(0)
	v_and_b32_e32 v5, 1, v5
	s_delay_alu instid0(VALU_DEP_1) | instskip(NEXT) | instid1(VALU_DEP_1)
	v_cmp_eq_u32_e64 s0, 1, v5
	s_xor_b32 s70, s0, -1
	s_mov_b32 s0, s1
	s_and_saveexec_b32 s69, s70
; %bb.124:
	v_cmp_gt_f32_e64 s0, v4, v30
	s_delay_alu instid0(VALU_DEP_1) | instskip(NEXT) | instid1(SALU_CYCLE_1)
	s_and_b32 s0, s1, s0
	v_cndmask_b32_e64 v4, v30, v4, s0
	s_or_b32 s0, s1, exec_lo
; %bb.125:
	s_or_b32 exec_lo, exec_lo, s69
	s_delay_alu instid0(SALU_CYCLE_1) | instskip(SKIP_1) | instid1(SALU_CYCLE_1)
	s_and_not1_b32 s1, s1, exec_lo
	s_and_b32 s0, s0, exec_lo
	s_or_b32 s1, s1, s0
	s_or_b32 exec_lo, exec_lo, s42
	s_and_saveexec_b32 s42, s58
	s_cbranch_execz .LBB717_77
.LBB717_126:
	global_load_u8 v5, v[2:3], off offset:320
	s_waitcnt vmcnt(0)
	v_and_b32_e32 v5, 1, v5
	s_delay_alu instid0(VALU_DEP_1) | instskip(NEXT) | instid1(VALU_DEP_1)
	v_cmp_eq_u32_e64 s0, 1, v5
	s_xor_b32 s70, s0, -1
	s_mov_b32 s0, s1
	s_and_saveexec_b32 s69, s70
; %bb.127:
	v_cmp_gt_f32_e64 s0, v4, v29
	s_delay_alu instid0(VALU_DEP_1) | instskip(NEXT) | instid1(SALU_CYCLE_1)
	s_and_b32 s0, s1, s0
	v_cndmask_b32_e64 v4, v29, v4, s0
	s_or_b32 s0, s1, exec_lo
; %bb.128:
	s_or_b32 exec_lo, exec_lo, s69
	s_delay_alu instid0(SALU_CYCLE_1) | instskip(SKIP_1) | instid1(SALU_CYCLE_1)
	s_and_not1_b32 s1, s1, exec_lo
	s_and_b32 s0, s0, exec_lo
	s_or_b32 s1, s1, s0
	s_or_b32 exec_lo, exec_lo, s42
	s_and_saveexec_b32 s42, s57
	s_cbranch_execz .LBB717_78
.LBB717_129:
	global_load_u8 v5, v[2:3], off offset:352
	s_waitcnt vmcnt(0)
	v_and_b32_e32 v5, 1, v5
	s_delay_alu instid0(VALU_DEP_1) | instskip(NEXT) | instid1(VALU_DEP_1)
	v_cmp_eq_u32_e64 s0, 1, v5
	s_xor_b32 s70, s0, -1
	s_mov_b32 s0, s1
	s_and_saveexec_b32 s69, s70
; %bb.130:
	v_cmp_gt_f32_e64 s0, v4, v28
	s_delay_alu instid0(VALU_DEP_1) | instskip(NEXT) | instid1(SALU_CYCLE_1)
	s_and_b32 s0, s1, s0
	v_cndmask_b32_e64 v4, v28, v4, s0
	s_or_b32 s0, s1, exec_lo
; %bb.131:
	s_or_b32 exec_lo, exec_lo, s69
	s_delay_alu instid0(SALU_CYCLE_1) | instskip(SKIP_1) | instid1(SALU_CYCLE_1)
	s_and_not1_b32 s1, s1, exec_lo
	s_and_b32 s0, s0, exec_lo
	s_or_b32 s1, s1, s0
	s_or_b32 exec_lo, exec_lo, s42
	s_and_saveexec_b32 s42, s56
	s_cbranch_execz .LBB717_79
.LBB717_132:
	global_load_u8 v5, v[2:3], off offset:384
	s_waitcnt vmcnt(0)
	v_and_b32_e32 v5, 1, v5
	s_delay_alu instid0(VALU_DEP_1) | instskip(NEXT) | instid1(VALU_DEP_1)
	v_cmp_eq_u32_e64 s0, 1, v5
	s_xor_b32 s70, s0, -1
	s_mov_b32 s0, s1
	s_and_saveexec_b32 s69, s70
; %bb.133:
	v_cmp_gt_f32_e64 s0, v4, v27
	s_delay_alu instid0(VALU_DEP_1) | instskip(NEXT) | instid1(SALU_CYCLE_1)
	s_and_b32 s0, s1, s0
	v_cndmask_b32_e64 v4, v27, v4, s0
	s_or_b32 s0, s1, exec_lo
; %bb.134:
	s_or_b32 exec_lo, exec_lo, s69
	s_delay_alu instid0(SALU_CYCLE_1) | instskip(SKIP_1) | instid1(SALU_CYCLE_1)
	s_and_not1_b32 s1, s1, exec_lo
	s_and_b32 s0, s0, exec_lo
	s_or_b32 s1, s1, s0
	s_or_b32 exec_lo, exec_lo, s42
	s_and_saveexec_b32 s42, s55
	s_cbranch_execz .LBB717_80
.LBB717_135:
	global_load_u8 v5, v[2:3], off offset:416
	s_waitcnt vmcnt(0)
	v_and_b32_e32 v5, 1, v5
	s_delay_alu instid0(VALU_DEP_1) | instskip(NEXT) | instid1(VALU_DEP_1)
	v_cmp_eq_u32_e64 s0, 1, v5
	s_xor_b32 s70, s0, -1
	s_mov_b32 s0, s1
	s_and_saveexec_b32 s69, s70
; %bb.136:
	v_cmp_gt_f32_e64 s0, v4, v26
	s_delay_alu instid0(VALU_DEP_1) | instskip(NEXT) | instid1(SALU_CYCLE_1)
	s_and_b32 s0, s1, s0
	v_cndmask_b32_e64 v4, v26, v4, s0
	s_or_b32 s0, s1, exec_lo
; %bb.137:
	s_or_b32 exec_lo, exec_lo, s69
	s_delay_alu instid0(SALU_CYCLE_1) | instskip(SKIP_1) | instid1(SALU_CYCLE_1)
	s_and_not1_b32 s1, s1, exec_lo
	s_and_b32 s0, s0, exec_lo
	s_or_b32 s1, s1, s0
	s_or_b32 exec_lo, exec_lo, s42
	s_and_saveexec_b32 s42, s54
	s_cbranch_execz .LBB717_81
.LBB717_138:
	global_load_u8 v5, v[2:3], off offset:448
	s_waitcnt vmcnt(0)
	v_and_b32_e32 v5, 1, v5
	s_delay_alu instid0(VALU_DEP_1) | instskip(NEXT) | instid1(VALU_DEP_1)
	v_cmp_eq_u32_e64 s0, 1, v5
	s_xor_b32 s70, s0, -1
	s_mov_b32 s0, s1
	s_and_saveexec_b32 s69, s70
; %bb.139:
	v_cmp_gt_f32_e64 s0, v4, v25
	s_delay_alu instid0(VALU_DEP_1) | instskip(NEXT) | instid1(SALU_CYCLE_1)
	s_and_b32 s0, s1, s0
	v_cndmask_b32_e64 v4, v25, v4, s0
	s_or_b32 s0, s1, exec_lo
; %bb.140:
	s_or_b32 exec_lo, exec_lo, s69
	s_delay_alu instid0(SALU_CYCLE_1) | instskip(SKIP_1) | instid1(SALU_CYCLE_1)
	s_and_not1_b32 s1, s1, exec_lo
	s_and_b32 s0, s0, exec_lo
	s_or_b32 s1, s1, s0
	s_or_b32 exec_lo, exec_lo, s42
	s_and_saveexec_b32 s42, s53
	s_cbranch_execz .LBB717_82
.LBB717_141:
	global_load_u8 v5, v[2:3], off offset:480
	s_waitcnt vmcnt(0)
	v_and_b32_e32 v5, 1, v5
	s_delay_alu instid0(VALU_DEP_1) | instskip(NEXT) | instid1(VALU_DEP_1)
	v_cmp_eq_u32_e64 s0, 1, v5
	s_xor_b32 s70, s0, -1
	s_mov_b32 s0, s1
	s_and_saveexec_b32 s69, s70
; %bb.142:
	v_cmp_gt_f32_e64 s0, v4, v24
	s_delay_alu instid0(VALU_DEP_1) | instskip(NEXT) | instid1(SALU_CYCLE_1)
	s_and_b32 s0, s1, s0
	v_cndmask_b32_e64 v4, v24, v4, s0
	s_or_b32 s0, s1, exec_lo
; %bb.143:
	s_or_b32 exec_lo, exec_lo, s69
	s_delay_alu instid0(SALU_CYCLE_1) | instskip(SKIP_1) | instid1(SALU_CYCLE_1)
	s_and_not1_b32 s1, s1, exec_lo
	s_and_b32 s0, s0, exec_lo
	s_or_b32 s1, s1, s0
	s_or_b32 exec_lo, exec_lo, s42
	s_and_saveexec_b32 s42, s52
	s_cbranch_execz .LBB717_83
.LBB717_144:
	global_load_u8 v5, v[2:3], off offset:512
	s_waitcnt vmcnt(0)
	v_and_b32_e32 v5, 1, v5
	s_delay_alu instid0(VALU_DEP_1) | instskip(NEXT) | instid1(VALU_DEP_1)
	v_cmp_eq_u32_e64 s0, 1, v5
	s_xor_b32 s70, s0, -1
	s_mov_b32 s0, s1
	s_and_saveexec_b32 s69, s70
; %bb.145:
	v_cmp_gt_f32_e64 s0, v4, v23
	s_delay_alu instid0(VALU_DEP_1) | instskip(NEXT) | instid1(SALU_CYCLE_1)
	s_and_b32 s0, s1, s0
	v_cndmask_b32_e64 v4, v23, v4, s0
	s_or_b32 s0, s1, exec_lo
; %bb.146:
	s_or_b32 exec_lo, exec_lo, s69
	s_delay_alu instid0(SALU_CYCLE_1) | instskip(SKIP_1) | instid1(SALU_CYCLE_1)
	s_and_not1_b32 s1, s1, exec_lo
	s_and_b32 s0, s0, exec_lo
	s_or_b32 s1, s1, s0
	s_or_b32 exec_lo, exec_lo, s42
	s_and_saveexec_b32 s42, s51
	s_cbranch_execz .LBB717_84
.LBB717_147:
	global_load_u8 v5, v[2:3], off offset:544
	s_waitcnt vmcnt(0)
	v_and_b32_e32 v5, 1, v5
	s_delay_alu instid0(VALU_DEP_1) | instskip(NEXT) | instid1(VALU_DEP_1)
	v_cmp_eq_u32_e64 s0, 1, v5
	s_xor_b32 s70, s0, -1
	s_mov_b32 s0, s1
	s_and_saveexec_b32 s69, s70
; %bb.148:
	v_cmp_gt_f32_e64 s0, v4, v22
	s_delay_alu instid0(VALU_DEP_1) | instskip(NEXT) | instid1(SALU_CYCLE_1)
	s_and_b32 s0, s1, s0
	v_cndmask_b32_e64 v4, v22, v4, s0
	s_or_b32 s0, s1, exec_lo
; %bb.149:
	s_or_b32 exec_lo, exec_lo, s69
	s_delay_alu instid0(SALU_CYCLE_1) | instskip(SKIP_1) | instid1(SALU_CYCLE_1)
	s_and_not1_b32 s1, s1, exec_lo
	s_and_b32 s0, s0, exec_lo
	s_or_b32 s1, s1, s0
	s_or_b32 exec_lo, exec_lo, s42
	s_and_saveexec_b32 s42, s50
	s_cbranch_execz .LBB717_85
.LBB717_150:
	global_load_u8 v5, v[2:3], off offset:576
	s_waitcnt vmcnt(0)
	v_and_b32_e32 v5, 1, v5
	s_delay_alu instid0(VALU_DEP_1) | instskip(NEXT) | instid1(VALU_DEP_1)
	v_cmp_eq_u32_e64 s0, 1, v5
	s_xor_b32 s70, s0, -1
	s_mov_b32 s0, s1
	s_and_saveexec_b32 s69, s70
; %bb.151:
	v_cmp_gt_f32_e64 s0, v4, v21
	s_delay_alu instid0(VALU_DEP_1) | instskip(NEXT) | instid1(SALU_CYCLE_1)
	s_and_b32 s0, s1, s0
	v_cndmask_b32_e64 v4, v21, v4, s0
	s_or_b32 s0, s1, exec_lo
; %bb.152:
	s_or_b32 exec_lo, exec_lo, s69
	s_delay_alu instid0(SALU_CYCLE_1) | instskip(SKIP_1) | instid1(SALU_CYCLE_1)
	s_and_not1_b32 s1, s1, exec_lo
	s_and_b32 s0, s0, exec_lo
	s_or_b32 s1, s1, s0
	s_or_b32 exec_lo, exec_lo, s42
	s_and_saveexec_b32 s42, s49
	s_cbranch_execz .LBB717_86
.LBB717_153:
	global_load_u8 v5, v[2:3], off offset:608
	s_waitcnt vmcnt(0)
	v_and_b32_e32 v5, 1, v5
	s_delay_alu instid0(VALU_DEP_1) | instskip(NEXT) | instid1(VALU_DEP_1)
	v_cmp_eq_u32_e64 s0, 1, v5
	s_xor_b32 s70, s0, -1
	s_mov_b32 s0, s1
	s_and_saveexec_b32 s69, s70
; %bb.154:
	v_cmp_gt_f32_e64 s0, v4, v20
	s_delay_alu instid0(VALU_DEP_1) | instskip(NEXT) | instid1(SALU_CYCLE_1)
	s_and_b32 s0, s1, s0
	v_cndmask_b32_e64 v4, v20, v4, s0
	s_or_b32 s0, s1, exec_lo
; %bb.155:
	s_or_b32 exec_lo, exec_lo, s69
	s_delay_alu instid0(SALU_CYCLE_1) | instskip(SKIP_1) | instid1(SALU_CYCLE_1)
	s_and_not1_b32 s1, s1, exec_lo
	s_and_b32 s0, s0, exec_lo
	s_or_b32 s1, s1, s0
	s_or_b32 exec_lo, exec_lo, s42
	s_and_saveexec_b32 s42, s48
	s_cbranch_execz .LBB717_87
.LBB717_156:
	global_load_u8 v5, v[2:3], off offset:640
	s_waitcnt vmcnt(0)
	v_and_b32_e32 v5, 1, v5
	s_delay_alu instid0(VALU_DEP_1) | instskip(NEXT) | instid1(VALU_DEP_1)
	v_cmp_eq_u32_e64 s0, 1, v5
	s_xor_b32 s70, s0, -1
	s_mov_b32 s0, s1
	s_and_saveexec_b32 s69, s70
; %bb.157:
	v_cmp_gt_f32_e64 s0, v4, v19
	s_delay_alu instid0(VALU_DEP_1) | instskip(NEXT) | instid1(SALU_CYCLE_1)
	s_and_b32 s0, s1, s0
	v_cndmask_b32_e64 v4, v19, v4, s0
	s_or_b32 s0, s1, exec_lo
; %bb.158:
	s_or_b32 exec_lo, exec_lo, s69
	s_delay_alu instid0(SALU_CYCLE_1) | instskip(SKIP_1) | instid1(SALU_CYCLE_1)
	s_and_not1_b32 s1, s1, exec_lo
	s_and_b32 s0, s0, exec_lo
	s_or_b32 s1, s1, s0
	s_or_b32 exec_lo, exec_lo, s42
	s_and_saveexec_b32 s42, s47
	s_cbranch_execz .LBB717_88
.LBB717_159:
	global_load_u8 v5, v[2:3], off offset:672
	s_waitcnt vmcnt(0)
	v_and_b32_e32 v5, 1, v5
	s_delay_alu instid0(VALU_DEP_1) | instskip(NEXT) | instid1(VALU_DEP_1)
	v_cmp_eq_u32_e64 s0, 1, v5
	s_xor_b32 s70, s0, -1
	s_mov_b32 s0, s1
	s_and_saveexec_b32 s69, s70
; %bb.160:
	v_cmp_gt_f32_e64 s0, v4, v18
	s_delay_alu instid0(VALU_DEP_1) | instskip(NEXT) | instid1(SALU_CYCLE_1)
	s_and_b32 s0, s1, s0
	v_cndmask_b32_e64 v4, v18, v4, s0
	s_or_b32 s0, s1, exec_lo
; %bb.161:
	s_or_b32 exec_lo, exec_lo, s69
	s_delay_alu instid0(SALU_CYCLE_1) | instskip(SKIP_1) | instid1(SALU_CYCLE_1)
	s_and_not1_b32 s1, s1, exec_lo
	s_and_b32 s0, s0, exec_lo
	s_or_b32 s1, s1, s0
	s_or_b32 exec_lo, exec_lo, s42
	s_and_saveexec_b32 s42, s46
	s_cbranch_execz .LBB717_89
.LBB717_162:
	global_load_u8 v5, v[2:3], off offset:704
	s_waitcnt vmcnt(0)
	v_and_b32_e32 v5, 1, v5
	s_delay_alu instid0(VALU_DEP_1) | instskip(NEXT) | instid1(VALU_DEP_1)
	v_cmp_eq_u32_e64 s0, 1, v5
	s_xor_b32 s70, s0, -1
	s_mov_b32 s0, s1
	s_and_saveexec_b32 s69, s70
; %bb.163:
	v_cmp_gt_f32_e64 s0, v4, v17
	s_delay_alu instid0(VALU_DEP_1) | instskip(NEXT) | instid1(SALU_CYCLE_1)
	s_and_b32 s0, s1, s0
	v_cndmask_b32_e64 v4, v17, v4, s0
	s_or_b32 s0, s1, exec_lo
; %bb.164:
	s_or_b32 exec_lo, exec_lo, s69
	s_delay_alu instid0(SALU_CYCLE_1) | instskip(SKIP_1) | instid1(SALU_CYCLE_1)
	s_and_not1_b32 s1, s1, exec_lo
	s_and_b32 s0, s0, exec_lo
	s_or_b32 s1, s1, s0
	s_or_b32 exec_lo, exec_lo, s42
	s_and_saveexec_b32 s42, s45
	s_cbranch_execz .LBB717_90
.LBB717_165:
	global_load_u8 v5, v[2:3], off offset:736
	s_waitcnt vmcnt(0)
	v_and_b32_e32 v5, 1, v5
	s_delay_alu instid0(VALU_DEP_1) | instskip(NEXT) | instid1(VALU_DEP_1)
	v_cmp_eq_u32_e64 s0, 1, v5
	s_xor_b32 s70, s0, -1
	s_mov_b32 s0, s1
	s_and_saveexec_b32 s69, s70
; %bb.166:
	v_cmp_gt_f32_e64 s0, v4, v16
	s_delay_alu instid0(VALU_DEP_1) | instskip(NEXT) | instid1(SALU_CYCLE_1)
	s_and_b32 s0, s1, s0
	v_cndmask_b32_e64 v4, v16, v4, s0
	s_or_b32 s0, s1, exec_lo
; %bb.167:
	s_or_b32 exec_lo, exec_lo, s69
	s_delay_alu instid0(SALU_CYCLE_1) | instskip(SKIP_1) | instid1(SALU_CYCLE_1)
	s_and_not1_b32 s1, s1, exec_lo
	s_and_b32 s0, s0, exec_lo
	s_or_b32 s1, s1, s0
	s_or_b32 exec_lo, exec_lo, s42
	s_and_saveexec_b32 s42, s44
	s_cbranch_execz .LBB717_91
.LBB717_168:
	global_load_u8 v5, v[2:3], off offset:768
	s_waitcnt vmcnt(0)
	v_and_b32_e32 v5, 1, v5
	s_delay_alu instid0(VALU_DEP_1) | instskip(NEXT) | instid1(VALU_DEP_1)
	v_cmp_eq_u32_e64 s0, 1, v5
	s_xor_b32 s70, s0, -1
	s_mov_b32 s0, s1
	s_and_saveexec_b32 s69, s70
; %bb.169:
	v_cmp_gt_f32_e64 s0, v4, v15
	s_delay_alu instid0(VALU_DEP_1) | instskip(NEXT) | instid1(SALU_CYCLE_1)
	s_and_b32 s0, s1, s0
	v_cndmask_b32_e64 v4, v15, v4, s0
	s_or_b32 s0, s1, exec_lo
; %bb.170:
	s_or_b32 exec_lo, exec_lo, s69
	s_delay_alu instid0(SALU_CYCLE_1) | instskip(SKIP_1) | instid1(SALU_CYCLE_1)
	s_and_not1_b32 s1, s1, exec_lo
	s_and_b32 s0, s0, exec_lo
	s_or_b32 s1, s1, s0
	s_or_b32 exec_lo, exec_lo, s42
	s_and_saveexec_b32 s42, s43
	s_cbranch_execz .LBB717_92
.LBB717_171:
	global_load_u8 v5, v[2:3], off offset:800
	s_waitcnt vmcnt(0)
	v_and_b32_e32 v5, 1, v5
	s_delay_alu instid0(VALU_DEP_1) | instskip(NEXT) | instid1(VALU_DEP_1)
	v_cmp_eq_u32_e64 s0, 1, v5
	s_xor_b32 s70, s0, -1
	s_mov_b32 s0, s1
	s_and_saveexec_b32 s69, s70
; %bb.172:
	v_cmp_gt_f32_e64 s0, v4, v14
	s_delay_alu instid0(VALU_DEP_1) | instskip(NEXT) | instid1(SALU_CYCLE_1)
	s_and_b32 s0, s1, s0
	v_cndmask_b32_e64 v4, v14, v4, s0
	s_or_b32 s0, s1, exec_lo
; %bb.173:
	s_or_b32 exec_lo, exec_lo, s69
	s_delay_alu instid0(SALU_CYCLE_1) | instskip(SKIP_1) | instid1(SALU_CYCLE_1)
	s_and_not1_b32 s1, s1, exec_lo
	s_and_b32 s0, s0, exec_lo
	s_or_b32 s1, s1, s0
	s_or_b32 exec_lo, exec_lo, s42
	s_and_saveexec_b32 s42, s41
	s_cbranch_execz .LBB717_93
.LBB717_174:
	global_load_u8 v5, v[2:3], off offset:832
	s_waitcnt vmcnt(0)
	v_and_b32_e32 v5, 1, v5
	s_delay_alu instid0(VALU_DEP_1) | instskip(NEXT) | instid1(VALU_DEP_1)
	v_cmp_eq_u32_e64 s0, 1, v5
	s_xor_b32 s70, s0, -1
	s_mov_b32 s0, s1
	s_and_saveexec_b32 s69, s70
; %bb.175:
	v_cmp_gt_f32_e64 s0, v4, v13
	s_delay_alu instid0(VALU_DEP_1) | instskip(NEXT) | instid1(SALU_CYCLE_1)
	s_and_b32 s0, s1, s0
	v_cndmask_b32_e64 v4, v13, v4, s0
	s_or_b32 s0, s1, exec_lo
; %bb.176:
	s_or_b32 exec_lo, exec_lo, s69
	s_delay_alu instid0(SALU_CYCLE_1) | instskip(SKIP_1) | instid1(SALU_CYCLE_1)
	s_and_not1_b32 s1, s1, exec_lo
	s_and_b32 s0, s0, exec_lo
	s_or_b32 s1, s1, s0
	s_or_b32 exec_lo, exec_lo, s42
	s_and_saveexec_b32 s42, s40
	s_cbranch_execz .LBB717_94
.LBB717_177:
	global_load_u8 v5, v[2:3], off offset:864
	s_waitcnt vmcnt(0)
	v_and_b32_e32 v5, 1, v5
	s_delay_alu instid0(VALU_DEP_1) | instskip(NEXT) | instid1(VALU_DEP_1)
	v_cmp_eq_u32_e64 s0, 1, v5
	s_xor_b32 s70, s0, -1
	s_mov_b32 s0, s1
	s_and_saveexec_b32 s69, s70
; %bb.178:
	v_cmp_gt_f32_e64 s0, v4, v12
	s_delay_alu instid0(VALU_DEP_1) | instskip(NEXT) | instid1(SALU_CYCLE_1)
	s_and_b32 s0, s1, s0
	v_cndmask_b32_e64 v4, v12, v4, s0
	s_or_b32 s0, s1, exec_lo
; %bb.179:
	s_or_b32 exec_lo, exec_lo, s69
	s_delay_alu instid0(SALU_CYCLE_1) | instskip(SKIP_1) | instid1(SALU_CYCLE_1)
	s_and_not1_b32 s1, s1, exec_lo
	s_and_b32 s0, s0, exec_lo
	s_or_b32 s1, s1, s0
	s_or_b32 exec_lo, exec_lo, s42
	s_and_saveexec_b32 s42, s39
	s_cbranch_execz .LBB717_95
.LBB717_180:
	global_load_u8 v5, v[2:3], off offset:896
	s_waitcnt vmcnt(0)
	v_and_b32_e32 v5, 1, v5
	s_delay_alu instid0(VALU_DEP_1) | instskip(NEXT) | instid1(VALU_DEP_1)
	v_cmp_eq_u32_e64 s0, 1, v5
	s_xor_b32 s70, s0, -1
	s_mov_b32 s0, s1
	s_and_saveexec_b32 s69, s70
; %bb.181:
	v_cmp_gt_f32_e64 s0, v4, v11
	s_delay_alu instid0(VALU_DEP_1) | instskip(NEXT) | instid1(SALU_CYCLE_1)
	s_and_b32 s0, s1, s0
	v_cndmask_b32_e64 v4, v11, v4, s0
	s_or_b32 s0, s1, exec_lo
; %bb.182:
	s_or_b32 exec_lo, exec_lo, s69
	s_delay_alu instid0(SALU_CYCLE_1) | instskip(SKIP_1) | instid1(SALU_CYCLE_1)
	s_and_not1_b32 s1, s1, exec_lo
	s_and_b32 s0, s0, exec_lo
	s_or_b32 s1, s1, s0
	s_or_b32 exec_lo, exec_lo, s42
	s_and_saveexec_b32 s42, s38
	s_cbranch_execz .LBB717_96
.LBB717_183:
	global_load_u8 v5, v[2:3], off offset:928
	s_waitcnt vmcnt(0)
	v_and_b32_e32 v5, 1, v5
	s_delay_alu instid0(VALU_DEP_1) | instskip(NEXT) | instid1(VALU_DEP_1)
	v_cmp_eq_u32_e64 s0, 1, v5
	s_xor_b32 s70, s0, -1
	s_mov_b32 s0, s1
	s_and_saveexec_b32 s69, s70
; %bb.184:
	v_cmp_gt_f32_e64 s0, v4, v10
	s_delay_alu instid0(VALU_DEP_1) | instskip(NEXT) | instid1(SALU_CYCLE_1)
	s_and_b32 s0, s1, s0
	v_cndmask_b32_e64 v4, v10, v4, s0
	s_or_b32 s0, s1, exec_lo
; %bb.185:
	s_or_b32 exec_lo, exec_lo, s69
	s_delay_alu instid0(SALU_CYCLE_1) | instskip(SKIP_1) | instid1(SALU_CYCLE_1)
	s_and_not1_b32 s1, s1, exec_lo
	s_and_b32 s0, s0, exec_lo
	s_or_b32 s1, s1, s0
	s_or_b32 exec_lo, exec_lo, s42
	s_and_saveexec_b32 s42, s35
	s_cbranch_execz .LBB717_97
.LBB717_186:
	global_load_u8 v5, v[2:3], off offset:960
	s_waitcnt vmcnt(0)
	v_and_b32_e32 v5, 1, v5
	s_delay_alu instid0(VALU_DEP_1) | instskip(NEXT) | instid1(VALU_DEP_1)
	v_cmp_eq_u32_e64 s0, 1, v5
	s_xor_b32 s70, s0, -1
	s_mov_b32 s0, s1
	s_and_saveexec_b32 s69, s70
; %bb.187:
	v_cmp_gt_f32_e64 s0, v4, v9
	s_delay_alu instid0(VALU_DEP_1) | instskip(NEXT) | instid1(SALU_CYCLE_1)
	s_and_b32 s0, s1, s0
	v_cndmask_b32_e64 v4, v9, v4, s0
	s_or_b32 s0, s1, exec_lo
; %bb.188:
	s_or_b32 exec_lo, exec_lo, s69
	s_delay_alu instid0(SALU_CYCLE_1) | instskip(SKIP_1) | instid1(SALU_CYCLE_1)
	s_and_not1_b32 s1, s1, exec_lo
	s_and_b32 s0, s0, exec_lo
	s_or_b32 s1, s1, s0
	s_or_b32 exec_lo, exec_lo, s42
	s_and_saveexec_b32 s42, s34
	s_cbranch_execz .LBB717_192
.LBB717_189:
	global_load_u8 v5, v[2:3], off offset:992
	s_waitcnt vmcnt(0)
	v_and_b32_e32 v5, 1, v5
	s_delay_alu instid0(VALU_DEP_1) | instskip(NEXT) | instid1(VALU_DEP_1)
	v_cmp_eq_u32_e64 s0, 1, v5
	s_xor_b32 s70, s0, -1
	s_mov_b32 s0, s1
	s_and_saveexec_b32 s69, s70
; %bb.190:
	v_cmp_gt_f32_e64 s0, v4, v8
	s_delay_alu instid0(VALU_DEP_1) | instskip(NEXT) | instid1(SALU_CYCLE_1)
	s_and_b32 s0, s1, s0
	v_cndmask_b32_e64 v4, v8, v4, s0
	s_or_b32 s0, s1, exec_lo
; %bb.191:
	s_or_b32 exec_lo, exec_lo, s69
	s_delay_alu instid0(SALU_CYCLE_1) | instskip(SKIP_1) | instid1(SALU_CYCLE_1)
	s_and_not1_b32 s1, s1, exec_lo
	s_and_b32 s0, s0, exec_lo
	s_or_b32 s1, s1, s0
.LBB717_192:
	s_or_b32 exec_lo, exec_lo, s42
	v_mbcnt_lo_u32_b32 v42, -1, 0
	v_cndmask_b32_e64 v4, 0xff800000, v4, s1
	s_delay_alu instid0(VALU_DEP_2) | instskip(SKIP_1) | instid1(VALU_DEP_2)
	v_xor_b32_e32 v5, 16, v42
	v_xor_b32_e32 v6, 8, v42
	v_cmp_gt_i32_e64 s0, 32, v5
	s_delay_alu instid0(VALU_DEP_1) | instskip(NEXT) | instid1(VALU_DEP_3)
	v_cndmask_b32_e64 v5, v42, v5, s0
	v_cmp_gt_i32_e64 s0, 32, v6
	s_delay_alu instid0(VALU_DEP_2) | instskip(NEXT) | instid1(VALU_DEP_2)
	v_lshlrev_b32_e32 v5, 2, v5
	v_cndmask_b32_e64 v6, v42, v6, s0
	ds_bpermute_b32 v40, v5, v4
	v_lshlrev_b32_e32 v6, 2, v6
	s_waitcnt lgkmcnt(0)
	v_cmp_lt_f32_e64 s0, v4, v40
	s_delay_alu instid0(VALU_DEP_1) | instskip(SKIP_3) | instid1(VALU_DEP_1)
	v_cndmask_b32_e64 v4, v4, v40, s0
	v_xor_b32_e32 v40, 4, v42
	ds_bpermute_b32 v41, v6, v4
	v_cmp_gt_i32_e64 s0, 32, v40
	v_cndmask_b32_e64 v40, v42, v40, s0
	s_delay_alu instid0(VALU_DEP_1) | instskip(SKIP_2) | instid1(VALU_DEP_1)
	v_lshlrev_b32_e32 v40, 2, v40
	s_waitcnt lgkmcnt(0)
	v_cmp_lt_f32_e64 s0, v4, v41
	v_cndmask_b32_e64 v4, v4, v41, s0
	v_xor_b32_e32 v41, 2, v42
	ds_bpermute_b32 v43, v40, v4
	v_cmp_gt_i32_e64 s0, 32, v41
	s_delay_alu instid0(VALU_DEP_1) | instskip(NEXT) | instid1(VALU_DEP_1)
	v_cndmask_b32_e64 v41, v42, v41, s0
	v_lshlrev_b32_e32 v41, 2, v41
	s_waitcnt lgkmcnt(0)
	v_cmp_lt_f32_e64 s0, v4, v43
	s_delay_alu instid0(VALU_DEP_1) | instskip(SKIP_3) | instid1(VALU_DEP_1)
	v_cndmask_b32_e64 v4, v4, v43, s0
	v_xor_b32_e32 v43, 1, v42
	ds_bpermute_b32 v44, v41, v4
	v_cmp_gt_i32_e64 s0, 32, v43
	v_cndmask_b32_e64 v42, v42, v43, s0
	s_delay_alu instid0(VALU_DEP_1) | instskip(SKIP_2) | instid1(VALU_DEP_1)
	v_lshlrev_b32_e32 v43, 2, v42
	s_waitcnt lgkmcnt(0)
	v_cmp_lt_f32_e64 s0, v4, v44
	v_cndmask_b32_e64 v42, v4, v44, s0
	v_mov_b32_e32 v4, 0
	ds_bpermute_b32 v44, v43, v42
	s_waitcnt lgkmcnt(0)
	v_cmp_lt_f32_e64 s0, v42, v44
	s_delay_alu instid0(VALU_DEP_1)
	v_cndmask_b32_e64 v44, v42, v44, s0
	v_mov_b32_e32 v42, 0
	s_and_saveexec_b32 s1, s68
	s_cbranch_execz .LBB717_196
; %bb.193:
	global_load_u8 v42, v[2:3], off
	s_waitcnt vmcnt(0)
	v_and_b32_e32 v42, 1, v42
	s_delay_alu instid0(VALU_DEP_1) | instskip(SKIP_1) | instid1(VALU_DEP_2)
	v_cmp_eq_u32_e64 s0, 1, v42
	v_mov_b32_e32 v42, 0
	s_xor_b32 s0, s0, -1
	s_delay_alu instid0(SALU_CYCLE_1)
	s_and_saveexec_b32 s42, s0
	s_cbranch_execz .LBB717_195
; %bb.194:
	v_sub_f32_e32 v39, v39, v44
	s_delay_alu instid0(VALU_DEP_1) | instskip(NEXT) | instid1(VALU_DEP_1)
	v_mul_f32_e32 v42, 0x3fb8aa3b, v39
	v_fma_f32 v45, 0x3fb8aa3b, v39, -v42
	v_rndne_f32_e32 v46, v42
	s_delay_alu instid0(VALU_DEP_1) | instskip(SKIP_1) | instid1(VALU_DEP_2)
	v_dual_sub_f32 v42, v42, v46 :: v_dual_fmamk_f32 v45, v39, 0x32a5705f, v45
	v_cmp_ngt_f32_e64 s0, 0xc2ce8ed0, v39
	v_add_f32_e32 v42, v42, v45
	v_cvt_i32_f32_e32 v45, v46
	s_delay_alu instid0(VALU_DEP_2) | instskip(SKIP_2) | instid1(VALU_DEP_1)
	v_exp_f32_e32 v42, v42
	s_waitcnt_depctr 0xfff
	v_ldexp_f32 v42, v42, v45
	v_cndmask_b32_e64 v42, 0, v42, s0
	v_cmp_nlt_f32_e64 s0, 0x42b17218, v39
	s_delay_alu instid0(VALU_DEP_1)
	v_cndmask_b32_e64 v42, 0x7f800000, v42, s0
.LBB717_195:
	s_or_b32 exec_lo, exec_lo, s42
.LBB717_196:
	s_delay_alu instid0(SALU_CYCLE_1) | instskip(NEXT) | instid1(VALU_DEP_1)
	s_or_b32 exec_lo, exec_lo, s1
	v_mov_b32_e32 v45, v42
	s_and_saveexec_b32 s1, s67
	s_cbranch_execz .LBB717_200
; %bb.197:
	global_load_u8 v4, v[2:3], off offset:32
	s_waitcnt vmcnt(0)
	v_dual_mov_b32 v45, v42 :: v_dual_and_b32 v4, 1, v4
	s_delay_alu instid0(VALU_DEP_1) | instskip(SKIP_1) | instid1(VALU_DEP_2)
	v_cmp_eq_u32_e64 s0, 1, v4
	v_mov_b32_e32 v4, 0
	s_xor_b32 s0, s0, -1
	s_delay_alu instid0(SALU_CYCLE_1)
	s_and_saveexec_b32 s42, s0
	s_cbranch_execz .LBB717_199
; %bb.198:
	v_sub_f32_e32 v4, v38, v44
	s_delay_alu instid0(VALU_DEP_1) | instskip(SKIP_1) | instid1(VALU_DEP_2)
	v_mul_f32_e32 v38, 0x3fb8aa3b, v4
	v_cmp_ngt_f32_e64 s0, 0xc2ce8ed0, v4
	v_fma_f32 v39, 0x3fb8aa3b, v4, -v38
	v_rndne_f32_e32 v45, v38
	s_delay_alu instid0(VALU_DEP_1) | instskip(NEXT) | instid1(VALU_DEP_1)
	v_dual_fmamk_f32 v39, v4, 0x32a5705f, v39 :: v_dual_sub_f32 v38, v38, v45
	v_add_f32_e32 v38, v38, v39
	v_cvt_i32_f32_e32 v39, v45
	s_delay_alu instid0(VALU_DEP_2) | instskip(SKIP_2) | instid1(VALU_DEP_1)
	v_exp_f32_e32 v38, v38
	s_waitcnt_depctr 0xfff
	v_ldexp_f32 v38, v38, v39
	v_cndmask_b32_e64 v38, 0, v38, s0
	v_cmp_nlt_f32_e64 s0, 0x42b17218, v4
	s_delay_alu instid0(VALU_DEP_1) | instskip(NEXT) | instid1(VALU_DEP_1)
	v_cndmask_b32_e64 v4, 0x7f800000, v38, s0
	v_add_f32_e32 v45, v42, v4
.LBB717_199:
	s_or_b32 exec_lo, exec_lo, s42
.LBB717_200:
	s_delay_alu instid0(SALU_CYCLE_1)
	s_or_b32 exec_lo, exec_lo, s1
	v_dual_mov_b32 v38, 0 :: v_dual_mov_b32 v39, 0
	s_and_saveexec_b32 s1, s66
	s_cbranch_execz .LBB717_204
; %bb.201:
	global_load_u8 v39, v[2:3], off offset:64
	s_waitcnt vmcnt(0)
	v_and_b32_e32 v39, 1, v39
	s_delay_alu instid0(VALU_DEP_1) | instskip(SKIP_1) | instid1(VALU_DEP_2)
	v_cmp_eq_u32_e64 s0, 1, v39
	v_mov_b32_e32 v39, 0
	s_xor_b32 s0, s0, -1
	s_delay_alu instid0(SALU_CYCLE_1)
	s_and_saveexec_b32 s42, s0
	s_cbranch_execz .LBB717_203
; %bb.202:
	v_sub_f32_e32 v37, v37, v44
	s_delay_alu instid0(VALU_DEP_1) | instskip(SKIP_1) | instid1(VALU_DEP_2)
	v_mul_f32_e32 v39, 0x3fb8aa3b, v37
	v_cmp_ngt_f32_e64 s0, 0xc2ce8ed0, v37
	v_fma_f32 v46, 0x3fb8aa3b, v37, -v39
	v_rndne_f32_e32 v47, v39
	s_delay_alu instid0(VALU_DEP_1) | instskip(NEXT) | instid1(VALU_DEP_1)
	v_dual_fmamk_f32 v46, v37, 0x32a5705f, v46 :: v_dual_sub_f32 v39, v39, v47
	v_add_f32_e32 v39, v39, v46
	v_cvt_i32_f32_e32 v46, v47
	s_delay_alu instid0(VALU_DEP_2) | instskip(SKIP_2) | instid1(VALU_DEP_1)
	v_exp_f32_e32 v39, v39
	s_waitcnt_depctr 0xfff
	v_ldexp_f32 v39, v39, v46
	v_cndmask_b32_e64 v39, 0, v39, s0
	v_cmp_nlt_f32_e64 s0, 0x42b17218, v37
	s_delay_alu instid0(VALU_DEP_1) | instskip(NEXT) | instid1(VALU_DEP_1)
	v_cndmask_b32_e64 v39, 0x7f800000, v39, s0
	v_add_f32_e32 v45, v45, v39
.LBB717_203:
	s_or_b32 exec_lo, exec_lo, s42
.LBB717_204:
	s_delay_alu instid0(SALU_CYCLE_1)
	s_or_b32 exec_lo, exec_lo, s1
	s_and_saveexec_b32 s1, s65
	s_cbranch_execz .LBB717_208
; %bb.205:
	global_load_u8 v37, v[2:3], off offset:96
	s_waitcnt vmcnt(0)
	v_dual_mov_b32 v38, 0 :: v_dual_and_b32 v37, 1, v37
	s_delay_alu instid0(VALU_DEP_1) | instskip(NEXT) | instid1(VALU_DEP_1)
	v_cmp_eq_u32_e64 s0, 1, v37
	s_xor_b32 s0, s0, -1
	s_delay_alu instid0(SALU_CYCLE_1)
	s_and_saveexec_b32 s42, s0
	s_cbranch_execz .LBB717_207
; %bb.206:
	v_sub_f32_e32 v36, v36, v44
	s_delay_alu instid0(VALU_DEP_1) | instskip(NEXT) | instid1(VALU_DEP_1)
	v_mul_f32_e32 v37, 0x3fb8aa3b, v36
	v_fma_f32 v38, 0x3fb8aa3b, v36, -v37
	v_rndne_f32_e32 v46, v37
	s_delay_alu instid0(VALU_DEP_1) | instskip(SKIP_1) | instid1(VALU_DEP_2)
	v_dual_sub_f32 v37, v37, v46 :: v_dual_fmamk_f32 v38, v36, 0x32a5705f, v38
	v_cmp_ngt_f32_e64 s0, 0xc2ce8ed0, v36
	v_add_f32_e32 v37, v37, v38
	v_cvt_i32_f32_e32 v38, v46
	s_delay_alu instid0(VALU_DEP_2) | instskip(SKIP_2) | instid1(VALU_DEP_1)
	v_exp_f32_e32 v37, v37
	s_waitcnt_depctr 0xfff
	v_ldexp_f32 v37, v37, v38
	v_cndmask_b32_e64 v37, 0, v37, s0
	v_cmp_nlt_f32_e64 s0, 0x42b17218, v36
	s_delay_alu instid0(VALU_DEP_1) | instskip(NEXT) | instid1(VALU_DEP_1)
	v_cndmask_b32_e64 v38, 0x7f800000, v37, s0
	v_add_f32_e32 v45, v45, v38
.LBB717_207:
	s_or_b32 exec_lo, exec_lo, s42
.LBB717_208:
	s_delay_alu instid0(SALU_CYCLE_1)
	s_or_b32 exec_lo, exec_lo, s1
	v_dual_mov_b32 v36, 0 :: v_dual_mov_b32 v37, 0
	s_and_saveexec_b32 s1, s64
	s_cbranch_execz .LBB717_212
; %bb.209:
	global_load_u8 v37, v[2:3], off offset:128
	s_waitcnt vmcnt(0)
	v_and_b32_e32 v37, 1, v37
	s_delay_alu instid0(VALU_DEP_1) | instskip(SKIP_1) | instid1(VALU_DEP_2)
	v_cmp_eq_u32_e64 s0, 1, v37
	v_mov_b32_e32 v37, 0
	s_xor_b32 s0, s0, -1
	s_delay_alu instid0(SALU_CYCLE_1)
	s_and_saveexec_b32 s42, s0
	s_cbranch_execz .LBB717_211
; %bb.210:
	v_sub_f32_e32 v35, v35, v44
	s_delay_alu instid0(VALU_DEP_1) | instskip(SKIP_1) | instid1(VALU_DEP_2)
	v_mul_f32_e32 v37, 0x3fb8aa3b, v35
	v_cmp_ngt_f32_e64 s0, 0xc2ce8ed0, v35
	v_fma_f32 v46, 0x3fb8aa3b, v35, -v37
	v_rndne_f32_e32 v47, v37
	s_delay_alu instid0(VALU_DEP_1) | instskip(NEXT) | instid1(VALU_DEP_1)
	v_dual_fmamk_f32 v46, v35, 0x32a5705f, v46 :: v_dual_sub_f32 v37, v37, v47
	v_add_f32_e32 v37, v37, v46
	v_cvt_i32_f32_e32 v46, v47
	s_delay_alu instid0(VALU_DEP_2) | instskip(SKIP_2) | instid1(VALU_DEP_1)
	v_exp_f32_e32 v37, v37
	s_waitcnt_depctr 0xfff
	v_ldexp_f32 v37, v37, v46
	v_cndmask_b32_e64 v37, 0, v37, s0
	v_cmp_nlt_f32_e64 s0, 0x42b17218, v35
	s_delay_alu instid0(VALU_DEP_1) | instskip(NEXT) | instid1(VALU_DEP_1)
	v_cndmask_b32_e64 v37, 0x7f800000, v37, s0
	v_add_f32_e32 v45, v45, v37
.LBB717_211:
	s_or_b32 exec_lo, exec_lo, s42
.LBB717_212:
	s_delay_alu instid0(SALU_CYCLE_1)
	s_or_b32 exec_lo, exec_lo, s1
	s_and_saveexec_b32 s1, s63
	s_cbranch_execz .LBB717_216
; %bb.213:
	global_load_u8 v35, v[2:3], off offset:160
	s_waitcnt vmcnt(0)
	v_dual_mov_b32 v36, 0 :: v_dual_and_b32 v35, 1, v35
	s_delay_alu instid0(VALU_DEP_1) | instskip(NEXT) | instid1(VALU_DEP_1)
	v_cmp_eq_u32_e64 s0, 1, v35
	s_xor_b32 s0, s0, -1
	s_delay_alu instid0(SALU_CYCLE_1)
	s_and_saveexec_b32 s42, s0
	s_cbranch_execz .LBB717_215
; %bb.214:
	v_sub_f32_e32 v34, v34, v44
	s_delay_alu instid0(VALU_DEP_1) | instskip(NEXT) | instid1(VALU_DEP_1)
	v_mul_f32_e32 v35, 0x3fb8aa3b, v34
	v_fma_f32 v36, 0x3fb8aa3b, v34, -v35
	v_rndne_f32_e32 v46, v35
	s_delay_alu instid0(VALU_DEP_1) | instskip(SKIP_1) | instid1(VALU_DEP_2)
	v_dual_sub_f32 v35, v35, v46 :: v_dual_fmamk_f32 v36, v34, 0x32a5705f, v36
	v_cmp_ngt_f32_e64 s0, 0xc2ce8ed0, v34
	v_add_f32_e32 v35, v35, v36
	v_cvt_i32_f32_e32 v36, v46
	s_delay_alu instid0(VALU_DEP_2) | instskip(SKIP_2) | instid1(VALU_DEP_1)
	v_exp_f32_e32 v35, v35
	s_waitcnt_depctr 0xfff
	v_ldexp_f32 v35, v35, v36
	v_cndmask_b32_e64 v35, 0, v35, s0
	v_cmp_nlt_f32_e64 s0, 0x42b17218, v34
	s_delay_alu instid0(VALU_DEP_1) | instskip(NEXT) | instid1(VALU_DEP_1)
	v_cndmask_b32_e64 v36, 0x7f800000, v35, s0
	v_add_f32_e32 v45, v45, v36
.LBB717_215:
	s_or_b32 exec_lo, exec_lo, s42
.LBB717_216:
	s_delay_alu instid0(SALU_CYCLE_1)
	s_or_b32 exec_lo, exec_lo, s1
	v_dual_mov_b32 v34, 0 :: v_dual_mov_b32 v35, 0
	s_and_saveexec_b32 s1, s62
	s_cbranch_execz .LBB717_220
; %bb.217:
	global_load_u8 v35, v[2:3], off offset:192
	s_waitcnt vmcnt(0)
	v_and_b32_e32 v35, 1, v35
	s_delay_alu instid0(VALU_DEP_1) | instskip(SKIP_1) | instid1(VALU_DEP_2)
	v_cmp_eq_u32_e64 s0, 1, v35
	v_mov_b32_e32 v35, 0
	s_xor_b32 s0, s0, -1
	s_delay_alu instid0(SALU_CYCLE_1)
	s_and_saveexec_b32 s42, s0
	s_cbranch_execz .LBB717_219
; %bb.218:
	v_sub_f32_e32 v33, v33, v44
	s_delay_alu instid0(VALU_DEP_1) | instskip(SKIP_1) | instid1(VALU_DEP_2)
	v_mul_f32_e32 v35, 0x3fb8aa3b, v33
	v_cmp_ngt_f32_e64 s0, 0xc2ce8ed0, v33
	v_fma_f32 v46, 0x3fb8aa3b, v33, -v35
	v_rndne_f32_e32 v47, v35
	s_delay_alu instid0(VALU_DEP_1) | instskip(NEXT) | instid1(VALU_DEP_1)
	v_dual_fmamk_f32 v46, v33, 0x32a5705f, v46 :: v_dual_sub_f32 v35, v35, v47
	v_add_f32_e32 v35, v35, v46
	v_cvt_i32_f32_e32 v46, v47
	s_delay_alu instid0(VALU_DEP_2) | instskip(SKIP_2) | instid1(VALU_DEP_1)
	v_exp_f32_e32 v35, v35
	s_waitcnt_depctr 0xfff
	v_ldexp_f32 v35, v35, v46
	v_cndmask_b32_e64 v35, 0, v35, s0
	v_cmp_nlt_f32_e64 s0, 0x42b17218, v33
	s_delay_alu instid0(VALU_DEP_1) | instskip(NEXT) | instid1(VALU_DEP_1)
	v_cndmask_b32_e64 v35, 0x7f800000, v35, s0
	v_add_f32_e32 v45, v45, v35
.LBB717_219:
	s_or_b32 exec_lo, exec_lo, s42
.LBB717_220:
	s_delay_alu instid0(SALU_CYCLE_1)
	s_or_b32 exec_lo, exec_lo, s1
	s_and_saveexec_b32 s1, s61
	s_cbranch_execz .LBB717_224
; %bb.221:
	global_load_u8 v33, v[2:3], off offset:224
	s_waitcnt vmcnt(0)
	v_dual_mov_b32 v34, 0 :: v_dual_and_b32 v33, 1, v33
	s_delay_alu instid0(VALU_DEP_1) | instskip(NEXT) | instid1(VALU_DEP_1)
	v_cmp_eq_u32_e64 s0, 1, v33
	s_xor_b32 s0, s0, -1
	s_delay_alu instid0(SALU_CYCLE_1)
	s_and_saveexec_b32 s42, s0
	s_cbranch_execz .LBB717_223
; %bb.222:
	v_sub_f32_e32 v32, v32, v44
	s_delay_alu instid0(VALU_DEP_1) | instskip(NEXT) | instid1(VALU_DEP_1)
	v_mul_f32_e32 v33, 0x3fb8aa3b, v32
	v_fma_f32 v34, 0x3fb8aa3b, v32, -v33
	v_rndne_f32_e32 v46, v33
	s_delay_alu instid0(VALU_DEP_1) | instskip(SKIP_1) | instid1(VALU_DEP_2)
	v_dual_sub_f32 v33, v33, v46 :: v_dual_fmamk_f32 v34, v32, 0x32a5705f, v34
	v_cmp_ngt_f32_e64 s0, 0xc2ce8ed0, v32
	v_add_f32_e32 v33, v33, v34
	v_cvt_i32_f32_e32 v34, v46
	s_delay_alu instid0(VALU_DEP_2) | instskip(SKIP_2) | instid1(VALU_DEP_1)
	v_exp_f32_e32 v33, v33
	s_waitcnt_depctr 0xfff
	v_ldexp_f32 v33, v33, v34
	v_cndmask_b32_e64 v33, 0, v33, s0
	v_cmp_nlt_f32_e64 s0, 0x42b17218, v32
	s_delay_alu instid0(VALU_DEP_1) | instskip(NEXT) | instid1(VALU_DEP_1)
	v_cndmask_b32_e64 v34, 0x7f800000, v33, s0
	v_add_f32_e32 v45, v45, v34
.LBB717_223:
	s_or_b32 exec_lo, exec_lo, s42
.LBB717_224:
	s_delay_alu instid0(SALU_CYCLE_1)
	s_or_b32 exec_lo, exec_lo, s1
	v_dual_mov_b32 v32, 0 :: v_dual_mov_b32 v33, 0
	s_and_saveexec_b32 s1, s60
	s_cbranch_execz .LBB717_228
; %bb.225:
	global_load_u8 v33, v[2:3], off offset:256
	s_waitcnt vmcnt(0)
	v_and_b32_e32 v33, 1, v33
	s_delay_alu instid0(VALU_DEP_1) | instskip(SKIP_1) | instid1(VALU_DEP_2)
	v_cmp_eq_u32_e64 s0, 1, v33
	v_mov_b32_e32 v33, 0
	s_xor_b32 s0, s0, -1
	s_delay_alu instid0(SALU_CYCLE_1)
	s_and_saveexec_b32 s42, s0
	s_cbranch_execz .LBB717_227
; %bb.226:
	v_sub_f32_e32 v31, v31, v44
	s_delay_alu instid0(VALU_DEP_1) | instskip(SKIP_1) | instid1(VALU_DEP_2)
	v_mul_f32_e32 v33, 0x3fb8aa3b, v31
	v_cmp_ngt_f32_e64 s0, 0xc2ce8ed0, v31
	v_fma_f32 v46, 0x3fb8aa3b, v31, -v33
	v_rndne_f32_e32 v47, v33
	s_delay_alu instid0(VALU_DEP_1) | instskip(NEXT) | instid1(VALU_DEP_1)
	v_dual_fmamk_f32 v46, v31, 0x32a5705f, v46 :: v_dual_sub_f32 v33, v33, v47
	v_add_f32_e32 v33, v33, v46
	v_cvt_i32_f32_e32 v46, v47
	s_delay_alu instid0(VALU_DEP_2) | instskip(SKIP_2) | instid1(VALU_DEP_1)
	v_exp_f32_e32 v33, v33
	s_waitcnt_depctr 0xfff
	v_ldexp_f32 v33, v33, v46
	v_cndmask_b32_e64 v33, 0, v33, s0
	v_cmp_nlt_f32_e64 s0, 0x42b17218, v31
	s_delay_alu instid0(VALU_DEP_1) | instskip(NEXT) | instid1(VALU_DEP_1)
	v_cndmask_b32_e64 v33, 0x7f800000, v33, s0
	v_add_f32_e32 v45, v45, v33
.LBB717_227:
	s_or_b32 exec_lo, exec_lo, s42
.LBB717_228:
	s_delay_alu instid0(SALU_CYCLE_1)
	s_or_b32 exec_lo, exec_lo, s1
	s_and_saveexec_b32 s1, s59
	s_cbranch_execz .LBB717_232
; %bb.229:
	global_load_u8 v31, v[2:3], off offset:288
	s_waitcnt vmcnt(0)
	v_dual_mov_b32 v32, 0 :: v_dual_and_b32 v31, 1, v31
	s_delay_alu instid0(VALU_DEP_1) | instskip(NEXT) | instid1(VALU_DEP_1)
	v_cmp_eq_u32_e64 s0, 1, v31
	s_xor_b32 s0, s0, -1
	s_delay_alu instid0(SALU_CYCLE_1)
	s_and_saveexec_b32 s42, s0
	s_cbranch_execz .LBB717_231
; %bb.230:
	v_sub_f32_e32 v30, v30, v44
	s_delay_alu instid0(VALU_DEP_1) | instskip(NEXT) | instid1(VALU_DEP_1)
	v_mul_f32_e32 v31, 0x3fb8aa3b, v30
	v_fma_f32 v32, 0x3fb8aa3b, v30, -v31
	v_rndne_f32_e32 v46, v31
	s_delay_alu instid0(VALU_DEP_1) | instskip(SKIP_1) | instid1(VALU_DEP_2)
	v_dual_sub_f32 v31, v31, v46 :: v_dual_fmamk_f32 v32, v30, 0x32a5705f, v32
	v_cmp_ngt_f32_e64 s0, 0xc2ce8ed0, v30
	v_add_f32_e32 v31, v31, v32
	v_cvt_i32_f32_e32 v32, v46
	s_delay_alu instid0(VALU_DEP_2) | instskip(SKIP_2) | instid1(VALU_DEP_1)
	v_exp_f32_e32 v31, v31
	s_waitcnt_depctr 0xfff
	v_ldexp_f32 v31, v31, v32
	v_cndmask_b32_e64 v31, 0, v31, s0
	v_cmp_nlt_f32_e64 s0, 0x42b17218, v30
	s_delay_alu instid0(VALU_DEP_1) | instskip(NEXT) | instid1(VALU_DEP_1)
	v_cndmask_b32_e64 v32, 0x7f800000, v31, s0
	v_add_f32_e32 v45, v45, v32
.LBB717_231:
	s_or_b32 exec_lo, exec_lo, s42
.LBB717_232:
	s_delay_alu instid0(SALU_CYCLE_1)
	s_or_b32 exec_lo, exec_lo, s1
	v_dual_mov_b32 v30, 0 :: v_dual_mov_b32 v31, 0
	s_and_saveexec_b32 s1, s58
	s_cbranch_execz .LBB717_236
; %bb.233:
	global_load_u8 v31, v[2:3], off offset:320
	s_waitcnt vmcnt(0)
	v_and_b32_e32 v31, 1, v31
	s_delay_alu instid0(VALU_DEP_1) | instskip(SKIP_1) | instid1(VALU_DEP_2)
	v_cmp_eq_u32_e64 s0, 1, v31
	v_mov_b32_e32 v31, 0
	s_xor_b32 s0, s0, -1
	s_delay_alu instid0(SALU_CYCLE_1)
	s_and_saveexec_b32 s42, s0
	s_cbranch_execz .LBB717_235
; %bb.234:
	v_sub_f32_e32 v29, v29, v44
	s_delay_alu instid0(VALU_DEP_1) | instskip(SKIP_1) | instid1(VALU_DEP_2)
	v_mul_f32_e32 v31, 0x3fb8aa3b, v29
	v_cmp_ngt_f32_e64 s0, 0xc2ce8ed0, v29
	v_fma_f32 v46, 0x3fb8aa3b, v29, -v31
	v_rndne_f32_e32 v47, v31
	s_delay_alu instid0(VALU_DEP_1) | instskip(NEXT) | instid1(VALU_DEP_1)
	v_dual_fmamk_f32 v46, v29, 0x32a5705f, v46 :: v_dual_sub_f32 v31, v31, v47
	v_add_f32_e32 v31, v31, v46
	v_cvt_i32_f32_e32 v46, v47
	s_delay_alu instid0(VALU_DEP_2) | instskip(SKIP_2) | instid1(VALU_DEP_1)
	v_exp_f32_e32 v31, v31
	s_waitcnt_depctr 0xfff
	v_ldexp_f32 v31, v31, v46
	v_cndmask_b32_e64 v31, 0, v31, s0
	v_cmp_nlt_f32_e64 s0, 0x42b17218, v29
	s_delay_alu instid0(VALU_DEP_1) | instskip(NEXT) | instid1(VALU_DEP_1)
	v_cndmask_b32_e64 v31, 0x7f800000, v31, s0
	v_add_f32_e32 v45, v45, v31
.LBB717_235:
	s_or_b32 exec_lo, exec_lo, s42
.LBB717_236:
	s_delay_alu instid0(SALU_CYCLE_1)
	s_or_b32 exec_lo, exec_lo, s1
	s_and_saveexec_b32 s1, s57
	s_cbranch_execz .LBB717_240
; %bb.237:
	global_load_u8 v29, v[2:3], off offset:352
	s_waitcnt vmcnt(0)
	v_dual_mov_b32 v30, 0 :: v_dual_and_b32 v29, 1, v29
	s_delay_alu instid0(VALU_DEP_1) | instskip(NEXT) | instid1(VALU_DEP_1)
	v_cmp_eq_u32_e64 s0, 1, v29
	s_xor_b32 s0, s0, -1
	s_delay_alu instid0(SALU_CYCLE_1)
	s_and_saveexec_b32 s42, s0
	s_cbranch_execz .LBB717_239
; %bb.238:
	v_sub_f32_e32 v28, v28, v44
	s_delay_alu instid0(VALU_DEP_1) | instskip(NEXT) | instid1(VALU_DEP_1)
	v_mul_f32_e32 v29, 0x3fb8aa3b, v28
	v_fma_f32 v30, 0x3fb8aa3b, v28, -v29
	v_rndne_f32_e32 v46, v29
	s_delay_alu instid0(VALU_DEP_1) | instskip(SKIP_1) | instid1(VALU_DEP_2)
	v_dual_sub_f32 v29, v29, v46 :: v_dual_fmamk_f32 v30, v28, 0x32a5705f, v30
	v_cmp_ngt_f32_e64 s0, 0xc2ce8ed0, v28
	v_add_f32_e32 v29, v29, v30
	v_cvt_i32_f32_e32 v30, v46
	s_delay_alu instid0(VALU_DEP_2) | instskip(SKIP_2) | instid1(VALU_DEP_1)
	v_exp_f32_e32 v29, v29
	s_waitcnt_depctr 0xfff
	v_ldexp_f32 v29, v29, v30
	v_cndmask_b32_e64 v29, 0, v29, s0
	v_cmp_nlt_f32_e64 s0, 0x42b17218, v28
	s_delay_alu instid0(VALU_DEP_1) | instskip(NEXT) | instid1(VALU_DEP_1)
	v_cndmask_b32_e64 v30, 0x7f800000, v29, s0
	v_add_f32_e32 v45, v45, v30
.LBB717_239:
	s_or_b32 exec_lo, exec_lo, s42
.LBB717_240:
	s_delay_alu instid0(SALU_CYCLE_1)
	s_or_b32 exec_lo, exec_lo, s1
	v_dual_mov_b32 v28, 0 :: v_dual_mov_b32 v29, 0
	s_and_saveexec_b32 s1, s56
	s_cbranch_execz .LBB717_244
; %bb.241:
	global_load_u8 v29, v[2:3], off offset:384
	s_waitcnt vmcnt(0)
	v_and_b32_e32 v29, 1, v29
	s_delay_alu instid0(VALU_DEP_1) | instskip(SKIP_1) | instid1(VALU_DEP_2)
	v_cmp_eq_u32_e64 s0, 1, v29
	v_mov_b32_e32 v29, 0
	s_xor_b32 s0, s0, -1
	s_delay_alu instid0(SALU_CYCLE_1)
	s_and_saveexec_b32 s42, s0
	s_cbranch_execz .LBB717_243
; %bb.242:
	v_sub_f32_e32 v27, v27, v44
	s_delay_alu instid0(VALU_DEP_1) | instskip(SKIP_1) | instid1(VALU_DEP_2)
	v_mul_f32_e32 v29, 0x3fb8aa3b, v27
	v_cmp_ngt_f32_e64 s0, 0xc2ce8ed0, v27
	v_fma_f32 v46, 0x3fb8aa3b, v27, -v29
	v_rndne_f32_e32 v47, v29
	s_delay_alu instid0(VALU_DEP_1) | instskip(NEXT) | instid1(VALU_DEP_1)
	v_dual_fmamk_f32 v46, v27, 0x32a5705f, v46 :: v_dual_sub_f32 v29, v29, v47
	v_add_f32_e32 v29, v29, v46
	v_cvt_i32_f32_e32 v46, v47
	s_delay_alu instid0(VALU_DEP_2) | instskip(SKIP_2) | instid1(VALU_DEP_1)
	v_exp_f32_e32 v29, v29
	s_waitcnt_depctr 0xfff
	v_ldexp_f32 v29, v29, v46
	v_cndmask_b32_e64 v29, 0, v29, s0
	v_cmp_nlt_f32_e64 s0, 0x42b17218, v27
	s_delay_alu instid0(VALU_DEP_1) | instskip(NEXT) | instid1(VALU_DEP_1)
	v_cndmask_b32_e64 v29, 0x7f800000, v29, s0
	v_add_f32_e32 v45, v45, v29
.LBB717_243:
	s_or_b32 exec_lo, exec_lo, s42
.LBB717_244:
	s_delay_alu instid0(SALU_CYCLE_1)
	s_or_b32 exec_lo, exec_lo, s1
	s_and_saveexec_b32 s1, s55
	s_cbranch_execz .LBB717_248
; %bb.245:
	global_load_u8 v27, v[2:3], off offset:416
	s_waitcnt vmcnt(0)
	v_dual_mov_b32 v28, 0 :: v_dual_and_b32 v27, 1, v27
	s_delay_alu instid0(VALU_DEP_1) | instskip(NEXT) | instid1(VALU_DEP_1)
	v_cmp_eq_u32_e64 s0, 1, v27
	s_xor_b32 s0, s0, -1
	s_delay_alu instid0(SALU_CYCLE_1)
	s_and_saveexec_b32 s42, s0
	s_cbranch_execz .LBB717_247
; %bb.246:
	v_sub_f32_e32 v26, v26, v44
	s_delay_alu instid0(VALU_DEP_1) | instskip(NEXT) | instid1(VALU_DEP_1)
	v_mul_f32_e32 v27, 0x3fb8aa3b, v26
	v_fma_f32 v28, 0x3fb8aa3b, v26, -v27
	v_rndne_f32_e32 v46, v27
	s_delay_alu instid0(VALU_DEP_1) | instskip(SKIP_1) | instid1(VALU_DEP_2)
	v_dual_sub_f32 v27, v27, v46 :: v_dual_fmamk_f32 v28, v26, 0x32a5705f, v28
	v_cmp_ngt_f32_e64 s0, 0xc2ce8ed0, v26
	v_add_f32_e32 v27, v27, v28
	v_cvt_i32_f32_e32 v28, v46
	s_delay_alu instid0(VALU_DEP_2) | instskip(SKIP_2) | instid1(VALU_DEP_1)
	v_exp_f32_e32 v27, v27
	s_waitcnt_depctr 0xfff
	v_ldexp_f32 v27, v27, v28
	v_cndmask_b32_e64 v27, 0, v27, s0
	v_cmp_nlt_f32_e64 s0, 0x42b17218, v26
	s_delay_alu instid0(VALU_DEP_1) | instskip(NEXT) | instid1(VALU_DEP_1)
	v_cndmask_b32_e64 v28, 0x7f800000, v27, s0
	v_add_f32_e32 v45, v45, v28
.LBB717_247:
	s_or_b32 exec_lo, exec_lo, s42
.LBB717_248:
	s_delay_alu instid0(SALU_CYCLE_1)
	s_or_b32 exec_lo, exec_lo, s1
	v_dual_mov_b32 v26, 0 :: v_dual_mov_b32 v27, 0
	s_and_saveexec_b32 s1, s54
	s_cbranch_execz .LBB717_252
; %bb.249:
	global_load_u8 v27, v[2:3], off offset:448
	s_waitcnt vmcnt(0)
	v_and_b32_e32 v27, 1, v27
	s_delay_alu instid0(VALU_DEP_1) | instskip(SKIP_1) | instid1(VALU_DEP_2)
	v_cmp_eq_u32_e64 s0, 1, v27
	v_mov_b32_e32 v27, 0
	s_xor_b32 s0, s0, -1
	s_delay_alu instid0(SALU_CYCLE_1)
	s_and_saveexec_b32 s42, s0
	s_cbranch_execz .LBB717_251
; %bb.250:
	v_sub_f32_e32 v25, v25, v44
	s_delay_alu instid0(VALU_DEP_1) | instskip(SKIP_1) | instid1(VALU_DEP_2)
	v_mul_f32_e32 v27, 0x3fb8aa3b, v25
	v_cmp_ngt_f32_e64 s0, 0xc2ce8ed0, v25
	v_fma_f32 v46, 0x3fb8aa3b, v25, -v27
	v_rndne_f32_e32 v47, v27
	s_delay_alu instid0(VALU_DEP_1) | instskip(NEXT) | instid1(VALU_DEP_1)
	v_dual_fmamk_f32 v46, v25, 0x32a5705f, v46 :: v_dual_sub_f32 v27, v27, v47
	v_add_f32_e32 v27, v27, v46
	v_cvt_i32_f32_e32 v46, v47
	s_delay_alu instid0(VALU_DEP_2) | instskip(SKIP_2) | instid1(VALU_DEP_1)
	v_exp_f32_e32 v27, v27
	s_waitcnt_depctr 0xfff
	v_ldexp_f32 v27, v27, v46
	v_cndmask_b32_e64 v27, 0, v27, s0
	v_cmp_nlt_f32_e64 s0, 0x42b17218, v25
	s_delay_alu instid0(VALU_DEP_1) | instskip(NEXT) | instid1(VALU_DEP_1)
	v_cndmask_b32_e64 v27, 0x7f800000, v27, s0
	v_add_f32_e32 v45, v45, v27
.LBB717_251:
	s_or_b32 exec_lo, exec_lo, s42
.LBB717_252:
	s_delay_alu instid0(SALU_CYCLE_1)
	s_or_b32 exec_lo, exec_lo, s1
	s_and_saveexec_b32 s1, s53
	s_cbranch_execz .LBB717_256
; %bb.253:
	global_load_u8 v25, v[2:3], off offset:480
	s_waitcnt vmcnt(0)
	v_dual_mov_b32 v26, 0 :: v_dual_and_b32 v25, 1, v25
	s_delay_alu instid0(VALU_DEP_1) | instskip(NEXT) | instid1(VALU_DEP_1)
	v_cmp_eq_u32_e64 s0, 1, v25
	s_xor_b32 s0, s0, -1
	s_delay_alu instid0(SALU_CYCLE_1)
	s_and_saveexec_b32 s42, s0
	s_cbranch_execz .LBB717_255
; %bb.254:
	v_sub_f32_e32 v24, v24, v44
	s_delay_alu instid0(VALU_DEP_1) | instskip(NEXT) | instid1(VALU_DEP_1)
	v_mul_f32_e32 v25, 0x3fb8aa3b, v24
	v_fma_f32 v26, 0x3fb8aa3b, v24, -v25
	v_rndne_f32_e32 v46, v25
	s_delay_alu instid0(VALU_DEP_1) | instskip(SKIP_1) | instid1(VALU_DEP_2)
	v_dual_sub_f32 v25, v25, v46 :: v_dual_fmamk_f32 v26, v24, 0x32a5705f, v26
	v_cmp_ngt_f32_e64 s0, 0xc2ce8ed0, v24
	v_add_f32_e32 v25, v25, v26
	v_cvt_i32_f32_e32 v26, v46
	s_delay_alu instid0(VALU_DEP_2) | instskip(SKIP_2) | instid1(VALU_DEP_1)
	v_exp_f32_e32 v25, v25
	s_waitcnt_depctr 0xfff
	v_ldexp_f32 v25, v25, v26
	v_cndmask_b32_e64 v25, 0, v25, s0
	v_cmp_nlt_f32_e64 s0, 0x42b17218, v24
	s_delay_alu instid0(VALU_DEP_1) | instskip(NEXT) | instid1(VALU_DEP_1)
	v_cndmask_b32_e64 v26, 0x7f800000, v25, s0
	v_add_f32_e32 v45, v45, v26
.LBB717_255:
	s_or_b32 exec_lo, exec_lo, s42
.LBB717_256:
	s_delay_alu instid0(SALU_CYCLE_1)
	s_or_b32 exec_lo, exec_lo, s1
	v_dual_mov_b32 v24, 0 :: v_dual_mov_b32 v25, 0
	s_and_saveexec_b32 s1, s52
	s_cbranch_execz .LBB717_260
; %bb.257:
	global_load_u8 v25, v[2:3], off offset:512
	s_waitcnt vmcnt(0)
	v_and_b32_e32 v25, 1, v25
	s_delay_alu instid0(VALU_DEP_1) | instskip(SKIP_1) | instid1(VALU_DEP_2)
	v_cmp_eq_u32_e64 s0, 1, v25
	v_mov_b32_e32 v25, 0
	s_xor_b32 s0, s0, -1
	s_delay_alu instid0(SALU_CYCLE_1)
	s_and_saveexec_b32 s42, s0
	s_cbranch_execz .LBB717_259
; %bb.258:
	v_sub_f32_e32 v23, v23, v44
	s_delay_alu instid0(VALU_DEP_1) | instskip(SKIP_1) | instid1(VALU_DEP_2)
	v_mul_f32_e32 v25, 0x3fb8aa3b, v23
	v_cmp_ngt_f32_e64 s0, 0xc2ce8ed0, v23
	v_fma_f32 v46, 0x3fb8aa3b, v23, -v25
	v_rndne_f32_e32 v47, v25
	s_delay_alu instid0(VALU_DEP_1) | instskip(NEXT) | instid1(VALU_DEP_1)
	v_dual_fmamk_f32 v46, v23, 0x32a5705f, v46 :: v_dual_sub_f32 v25, v25, v47
	v_add_f32_e32 v25, v25, v46
	v_cvt_i32_f32_e32 v46, v47
	s_delay_alu instid0(VALU_DEP_2) | instskip(SKIP_2) | instid1(VALU_DEP_1)
	v_exp_f32_e32 v25, v25
	s_waitcnt_depctr 0xfff
	v_ldexp_f32 v25, v25, v46
	v_cndmask_b32_e64 v25, 0, v25, s0
	v_cmp_nlt_f32_e64 s0, 0x42b17218, v23
	s_delay_alu instid0(VALU_DEP_1) | instskip(NEXT) | instid1(VALU_DEP_1)
	v_cndmask_b32_e64 v25, 0x7f800000, v25, s0
	v_add_f32_e32 v45, v45, v25
.LBB717_259:
	s_or_b32 exec_lo, exec_lo, s42
.LBB717_260:
	s_delay_alu instid0(SALU_CYCLE_1)
	s_or_b32 exec_lo, exec_lo, s1
	s_and_saveexec_b32 s1, s51
	s_cbranch_execz .LBB717_264
; %bb.261:
	global_load_u8 v23, v[2:3], off offset:544
	s_waitcnt vmcnt(0)
	v_dual_mov_b32 v24, 0 :: v_dual_and_b32 v23, 1, v23
	s_delay_alu instid0(VALU_DEP_1) | instskip(NEXT) | instid1(VALU_DEP_1)
	v_cmp_eq_u32_e64 s0, 1, v23
	s_xor_b32 s0, s0, -1
	s_delay_alu instid0(SALU_CYCLE_1)
	s_and_saveexec_b32 s42, s0
	s_cbranch_execz .LBB717_263
; %bb.262:
	v_sub_f32_e32 v22, v22, v44
	s_delay_alu instid0(VALU_DEP_1) | instskip(NEXT) | instid1(VALU_DEP_1)
	v_mul_f32_e32 v23, 0x3fb8aa3b, v22
	v_fma_f32 v24, 0x3fb8aa3b, v22, -v23
	v_rndne_f32_e32 v46, v23
	s_delay_alu instid0(VALU_DEP_1) | instskip(SKIP_1) | instid1(VALU_DEP_2)
	v_dual_sub_f32 v23, v23, v46 :: v_dual_fmamk_f32 v24, v22, 0x32a5705f, v24
	v_cmp_ngt_f32_e64 s0, 0xc2ce8ed0, v22
	v_add_f32_e32 v23, v23, v24
	v_cvt_i32_f32_e32 v24, v46
	s_delay_alu instid0(VALU_DEP_2) | instskip(SKIP_2) | instid1(VALU_DEP_1)
	v_exp_f32_e32 v23, v23
	s_waitcnt_depctr 0xfff
	v_ldexp_f32 v23, v23, v24
	v_cndmask_b32_e64 v23, 0, v23, s0
	v_cmp_nlt_f32_e64 s0, 0x42b17218, v22
	s_delay_alu instid0(VALU_DEP_1) | instskip(NEXT) | instid1(VALU_DEP_1)
	v_cndmask_b32_e64 v24, 0x7f800000, v23, s0
	v_add_f32_e32 v45, v45, v24
.LBB717_263:
	s_or_b32 exec_lo, exec_lo, s42
.LBB717_264:
	s_delay_alu instid0(SALU_CYCLE_1)
	s_or_b32 exec_lo, exec_lo, s1
	v_dual_mov_b32 v22, 0 :: v_dual_mov_b32 v23, 0
	s_and_saveexec_b32 s1, s50
	s_cbranch_execz .LBB717_268
; %bb.265:
	global_load_u8 v23, v[2:3], off offset:576
	s_waitcnt vmcnt(0)
	v_and_b32_e32 v23, 1, v23
	s_delay_alu instid0(VALU_DEP_1) | instskip(SKIP_1) | instid1(VALU_DEP_2)
	v_cmp_eq_u32_e64 s0, 1, v23
	v_mov_b32_e32 v23, 0
	s_xor_b32 s0, s0, -1
	s_delay_alu instid0(SALU_CYCLE_1)
	s_and_saveexec_b32 s42, s0
	s_cbranch_execz .LBB717_267
; %bb.266:
	v_sub_f32_e32 v21, v21, v44
	s_delay_alu instid0(VALU_DEP_1) | instskip(SKIP_1) | instid1(VALU_DEP_2)
	v_mul_f32_e32 v23, 0x3fb8aa3b, v21
	v_cmp_ngt_f32_e64 s0, 0xc2ce8ed0, v21
	v_fma_f32 v46, 0x3fb8aa3b, v21, -v23
	v_rndne_f32_e32 v47, v23
	s_delay_alu instid0(VALU_DEP_1) | instskip(NEXT) | instid1(VALU_DEP_1)
	v_dual_fmamk_f32 v46, v21, 0x32a5705f, v46 :: v_dual_sub_f32 v23, v23, v47
	v_add_f32_e32 v23, v23, v46
	v_cvt_i32_f32_e32 v46, v47
	s_delay_alu instid0(VALU_DEP_2) | instskip(SKIP_2) | instid1(VALU_DEP_1)
	v_exp_f32_e32 v23, v23
	s_waitcnt_depctr 0xfff
	v_ldexp_f32 v23, v23, v46
	v_cndmask_b32_e64 v23, 0, v23, s0
	v_cmp_nlt_f32_e64 s0, 0x42b17218, v21
	s_delay_alu instid0(VALU_DEP_1) | instskip(NEXT) | instid1(VALU_DEP_1)
	v_cndmask_b32_e64 v23, 0x7f800000, v23, s0
	v_add_f32_e32 v45, v45, v23
.LBB717_267:
	s_or_b32 exec_lo, exec_lo, s42
.LBB717_268:
	s_delay_alu instid0(SALU_CYCLE_1)
	s_or_b32 exec_lo, exec_lo, s1
	s_and_saveexec_b32 s1, s49
	s_cbranch_execz .LBB717_272
; %bb.269:
	global_load_u8 v21, v[2:3], off offset:608
	s_waitcnt vmcnt(0)
	v_dual_mov_b32 v22, 0 :: v_dual_and_b32 v21, 1, v21
	s_delay_alu instid0(VALU_DEP_1) | instskip(NEXT) | instid1(VALU_DEP_1)
	v_cmp_eq_u32_e64 s0, 1, v21
	s_xor_b32 s0, s0, -1
	s_delay_alu instid0(SALU_CYCLE_1)
	s_and_saveexec_b32 s42, s0
	s_cbranch_execz .LBB717_271
; %bb.270:
	v_sub_f32_e32 v20, v20, v44
	s_delay_alu instid0(VALU_DEP_1) | instskip(NEXT) | instid1(VALU_DEP_1)
	v_mul_f32_e32 v21, 0x3fb8aa3b, v20
	v_fma_f32 v22, 0x3fb8aa3b, v20, -v21
	v_rndne_f32_e32 v46, v21
	s_delay_alu instid0(VALU_DEP_1) | instskip(SKIP_1) | instid1(VALU_DEP_2)
	v_dual_sub_f32 v21, v21, v46 :: v_dual_fmamk_f32 v22, v20, 0x32a5705f, v22
	v_cmp_ngt_f32_e64 s0, 0xc2ce8ed0, v20
	v_add_f32_e32 v21, v21, v22
	v_cvt_i32_f32_e32 v22, v46
	s_delay_alu instid0(VALU_DEP_2) | instskip(SKIP_2) | instid1(VALU_DEP_1)
	v_exp_f32_e32 v21, v21
	s_waitcnt_depctr 0xfff
	v_ldexp_f32 v21, v21, v22
	v_cndmask_b32_e64 v21, 0, v21, s0
	v_cmp_nlt_f32_e64 s0, 0x42b17218, v20
	s_delay_alu instid0(VALU_DEP_1) | instskip(NEXT) | instid1(VALU_DEP_1)
	v_cndmask_b32_e64 v22, 0x7f800000, v21, s0
	v_add_f32_e32 v45, v45, v22
.LBB717_271:
	s_or_b32 exec_lo, exec_lo, s42
.LBB717_272:
	s_delay_alu instid0(SALU_CYCLE_1)
	s_or_b32 exec_lo, exec_lo, s1
	v_dual_mov_b32 v20, 0 :: v_dual_mov_b32 v21, 0
	s_and_saveexec_b32 s1, s48
	s_cbranch_execz .LBB717_276
; %bb.273:
	global_load_u8 v21, v[2:3], off offset:640
	s_waitcnt vmcnt(0)
	v_and_b32_e32 v21, 1, v21
	s_delay_alu instid0(VALU_DEP_1) | instskip(SKIP_1) | instid1(VALU_DEP_2)
	v_cmp_eq_u32_e64 s0, 1, v21
	v_mov_b32_e32 v21, 0
	s_xor_b32 s0, s0, -1
	s_delay_alu instid0(SALU_CYCLE_1)
	s_and_saveexec_b32 s42, s0
	s_cbranch_execz .LBB717_275
; %bb.274:
	v_sub_f32_e32 v19, v19, v44
	s_delay_alu instid0(VALU_DEP_1) | instskip(SKIP_1) | instid1(VALU_DEP_2)
	v_mul_f32_e32 v21, 0x3fb8aa3b, v19
	v_cmp_ngt_f32_e64 s0, 0xc2ce8ed0, v19
	v_fma_f32 v46, 0x3fb8aa3b, v19, -v21
	v_rndne_f32_e32 v47, v21
	s_delay_alu instid0(VALU_DEP_1) | instskip(NEXT) | instid1(VALU_DEP_1)
	v_dual_fmamk_f32 v46, v19, 0x32a5705f, v46 :: v_dual_sub_f32 v21, v21, v47
	v_add_f32_e32 v21, v21, v46
	v_cvt_i32_f32_e32 v46, v47
	s_delay_alu instid0(VALU_DEP_2) | instskip(SKIP_2) | instid1(VALU_DEP_1)
	v_exp_f32_e32 v21, v21
	s_waitcnt_depctr 0xfff
	v_ldexp_f32 v21, v21, v46
	v_cndmask_b32_e64 v21, 0, v21, s0
	v_cmp_nlt_f32_e64 s0, 0x42b17218, v19
	s_delay_alu instid0(VALU_DEP_1) | instskip(NEXT) | instid1(VALU_DEP_1)
	v_cndmask_b32_e64 v21, 0x7f800000, v21, s0
	v_add_f32_e32 v45, v45, v21
.LBB717_275:
	s_or_b32 exec_lo, exec_lo, s42
.LBB717_276:
	s_delay_alu instid0(SALU_CYCLE_1)
	s_or_b32 exec_lo, exec_lo, s1
	s_and_saveexec_b32 s1, s47
	s_cbranch_execz .LBB717_280
; %bb.277:
	global_load_u8 v19, v[2:3], off offset:672
	s_waitcnt vmcnt(0)
	v_dual_mov_b32 v20, 0 :: v_dual_and_b32 v19, 1, v19
	s_delay_alu instid0(VALU_DEP_1) | instskip(NEXT) | instid1(VALU_DEP_1)
	v_cmp_eq_u32_e64 s0, 1, v19
	s_xor_b32 s0, s0, -1
	s_delay_alu instid0(SALU_CYCLE_1)
	s_and_saveexec_b32 s42, s0
	s_cbranch_execz .LBB717_279
; %bb.278:
	v_sub_f32_e32 v18, v18, v44
	s_delay_alu instid0(VALU_DEP_1) | instskip(NEXT) | instid1(VALU_DEP_1)
	v_mul_f32_e32 v19, 0x3fb8aa3b, v18
	v_fma_f32 v20, 0x3fb8aa3b, v18, -v19
	v_rndne_f32_e32 v46, v19
	s_delay_alu instid0(VALU_DEP_1) | instskip(SKIP_1) | instid1(VALU_DEP_2)
	v_dual_sub_f32 v19, v19, v46 :: v_dual_fmamk_f32 v20, v18, 0x32a5705f, v20
	v_cmp_ngt_f32_e64 s0, 0xc2ce8ed0, v18
	v_add_f32_e32 v19, v19, v20
	v_cvt_i32_f32_e32 v20, v46
	s_delay_alu instid0(VALU_DEP_2) | instskip(SKIP_2) | instid1(VALU_DEP_1)
	v_exp_f32_e32 v19, v19
	s_waitcnt_depctr 0xfff
	v_ldexp_f32 v19, v19, v20
	v_cndmask_b32_e64 v19, 0, v19, s0
	v_cmp_nlt_f32_e64 s0, 0x42b17218, v18
	s_delay_alu instid0(VALU_DEP_1) | instskip(NEXT) | instid1(VALU_DEP_1)
	v_cndmask_b32_e64 v20, 0x7f800000, v19, s0
	v_add_f32_e32 v45, v45, v20
.LBB717_279:
	s_or_b32 exec_lo, exec_lo, s42
.LBB717_280:
	s_delay_alu instid0(SALU_CYCLE_1)
	s_or_b32 exec_lo, exec_lo, s1
	v_dual_mov_b32 v18, 0 :: v_dual_mov_b32 v19, 0
	s_and_saveexec_b32 s1, s46
	s_cbranch_execz .LBB717_284
; %bb.281:
	global_load_u8 v19, v[2:3], off offset:704
	s_waitcnt vmcnt(0)
	v_and_b32_e32 v19, 1, v19
	s_delay_alu instid0(VALU_DEP_1) | instskip(SKIP_1) | instid1(VALU_DEP_2)
	v_cmp_eq_u32_e64 s0, 1, v19
	v_mov_b32_e32 v19, 0
	s_xor_b32 s0, s0, -1
	s_delay_alu instid0(SALU_CYCLE_1)
	s_and_saveexec_b32 s42, s0
	s_cbranch_execz .LBB717_283
; %bb.282:
	v_sub_f32_e32 v17, v17, v44
	s_delay_alu instid0(VALU_DEP_1) | instskip(SKIP_1) | instid1(VALU_DEP_2)
	v_mul_f32_e32 v19, 0x3fb8aa3b, v17
	v_cmp_ngt_f32_e64 s0, 0xc2ce8ed0, v17
	v_fma_f32 v46, 0x3fb8aa3b, v17, -v19
	v_rndne_f32_e32 v47, v19
	s_delay_alu instid0(VALU_DEP_1) | instskip(NEXT) | instid1(VALU_DEP_1)
	v_dual_fmamk_f32 v46, v17, 0x32a5705f, v46 :: v_dual_sub_f32 v19, v19, v47
	v_add_f32_e32 v19, v19, v46
	v_cvt_i32_f32_e32 v46, v47
	s_delay_alu instid0(VALU_DEP_2) | instskip(SKIP_2) | instid1(VALU_DEP_1)
	v_exp_f32_e32 v19, v19
	s_waitcnt_depctr 0xfff
	v_ldexp_f32 v19, v19, v46
	v_cndmask_b32_e64 v19, 0, v19, s0
	v_cmp_nlt_f32_e64 s0, 0x42b17218, v17
	s_delay_alu instid0(VALU_DEP_1) | instskip(NEXT) | instid1(VALU_DEP_1)
	v_cndmask_b32_e64 v19, 0x7f800000, v19, s0
	v_add_f32_e32 v45, v45, v19
.LBB717_283:
	s_or_b32 exec_lo, exec_lo, s42
.LBB717_284:
	s_delay_alu instid0(SALU_CYCLE_1)
	s_or_b32 exec_lo, exec_lo, s1
	s_and_saveexec_b32 s1, s45
	s_cbranch_execz .LBB717_288
; %bb.285:
	global_load_u8 v17, v[2:3], off offset:736
	s_waitcnt vmcnt(0)
	v_dual_mov_b32 v18, 0 :: v_dual_and_b32 v17, 1, v17
	s_delay_alu instid0(VALU_DEP_1) | instskip(NEXT) | instid1(VALU_DEP_1)
	v_cmp_eq_u32_e64 s0, 1, v17
	s_xor_b32 s0, s0, -1
	s_delay_alu instid0(SALU_CYCLE_1)
	s_and_saveexec_b32 s42, s0
	s_cbranch_execz .LBB717_287
; %bb.286:
	v_sub_f32_e32 v16, v16, v44
	s_delay_alu instid0(VALU_DEP_1) | instskip(NEXT) | instid1(VALU_DEP_1)
	v_mul_f32_e32 v17, 0x3fb8aa3b, v16
	v_fma_f32 v18, 0x3fb8aa3b, v16, -v17
	v_rndne_f32_e32 v46, v17
	s_delay_alu instid0(VALU_DEP_1) | instskip(SKIP_1) | instid1(VALU_DEP_2)
	v_dual_sub_f32 v17, v17, v46 :: v_dual_fmamk_f32 v18, v16, 0x32a5705f, v18
	v_cmp_ngt_f32_e64 s0, 0xc2ce8ed0, v16
	v_add_f32_e32 v17, v17, v18
	v_cvt_i32_f32_e32 v18, v46
	s_delay_alu instid0(VALU_DEP_2) | instskip(SKIP_2) | instid1(VALU_DEP_1)
	v_exp_f32_e32 v17, v17
	s_waitcnt_depctr 0xfff
	v_ldexp_f32 v17, v17, v18
	v_cndmask_b32_e64 v17, 0, v17, s0
	v_cmp_nlt_f32_e64 s0, 0x42b17218, v16
	s_delay_alu instid0(VALU_DEP_1) | instskip(NEXT) | instid1(VALU_DEP_1)
	v_cndmask_b32_e64 v18, 0x7f800000, v17, s0
	v_add_f32_e32 v45, v45, v18
.LBB717_287:
	s_or_b32 exec_lo, exec_lo, s42
.LBB717_288:
	s_delay_alu instid0(SALU_CYCLE_1)
	s_or_b32 exec_lo, exec_lo, s1
	v_dual_mov_b32 v16, 0 :: v_dual_mov_b32 v17, 0
	s_and_saveexec_b32 s1, s44
	s_cbranch_execz .LBB717_292
; %bb.289:
	global_load_u8 v17, v[2:3], off offset:768
	s_waitcnt vmcnt(0)
	v_and_b32_e32 v17, 1, v17
	s_delay_alu instid0(VALU_DEP_1) | instskip(SKIP_1) | instid1(VALU_DEP_2)
	v_cmp_eq_u32_e64 s0, 1, v17
	v_mov_b32_e32 v17, 0
	s_xor_b32 s0, s0, -1
	s_delay_alu instid0(SALU_CYCLE_1)
	s_and_saveexec_b32 s42, s0
	s_cbranch_execz .LBB717_291
; %bb.290:
	v_sub_f32_e32 v15, v15, v44
	s_delay_alu instid0(VALU_DEP_1) | instskip(SKIP_1) | instid1(VALU_DEP_2)
	v_mul_f32_e32 v17, 0x3fb8aa3b, v15
	v_cmp_ngt_f32_e64 s0, 0xc2ce8ed0, v15
	v_fma_f32 v46, 0x3fb8aa3b, v15, -v17
	v_rndne_f32_e32 v47, v17
	s_delay_alu instid0(VALU_DEP_1) | instskip(NEXT) | instid1(VALU_DEP_1)
	v_dual_fmamk_f32 v46, v15, 0x32a5705f, v46 :: v_dual_sub_f32 v17, v17, v47
	v_add_f32_e32 v17, v17, v46
	v_cvt_i32_f32_e32 v46, v47
	s_delay_alu instid0(VALU_DEP_2) | instskip(SKIP_2) | instid1(VALU_DEP_1)
	v_exp_f32_e32 v17, v17
	s_waitcnt_depctr 0xfff
	v_ldexp_f32 v17, v17, v46
	v_cndmask_b32_e64 v17, 0, v17, s0
	v_cmp_nlt_f32_e64 s0, 0x42b17218, v15
	s_delay_alu instid0(VALU_DEP_1) | instskip(NEXT) | instid1(VALU_DEP_1)
	v_cndmask_b32_e64 v17, 0x7f800000, v17, s0
	v_add_f32_e32 v45, v45, v17
.LBB717_291:
	s_or_b32 exec_lo, exec_lo, s42
.LBB717_292:
	s_delay_alu instid0(SALU_CYCLE_1)
	s_or_b32 exec_lo, exec_lo, s1
	s_and_saveexec_b32 s1, s43
	s_cbranch_execz .LBB717_296
; %bb.293:
	global_load_u8 v15, v[2:3], off offset:800
	s_waitcnt vmcnt(0)
	v_dual_mov_b32 v16, 0 :: v_dual_and_b32 v15, 1, v15
	s_delay_alu instid0(VALU_DEP_1) | instskip(NEXT) | instid1(VALU_DEP_1)
	v_cmp_eq_u32_e64 s0, 1, v15
	s_xor_b32 s0, s0, -1
	s_delay_alu instid0(SALU_CYCLE_1)
	s_and_saveexec_b32 s42, s0
	s_cbranch_execz .LBB717_295
; %bb.294:
	v_sub_f32_e32 v14, v14, v44
	s_delay_alu instid0(VALU_DEP_1) | instskip(NEXT) | instid1(VALU_DEP_1)
	v_mul_f32_e32 v15, 0x3fb8aa3b, v14
	v_fma_f32 v16, 0x3fb8aa3b, v14, -v15
	v_rndne_f32_e32 v46, v15
	s_delay_alu instid0(VALU_DEP_1) | instskip(SKIP_1) | instid1(VALU_DEP_2)
	v_dual_sub_f32 v15, v15, v46 :: v_dual_fmamk_f32 v16, v14, 0x32a5705f, v16
	v_cmp_ngt_f32_e64 s0, 0xc2ce8ed0, v14
	v_add_f32_e32 v15, v15, v16
	v_cvt_i32_f32_e32 v16, v46
	s_delay_alu instid0(VALU_DEP_2) | instskip(SKIP_2) | instid1(VALU_DEP_1)
	v_exp_f32_e32 v15, v15
	s_waitcnt_depctr 0xfff
	v_ldexp_f32 v15, v15, v16
	v_cndmask_b32_e64 v15, 0, v15, s0
	v_cmp_nlt_f32_e64 s0, 0x42b17218, v14
	s_delay_alu instid0(VALU_DEP_1) | instskip(NEXT) | instid1(VALU_DEP_1)
	v_cndmask_b32_e64 v16, 0x7f800000, v15, s0
	v_add_f32_e32 v45, v45, v16
.LBB717_295:
	s_or_b32 exec_lo, exec_lo, s42
.LBB717_296:
	s_delay_alu instid0(SALU_CYCLE_1)
	s_or_b32 exec_lo, exec_lo, s1
	v_dual_mov_b32 v14, 0 :: v_dual_mov_b32 v15, 0
	s_and_saveexec_b32 s1, s41
	s_cbranch_execz .LBB717_300
; %bb.297:
	global_load_u8 v15, v[2:3], off offset:832
	s_waitcnt vmcnt(0)
	v_and_b32_e32 v15, 1, v15
	s_delay_alu instid0(VALU_DEP_1) | instskip(SKIP_1) | instid1(VALU_DEP_2)
	v_cmp_eq_u32_e64 s0, 1, v15
	v_mov_b32_e32 v15, 0
	s_xor_b32 s0, s0, -1
	s_delay_alu instid0(SALU_CYCLE_1)
	s_and_saveexec_b32 s41, s0
	s_cbranch_execz .LBB717_299
; %bb.298:
	v_sub_f32_e32 v13, v13, v44
	s_delay_alu instid0(VALU_DEP_1) | instskip(SKIP_1) | instid1(VALU_DEP_2)
	v_mul_f32_e32 v15, 0x3fb8aa3b, v13
	v_cmp_ngt_f32_e64 s0, 0xc2ce8ed0, v13
	v_fma_f32 v46, 0x3fb8aa3b, v13, -v15
	v_rndne_f32_e32 v47, v15
	s_delay_alu instid0(VALU_DEP_1) | instskip(NEXT) | instid1(VALU_DEP_1)
	v_dual_fmamk_f32 v46, v13, 0x32a5705f, v46 :: v_dual_sub_f32 v15, v15, v47
	v_add_f32_e32 v15, v15, v46
	v_cvt_i32_f32_e32 v46, v47
	s_delay_alu instid0(VALU_DEP_2) | instskip(SKIP_2) | instid1(VALU_DEP_1)
	v_exp_f32_e32 v15, v15
	s_waitcnt_depctr 0xfff
	v_ldexp_f32 v15, v15, v46
	v_cndmask_b32_e64 v15, 0, v15, s0
	v_cmp_nlt_f32_e64 s0, 0x42b17218, v13
	s_delay_alu instid0(VALU_DEP_1) | instskip(NEXT) | instid1(VALU_DEP_1)
	v_cndmask_b32_e64 v15, 0x7f800000, v15, s0
	v_add_f32_e32 v45, v45, v15
.LBB717_299:
	s_or_b32 exec_lo, exec_lo, s41
.LBB717_300:
	s_delay_alu instid0(SALU_CYCLE_1)
	s_or_b32 exec_lo, exec_lo, s1
	s_and_saveexec_b32 s1, s40
	s_cbranch_execz .LBB717_304
; %bb.301:
	global_load_u8 v13, v[2:3], off offset:864
	s_waitcnt vmcnt(0)
	v_dual_mov_b32 v14, 0 :: v_dual_and_b32 v13, 1, v13
	s_delay_alu instid0(VALU_DEP_1) | instskip(NEXT) | instid1(VALU_DEP_1)
	v_cmp_eq_u32_e64 s0, 1, v13
	s_xor_b32 s0, s0, -1
	s_delay_alu instid0(SALU_CYCLE_1)
	s_and_saveexec_b32 s40, s0
	s_cbranch_execz .LBB717_303
; %bb.302:
	v_sub_f32_e32 v12, v12, v44
	s_delay_alu instid0(VALU_DEP_1) | instskip(NEXT) | instid1(VALU_DEP_1)
	v_mul_f32_e32 v13, 0x3fb8aa3b, v12
	v_fma_f32 v14, 0x3fb8aa3b, v12, -v13
	v_rndne_f32_e32 v46, v13
	s_delay_alu instid0(VALU_DEP_1) | instskip(SKIP_1) | instid1(VALU_DEP_2)
	v_dual_sub_f32 v13, v13, v46 :: v_dual_fmamk_f32 v14, v12, 0x32a5705f, v14
	v_cmp_ngt_f32_e64 s0, 0xc2ce8ed0, v12
	v_add_f32_e32 v13, v13, v14
	v_cvt_i32_f32_e32 v14, v46
	s_delay_alu instid0(VALU_DEP_2) | instskip(SKIP_2) | instid1(VALU_DEP_1)
	v_exp_f32_e32 v13, v13
	s_waitcnt_depctr 0xfff
	v_ldexp_f32 v13, v13, v14
	v_cndmask_b32_e64 v13, 0, v13, s0
	v_cmp_nlt_f32_e64 s0, 0x42b17218, v12
	s_delay_alu instid0(VALU_DEP_1) | instskip(NEXT) | instid1(VALU_DEP_1)
	v_cndmask_b32_e64 v14, 0x7f800000, v13, s0
	v_add_f32_e32 v45, v45, v14
.LBB717_303:
	s_or_b32 exec_lo, exec_lo, s40
.LBB717_304:
	s_delay_alu instid0(SALU_CYCLE_1)
	s_or_b32 exec_lo, exec_lo, s1
	v_dual_mov_b32 v12, 0 :: v_dual_mov_b32 v13, 0
	s_and_saveexec_b32 s1, s39
	s_cbranch_execz .LBB717_308
; %bb.305:
	global_load_u8 v13, v[2:3], off offset:896
	s_waitcnt vmcnt(0)
	v_and_b32_e32 v13, 1, v13
	s_delay_alu instid0(VALU_DEP_1) | instskip(SKIP_1) | instid1(VALU_DEP_2)
	v_cmp_eq_u32_e64 s0, 1, v13
	v_mov_b32_e32 v13, 0
	s_xor_b32 s0, s0, -1
	s_delay_alu instid0(SALU_CYCLE_1)
	s_and_saveexec_b32 s39, s0
	s_cbranch_execz .LBB717_307
; %bb.306:
	v_sub_f32_e32 v11, v11, v44
	s_delay_alu instid0(VALU_DEP_1) | instskip(SKIP_1) | instid1(VALU_DEP_2)
	v_mul_f32_e32 v13, 0x3fb8aa3b, v11
	v_cmp_ngt_f32_e64 s0, 0xc2ce8ed0, v11
	v_fma_f32 v46, 0x3fb8aa3b, v11, -v13
	v_rndne_f32_e32 v47, v13
	s_delay_alu instid0(VALU_DEP_1) | instskip(NEXT) | instid1(VALU_DEP_1)
	v_dual_fmamk_f32 v46, v11, 0x32a5705f, v46 :: v_dual_sub_f32 v13, v13, v47
	v_add_f32_e32 v13, v13, v46
	v_cvt_i32_f32_e32 v46, v47
	s_delay_alu instid0(VALU_DEP_2) | instskip(SKIP_2) | instid1(VALU_DEP_1)
	v_exp_f32_e32 v13, v13
	s_waitcnt_depctr 0xfff
	v_ldexp_f32 v13, v13, v46
	v_cndmask_b32_e64 v13, 0, v13, s0
	v_cmp_nlt_f32_e64 s0, 0x42b17218, v11
	s_delay_alu instid0(VALU_DEP_1) | instskip(NEXT) | instid1(VALU_DEP_1)
	v_cndmask_b32_e64 v13, 0x7f800000, v13, s0
	v_add_f32_e32 v45, v45, v13
.LBB717_307:
	s_or_b32 exec_lo, exec_lo, s39
.LBB717_308:
	s_delay_alu instid0(SALU_CYCLE_1)
	s_or_b32 exec_lo, exec_lo, s1
	s_and_saveexec_b32 s1, s38
	s_cbranch_execz .LBB717_312
; %bb.309:
	global_load_u8 v11, v[2:3], off offset:928
	s_waitcnt vmcnt(0)
	v_dual_mov_b32 v12, 0 :: v_dual_and_b32 v11, 1, v11
	s_delay_alu instid0(VALU_DEP_1) | instskip(NEXT) | instid1(VALU_DEP_1)
	v_cmp_eq_u32_e64 s0, 1, v11
	s_xor_b32 s0, s0, -1
	s_delay_alu instid0(SALU_CYCLE_1)
	s_and_saveexec_b32 s38, s0
	s_cbranch_execz .LBB717_311
; %bb.310:
	v_sub_f32_e32 v10, v10, v44
	s_delay_alu instid0(VALU_DEP_1) | instskip(NEXT) | instid1(VALU_DEP_1)
	v_mul_f32_e32 v11, 0x3fb8aa3b, v10
	v_fma_f32 v12, 0x3fb8aa3b, v10, -v11
	v_rndne_f32_e32 v46, v11
	s_delay_alu instid0(VALU_DEP_1) | instskip(SKIP_1) | instid1(VALU_DEP_2)
	v_dual_sub_f32 v11, v11, v46 :: v_dual_fmamk_f32 v12, v10, 0x32a5705f, v12
	v_cmp_ngt_f32_e64 s0, 0xc2ce8ed0, v10
	v_add_f32_e32 v11, v11, v12
	v_cvt_i32_f32_e32 v12, v46
	s_delay_alu instid0(VALU_DEP_2) | instskip(SKIP_2) | instid1(VALU_DEP_1)
	v_exp_f32_e32 v11, v11
	s_waitcnt_depctr 0xfff
	v_ldexp_f32 v11, v11, v12
	v_cndmask_b32_e64 v11, 0, v11, s0
	v_cmp_nlt_f32_e64 s0, 0x42b17218, v10
	s_delay_alu instid0(VALU_DEP_1) | instskip(NEXT) | instid1(VALU_DEP_1)
	v_cndmask_b32_e64 v12, 0x7f800000, v11, s0
	v_add_f32_e32 v45, v45, v12
.LBB717_311:
	s_or_b32 exec_lo, exec_lo, s38
.LBB717_312:
	s_delay_alu instid0(SALU_CYCLE_1)
	s_or_b32 exec_lo, exec_lo, s1
	v_dual_mov_b32 v10, 0 :: v_dual_mov_b32 v11, 0
	s_and_saveexec_b32 s1, s35
	s_cbranch_execz .LBB717_316
; %bb.313:
	global_load_u8 v11, v[2:3], off offset:960
	s_waitcnt vmcnt(0)
	v_and_b32_e32 v11, 1, v11
	s_delay_alu instid0(VALU_DEP_1) | instskip(SKIP_1) | instid1(VALU_DEP_2)
	v_cmp_eq_u32_e64 s0, 1, v11
	v_mov_b32_e32 v11, 0
	s_xor_b32 s0, s0, -1
	s_delay_alu instid0(SALU_CYCLE_1)
	s_and_saveexec_b32 s35, s0
	s_cbranch_execz .LBB717_315
; %bb.314:
	v_sub_f32_e32 v9, v9, v44
	s_delay_alu instid0(VALU_DEP_1) | instskip(SKIP_1) | instid1(VALU_DEP_2)
	v_mul_f32_e32 v11, 0x3fb8aa3b, v9
	v_cmp_ngt_f32_e64 s0, 0xc2ce8ed0, v9
	v_fma_f32 v46, 0x3fb8aa3b, v9, -v11
	v_rndne_f32_e32 v47, v11
	s_delay_alu instid0(VALU_DEP_1) | instskip(NEXT) | instid1(VALU_DEP_1)
	v_dual_fmamk_f32 v46, v9, 0x32a5705f, v46 :: v_dual_sub_f32 v11, v11, v47
	v_add_f32_e32 v11, v11, v46
	v_cvt_i32_f32_e32 v46, v47
	s_delay_alu instid0(VALU_DEP_2) | instskip(SKIP_2) | instid1(VALU_DEP_1)
	v_exp_f32_e32 v11, v11
	s_waitcnt_depctr 0xfff
	v_ldexp_f32 v11, v11, v46
	v_cndmask_b32_e64 v11, 0, v11, s0
	v_cmp_nlt_f32_e64 s0, 0x42b17218, v9
	s_delay_alu instid0(VALU_DEP_1) | instskip(NEXT) | instid1(VALU_DEP_1)
	v_cndmask_b32_e64 v11, 0x7f800000, v11, s0
	v_add_f32_e32 v45, v45, v11
.LBB717_315:
	s_or_b32 exec_lo, exec_lo, s35
.LBB717_316:
	s_delay_alu instid0(SALU_CYCLE_1)
	s_or_b32 exec_lo, exec_lo, s1
	s_and_saveexec_b32 s1, s34
	s_cbranch_execz .LBB717_320
; %bb.317:
	global_load_u8 v2, v[2:3], off offset:992
	v_mov_b32_e32 v10, 0
	s_waitcnt vmcnt(0)
	v_and_b32_e32 v2, 1, v2
	s_delay_alu instid0(VALU_DEP_1) | instskip(NEXT) | instid1(VALU_DEP_1)
	v_cmp_eq_u32_e64 s0, 1, v2
	s_xor_b32 s0, s0, -1
	s_delay_alu instid0(SALU_CYCLE_1)
	s_and_saveexec_b32 s34, s0
	s_cbranch_execz .LBB717_319
; %bb.318:
	v_sub_f32_e32 v2, v8, v44
	s_delay_alu instid0(VALU_DEP_1) | instskip(NEXT) | instid1(VALU_DEP_1)
	v_mul_f32_e32 v3, 0x3fb8aa3b, v2
	v_fma_f32 v8, 0x3fb8aa3b, v2, -v3
	v_rndne_f32_e32 v9, v3
	s_delay_alu instid0(VALU_DEP_1) | instskip(SKIP_1) | instid1(VALU_DEP_2)
	v_dual_sub_f32 v3, v3, v9 :: v_dual_fmamk_f32 v8, v2, 0x32a5705f, v8
	v_cmp_ngt_f32_e64 s0, 0xc2ce8ed0, v2
	v_add_f32_e32 v3, v3, v8
	v_cvt_i32_f32_e32 v8, v9
	s_delay_alu instid0(VALU_DEP_2) | instskip(SKIP_2) | instid1(VALU_DEP_1)
	v_exp_f32_e32 v3, v3
	s_waitcnt_depctr 0xfff
	v_ldexp_f32 v3, v3, v8
	v_cndmask_b32_e64 v3, 0, v3, s0
	v_cmp_nlt_f32_e64 s0, 0x42b17218, v2
	s_delay_alu instid0(VALU_DEP_1) | instskip(NEXT) | instid1(VALU_DEP_1)
	v_cndmask_b32_e64 v10, 0x7f800000, v3, s0
	v_add_f32_e32 v45, v45, v10
.LBB717_319:
	s_or_b32 exec_lo, exec_lo, s34
.LBB717_320:
	s_delay_alu instid0(SALU_CYCLE_1)
	s_or_b32 exec_lo, exec_lo, s1
	ds_bpermute_b32 v2, v5, v45
	s_mov_b32 s1, exec_lo
	s_waitcnt lgkmcnt(0)
	v_add_f32_e32 v2, v45, v2
	ds_bpermute_b32 v3, v6, v2
	s_waitcnt lgkmcnt(0)
	v_add_f32_e32 v2, v2, v3
	ds_bpermute_b32 v3, v40, v2
	;; [unrolled: 3-line block ×4, first 2 shown]
	v_cmpx_lt_i32_e32 0, v7
	s_cbranch_execz .LBB717_354
; %bb.321:
	s_and_b32 exec_lo, exec_lo, vcc_lo
	s_cbranch_execz .LBB717_354
; %bb.322:
	s_waitcnt lgkmcnt(0)
	v_add_f32_e32 v2, v2, v3
	s_delay_alu instid0(VALU_DEP_1) | instskip(SKIP_2) | instid1(VALU_DEP_3)
	v_div_scale_f32 v3, null, v2, v2, v42
	v_div_scale_f32 v7, vcc_lo, v42, v2, v42
	v_cmp_eq_f32_e64 s0, 0, v2
	v_rcp_f32_e32 v5, v3
	s_waitcnt_depctr 0xfff
	v_fma_f32 v6, -v3, v5, 1.0
	s_delay_alu instid0(VALU_DEP_1) | instskip(NEXT) | instid1(VALU_DEP_1)
	v_fmac_f32_e32 v5, v6, v5
	v_mul_f32_e32 v6, v7, v5
	s_delay_alu instid0(VALU_DEP_1) | instskip(NEXT) | instid1(VALU_DEP_1)
	v_fma_f32 v8, -v3, v6, v7
	v_fmac_f32_e32 v6, v8, v5
	s_delay_alu instid0(VALU_DEP_1) | instskip(NEXT) | instid1(VALU_DEP_1)
	v_fma_f32 v3, -v3, v6, v7
	v_div_fmas_f32 v3, v3, v5, v6
	v_add_co_u32 v0, vcc_lo, s36, v0
	v_add_co_ci_u32_e32 v1, vcc_lo, s37, v1, vcc_lo
	s_delay_alu instid0(VALU_DEP_3) | instskip(NEXT) | instid1(VALU_DEP_1)
	v_div_fixup_f32 v3, v3, v2, v42
	v_cndmask_b32_e64 v3, v3, 0x7fc00000, s0
	global_store_b32 v[0:1], v3, off
	s_and_b32 exec_lo, exec_lo, s33
	s_cbranch_execz .LBB717_354
; %bb.323:
	v_div_scale_f32 v3, null, v2, v2, v4
	s_delay_alu instid0(VALU_DEP_1) | instskip(SKIP_2) | instid1(VALU_DEP_1)
	v_rcp_f32_e32 v5, v3
	s_waitcnt_depctr 0xfff
	v_fma_f32 v6, -v3, v5, 1.0
	v_fmac_f32_e32 v5, v6, v5
	v_div_scale_f32 v6, vcc_lo, v4, v2, v4
	s_delay_alu instid0(VALU_DEP_1) | instskip(NEXT) | instid1(VALU_DEP_1)
	v_mul_f32_e32 v7, v6, v5
	v_fma_f32 v8, -v3, v7, v6
	s_delay_alu instid0(VALU_DEP_1) | instskip(NEXT) | instid1(VALU_DEP_1)
	v_fmac_f32_e32 v7, v8, v5
	v_fma_f32 v3, -v3, v7, v6
	s_delay_alu instid0(VALU_DEP_1) | instskip(NEXT) | instid1(VALU_DEP_1)
	v_div_fmas_f32 v3, v3, v5, v7
	v_div_fixup_f32 v3, v3, v2, v4
	s_delay_alu instid0(VALU_DEP_1)
	v_cndmask_b32_e64 v3, v3, 0x7fc00000, s0
	global_store_b32 v[0:1], v3, off offset:128
	s_and_b32 exec_lo, exec_lo, s31
	s_cbranch_execz .LBB717_354
; %bb.324:
	v_div_scale_f32 v3, null, v2, v2, v39
	s_delay_alu instid0(VALU_DEP_1) | instskip(SKIP_2) | instid1(VALU_DEP_1)
	v_rcp_f32_e32 v4, v3
	s_waitcnt_depctr 0xfff
	v_fma_f32 v5, -v3, v4, 1.0
	v_fmac_f32_e32 v4, v5, v4
	v_div_scale_f32 v5, vcc_lo, v39, v2, v39
	s_delay_alu instid0(VALU_DEP_1) | instskip(NEXT) | instid1(VALU_DEP_1)
	v_mul_f32_e32 v6, v5, v4
	v_fma_f32 v7, -v3, v6, v5
	s_delay_alu instid0(VALU_DEP_1) | instskip(NEXT) | instid1(VALU_DEP_1)
	v_fmac_f32_e32 v6, v7, v4
	v_fma_f32 v3, -v3, v6, v5
	s_delay_alu instid0(VALU_DEP_1) | instskip(NEXT) | instid1(VALU_DEP_1)
	v_div_fmas_f32 v3, v3, v4, v6
	v_div_fixup_f32 v3, v3, v2, v39
	s_delay_alu instid0(VALU_DEP_1)
	v_cndmask_b32_e64 v3, v3, 0x7fc00000, s0
	global_store_b32 v[0:1], v3, off offset:256
	;; [unrolled: 22-line block ×31, first 2 shown]
.LBB717_354:
	s_nop 0
	s_sendmsg sendmsg(MSG_DEALLOC_VGPRS)
	s_endpgm
	.section	.rodata,"a",@progbits
	.p2align	6, 0x0
	.amdhsa_kernel _ZN12_GLOBAL__N_120softmax_warp_forwardIfffLi10ELb0ELb1ELi32EEEvPT0_PKT_iiiPKbib
		.amdhsa_group_segment_fixed_size 0
		.amdhsa_private_segment_fixed_size 0
		.amdhsa_kernarg_size 304
		.amdhsa_user_sgpr_count 15
		.amdhsa_user_sgpr_dispatch_ptr 0
		.amdhsa_user_sgpr_queue_ptr 0
		.amdhsa_user_sgpr_kernarg_segment_ptr 1
		.amdhsa_user_sgpr_dispatch_id 0
		.amdhsa_user_sgpr_private_segment_size 0
		.amdhsa_wavefront_size32 1
		.amdhsa_uses_dynamic_stack 0
		.amdhsa_enable_private_segment 0
		.amdhsa_system_sgpr_workgroup_id_x 1
		.amdhsa_system_sgpr_workgroup_id_y 0
		.amdhsa_system_sgpr_workgroup_id_z 0
		.amdhsa_system_sgpr_workgroup_info 0
		.amdhsa_system_vgpr_workitem_id 1
		.amdhsa_next_free_vgpr 48
		.amdhsa_next_free_sgpr 71
		.amdhsa_reserve_vcc 1
		.amdhsa_float_round_mode_32 0
		.amdhsa_float_round_mode_16_64 0
		.amdhsa_float_denorm_mode_32 3
		.amdhsa_float_denorm_mode_16_64 3
		.amdhsa_dx10_clamp 1
		.amdhsa_ieee_mode 1
		.amdhsa_fp16_overflow 0
		.amdhsa_workgroup_processor_mode 1
		.amdhsa_memory_ordered 1
		.amdhsa_forward_progress 0
		.amdhsa_shared_vgpr_count 0
		.amdhsa_exception_fp_ieee_invalid_op 0
		.amdhsa_exception_fp_denorm_src 0
		.amdhsa_exception_fp_ieee_div_zero 0
		.amdhsa_exception_fp_ieee_overflow 0
		.amdhsa_exception_fp_ieee_underflow 0
		.amdhsa_exception_fp_ieee_inexact 0
		.amdhsa_exception_int_div_zero 0
	.end_amdhsa_kernel
	.section	.text._ZN12_GLOBAL__N_120softmax_warp_forwardIfffLi10ELb0ELb1ELi32EEEvPT0_PKT_iiiPKbib,"axG",@progbits,_ZN12_GLOBAL__N_120softmax_warp_forwardIfffLi10ELb0ELb1ELi32EEEvPT0_PKT_iiiPKbib,comdat
.Lfunc_end717:
	.size	_ZN12_GLOBAL__N_120softmax_warp_forwardIfffLi10ELb0ELb1ELi32EEEvPT0_PKT_iiiPKbib, .Lfunc_end717-_ZN12_GLOBAL__N_120softmax_warp_forwardIfffLi10ELb0ELb1ELi32EEEvPT0_PKT_iiiPKbib
                                        ; -- End function
	.section	.AMDGPU.csdata,"",@progbits
; Kernel info:
; codeLenInByte = 16444
; NumSgprs: 73
; NumVgprs: 48
; ScratchSize: 0
; MemoryBound: 0
; FloatMode: 240
; IeeeMode: 1
; LDSByteSize: 0 bytes/workgroup (compile time only)
; SGPRBlocks: 9
; VGPRBlocks: 5
; NumSGPRsForWavesPerEU: 73
; NumVGPRsForWavesPerEU: 48
; Occupancy: 16
; WaveLimiterHint : 0
; COMPUTE_PGM_RSRC2:SCRATCH_EN: 0
; COMPUTE_PGM_RSRC2:USER_SGPR: 15
; COMPUTE_PGM_RSRC2:TRAP_HANDLER: 0
; COMPUTE_PGM_RSRC2:TGID_X_EN: 1
; COMPUTE_PGM_RSRC2:TGID_Y_EN: 0
; COMPUTE_PGM_RSRC2:TGID_Z_EN: 0
; COMPUTE_PGM_RSRC2:TIDIG_COMP_CNT: 1
	.section	.text._ZN12_GLOBAL__N_120softmax_warp_forwardIfffLi11ELb0ELb1ELi64EEEvPT0_PKT_iiiPKbib,"axG",@progbits,_ZN12_GLOBAL__N_120softmax_warp_forwardIfffLi11ELb0ELb1ELi64EEEvPT0_PKT_iiiPKbib,comdat
	.globl	_ZN12_GLOBAL__N_120softmax_warp_forwardIfffLi11ELb0ELb1ELi64EEEvPT0_PKT_iiiPKbib ; -- Begin function _ZN12_GLOBAL__N_120softmax_warp_forwardIfffLi11ELb0ELb1ELi64EEEvPT0_PKT_iiiPKbib
	.p2align	8
	.type	_ZN12_GLOBAL__N_120softmax_warp_forwardIfffLi11ELb0ELb1ELi64EEEvPT0_PKT_iiiPKbib,@function
_ZN12_GLOBAL__N_120softmax_warp_forwardIfffLi11ELb0ELb1ELi64EEEvPT0_PKT_iiiPKbib: ; @_ZN12_GLOBAL__N_120softmax_warp_forwardIfffLi11ELb0ELb1ELi64EEEvPT0_PKT_iiiPKbib
; %bb.0:
	s_clause 0x1
	s_load_b32 s2, s[0:1], 0x3c
	s_load_b128 s[40:43], s[0:1], 0x10
	v_bfe_u32 v3, v0, 10, 10
	s_waitcnt lgkmcnt(0)
	s_lshr_b32 s2, s2, 16
	s_delay_alu instid0(VALU_DEP_1) | instid1(SALU_CYCLE_1)
	v_mad_u64_u32 v[1:2], null, s15, s2, v[3:4]
	s_load_b64 s[2:3], s[0:1], 0x28
	v_and_b32_e32 v2, 0x3ff, v0
	s_delay_alu instid0(VALU_DEP_2) | instskip(NEXT) | instid1(VALU_DEP_1)
	v_mul_lo_u32 v7, v1, s41
	v_add_nc_u32_e32 v5, v7, v2
	s_delay_alu instid0(VALU_DEP_1) | instskip(SKIP_3) | instid1(VALU_DEP_2)
	v_ashrrev_i32_e32 v6, 31, v5
	v_mov_b32_e32 v3, v5
	s_waitcnt lgkmcnt(0)
	s_bitcmp0_b32 s3, 0
	v_mov_b32_e32 v4, v6
	s_cbranch_scc1 .LBB718_2
; %bb.1:
	s_abs_i32 s3, s2
	v_sub_nc_u32_e32 v4, 0, v7
	v_cvt_f32_u32_e32 v0, s3
	s_sub_i32 s4, 0, s3
	s_delay_alu instid0(VALU_DEP_2) | instskip(NEXT) | instid1(VALU_DEP_2)
	v_max_i32_e32 v4, v7, v4
	v_rcp_iflag_f32_e32 v0, v0
	s_waitcnt_depctr 0xfff
	v_mul_f32_e32 v0, 0x4f7ffffe, v0
	s_delay_alu instid0(VALU_DEP_1) | instskip(NEXT) | instid1(VALU_DEP_1)
	v_cvt_u32_f32_e32 v0, v0
	v_mul_lo_u32 v3, s4, v0
	s_delay_alu instid0(VALU_DEP_1) | instskip(NEXT) | instid1(VALU_DEP_1)
	v_mul_hi_u32 v3, v0, v3
	v_add_nc_u32_e32 v0, v0, v3
	s_delay_alu instid0(VALU_DEP_1) | instskip(NEXT) | instid1(VALU_DEP_1)
	v_mul_hi_u32 v0, v4, v0
	v_mul_lo_u32 v3, v0, s3
	s_delay_alu instid0(VALU_DEP_1) | instskip(SKIP_1) | instid1(VALU_DEP_2)
	v_sub_nc_u32_e32 v3, v4, v3
	v_add_nc_u32_e32 v4, 1, v0
	v_subrev_nc_u32_e32 v8, s3, v3
	v_cmp_le_u32_e32 vcc_lo, s3, v3
	s_delay_alu instid0(VALU_DEP_2) | instskip(NEXT) | instid1(VALU_DEP_4)
	v_cndmask_b32_e32 v3, v3, v8, vcc_lo
	v_cndmask_b32_e32 v0, v0, v4, vcc_lo
	v_xor_b32_e32 v4, s2, v7
	s_delay_alu instid0(VALU_DEP_3) | instskip(NEXT) | instid1(VALU_DEP_3)
	v_cmp_le_u32_e32 vcc_lo, s3, v3
	v_add_nc_u32_e32 v7, 1, v0
	s_delay_alu instid0(VALU_DEP_3) | instskip(NEXT) | instid1(VALU_DEP_2)
	v_ashrrev_i32_e32 v4, 31, v4
	v_cndmask_b32_e32 v0, v0, v7, vcc_lo
	s_delay_alu instid0(VALU_DEP_1) | instskip(NEXT) | instid1(VALU_DEP_1)
	v_xor_b32_e32 v0, v0, v4
	v_sub_nc_u32_e32 v0, v0, v4
	s_delay_alu instid0(VALU_DEP_1) | instskip(NEXT) | instid1(VALU_DEP_1)
	v_mad_u64_u32 v[3:4], null, v0, s41, v[2:3]
	v_ashrrev_i32_e32 v4, 31, v3
.LBB718_2:
	s_load_b128 s[36:39], s[0:1], 0x0
	v_sub_nc_u32_e32 v7, s40, v1
	v_lshlrev_b64 v[0:1], 2, v[5:6]
	v_cmp_gt_i32_e32 vcc_lo, s42, v2
	v_dual_mov_b32 v38, 0xff800000 :: v_dual_mov_b32 v39, 0xff800000
	s_delay_alu instid0(VALU_DEP_4) | instskip(NEXT) | instid1(VALU_DEP_1)
	v_cmp_lt_i32_e64 s34, 0, v7
	s_and_b32 s69, s34, vcc_lo
	s_waitcnt lgkmcnt(0)
	v_add_co_u32 v5, s2, s38, v0
	s_delay_alu instid0(VALU_DEP_1)
	v_add_co_ci_u32_e64 v6, s2, s39, v1, s2
	s_and_saveexec_b32 s2, s69
	s_cbranch_execz .LBB718_4
; %bb.3:
	global_load_b32 v39, v[5:6], off
.LBB718_4:
	s_or_b32 exec_lo, exec_lo, s2
	v_add_nc_u32_e32 v8, 64, v2
	s_delay_alu instid0(VALU_DEP_1) | instskip(NEXT) | instid1(VALU_DEP_1)
	v_cmp_gt_i32_e64 s33, s42, v8
	s_and_b32 s68, s34, s33
	s_delay_alu instid0(SALU_CYCLE_1)
	s_and_saveexec_b32 s2, s68
	s_cbranch_execz .LBB718_6
; %bb.5:
	global_load_b32 v38, v[5:6], off offset:256
.LBB718_6:
	s_or_b32 exec_lo, exec_lo, s2
	v_add_nc_u32_e32 v8, 0x80, v2
	v_dual_mov_b32 v36, 0xff800000 :: v_dual_mov_b32 v37, 0xff800000
	s_delay_alu instid0(VALU_DEP_2) | instskip(NEXT) | instid1(VALU_DEP_1)
	v_cmp_gt_i32_e64 s31, s42, v8
	s_and_b32 s67, s34, s31
	s_delay_alu instid0(SALU_CYCLE_1)
	s_and_saveexec_b32 s2, s67
	s_cbranch_execz .LBB718_8
; %bb.7:
	global_load_b32 v37, v[5:6], off offset:512
.LBB718_8:
	s_or_b32 exec_lo, exec_lo, s2
	v_add_nc_u32_e32 v8, 0xc0, v2
	s_delay_alu instid0(VALU_DEP_1) | instskip(NEXT) | instid1(VALU_DEP_1)
	v_cmp_gt_i32_e64 s30, s42, v8
	s_and_b32 s66, s34, s30
	s_delay_alu instid0(SALU_CYCLE_1)
	s_and_saveexec_b32 s2, s66
	s_cbranch_execz .LBB718_10
; %bb.9:
	global_load_b32 v36, v[5:6], off offset:768
.LBB718_10:
	s_or_b32 exec_lo, exec_lo, s2
	v_add_nc_u32_e32 v8, 0x100, v2
	v_dual_mov_b32 v34, 0xff800000 :: v_dual_mov_b32 v35, 0xff800000
	s_delay_alu instid0(VALU_DEP_2) | instskip(NEXT) | instid1(VALU_DEP_1)
	v_cmp_gt_i32_e64 s29, s42, v8
	s_and_b32 s65, s34, s29
	s_delay_alu instid0(SALU_CYCLE_1)
	s_and_saveexec_b32 s2, s65
	s_cbranch_execz .LBB718_12
; %bb.11:
	global_load_b32 v35, v[5:6], off offset:1024
.LBB718_12:
	;; [unrolled: 23-line block ×7, first 2 shown]
	s_or_b32 exec_lo, exec_lo, s2
	v_add_nc_u32_e32 v8, 0x3c0, v2
	s_delay_alu instid0(VALU_DEP_1) | instskip(NEXT) | instid1(VALU_DEP_1)
	v_cmp_gt_i32_e64 s18, s42, v8
	s_and_b32 s54, s34, s18
	s_delay_alu instid0(SALU_CYCLE_1)
	s_and_saveexec_b32 s2, s54
	s_cbranch_execz .LBB718_34
; %bb.33:
	global_load_b32 v24, v[5:6], off offset:3840
.LBB718_34:
	s_or_b32 exec_lo, exec_lo, s2
	v_or_b32_e32 v8, 0x400, v2
	v_dual_mov_b32 v22, 0xff800000 :: v_dual_mov_b32 v23, 0xff800000
	s_delay_alu instid0(VALU_DEP_2) | instskip(NEXT) | instid1(VALU_DEP_1)
	v_cmp_gt_i32_e64 s17, s42, v8
	s_and_b32 s53, s34, s17
	s_delay_alu instid0(SALU_CYCLE_1)
	s_and_saveexec_b32 s3, s53
	s_cbranch_execz .LBB718_36
; %bb.35:
	v_add_co_u32 v8, s2, 0x1000, v5
	s_delay_alu instid0(VALU_DEP_1)
	v_add_co_ci_u32_e64 v9, s2, 0, v6, s2
	global_load_b32 v23, v[8:9], off
.LBB718_36:
	s_or_b32 exec_lo, exec_lo, s3
	v_add_nc_u32_e32 v8, 0x440, v2
	s_delay_alu instid0(VALU_DEP_1) | instskip(NEXT) | instid1(VALU_DEP_1)
	v_cmp_gt_i32_e64 s16, s42, v8
	s_and_b32 s52, s34, s16
	s_delay_alu instid0(SALU_CYCLE_1)
	s_and_saveexec_b32 s3, s52
	s_cbranch_execz .LBB718_38
; %bb.37:
	v_add_co_u32 v8, s2, 0x1000, v5
	s_delay_alu instid0(VALU_DEP_1)
	v_add_co_ci_u32_e64 v9, s2, 0, v6, s2
	global_load_b32 v22, v[8:9], off offset:256
.LBB718_38:
	s_or_b32 exec_lo, exec_lo, s3
	v_add_nc_u32_e32 v8, 0x480, v2
	v_dual_mov_b32 v20, 0xff800000 :: v_dual_mov_b32 v21, 0xff800000
	s_delay_alu instid0(VALU_DEP_2) | instskip(NEXT) | instid1(VALU_DEP_1)
	v_cmp_gt_i32_e64 s15, s42, v8
	s_and_b32 s51, s34, s15
	s_delay_alu instid0(SALU_CYCLE_1)
	s_and_saveexec_b32 s3, s51
	s_cbranch_execz .LBB718_40
; %bb.39:
	v_add_co_u32 v8, s2, 0x1000, v5
	s_delay_alu instid0(VALU_DEP_1)
	v_add_co_ci_u32_e64 v9, s2, 0, v6, s2
	global_load_b32 v21, v[8:9], off offset:512
.LBB718_40:
	s_or_b32 exec_lo, exec_lo, s3
	v_add_nc_u32_e32 v8, 0x4c0, v2
	s_delay_alu instid0(VALU_DEP_1) | instskip(NEXT) | instid1(VALU_DEP_1)
	v_cmp_gt_i32_e64 s14, s42, v8
	s_and_b32 s50, s34, s14
	s_delay_alu instid0(SALU_CYCLE_1)
	s_and_saveexec_b32 s3, s50
	s_cbranch_execz .LBB718_42
; %bb.41:
	v_add_co_u32 v8, s2, 0x1000, v5
	s_delay_alu instid0(VALU_DEP_1)
	v_add_co_ci_u32_e64 v9, s2, 0, v6, s2
	global_load_b32 v20, v[8:9], off offset:768
.LBB718_42:
	s_or_b32 exec_lo, exec_lo, s3
	v_add_nc_u32_e32 v8, 0x500, v2
	v_dual_mov_b32 v18, 0xff800000 :: v_dual_mov_b32 v19, 0xff800000
	s_delay_alu instid0(VALU_DEP_2) | instskip(NEXT) | instid1(VALU_DEP_1)
	v_cmp_gt_i32_e64 s13, s42, v8
	s_and_b32 s49, s34, s13
	s_delay_alu instid0(SALU_CYCLE_1)
	s_and_saveexec_b32 s3, s49
	s_cbranch_execz .LBB718_44
; %bb.43:
	v_add_co_u32 v8, s2, 0x1000, v5
	s_delay_alu instid0(VALU_DEP_1)
	v_add_co_ci_u32_e64 v9, s2, 0, v6, s2
	global_load_b32 v19, v[8:9], off offset:1024
.LBB718_44:
	;; [unrolled: 29-line block ×6, first 2 shown]
	s_or_b32 exec_lo, exec_lo, s3
	v_add_nc_u32_e32 v8, 0x740, v2
	s_delay_alu instid0(VALU_DEP_1) | instskip(NEXT) | instid1(VALU_DEP_1)
	v_cmp_gt_i32_e64 s4, s42, v8
	s_and_b32 s39, s34, s4
	s_delay_alu instid0(SALU_CYCLE_1)
	s_and_saveexec_b32 s3, s39
	s_cbranch_execz .LBB718_62
; %bb.61:
	v_add_co_u32 v8, s2, 0x1000, v5
	s_delay_alu instid0(VALU_DEP_1)
	v_add_co_ci_u32_e64 v9, s2, 0, v6, s2
	global_load_b32 v10, v[8:9], off offset:3328
.LBB718_62:
	s_or_b32 exec_lo, exec_lo, s3
	v_add_nc_u32_e32 v8, 0x780, v2
	v_mov_b32_e32 v9, 0xff800000
	s_delay_alu instid0(VALU_DEP_2) | instskip(SKIP_1) | instid1(VALU_DEP_2)
	v_cmp_gt_i32_e64 s3, s42, v8
	v_mov_b32_e32 v8, 0xff800000
	s_and_b32 s38, s34, s3
	s_delay_alu instid0(SALU_CYCLE_1)
	s_and_saveexec_b32 s35, s38
	s_cbranch_execz .LBB718_64
; %bb.63:
	v_add_co_u32 v40, s2, 0x1000, v5
	s_delay_alu instid0(VALU_DEP_1)
	v_add_co_ci_u32_e64 v41, s2, 0, v6, s2
	global_load_b32 v9, v[40:41], off offset:3584
.LBB718_64:
	s_or_b32 exec_lo, exec_lo, s35
	v_add_nc_u32_e32 v2, 0x7c0, v2
	s_delay_alu instid0(VALU_DEP_1) | instskip(NEXT) | instid1(VALU_DEP_1)
	v_cmp_gt_i32_e64 s2, s42, v2
	s_and_b32 s35, s34, s2
	s_delay_alu instid0(SALU_CYCLE_1)
	s_and_saveexec_b32 s42, s35
	s_cbranch_execz .LBB718_66
; %bb.65:
	v_add_co_u32 v5, s34, 0x1000, v5
	s_delay_alu instid0(VALU_DEP_1)
	v_add_co_ci_u32_e64 v6, s34, 0, v6, s34
	global_load_b32 v8, v[5:6], off offset:3840
.LBB718_66:
	s_or_b32 exec_lo, exec_lo, s42
	s_load_b64 s[0:1], s[0:1], 0x20
	s_waitcnt lgkmcnt(0)
	v_add_co_u32 v2, s0, s0, v3
	s_delay_alu instid0(VALU_DEP_1)
	v_add_co_ci_u32_e64 v3, s0, s1, v4, s0
	s_mov_b32 s1, 0
	s_and_saveexec_b32 s34, s69
	s_cbranch_execnz .LBB718_98
; %bb.67:
	s_or_b32 exec_lo, exec_lo, s34
	s_waitcnt vmcnt(0)
	v_mov_b32_e32 v4, v39
	s_and_saveexec_b32 s34, s68
	s_cbranch_execnz .LBB718_99
.LBB718_68:
	s_or_b32 exec_lo, exec_lo, s34
	s_and_saveexec_b32 s34, s67
	s_cbranch_execnz .LBB718_102
.LBB718_69:
	s_or_b32 exec_lo, exec_lo, s34
	s_and_saveexec_b32 s34, s66
	s_cbranch_execnz .LBB718_105
.LBB718_70:
	s_or_b32 exec_lo, exec_lo, s34
	s_and_saveexec_b32 s34, s65
	s_cbranch_execnz .LBB718_108
.LBB718_71:
	s_or_b32 exec_lo, exec_lo, s34
	s_and_saveexec_b32 s34, s64
	s_cbranch_execnz .LBB718_111
.LBB718_72:
	s_or_b32 exec_lo, exec_lo, s34
	s_and_saveexec_b32 s34, s63
	s_cbranch_execnz .LBB718_114
.LBB718_73:
	s_or_b32 exec_lo, exec_lo, s34
	s_and_saveexec_b32 s34, s62
	s_cbranch_execnz .LBB718_117
.LBB718_74:
	s_or_b32 exec_lo, exec_lo, s34
	s_and_saveexec_b32 s34, s61
	s_cbranch_execnz .LBB718_120
.LBB718_75:
	s_or_b32 exec_lo, exec_lo, s34
	s_and_saveexec_b32 s34, s60
	s_cbranch_execnz .LBB718_123
.LBB718_76:
	s_or_b32 exec_lo, exec_lo, s34
	s_and_saveexec_b32 s34, s59
	s_cbranch_execnz .LBB718_126
.LBB718_77:
	s_or_b32 exec_lo, exec_lo, s34
	s_and_saveexec_b32 s34, s58
	s_cbranch_execnz .LBB718_129
.LBB718_78:
	s_or_b32 exec_lo, exec_lo, s34
	s_and_saveexec_b32 s34, s57
	s_cbranch_execnz .LBB718_132
.LBB718_79:
	s_or_b32 exec_lo, exec_lo, s34
	s_and_saveexec_b32 s34, s56
	s_cbranch_execnz .LBB718_135
.LBB718_80:
	s_or_b32 exec_lo, exec_lo, s34
	s_and_saveexec_b32 s34, s55
	s_cbranch_execnz .LBB718_138
.LBB718_81:
	s_or_b32 exec_lo, exec_lo, s34
	s_and_saveexec_b32 s34, s54
	s_cbranch_execnz .LBB718_141
.LBB718_82:
	s_or_b32 exec_lo, exec_lo, s34
	s_and_saveexec_b32 s34, s53
	s_cbranch_execnz .LBB718_144
.LBB718_83:
	s_or_b32 exec_lo, exec_lo, s34
	s_and_saveexec_b32 s34, s52
	s_cbranch_execnz .LBB718_147
.LBB718_84:
	s_or_b32 exec_lo, exec_lo, s34
	s_and_saveexec_b32 s34, s51
	s_cbranch_execnz .LBB718_150
.LBB718_85:
	s_or_b32 exec_lo, exec_lo, s34
	s_and_saveexec_b32 s34, s50
	s_cbranch_execnz .LBB718_153
.LBB718_86:
	s_or_b32 exec_lo, exec_lo, s34
	s_and_saveexec_b32 s34, s49
	s_cbranch_execnz .LBB718_156
.LBB718_87:
	s_or_b32 exec_lo, exec_lo, s34
	s_and_saveexec_b32 s34, s48
	s_cbranch_execnz .LBB718_159
.LBB718_88:
	s_or_b32 exec_lo, exec_lo, s34
	s_and_saveexec_b32 s34, s47
	s_cbranch_execnz .LBB718_162
.LBB718_89:
	s_or_b32 exec_lo, exec_lo, s34
	s_and_saveexec_b32 s34, s46
	s_cbranch_execnz .LBB718_165
.LBB718_90:
	s_or_b32 exec_lo, exec_lo, s34
	s_and_saveexec_b32 s34, s45
	s_cbranch_execnz .LBB718_168
.LBB718_91:
	s_or_b32 exec_lo, exec_lo, s34
	s_and_saveexec_b32 s34, s44
	s_cbranch_execnz .LBB718_171
.LBB718_92:
	s_or_b32 exec_lo, exec_lo, s34
	s_and_saveexec_b32 s34, s43
	s_cbranch_execnz .LBB718_174
.LBB718_93:
	s_or_b32 exec_lo, exec_lo, s34
	s_and_saveexec_b32 s34, s41
	s_cbranch_execnz .LBB718_177
.LBB718_94:
	s_or_b32 exec_lo, exec_lo, s34
	s_and_saveexec_b32 s34, s40
	s_cbranch_execnz .LBB718_180
.LBB718_95:
	s_or_b32 exec_lo, exec_lo, s34
	s_and_saveexec_b32 s34, s39
	s_cbranch_execnz .LBB718_183
.LBB718_96:
	s_or_b32 exec_lo, exec_lo, s34
	s_and_saveexec_b32 s34, s38
	s_cbranch_execnz .LBB718_186
.LBB718_97:
	s_or_b32 exec_lo, exec_lo, s34
	s_and_saveexec_b32 s34, s35
	s_cbranch_execnz .LBB718_189
	s_branch .LBB718_192
.LBB718_98:
	global_load_u8 v4, v[2:3], off
	s_waitcnt vmcnt(0)
	v_and_b32_e32 v4, 1, v4
	s_delay_alu instid0(VALU_DEP_1) | instskip(NEXT) | instid1(VALU_DEP_1)
	v_cmp_eq_u32_e64 s0, 1, v4
	s_xor_b32 s0, s0, -1
	s_delay_alu instid0(SALU_CYCLE_1)
	s_and_b32 s1, s0, exec_lo
	s_or_b32 exec_lo, exec_lo, s34
	v_mov_b32_e32 v4, v39
	s_and_saveexec_b32 s34, s68
	s_cbranch_execz .LBB718_68
.LBB718_99:
	global_load_u8 v4, v[2:3], off offset:64
	s_waitcnt vmcnt(0)
	v_and_b32_e32 v4, 1, v4
	s_delay_alu instid0(VALU_DEP_1) | instskip(SKIP_1) | instid1(VALU_DEP_2)
	v_cmp_eq_u32_e64 s0, 1, v4
	v_mov_b32_e32 v4, v39
	s_xor_b32 s70, s0, -1
	s_mov_b32 s0, s1
	s_and_saveexec_b32 s42, s70
; %bb.100:
	v_cmp_gt_f32_e64 s0, v39, v38
	s_delay_alu instid0(VALU_DEP_1) | instskip(NEXT) | instid1(SALU_CYCLE_1)
	s_and_b32 s0, s1, s0
	v_cndmask_b32_e64 v4, v38, v39, s0
	s_or_b32 s0, s1, exec_lo
; %bb.101:
	s_or_b32 exec_lo, exec_lo, s42
	s_delay_alu instid0(SALU_CYCLE_1) | instskip(SKIP_1) | instid1(SALU_CYCLE_1)
	s_and_not1_b32 s1, s1, exec_lo
	s_and_b32 s0, s0, exec_lo
	s_or_b32 s1, s1, s0
	s_or_b32 exec_lo, exec_lo, s34
	s_and_saveexec_b32 s34, s67
	s_cbranch_execz .LBB718_69
.LBB718_102:
	global_load_u8 v5, v[2:3], off offset:128
	s_waitcnt vmcnt(0)
	v_and_b32_e32 v5, 1, v5
	s_delay_alu instid0(VALU_DEP_1) | instskip(NEXT) | instid1(VALU_DEP_1)
	v_cmp_eq_u32_e64 s0, 1, v5
	s_xor_b32 s70, s0, -1
	s_mov_b32 s0, s1
	s_and_saveexec_b32 s42, s70
; %bb.103:
	v_cmp_gt_f32_e64 s0, v4, v37
	s_delay_alu instid0(VALU_DEP_1) | instskip(NEXT) | instid1(SALU_CYCLE_1)
	s_and_b32 s0, s1, s0
	v_cndmask_b32_e64 v4, v37, v4, s0
	s_or_b32 s0, s1, exec_lo
; %bb.104:
	s_or_b32 exec_lo, exec_lo, s42
	s_delay_alu instid0(SALU_CYCLE_1) | instskip(SKIP_1) | instid1(SALU_CYCLE_1)
	s_and_not1_b32 s1, s1, exec_lo
	s_and_b32 s0, s0, exec_lo
	s_or_b32 s1, s1, s0
	s_or_b32 exec_lo, exec_lo, s34
	s_and_saveexec_b32 s34, s66
	s_cbranch_execz .LBB718_70
.LBB718_105:
	global_load_u8 v5, v[2:3], off offset:192
	s_waitcnt vmcnt(0)
	v_and_b32_e32 v5, 1, v5
	s_delay_alu instid0(VALU_DEP_1) | instskip(NEXT) | instid1(VALU_DEP_1)
	v_cmp_eq_u32_e64 s0, 1, v5
	s_xor_b32 s70, s0, -1
	s_mov_b32 s0, s1
	s_and_saveexec_b32 s42, s70
; %bb.106:
	v_cmp_gt_f32_e64 s0, v4, v36
	s_delay_alu instid0(VALU_DEP_1) | instskip(NEXT) | instid1(SALU_CYCLE_1)
	s_and_b32 s0, s1, s0
	v_cndmask_b32_e64 v4, v36, v4, s0
	s_or_b32 s0, s1, exec_lo
; %bb.107:
	s_or_b32 exec_lo, exec_lo, s42
	s_delay_alu instid0(SALU_CYCLE_1) | instskip(SKIP_1) | instid1(SALU_CYCLE_1)
	s_and_not1_b32 s1, s1, exec_lo
	s_and_b32 s0, s0, exec_lo
	s_or_b32 s1, s1, s0
	s_or_b32 exec_lo, exec_lo, s34
	s_and_saveexec_b32 s34, s65
	s_cbranch_execz .LBB718_71
.LBB718_108:
	global_load_u8 v5, v[2:3], off offset:256
	s_waitcnt vmcnt(0)
	v_and_b32_e32 v5, 1, v5
	s_delay_alu instid0(VALU_DEP_1) | instskip(NEXT) | instid1(VALU_DEP_1)
	v_cmp_eq_u32_e64 s0, 1, v5
	s_xor_b32 s70, s0, -1
	s_mov_b32 s0, s1
	s_and_saveexec_b32 s42, s70
; %bb.109:
	v_cmp_gt_f32_e64 s0, v4, v35
	s_delay_alu instid0(VALU_DEP_1) | instskip(NEXT) | instid1(SALU_CYCLE_1)
	s_and_b32 s0, s1, s0
	v_cndmask_b32_e64 v4, v35, v4, s0
	s_or_b32 s0, s1, exec_lo
; %bb.110:
	s_or_b32 exec_lo, exec_lo, s42
	s_delay_alu instid0(SALU_CYCLE_1) | instskip(SKIP_1) | instid1(SALU_CYCLE_1)
	s_and_not1_b32 s1, s1, exec_lo
	s_and_b32 s0, s0, exec_lo
	s_or_b32 s1, s1, s0
	s_or_b32 exec_lo, exec_lo, s34
	s_and_saveexec_b32 s34, s64
	s_cbranch_execz .LBB718_72
.LBB718_111:
	global_load_u8 v5, v[2:3], off offset:320
	s_waitcnt vmcnt(0)
	v_and_b32_e32 v5, 1, v5
	s_delay_alu instid0(VALU_DEP_1) | instskip(NEXT) | instid1(VALU_DEP_1)
	v_cmp_eq_u32_e64 s0, 1, v5
	s_xor_b32 s70, s0, -1
	s_mov_b32 s0, s1
	s_and_saveexec_b32 s42, s70
; %bb.112:
	v_cmp_gt_f32_e64 s0, v4, v34
	s_delay_alu instid0(VALU_DEP_1) | instskip(NEXT) | instid1(SALU_CYCLE_1)
	s_and_b32 s0, s1, s0
	v_cndmask_b32_e64 v4, v34, v4, s0
	s_or_b32 s0, s1, exec_lo
; %bb.113:
	s_or_b32 exec_lo, exec_lo, s42
	s_delay_alu instid0(SALU_CYCLE_1) | instskip(SKIP_1) | instid1(SALU_CYCLE_1)
	s_and_not1_b32 s1, s1, exec_lo
	s_and_b32 s0, s0, exec_lo
	s_or_b32 s1, s1, s0
	s_or_b32 exec_lo, exec_lo, s34
	s_and_saveexec_b32 s34, s63
	s_cbranch_execz .LBB718_73
.LBB718_114:
	global_load_u8 v5, v[2:3], off offset:384
	s_waitcnt vmcnt(0)
	v_and_b32_e32 v5, 1, v5
	s_delay_alu instid0(VALU_DEP_1) | instskip(NEXT) | instid1(VALU_DEP_1)
	v_cmp_eq_u32_e64 s0, 1, v5
	s_xor_b32 s70, s0, -1
	s_mov_b32 s0, s1
	s_and_saveexec_b32 s42, s70
; %bb.115:
	v_cmp_gt_f32_e64 s0, v4, v33
	s_delay_alu instid0(VALU_DEP_1) | instskip(NEXT) | instid1(SALU_CYCLE_1)
	s_and_b32 s0, s1, s0
	v_cndmask_b32_e64 v4, v33, v4, s0
	s_or_b32 s0, s1, exec_lo
; %bb.116:
	s_or_b32 exec_lo, exec_lo, s42
	s_delay_alu instid0(SALU_CYCLE_1) | instskip(SKIP_1) | instid1(SALU_CYCLE_1)
	s_and_not1_b32 s1, s1, exec_lo
	s_and_b32 s0, s0, exec_lo
	s_or_b32 s1, s1, s0
	s_or_b32 exec_lo, exec_lo, s34
	s_and_saveexec_b32 s34, s62
	s_cbranch_execz .LBB718_74
.LBB718_117:
	global_load_u8 v5, v[2:3], off offset:448
	s_waitcnt vmcnt(0)
	v_and_b32_e32 v5, 1, v5
	s_delay_alu instid0(VALU_DEP_1) | instskip(NEXT) | instid1(VALU_DEP_1)
	v_cmp_eq_u32_e64 s0, 1, v5
	s_xor_b32 s70, s0, -1
	s_mov_b32 s0, s1
	s_and_saveexec_b32 s42, s70
; %bb.118:
	v_cmp_gt_f32_e64 s0, v4, v32
	s_delay_alu instid0(VALU_DEP_1) | instskip(NEXT) | instid1(SALU_CYCLE_1)
	s_and_b32 s0, s1, s0
	v_cndmask_b32_e64 v4, v32, v4, s0
	s_or_b32 s0, s1, exec_lo
; %bb.119:
	s_or_b32 exec_lo, exec_lo, s42
	s_delay_alu instid0(SALU_CYCLE_1) | instskip(SKIP_1) | instid1(SALU_CYCLE_1)
	s_and_not1_b32 s1, s1, exec_lo
	s_and_b32 s0, s0, exec_lo
	s_or_b32 s1, s1, s0
	s_or_b32 exec_lo, exec_lo, s34
	s_and_saveexec_b32 s34, s61
	s_cbranch_execz .LBB718_75
.LBB718_120:
	global_load_u8 v5, v[2:3], off offset:512
	s_waitcnt vmcnt(0)
	v_and_b32_e32 v5, 1, v5
	s_delay_alu instid0(VALU_DEP_1) | instskip(NEXT) | instid1(VALU_DEP_1)
	v_cmp_eq_u32_e64 s0, 1, v5
	s_xor_b32 s70, s0, -1
	s_mov_b32 s0, s1
	s_and_saveexec_b32 s42, s70
; %bb.121:
	v_cmp_gt_f32_e64 s0, v4, v31
	s_delay_alu instid0(VALU_DEP_1) | instskip(NEXT) | instid1(SALU_CYCLE_1)
	s_and_b32 s0, s1, s0
	v_cndmask_b32_e64 v4, v31, v4, s0
	s_or_b32 s0, s1, exec_lo
; %bb.122:
	s_or_b32 exec_lo, exec_lo, s42
	s_delay_alu instid0(SALU_CYCLE_1) | instskip(SKIP_1) | instid1(SALU_CYCLE_1)
	s_and_not1_b32 s1, s1, exec_lo
	s_and_b32 s0, s0, exec_lo
	s_or_b32 s1, s1, s0
	s_or_b32 exec_lo, exec_lo, s34
	s_and_saveexec_b32 s34, s60
	s_cbranch_execz .LBB718_76
.LBB718_123:
	global_load_u8 v5, v[2:3], off offset:576
	s_waitcnt vmcnt(0)
	v_and_b32_e32 v5, 1, v5
	s_delay_alu instid0(VALU_DEP_1) | instskip(NEXT) | instid1(VALU_DEP_1)
	v_cmp_eq_u32_e64 s0, 1, v5
	s_xor_b32 s70, s0, -1
	s_mov_b32 s0, s1
	s_and_saveexec_b32 s42, s70
; %bb.124:
	v_cmp_gt_f32_e64 s0, v4, v30
	s_delay_alu instid0(VALU_DEP_1) | instskip(NEXT) | instid1(SALU_CYCLE_1)
	s_and_b32 s0, s1, s0
	v_cndmask_b32_e64 v4, v30, v4, s0
	s_or_b32 s0, s1, exec_lo
; %bb.125:
	s_or_b32 exec_lo, exec_lo, s42
	s_delay_alu instid0(SALU_CYCLE_1) | instskip(SKIP_1) | instid1(SALU_CYCLE_1)
	s_and_not1_b32 s1, s1, exec_lo
	s_and_b32 s0, s0, exec_lo
	s_or_b32 s1, s1, s0
	s_or_b32 exec_lo, exec_lo, s34
	s_and_saveexec_b32 s34, s59
	s_cbranch_execz .LBB718_77
.LBB718_126:
	global_load_u8 v5, v[2:3], off offset:640
	s_waitcnt vmcnt(0)
	v_and_b32_e32 v5, 1, v5
	s_delay_alu instid0(VALU_DEP_1) | instskip(NEXT) | instid1(VALU_DEP_1)
	v_cmp_eq_u32_e64 s0, 1, v5
	s_xor_b32 s70, s0, -1
	s_mov_b32 s0, s1
	s_and_saveexec_b32 s42, s70
; %bb.127:
	v_cmp_gt_f32_e64 s0, v4, v29
	s_delay_alu instid0(VALU_DEP_1) | instskip(NEXT) | instid1(SALU_CYCLE_1)
	s_and_b32 s0, s1, s0
	v_cndmask_b32_e64 v4, v29, v4, s0
	s_or_b32 s0, s1, exec_lo
; %bb.128:
	s_or_b32 exec_lo, exec_lo, s42
	s_delay_alu instid0(SALU_CYCLE_1) | instskip(SKIP_1) | instid1(SALU_CYCLE_1)
	s_and_not1_b32 s1, s1, exec_lo
	s_and_b32 s0, s0, exec_lo
	s_or_b32 s1, s1, s0
	s_or_b32 exec_lo, exec_lo, s34
	s_and_saveexec_b32 s34, s58
	s_cbranch_execz .LBB718_78
.LBB718_129:
	global_load_u8 v5, v[2:3], off offset:704
	s_waitcnt vmcnt(0)
	v_and_b32_e32 v5, 1, v5
	s_delay_alu instid0(VALU_DEP_1) | instskip(NEXT) | instid1(VALU_DEP_1)
	v_cmp_eq_u32_e64 s0, 1, v5
	s_xor_b32 s70, s0, -1
	s_mov_b32 s0, s1
	s_and_saveexec_b32 s42, s70
; %bb.130:
	v_cmp_gt_f32_e64 s0, v4, v28
	s_delay_alu instid0(VALU_DEP_1) | instskip(NEXT) | instid1(SALU_CYCLE_1)
	s_and_b32 s0, s1, s0
	v_cndmask_b32_e64 v4, v28, v4, s0
	s_or_b32 s0, s1, exec_lo
; %bb.131:
	s_or_b32 exec_lo, exec_lo, s42
	s_delay_alu instid0(SALU_CYCLE_1) | instskip(SKIP_1) | instid1(SALU_CYCLE_1)
	s_and_not1_b32 s1, s1, exec_lo
	s_and_b32 s0, s0, exec_lo
	s_or_b32 s1, s1, s0
	s_or_b32 exec_lo, exec_lo, s34
	s_and_saveexec_b32 s34, s57
	s_cbranch_execz .LBB718_79
.LBB718_132:
	global_load_u8 v5, v[2:3], off offset:768
	s_waitcnt vmcnt(0)
	v_and_b32_e32 v5, 1, v5
	s_delay_alu instid0(VALU_DEP_1) | instskip(NEXT) | instid1(VALU_DEP_1)
	v_cmp_eq_u32_e64 s0, 1, v5
	s_xor_b32 s70, s0, -1
	s_mov_b32 s0, s1
	s_and_saveexec_b32 s42, s70
; %bb.133:
	v_cmp_gt_f32_e64 s0, v4, v27
	s_delay_alu instid0(VALU_DEP_1) | instskip(NEXT) | instid1(SALU_CYCLE_1)
	s_and_b32 s0, s1, s0
	v_cndmask_b32_e64 v4, v27, v4, s0
	s_or_b32 s0, s1, exec_lo
; %bb.134:
	s_or_b32 exec_lo, exec_lo, s42
	s_delay_alu instid0(SALU_CYCLE_1) | instskip(SKIP_1) | instid1(SALU_CYCLE_1)
	s_and_not1_b32 s1, s1, exec_lo
	s_and_b32 s0, s0, exec_lo
	s_or_b32 s1, s1, s0
	s_or_b32 exec_lo, exec_lo, s34
	s_and_saveexec_b32 s34, s56
	s_cbranch_execz .LBB718_80
.LBB718_135:
	global_load_u8 v5, v[2:3], off offset:832
	s_waitcnt vmcnt(0)
	v_and_b32_e32 v5, 1, v5
	s_delay_alu instid0(VALU_DEP_1) | instskip(NEXT) | instid1(VALU_DEP_1)
	v_cmp_eq_u32_e64 s0, 1, v5
	s_xor_b32 s70, s0, -1
	s_mov_b32 s0, s1
	s_and_saveexec_b32 s42, s70
; %bb.136:
	v_cmp_gt_f32_e64 s0, v4, v26
	s_delay_alu instid0(VALU_DEP_1) | instskip(NEXT) | instid1(SALU_CYCLE_1)
	s_and_b32 s0, s1, s0
	v_cndmask_b32_e64 v4, v26, v4, s0
	s_or_b32 s0, s1, exec_lo
; %bb.137:
	s_or_b32 exec_lo, exec_lo, s42
	s_delay_alu instid0(SALU_CYCLE_1) | instskip(SKIP_1) | instid1(SALU_CYCLE_1)
	s_and_not1_b32 s1, s1, exec_lo
	s_and_b32 s0, s0, exec_lo
	s_or_b32 s1, s1, s0
	s_or_b32 exec_lo, exec_lo, s34
	s_and_saveexec_b32 s34, s55
	s_cbranch_execz .LBB718_81
.LBB718_138:
	global_load_u8 v5, v[2:3], off offset:896
	s_waitcnt vmcnt(0)
	v_and_b32_e32 v5, 1, v5
	s_delay_alu instid0(VALU_DEP_1) | instskip(NEXT) | instid1(VALU_DEP_1)
	v_cmp_eq_u32_e64 s0, 1, v5
	s_xor_b32 s70, s0, -1
	s_mov_b32 s0, s1
	s_and_saveexec_b32 s42, s70
; %bb.139:
	v_cmp_gt_f32_e64 s0, v4, v25
	s_delay_alu instid0(VALU_DEP_1) | instskip(NEXT) | instid1(SALU_CYCLE_1)
	s_and_b32 s0, s1, s0
	v_cndmask_b32_e64 v4, v25, v4, s0
	s_or_b32 s0, s1, exec_lo
; %bb.140:
	s_or_b32 exec_lo, exec_lo, s42
	s_delay_alu instid0(SALU_CYCLE_1) | instskip(SKIP_1) | instid1(SALU_CYCLE_1)
	s_and_not1_b32 s1, s1, exec_lo
	s_and_b32 s0, s0, exec_lo
	s_or_b32 s1, s1, s0
	s_or_b32 exec_lo, exec_lo, s34
	s_and_saveexec_b32 s34, s54
	s_cbranch_execz .LBB718_82
.LBB718_141:
	global_load_u8 v5, v[2:3], off offset:960
	s_waitcnt vmcnt(0)
	v_and_b32_e32 v5, 1, v5
	s_delay_alu instid0(VALU_DEP_1) | instskip(NEXT) | instid1(VALU_DEP_1)
	v_cmp_eq_u32_e64 s0, 1, v5
	s_xor_b32 s70, s0, -1
	s_mov_b32 s0, s1
	s_and_saveexec_b32 s42, s70
; %bb.142:
	v_cmp_gt_f32_e64 s0, v4, v24
	s_delay_alu instid0(VALU_DEP_1) | instskip(NEXT) | instid1(SALU_CYCLE_1)
	s_and_b32 s0, s1, s0
	v_cndmask_b32_e64 v4, v24, v4, s0
	s_or_b32 s0, s1, exec_lo
; %bb.143:
	s_or_b32 exec_lo, exec_lo, s42
	s_delay_alu instid0(SALU_CYCLE_1) | instskip(SKIP_1) | instid1(SALU_CYCLE_1)
	s_and_not1_b32 s1, s1, exec_lo
	s_and_b32 s0, s0, exec_lo
	s_or_b32 s1, s1, s0
	s_or_b32 exec_lo, exec_lo, s34
	s_and_saveexec_b32 s34, s53
	s_cbranch_execz .LBB718_83
.LBB718_144:
	global_load_u8 v5, v[2:3], off offset:1024
	s_waitcnt vmcnt(0)
	v_and_b32_e32 v5, 1, v5
	s_delay_alu instid0(VALU_DEP_1) | instskip(NEXT) | instid1(VALU_DEP_1)
	v_cmp_eq_u32_e64 s0, 1, v5
	s_xor_b32 s70, s0, -1
	s_mov_b32 s0, s1
	s_and_saveexec_b32 s42, s70
; %bb.145:
	v_cmp_gt_f32_e64 s0, v4, v23
	s_delay_alu instid0(VALU_DEP_1) | instskip(NEXT) | instid1(SALU_CYCLE_1)
	s_and_b32 s0, s1, s0
	v_cndmask_b32_e64 v4, v23, v4, s0
	s_or_b32 s0, s1, exec_lo
; %bb.146:
	s_or_b32 exec_lo, exec_lo, s42
	s_delay_alu instid0(SALU_CYCLE_1) | instskip(SKIP_1) | instid1(SALU_CYCLE_1)
	s_and_not1_b32 s1, s1, exec_lo
	s_and_b32 s0, s0, exec_lo
	s_or_b32 s1, s1, s0
	s_or_b32 exec_lo, exec_lo, s34
	s_and_saveexec_b32 s34, s52
	s_cbranch_execz .LBB718_84
.LBB718_147:
	global_load_u8 v5, v[2:3], off offset:1088
	s_waitcnt vmcnt(0)
	v_and_b32_e32 v5, 1, v5
	s_delay_alu instid0(VALU_DEP_1) | instskip(NEXT) | instid1(VALU_DEP_1)
	v_cmp_eq_u32_e64 s0, 1, v5
	s_xor_b32 s70, s0, -1
	s_mov_b32 s0, s1
	s_and_saveexec_b32 s42, s70
; %bb.148:
	v_cmp_gt_f32_e64 s0, v4, v22
	s_delay_alu instid0(VALU_DEP_1) | instskip(NEXT) | instid1(SALU_CYCLE_1)
	s_and_b32 s0, s1, s0
	v_cndmask_b32_e64 v4, v22, v4, s0
	s_or_b32 s0, s1, exec_lo
; %bb.149:
	s_or_b32 exec_lo, exec_lo, s42
	s_delay_alu instid0(SALU_CYCLE_1) | instskip(SKIP_1) | instid1(SALU_CYCLE_1)
	s_and_not1_b32 s1, s1, exec_lo
	s_and_b32 s0, s0, exec_lo
	s_or_b32 s1, s1, s0
	s_or_b32 exec_lo, exec_lo, s34
	s_and_saveexec_b32 s34, s51
	s_cbranch_execz .LBB718_85
.LBB718_150:
	global_load_u8 v5, v[2:3], off offset:1152
	s_waitcnt vmcnt(0)
	v_and_b32_e32 v5, 1, v5
	s_delay_alu instid0(VALU_DEP_1) | instskip(NEXT) | instid1(VALU_DEP_1)
	v_cmp_eq_u32_e64 s0, 1, v5
	s_xor_b32 s70, s0, -1
	s_mov_b32 s0, s1
	s_and_saveexec_b32 s42, s70
; %bb.151:
	v_cmp_gt_f32_e64 s0, v4, v21
	s_delay_alu instid0(VALU_DEP_1) | instskip(NEXT) | instid1(SALU_CYCLE_1)
	s_and_b32 s0, s1, s0
	v_cndmask_b32_e64 v4, v21, v4, s0
	s_or_b32 s0, s1, exec_lo
; %bb.152:
	s_or_b32 exec_lo, exec_lo, s42
	s_delay_alu instid0(SALU_CYCLE_1) | instskip(SKIP_1) | instid1(SALU_CYCLE_1)
	s_and_not1_b32 s1, s1, exec_lo
	s_and_b32 s0, s0, exec_lo
	s_or_b32 s1, s1, s0
	s_or_b32 exec_lo, exec_lo, s34
	s_and_saveexec_b32 s34, s50
	s_cbranch_execz .LBB718_86
.LBB718_153:
	global_load_u8 v5, v[2:3], off offset:1216
	s_waitcnt vmcnt(0)
	v_and_b32_e32 v5, 1, v5
	s_delay_alu instid0(VALU_DEP_1) | instskip(NEXT) | instid1(VALU_DEP_1)
	v_cmp_eq_u32_e64 s0, 1, v5
	s_xor_b32 s70, s0, -1
	s_mov_b32 s0, s1
	s_and_saveexec_b32 s42, s70
; %bb.154:
	v_cmp_gt_f32_e64 s0, v4, v20
	s_delay_alu instid0(VALU_DEP_1) | instskip(NEXT) | instid1(SALU_CYCLE_1)
	s_and_b32 s0, s1, s0
	v_cndmask_b32_e64 v4, v20, v4, s0
	s_or_b32 s0, s1, exec_lo
; %bb.155:
	s_or_b32 exec_lo, exec_lo, s42
	s_delay_alu instid0(SALU_CYCLE_1) | instskip(SKIP_1) | instid1(SALU_CYCLE_1)
	s_and_not1_b32 s1, s1, exec_lo
	s_and_b32 s0, s0, exec_lo
	s_or_b32 s1, s1, s0
	s_or_b32 exec_lo, exec_lo, s34
	s_and_saveexec_b32 s34, s49
	s_cbranch_execz .LBB718_87
.LBB718_156:
	global_load_u8 v5, v[2:3], off offset:1280
	s_waitcnt vmcnt(0)
	v_and_b32_e32 v5, 1, v5
	s_delay_alu instid0(VALU_DEP_1) | instskip(NEXT) | instid1(VALU_DEP_1)
	v_cmp_eq_u32_e64 s0, 1, v5
	s_xor_b32 s70, s0, -1
	s_mov_b32 s0, s1
	s_and_saveexec_b32 s42, s70
; %bb.157:
	v_cmp_gt_f32_e64 s0, v4, v19
	s_delay_alu instid0(VALU_DEP_1) | instskip(NEXT) | instid1(SALU_CYCLE_1)
	s_and_b32 s0, s1, s0
	v_cndmask_b32_e64 v4, v19, v4, s0
	s_or_b32 s0, s1, exec_lo
; %bb.158:
	s_or_b32 exec_lo, exec_lo, s42
	s_delay_alu instid0(SALU_CYCLE_1) | instskip(SKIP_1) | instid1(SALU_CYCLE_1)
	s_and_not1_b32 s1, s1, exec_lo
	s_and_b32 s0, s0, exec_lo
	s_or_b32 s1, s1, s0
	s_or_b32 exec_lo, exec_lo, s34
	s_and_saveexec_b32 s34, s48
	s_cbranch_execz .LBB718_88
.LBB718_159:
	global_load_u8 v5, v[2:3], off offset:1344
	s_waitcnt vmcnt(0)
	v_and_b32_e32 v5, 1, v5
	s_delay_alu instid0(VALU_DEP_1) | instskip(NEXT) | instid1(VALU_DEP_1)
	v_cmp_eq_u32_e64 s0, 1, v5
	s_xor_b32 s70, s0, -1
	s_mov_b32 s0, s1
	s_and_saveexec_b32 s42, s70
; %bb.160:
	v_cmp_gt_f32_e64 s0, v4, v18
	s_delay_alu instid0(VALU_DEP_1) | instskip(NEXT) | instid1(SALU_CYCLE_1)
	s_and_b32 s0, s1, s0
	v_cndmask_b32_e64 v4, v18, v4, s0
	s_or_b32 s0, s1, exec_lo
; %bb.161:
	s_or_b32 exec_lo, exec_lo, s42
	s_delay_alu instid0(SALU_CYCLE_1) | instskip(SKIP_1) | instid1(SALU_CYCLE_1)
	s_and_not1_b32 s1, s1, exec_lo
	s_and_b32 s0, s0, exec_lo
	s_or_b32 s1, s1, s0
	s_or_b32 exec_lo, exec_lo, s34
	s_and_saveexec_b32 s34, s47
	s_cbranch_execz .LBB718_89
.LBB718_162:
	global_load_u8 v5, v[2:3], off offset:1408
	s_waitcnt vmcnt(0)
	v_and_b32_e32 v5, 1, v5
	s_delay_alu instid0(VALU_DEP_1) | instskip(NEXT) | instid1(VALU_DEP_1)
	v_cmp_eq_u32_e64 s0, 1, v5
	s_xor_b32 s70, s0, -1
	s_mov_b32 s0, s1
	s_and_saveexec_b32 s42, s70
; %bb.163:
	v_cmp_gt_f32_e64 s0, v4, v17
	s_delay_alu instid0(VALU_DEP_1) | instskip(NEXT) | instid1(SALU_CYCLE_1)
	s_and_b32 s0, s1, s0
	v_cndmask_b32_e64 v4, v17, v4, s0
	s_or_b32 s0, s1, exec_lo
; %bb.164:
	s_or_b32 exec_lo, exec_lo, s42
	s_delay_alu instid0(SALU_CYCLE_1) | instskip(SKIP_1) | instid1(SALU_CYCLE_1)
	s_and_not1_b32 s1, s1, exec_lo
	s_and_b32 s0, s0, exec_lo
	s_or_b32 s1, s1, s0
	s_or_b32 exec_lo, exec_lo, s34
	s_and_saveexec_b32 s34, s46
	s_cbranch_execz .LBB718_90
.LBB718_165:
	global_load_u8 v5, v[2:3], off offset:1472
	s_waitcnt vmcnt(0)
	v_and_b32_e32 v5, 1, v5
	s_delay_alu instid0(VALU_DEP_1) | instskip(NEXT) | instid1(VALU_DEP_1)
	v_cmp_eq_u32_e64 s0, 1, v5
	s_xor_b32 s70, s0, -1
	s_mov_b32 s0, s1
	s_and_saveexec_b32 s42, s70
; %bb.166:
	v_cmp_gt_f32_e64 s0, v4, v16
	s_delay_alu instid0(VALU_DEP_1) | instskip(NEXT) | instid1(SALU_CYCLE_1)
	s_and_b32 s0, s1, s0
	v_cndmask_b32_e64 v4, v16, v4, s0
	s_or_b32 s0, s1, exec_lo
; %bb.167:
	s_or_b32 exec_lo, exec_lo, s42
	s_delay_alu instid0(SALU_CYCLE_1) | instskip(SKIP_1) | instid1(SALU_CYCLE_1)
	s_and_not1_b32 s1, s1, exec_lo
	s_and_b32 s0, s0, exec_lo
	s_or_b32 s1, s1, s0
	s_or_b32 exec_lo, exec_lo, s34
	s_and_saveexec_b32 s34, s45
	s_cbranch_execz .LBB718_91
.LBB718_168:
	global_load_u8 v5, v[2:3], off offset:1536
	s_waitcnt vmcnt(0)
	v_and_b32_e32 v5, 1, v5
	s_delay_alu instid0(VALU_DEP_1) | instskip(NEXT) | instid1(VALU_DEP_1)
	v_cmp_eq_u32_e64 s0, 1, v5
	s_xor_b32 s70, s0, -1
	s_mov_b32 s0, s1
	s_and_saveexec_b32 s42, s70
; %bb.169:
	v_cmp_gt_f32_e64 s0, v4, v15
	s_delay_alu instid0(VALU_DEP_1) | instskip(NEXT) | instid1(SALU_CYCLE_1)
	s_and_b32 s0, s1, s0
	v_cndmask_b32_e64 v4, v15, v4, s0
	s_or_b32 s0, s1, exec_lo
; %bb.170:
	s_or_b32 exec_lo, exec_lo, s42
	s_delay_alu instid0(SALU_CYCLE_1) | instskip(SKIP_1) | instid1(SALU_CYCLE_1)
	s_and_not1_b32 s1, s1, exec_lo
	s_and_b32 s0, s0, exec_lo
	s_or_b32 s1, s1, s0
	s_or_b32 exec_lo, exec_lo, s34
	s_and_saveexec_b32 s34, s44
	s_cbranch_execz .LBB718_92
.LBB718_171:
	global_load_u8 v5, v[2:3], off offset:1600
	s_waitcnt vmcnt(0)
	v_and_b32_e32 v5, 1, v5
	s_delay_alu instid0(VALU_DEP_1) | instskip(NEXT) | instid1(VALU_DEP_1)
	v_cmp_eq_u32_e64 s0, 1, v5
	s_xor_b32 s70, s0, -1
	s_mov_b32 s0, s1
	s_and_saveexec_b32 s42, s70
; %bb.172:
	v_cmp_gt_f32_e64 s0, v4, v14
	s_delay_alu instid0(VALU_DEP_1) | instskip(NEXT) | instid1(SALU_CYCLE_1)
	s_and_b32 s0, s1, s0
	v_cndmask_b32_e64 v4, v14, v4, s0
	s_or_b32 s0, s1, exec_lo
; %bb.173:
	s_or_b32 exec_lo, exec_lo, s42
	s_delay_alu instid0(SALU_CYCLE_1) | instskip(SKIP_1) | instid1(SALU_CYCLE_1)
	s_and_not1_b32 s1, s1, exec_lo
	s_and_b32 s0, s0, exec_lo
	s_or_b32 s1, s1, s0
	s_or_b32 exec_lo, exec_lo, s34
	s_and_saveexec_b32 s34, s43
	s_cbranch_execz .LBB718_93
.LBB718_174:
	global_load_u8 v5, v[2:3], off offset:1664
	s_waitcnt vmcnt(0)
	v_and_b32_e32 v5, 1, v5
	s_delay_alu instid0(VALU_DEP_1) | instskip(NEXT) | instid1(VALU_DEP_1)
	v_cmp_eq_u32_e64 s0, 1, v5
	s_xor_b32 s70, s0, -1
	s_mov_b32 s0, s1
	s_and_saveexec_b32 s42, s70
; %bb.175:
	v_cmp_gt_f32_e64 s0, v4, v13
	s_delay_alu instid0(VALU_DEP_1) | instskip(NEXT) | instid1(SALU_CYCLE_1)
	s_and_b32 s0, s1, s0
	v_cndmask_b32_e64 v4, v13, v4, s0
	s_or_b32 s0, s1, exec_lo
; %bb.176:
	s_or_b32 exec_lo, exec_lo, s42
	s_delay_alu instid0(SALU_CYCLE_1) | instskip(SKIP_1) | instid1(SALU_CYCLE_1)
	s_and_not1_b32 s1, s1, exec_lo
	s_and_b32 s0, s0, exec_lo
	s_or_b32 s1, s1, s0
	s_or_b32 exec_lo, exec_lo, s34
	s_and_saveexec_b32 s34, s41
	s_cbranch_execz .LBB718_94
.LBB718_177:
	global_load_u8 v5, v[2:3], off offset:1728
	s_waitcnt vmcnt(0)
	v_and_b32_e32 v5, 1, v5
	s_delay_alu instid0(VALU_DEP_1) | instskip(NEXT) | instid1(VALU_DEP_1)
	v_cmp_eq_u32_e64 s0, 1, v5
	s_xor_b32 s70, s0, -1
	s_mov_b32 s0, s1
	s_and_saveexec_b32 s42, s70
; %bb.178:
	v_cmp_gt_f32_e64 s0, v4, v12
	s_delay_alu instid0(VALU_DEP_1) | instskip(NEXT) | instid1(SALU_CYCLE_1)
	s_and_b32 s0, s1, s0
	v_cndmask_b32_e64 v4, v12, v4, s0
	s_or_b32 s0, s1, exec_lo
; %bb.179:
	s_or_b32 exec_lo, exec_lo, s42
	s_delay_alu instid0(SALU_CYCLE_1) | instskip(SKIP_1) | instid1(SALU_CYCLE_1)
	s_and_not1_b32 s1, s1, exec_lo
	s_and_b32 s0, s0, exec_lo
	s_or_b32 s1, s1, s0
	s_or_b32 exec_lo, exec_lo, s34
	s_and_saveexec_b32 s34, s40
	s_cbranch_execz .LBB718_95
.LBB718_180:
	global_load_u8 v5, v[2:3], off offset:1792
	s_waitcnt vmcnt(0)
	v_and_b32_e32 v5, 1, v5
	s_delay_alu instid0(VALU_DEP_1) | instskip(NEXT) | instid1(VALU_DEP_1)
	v_cmp_eq_u32_e64 s0, 1, v5
	s_xor_b32 s70, s0, -1
	s_mov_b32 s0, s1
	s_and_saveexec_b32 s42, s70
; %bb.181:
	v_cmp_gt_f32_e64 s0, v4, v11
	s_delay_alu instid0(VALU_DEP_1) | instskip(NEXT) | instid1(SALU_CYCLE_1)
	s_and_b32 s0, s1, s0
	v_cndmask_b32_e64 v4, v11, v4, s0
	s_or_b32 s0, s1, exec_lo
; %bb.182:
	s_or_b32 exec_lo, exec_lo, s42
	s_delay_alu instid0(SALU_CYCLE_1) | instskip(SKIP_1) | instid1(SALU_CYCLE_1)
	s_and_not1_b32 s1, s1, exec_lo
	s_and_b32 s0, s0, exec_lo
	s_or_b32 s1, s1, s0
	s_or_b32 exec_lo, exec_lo, s34
	s_and_saveexec_b32 s34, s39
	s_cbranch_execz .LBB718_96
.LBB718_183:
	global_load_u8 v5, v[2:3], off offset:1856
	s_waitcnt vmcnt(0)
	v_and_b32_e32 v5, 1, v5
	s_delay_alu instid0(VALU_DEP_1) | instskip(NEXT) | instid1(VALU_DEP_1)
	v_cmp_eq_u32_e64 s0, 1, v5
	s_xor_b32 s70, s0, -1
	s_mov_b32 s0, s1
	s_and_saveexec_b32 s42, s70
; %bb.184:
	v_cmp_gt_f32_e64 s0, v4, v10
	s_delay_alu instid0(VALU_DEP_1) | instskip(NEXT) | instid1(SALU_CYCLE_1)
	s_and_b32 s0, s1, s0
	v_cndmask_b32_e64 v4, v10, v4, s0
	s_or_b32 s0, s1, exec_lo
; %bb.185:
	s_or_b32 exec_lo, exec_lo, s42
	s_delay_alu instid0(SALU_CYCLE_1) | instskip(SKIP_1) | instid1(SALU_CYCLE_1)
	s_and_not1_b32 s1, s1, exec_lo
	s_and_b32 s0, s0, exec_lo
	s_or_b32 s1, s1, s0
	s_or_b32 exec_lo, exec_lo, s34
	s_and_saveexec_b32 s34, s38
	s_cbranch_execz .LBB718_97
.LBB718_186:
	global_load_u8 v5, v[2:3], off offset:1920
	s_waitcnt vmcnt(0)
	v_and_b32_e32 v5, 1, v5
	s_delay_alu instid0(VALU_DEP_1) | instskip(NEXT) | instid1(VALU_DEP_1)
	v_cmp_eq_u32_e64 s0, 1, v5
	s_xor_b32 s70, s0, -1
	s_mov_b32 s0, s1
	s_and_saveexec_b32 s42, s70
; %bb.187:
	v_cmp_gt_f32_e64 s0, v4, v9
	s_delay_alu instid0(VALU_DEP_1) | instskip(NEXT) | instid1(SALU_CYCLE_1)
	s_and_b32 s0, s1, s0
	v_cndmask_b32_e64 v4, v9, v4, s0
	s_or_b32 s0, s1, exec_lo
; %bb.188:
	s_or_b32 exec_lo, exec_lo, s42
	s_delay_alu instid0(SALU_CYCLE_1) | instskip(SKIP_1) | instid1(SALU_CYCLE_1)
	s_and_not1_b32 s1, s1, exec_lo
	s_and_b32 s0, s0, exec_lo
	s_or_b32 s1, s1, s0
	s_or_b32 exec_lo, exec_lo, s34
	s_and_saveexec_b32 s34, s35
	s_cbranch_execz .LBB718_192
.LBB718_189:
	global_load_u8 v5, v[2:3], off offset:1984
	s_waitcnt vmcnt(0)
	v_and_b32_e32 v5, 1, v5
	s_delay_alu instid0(VALU_DEP_1) | instskip(NEXT) | instid1(VALU_DEP_1)
	v_cmp_eq_u32_e64 s0, 1, v5
	s_xor_b32 s70, s0, -1
	s_mov_b32 s0, s1
	s_and_saveexec_b32 s42, s70
; %bb.190:
	v_cmp_gt_f32_e64 s0, v4, v8
	s_delay_alu instid0(VALU_DEP_1) | instskip(NEXT) | instid1(SALU_CYCLE_1)
	s_and_b32 s0, s1, s0
	v_cndmask_b32_e64 v4, v8, v4, s0
	s_or_b32 s0, s1, exec_lo
; %bb.191:
	s_or_b32 exec_lo, exec_lo, s42
	s_delay_alu instid0(SALU_CYCLE_1) | instskip(SKIP_1) | instid1(SALU_CYCLE_1)
	s_and_not1_b32 s1, s1, exec_lo
	s_and_b32 s0, s0, exec_lo
	s_or_b32 s1, s1, s0
.LBB718_192:
	s_or_b32 exec_lo, exec_lo, s34
	v_mbcnt_lo_u32_b32 v5, -1, 0
	v_cndmask_b32_e64 v40, 0xff800000, v4, s1
	s_delay_alu instid0(VALU_DEP_2) | instskip(NEXT) | instid1(VALU_DEP_1)
	v_or_b32_e32 v6, 32, v5
	v_cmp_gt_i32_e64 s0, 64, v6
	s_delay_alu instid0(VALU_DEP_1) | instskip(NEXT) | instid1(VALU_DEP_1)
	v_cndmask_b32_e64 v6, v5, v6, s0
	v_lshlrev_b32_e32 v4, 2, v6
	v_xor_b32_e32 v6, 16, v5
	ds_bpermute_b32 v41, v4, v40
	v_cmp_gt_i32_e64 s0, 64, v6
	s_delay_alu instid0(VALU_DEP_1) | instskip(NEXT) | instid1(VALU_DEP_1)
	v_cndmask_b32_e64 v6, v5, v6, s0
	v_lshlrev_b32_e32 v6, 2, v6
	s_waitcnt lgkmcnt(0)
	v_cmp_lt_f32_e64 s0, v40, v41
	s_delay_alu instid0(VALU_DEP_1) | instskip(SKIP_3) | instid1(VALU_DEP_1)
	v_cndmask_b32_e64 v41, v40, v41, s0
	v_xor_b32_e32 v40, 8, v5
	ds_bpermute_b32 v42, v6, v41
	v_cmp_gt_i32_e64 s0, 64, v40
	v_cndmask_b32_e64 v40, v5, v40, s0
	s_delay_alu instid0(VALU_DEP_1) | instskip(SKIP_2) | instid1(VALU_DEP_1)
	v_lshlrev_b32_e32 v40, 2, v40
	s_waitcnt lgkmcnt(0)
	v_cmp_lt_f32_e64 s0, v41, v42
	v_cndmask_b32_e64 v42, v41, v42, s0
	v_xor_b32_e32 v41, 4, v5
	ds_bpermute_b32 v43, v40, v42
	v_cmp_gt_i32_e64 s0, 64, v41
	s_delay_alu instid0(VALU_DEP_1) | instskip(NEXT) | instid1(VALU_DEP_1)
	v_cndmask_b32_e64 v41, v5, v41, s0
	v_lshlrev_b32_e32 v41, 2, v41
	s_waitcnt lgkmcnt(0)
	v_cmp_lt_f32_e64 s0, v42, v43
	s_delay_alu instid0(VALU_DEP_1) | instskip(SKIP_3) | instid1(VALU_DEP_1)
	v_cndmask_b32_e64 v43, v42, v43, s0
	v_xor_b32_e32 v42, 2, v5
	ds_bpermute_b32 v44, v41, v43
	v_cmp_gt_i32_e64 s0, 64, v42
	v_cndmask_b32_e64 v42, v5, v42, s0
	s_delay_alu instid0(VALU_DEP_1) | instskip(SKIP_2) | instid1(VALU_DEP_1)
	v_lshlrev_b32_e32 v42, 2, v42
	s_waitcnt lgkmcnt(0)
	v_cmp_lt_f32_e64 s0, v43, v44
	v_cndmask_b32_e64 v43, v43, v44, s0
	v_xor_b32_e32 v44, 1, v5
	ds_bpermute_b32 v45, v42, v43
	v_cmp_gt_i32_e64 s0, 64, v44
	s_delay_alu instid0(VALU_DEP_1) | instskip(NEXT) | instid1(VALU_DEP_1)
	v_cndmask_b32_e64 v5, v5, v44, s0
	v_dual_mov_b32 v5, 0 :: v_dual_lshlrev_b32 v44, 2, v5
	s_waitcnt lgkmcnt(0)
	v_cmp_lt_f32_e64 s0, v43, v45
	s_delay_alu instid0(VALU_DEP_1) | instskip(SKIP_3) | instid1(VALU_DEP_1)
	v_cndmask_b32_e64 v43, v43, v45, s0
	ds_bpermute_b32 v45, v44, v43
	s_waitcnt lgkmcnt(0)
	v_cmp_lt_f32_e64 s0, v43, v45
	v_cndmask_b32_e64 v45, v43, v45, s0
	v_mov_b32_e32 v43, 0
	s_and_saveexec_b32 s1, s69
	s_cbranch_execz .LBB718_196
; %bb.193:
	global_load_u8 v43, v[2:3], off
	s_waitcnt vmcnt(0)
	v_and_b32_e32 v43, 1, v43
	s_delay_alu instid0(VALU_DEP_1) | instskip(SKIP_1) | instid1(VALU_DEP_2)
	v_cmp_eq_u32_e64 s0, 1, v43
	v_mov_b32_e32 v43, 0
	s_xor_b32 s0, s0, -1
	s_delay_alu instid0(SALU_CYCLE_1)
	s_and_saveexec_b32 s34, s0
	s_cbranch_execz .LBB718_195
; %bb.194:
	v_sub_f32_e32 v39, v39, v45
	s_delay_alu instid0(VALU_DEP_1) | instskip(SKIP_1) | instid1(VALU_DEP_2)
	v_mul_f32_e32 v43, 0x3fb8aa3b, v39
	v_cmp_ngt_f32_e64 s0, 0xc2ce8ed0, v39
	v_fma_f32 v46, 0x3fb8aa3b, v39, -v43
	v_rndne_f32_e32 v47, v43
	s_delay_alu instid0(VALU_DEP_2) | instskip(NEXT) | instid1(VALU_DEP_2)
	v_fmamk_f32 v46, v39, 0x32a5705f, v46
	v_sub_f32_e32 v43, v43, v47
	s_delay_alu instid0(VALU_DEP_1) | instskip(SKIP_1) | instid1(VALU_DEP_2)
	v_add_f32_e32 v43, v43, v46
	v_cvt_i32_f32_e32 v46, v47
	v_exp_f32_e32 v43, v43
	s_waitcnt_depctr 0xfff
	v_ldexp_f32 v43, v43, v46
	s_delay_alu instid0(VALU_DEP_1) | instskip(SKIP_1) | instid1(VALU_DEP_1)
	v_cndmask_b32_e64 v43, 0, v43, s0
	v_cmp_nlt_f32_e64 s0, 0x42b17218, v39
	v_cndmask_b32_e64 v43, 0x7f800000, v43, s0
.LBB718_195:
	s_or_b32 exec_lo, exec_lo, s34
.LBB718_196:
	s_delay_alu instid0(SALU_CYCLE_1) | instskip(NEXT) | instid1(VALU_DEP_1)
	s_or_b32 exec_lo, exec_lo, s1
	v_mov_b32_e32 v46, v43
	s_and_saveexec_b32 s1, s68
	s_cbranch_execz .LBB718_200
; %bb.197:
	global_load_u8 v5, v[2:3], off offset:64
	s_waitcnt vmcnt(0)
	v_dual_mov_b32 v46, v43 :: v_dual_and_b32 v5, 1, v5
	s_delay_alu instid0(VALU_DEP_1) | instskip(SKIP_1) | instid1(VALU_DEP_2)
	v_cmp_eq_u32_e64 s0, 1, v5
	v_mov_b32_e32 v5, 0
	s_xor_b32 s0, s0, -1
	s_delay_alu instid0(SALU_CYCLE_1)
	s_and_saveexec_b32 s34, s0
	s_cbranch_execz .LBB718_199
; %bb.198:
	v_sub_f32_e32 v5, v38, v45
	s_delay_alu instid0(VALU_DEP_1) | instskip(SKIP_1) | instid1(VALU_DEP_2)
	v_mul_f32_e32 v38, 0x3fb8aa3b, v5
	v_cmp_ngt_f32_e64 s0, 0xc2ce8ed0, v5
	v_fma_f32 v39, 0x3fb8aa3b, v5, -v38
	v_rndne_f32_e32 v46, v38
	s_delay_alu instid0(VALU_DEP_1) | instskip(NEXT) | instid1(VALU_DEP_1)
	v_dual_fmamk_f32 v39, v5, 0x32a5705f, v39 :: v_dual_sub_f32 v38, v38, v46
	v_add_f32_e32 v38, v38, v39
	v_cvt_i32_f32_e32 v39, v46
	s_delay_alu instid0(VALU_DEP_2) | instskip(SKIP_2) | instid1(VALU_DEP_1)
	v_exp_f32_e32 v38, v38
	s_waitcnt_depctr 0xfff
	v_ldexp_f32 v38, v38, v39
	v_cndmask_b32_e64 v38, 0, v38, s0
	v_cmp_nlt_f32_e64 s0, 0x42b17218, v5
	s_delay_alu instid0(VALU_DEP_1) | instskip(NEXT) | instid1(VALU_DEP_1)
	v_cndmask_b32_e64 v5, 0x7f800000, v38, s0
	v_add_f32_e32 v46, v43, v5
.LBB718_199:
	s_or_b32 exec_lo, exec_lo, s34
.LBB718_200:
	s_delay_alu instid0(SALU_CYCLE_1)
	s_or_b32 exec_lo, exec_lo, s1
	v_dual_mov_b32 v38, 0 :: v_dual_mov_b32 v39, 0
	s_and_saveexec_b32 s1, s67
	s_cbranch_execz .LBB718_204
; %bb.201:
	global_load_u8 v39, v[2:3], off offset:128
	s_waitcnt vmcnt(0)
	v_and_b32_e32 v39, 1, v39
	s_delay_alu instid0(VALU_DEP_1) | instskip(SKIP_1) | instid1(VALU_DEP_2)
	v_cmp_eq_u32_e64 s0, 1, v39
	v_mov_b32_e32 v39, 0
	s_xor_b32 s0, s0, -1
	s_delay_alu instid0(SALU_CYCLE_1)
	s_and_saveexec_b32 s34, s0
	s_cbranch_execz .LBB718_203
; %bb.202:
	v_sub_f32_e32 v37, v37, v45
	s_delay_alu instid0(VALU_DEP_1) | instskip(SKIP_1) | instid1(VALU_DEP_2)
	v_mul_f32_e32 v39, 0x3fb8aa3b, v37
	v_cmp_ngt_f32_e64 s0, 0xc2ce8ed0, v37
	v_fma_f32 v47, 0x3fb8aa3b, v37, -v39
	v_rndne_f32_e32 v48, v39
	s_delay_alu instid0(VALU_DEP_2) | instskip(NEXT) | instid1(VALU_DEP_2)
	v_fmamk_f32 v47, v37, 0x32a5705f, v47
	v_sub_f32_e32 v39, v39, v48
	s_delay_alu instid0(VALU_DEP_1) | instskip(SKIP_1) | instid1(VALU_DEP_2)
	v_add_f32_e32 v39, v39, v47
	v_cvt_i32_f32_e32 v47, v48
	v_exp_f32_e32 v39, v39
	s_waitcnt_depctr 0xfff
	v_ldexp_f32 v39, v39, v47
	s_delay_alu instid0(VALU_DEP_1) | instskip(SKIP_1) | instid1(VALU_DEP_1)
	v_cndmask_b32_e64 v39, 0, v39, s0
	v_cmp_nlt_f32_e64 s0, 0x42b17218, v37
	v_cndmask_b32_e64 v39, 0x7f800000, v39, s0
	s_delay_alu instid0(VALU_DEP_1)
	v_add_f32_e32 v46, v46, v39
.LBB718_203:
	s_or_b32 exec_lo, exec_lo, s34
.LBB718_204:
	s_delay_alu instid0(SALU_CYCLE_1)
	s_or_b32 exec_lo, exec_lo, s1
	s_and_saveexec_b32 s1, s66
	s_cbranch_execz .LBB718_208
; %bb.205:
	global_load_u8 v37, v[2:3], off offset:192
	s_waitcnt vmcnt(0)
	v_dual_mov_b32 v38, 0 :: v_dual_and_b32 v37, 1, v37
	s_delay_alu instid0(VALU_DEP_1) | instskip(NEXT) | instid1(VALU_DEP_1)
	v_cmp_eq_u32_e64 s0, 1, v37
	s_xor_b32 s0, s0, -1
	s_delay_alu instid0(SALU_CYCLE_1)
	s_and_saveexec_b32 s34, s0
	s_cbranch_execz .LBB718_207
; %bb.206:
	v_sub_f32_e32 v36, v36, v45
	s_delay_alu instid0(VALU_DEP_1) | instskip(NEXT) | instid1(VALU_DEP_1)
	v_mul_f32_e32 v37, 0x3fb8aa3b, v36
	v_fma_f32 v38, 0x3fb8aa3b, v36, -v37
	v_rndne_f32_e32 v47, v37
	s_delay_alu instid0(VALU_DEP_1) | instskip(SKIP_1) | instid1(VALU_DEP_2)
	v_dual_sub_f32 v37, v37, v47 :: v_dual_fmamk_f32 v38, v36, 0x32a5705f, v38
	v_cmp_ngt_f32_e64 s0, 0xc2ce8ed0, v36
	v_add_f32_e32 v37, v37, v38
	v_cvt_i32_f32_e32 v38, v47
	s_delay_alu instid0(VALU_DEP_2) | instskip(SKIP_2) | instid1(VALU_DEP_1)
	v_exp_f32_e32 v37, v37
	s_waitcnt_depctr 0xfff
	v_ldexp_f32 v37, v37, v38
	v_cndmask_b32_e64 v37, 0, v37, s0
	v_cmp_nlt_f32_e64 s0, 0x42b17218, v36
	s_delay_alu instid0(VALU_DEP_1) | instskip(NEXT) | instid1(VALU_DEP_1)
	v_cndmask_b32_e64 v38, 0x7f800000, v37, s0
	v_add_f32_e32 v46, v46, v38
.LBB718_207:
	s_or_b32 exec_lo, exec_lo, s34
.LBB718_208:
	s_delay_alu instid0(SALU_CYCLE_1)
	s_or_b32 exec_lo, exec_lo, s1
	v_dual_mov_b32 v36, 0 :: v_dual_mov_b32 v37, 0
	s_and_saveexec_b32 s1, s65
	s_cbranch_execz .LBB718_212
; %bb.209:
	global_load_u8 v37, v[2:3], off offset:256
	s_waitcnt vmcnt(0)
	v_and_b32_e32 v37, 1, v37
	s_delay_alu instid0(VALU_DEP_1) | instskip(SKIP_1) | instid1(VALU_DEP_2)
	v_cmp_eq_u32_e64 s0, 1, v37
	v_mov_b32_e32 v37, 0
	s_xor_b32 s0, s0, -1
	s_delay_alu instid0(SALU_CYCLE_1)
	s_and_saveexec_b32 s34, s0
	s_cbranch_execz .LBB718_211
; %bb.210:
	v_sub_f32_e32 v35, v35, v45
	s_delay_alu instid0(VALU_DEP_1) | instskip(SKIP_1) | instid1(VALU_DEP_2)
	v_mul_f32_e32 v37, 0x3fb8aa3b, v35
	v_cmp_ngt_f32_e64 s0, 0xc2ce8ed0, v35
	v_fma_f32 v47, 0x3fb8aa3b, v35, -v37
	v_rndne_f32_e32 v48, v37
	s_delay_alu instid0(VALU_DEP_2) | instskip(NEXT) | instid1(VALU_DEP_2)
	v_fmamk_f32 v47, v35, 0x32a5705f, v47
	v_sub_f32_e32 v37, v37, v48
	s_delay_alu instid0(VALU_DEP_1) | instskip(SKIP_1) | instid1(VALU_DEP_2)
	v_add_f32_e32 v37, v37, v47
	v_cvt_i32_f32_e32 v47, v48
	v_exp_f32_e32 v37, v37
	s_waitcnt_depctr 0xfff
	v_ldexp_f32 v37, v37, v47
	s_delay_alu instid0(VALU_DEP_1) | instskip(SKIP_1) | instid1(VALU_DEP_1)
	v_cndmask_b32_e64 v37, 0, v37, s0
	v_cmp_nlt_f32_e64 s0, 0x42b17218, v35
	v_cndmask_b32_e64 v37, 0x7f800000, v37, s0
	s_delay_alu instid0(VALU_DEP_1)
	v_add_f32_e32 v46, v46, v37
.LBB718_211:
	s_or_b32 exec_lo, exec_lo, s34
.LBB718_212:
	s_delay_alu instid0(SALU_CYCLE_1)
	s_or_b32 exec_lo, exec_lo, s1
	s_and_saveexec_b32 s1, s64
	s_cbranch_execz .LBB718_216
; %bb.213:
	global_load_u8 v35, v[2:3], off offset:320
	s_waitcnt vmcnt(0)
	v_dual_mov_b32 v36, 0 :: v_dual_and_b32 v35, 1, v35
	s_delay_alu instid0(VALU_DEP_1) | instskip(NEXT) | instid1(VALU_DEP_1)
	v_cmp_eq_u32_e64 s0, 1, v35
	s_xor_b32 s0, s0, -1
	s_delay_alu instid0(SALU_CYCLE_1)
	s_and_saveexec_b32 s34, s0
	s_cbranch_execz .LBB718_215
; %bb.214:
	v_sub_f32_e32 v34, v34, v45
	s_delay_alu instid0(VALU_DEP_1) | instskip(NEXT) | instid1(VALU_DEP_1)
	v_mul_f32_e32 v35, 0x3fb8aa3b, v34
	v_fma_f32 v36, 0x3fb8aa3b, v34, -v35
	v_rndne_f32_e32 v47, v35
	s_delay_alu instid0(VALU_DEP_1) | instskip(SKIP_1) | instid1(VALU_DEP_2)
	v_dual_sub_f32 v35, v35, v47 :: v_dual_fmamk_f32 v36, v34, 0x32a5705f, v36
	v_cmp_ngt_f32_e64 s0, 0xc2ce8ed0, v34
	v_add_f32_e32 v35, v35, v36
	v_cvt_i32_f32_e32 v36, v47
	s_delay_alu instid0(VALU_DEP_2) | instskip(SKIP_2) | instid1(VALU_DEP_1)
	v_exp_f32_e32 v35, v35
	s_waitcnt_depctr 0xfff
	v_ldexp_f32 v35, v35, v36
	v_cndmask_b32_e64 v35, 0, v35, s0
	v_cmp_nlt_f32_e64 s0, 0x42b17218, v34
	s_delay_alu instid0(VALU_DEP_1) | instskip(NEXT) | instid1(VALU_DEP_1)
	v_cndmask_b32_e64 v36, 0x7f800000, v35, s0
	v_add_f32_e32 v46, v46, v36
.LBB718_215:
	s_or_b32 exec_lo, exec_lo, s34
.LBB718_216:
	s_delay_alu instid0(SALU_CYCLE_1)
	s_or_b32 exec_lo, exec_lo, s1
	v_dual_mov_b32 v34, 0 :: v_dual_mov_b32 v35, 0
	s_and_saveexec_b32 s1, s63
	s_cbranch_execz .LBB718_220
; %bb.217:
	global_load_u8 v35, v[2:3], off offset:384
	s_waitcnt vmcnt(0)
	v_and_b32_e32 v35, 1, v35
	s_delay_alu instid0(VALU_DEP_1) | instskip(SKIP_1) | instid1(VALU_DEP_2)
	v_cmp_eq_u32_e64 s0, 1, v35
	v_mov_b32_e32 v35, 0
	s_xor_b32 s0, s0, -1
	s_delay_alu instid0(SALU_CYCLE_1)
	s_and_saveexec_b32 s34, s0
	s_cbranch_execz .LBB718_219
; %bb.218:
	v_sub_f32_e32 v33, v33, v45
	s_delay_alu instid0(VALU_DEP_1) | instskip(SKIP_1) | instid1(VALU_DEP_2)
	v_mul_f32_e32 v35, 0x3fb8aa3b, v33
	v_cmp_ngt_f32_e64 s0, 0xc2ce8ed0, v33
	v_fma_f32 v47, 0x3fb8aa3b, v33, -v35
	v_rndne_f32_e32 v48, v35
	s_delay_alu instid0(VALU_DEP_2) | instskip(NEXT) | instid1(VALU_DEP_2)
	v_fmamk_f32 v47, v33, 0x32a5705f, v47
	v_sub_f32_e32 v35, v35, v48
	s_delay_alu instid0(VALU_DEP_1) | instskip(SKIP_1) | instid1(VALU_DEP_2)
	v_add_f32_e32 v35, v35, v47
	v_cvt_i32_f32_e32 v47, v48
	v_exp_f32_e32 v35, v35
	s_waitcnt_depctr 0xfff
	v_ldexp_f32 v35, v35, v47
	s_delay_alu instid0(VALU_DEP_1) | instskip(SKIP_1) | instid1(VALU_DEP_1)
	v_cndmask_b32_e64 v35, 0, v35, s0
	v_cmp_nlt_f32_e64 s0, 0x42b17218, v33
	v_cndmask_b32_e64 v35, 0x7f800000, v35, s0
	s_delay_alu instid0(VALU_DEP_1)
	v_add_f32_e32 v46, v46, v35
.LBB718_219:
	s_or_b32 exec_lo, exec_lo, s34
.LBB718_220:
	s_delay_alu instid0(SALU_CYCLE_1)
	s_or_b32 exec_lo, exec_lo, s1
	s_and_saveexec_b32 s1, s62
	s_cbranch_execz .LBB718_224
; %bb.221:
	global_load_u8 v33, v[2:3], off offset:448
	s_waitcnt vmcnt(0)
	v_dual_mov_b32 v34, 0 :: v_dual_and_b32 v33, 1, v33
	s_delay_alu instid0(VALU_DEP_1) | instskip(NEXT) | instid1(VALU_DEP_1)
	v_cmp_eq_u32_e64 s0, 1, v33
	s_xor_b32 s0, s0, -1
	s_delay_alu instid0(SALU_CYCLE_1)
	s_and_saveexec_b32 s34, s0
	s_cbranch_execz .LBB718_223
; %bb.222:
	v_sub_f32_e32 v32, v32, v45
	s_delay_alu instid0(VALU_DEP_1) | instskip(NEXT) | instid1(VALU_DEP_1)
	v_mul_f32_e32 v33, 0x3fb8aa3b, v32
	v_fma_f32 v34, 0x3fb8aa3b, v32, -v33
	v_rndne_f32_e32 v47, v33
	s_delay_alu instid0(VALU_DEP_1) | instskip(SKIP_1) | instid1(VALU_DEP_2)
	v_dual_sub_f32 v33, v33, v47 :: v_dual_fmamk_f32 v34, v32, 0x32a5705f, v34
	v_cmp_ngt_f32_e64 s0, 0xc2ce8ed0, v32
	v_add_f32_e32 v33, v33, v34
	v_cvt_i32_f32_e32 v34, v47
	s_delay_alu instid0(VALU_DEP_2) | instskip(SKIP_2) | instid1(VALU_DEP_1)
	v_exp_f32_e32 v33, v33
	s_waitcnt_depctr 0xfff
	v_ldexp_f32 v33, v33, v34
	v_cndmask_b32_e64 v33, 0, v33, s0
	v_cmp_nlt_f32_e64 s0, 0x42b17218, v32
	s_delay_alu instid0(VALU_DEP_1) | instskip(NEXT) | instid1(VALU_DEP_1)
	v_cndmask_b32_e64 v34, 0x7f800000, v33, s0
	v_add_f32_e32 v46, v46, v34
.LBB718_223:
	s_or_b32 exec_lo, exec_lo, s34
.LBB718_224:
	s_delay_alu instid0(SALU_CYCLE_1)
	s_or_b32 exec_lo, exec_lo, s1
	v_dual_mov_b32 v32, 0 :: v_dual_mov_b32 v33, 0
	s_and_saveexec_b32 s1, s61
	s_cbranch_execz .LBB718_228
; %bb.225:
	global_load_u8 v33, v[2:3], off offset:512
	s_waitcnt vmcnt(0)
	v_and_b32_e32 v33, 1, v33
	s_delay_alu instid0(VALU_DEP_1) | instskip(SKIP_1) | instid1(VALU_DEP_2)
	v_cmp_eq_u32_e64 s0, 1, v33
	v_mov_b32_e32 v33, 0
	s_xor_b32 s0, s0, -1
	s_delay_alu instid0(SALU_CYCLE_1)
	s_and_saveexec_b32 s34, s0
	s_cbranch_execz .LBB718_227
; %bb.226:
	v_sub_f32_e32 v31, v31, v45
	s_delay_alu instid0(VALU_DEP_1) | instskip(SKIP_1) | instid1(VALU_DEP_2)
	v_mul_f32_e32 v33, 0x3fb8aa3b, v31
	v_cmp_ngt_f32_e64 s0, 0xc2ce8ed0, v31
	v_fma_f32 v47, 0x3fb8aa3b, v31, -v33
	v_rndne_f32_e32 v48, v33
	s_delay_alu instid0(VALU_DEP_2) | instskip(NEXT) | instid1(VALU_DEP_2)
	v_fmamk_f32 v47, v31, 0x32a5705f, v47
	v_sub_f32_e32 v33, v33, v48
	s_delay_alu instid0(VALU_DEP_1) | instskip(SKIP_1) | instid1(VALU_DEP_2)
	v_add_f32_e32 v33, v33, v47
	v_cvt_i32_f32_e32 v47, v48
	v_exp_f32_e32 v33, v33
	s_waitcnt_depctr 0xfff
	v_ldexp_f32 v33, v33, v47
	s_delay_alu instid0(VALU_DEP_1) | instskip(SKIP_1) | instid1(VALU_DEP_1)
	v_cndmask_b32_e64 v33, 0, v33, s0
	v_cmp_nlt_f32_e64 s0, 0x42b17218, v31
	v_cndmask_b32_e64 v33, 0x7f800000, v33, s0
	s_delay_alu instid0(VALU_DEP_1)
	v_add_f32_e32 v46, v46, v33
.LBB718_227:
	s_or_b32 exec_lo, exec_lo, s34
.LBB718_228:
	s_delay_alu instid0(SALU_CYCLE_1)
	s_or_b32 exec_lo, exec_lo, s1
	s_and_saveexec_b32 s1, s60
	s_cbranch_execz .LBB718_232
; %bb.229:
	global_load_u8 v31, v[2:3], off offset:576
	s_waitcnt vmcnt(0)
	v_dual_mov_b32 v32, 0 :: v_dual_and_b32 v31, 1, v31
	s_delay_alu instid0(VALU_DEP_1) | instskip(NEXT) | instid1(VALU_DEP_1)
	v_cmp_eq_u32_e64 s0, 1, v31
	s_xor_b32 s0, s0, -1
	s_delay_alu instid0(SALU_CYCLE_1)
	s_and_saveexec_b32 s34, s0
	s_cbranch_execz .LBB718_231
; %bb.230:
	v_sub_f32_e32 v30, v30, v45
	s_delay_alu instid0(VALU_DEP_1) | instskip(NEXT) | instid1(VALU_DEP_1)
	v_mul_f32_e32 v31, 0x3fb8aa3b, v30
	v_fma_f32 v32, 0x3fb8aa3b, v30, -v31
	v_rndne_f32_e32 v47, v31
	s_delay_alu instid0(VALU_DEP_1) | instskip(SKIP_1) | instid1(VALU_DEP_2)
	v_dual_sub_f32 v31, v31, v47 :: v_dual_fmamk_f32 v32, v30, 0x32a5705f, v32
	v_cmp_ngt_f32_e64 s0, 0xc2ce8ed0, v30
	v_add_f32_e32 v31, v31, v32
	v_cvt_i32_f32_e32 v32, v47
	s_delay_alu instid0(VALU_DEP_2) | instskip(SKIP_2) | instid1(VALU_DEP_1)
	v_exp_f32_e32 v31, v31
	s_waitcnt_depctr 0xfff
	v_ldexp_f32 v31, v31, v32
	v_cndmask_b32_e64 v31, 0, v31, s0
	v_cmp_nlt_f32_e64 s0, 0x42b17218, v30
	s_delay_alu instid0(VALU_DEP_1) | instskip(NEXT) | instid1(VALU_DEP_1)
	v_cndmask_b32_e64 v32, 0x7f800000, v31, s0
	v_add_f32_e32 v46, v46, v32
.LBB718_231:
	s_or_b32 exec_lo, exec_lo, s34
.LBB718_232:
	s_delay_alu instid0(SALU_CYCLE_1)
	s_or_b32 exec_lo, exec_lo, s1
	v_dual_mov_b32 v30, 0 :: v_dual_mov_b32 v31, 0
	s_and_saveexec_b32 s1, s59
	s_cbranch_execz .LBB718_236
; %bb.233:
	global_load_u8 v31, v[2:3], off offset:640
	s_waitcnt vmcnt(0)
	v_and_b32_e32 v31, 1, v31
	s_delay_alu instid0(VALU_DEP_1) | instskip(SKIP_1) | instid1(VALU_DEP_2)
	v_cmp_eq_u32_e64 s0, 1, v31
	v_mov_b32_e32 v31, 0
	s_xor_b32 s0, s0, -1
	s_delay_alu instid0(SALU_CYCLE_1)
	s_and_saveexec_b32 s34, s0
	s_cbranch_execz .LBB718_235
; %bb.234:
	v_sub_f32_e32 v29, v29, v45
	s_delay_alu instid0(VALU_DEP_1) | instskip(SKIP_1) | instid1(VALU_DEP_2)
	v_mul_f32_e32 v31, 0x3fb8aa3b, v29
	v_cmp_ngt_f32_e64 s0, 0xc2ce8ed0, v29
	v_fma_f32 v47, 0x3fb8aa3b, v29, -v31
	v_rndne_f32_e32 v48, v31
	s_delay_alu instid0(VALU_DEP_2) | instskip(NEXT) | instid1(VALU_DEP_2)
	v_fmamk_f32 v47, v29, 0x32a5705f, v47
	v_sub_f32_e32 v31, v31, v48
	s_delay_alu instid0(VALU_DEP_1) | instskip(SKIP_1) | instid1(VALU_DEP_2)
	v_add_f32_e32 v31, v31, v47
	v_cvt_i32_f32_e32 v47, v48
	v_exp_f32_e32 v31, v31
	s_waitcnt_depctr 0xfff
	v_ldexp_f32 v31, v31, v47
	s_delay_alu instid0(VALU_DEP_1) | instskip(SKIP_1) | instid1(VALU_DEP_1)
	v_cndmask_b32_e64 v31, 0, v31, s0
	v_cmp_nlt_f32_e64 s0, 0x42b17218, v29
	v_cndmask_b32_e64 v31, 0x7f800000, v31, s0
	s_delay_alu instid0(VALU_DEP_1)
	v_add_f32_e32 v46, v46, v31
.LBB718_235:
	s_or_b32 exec_lo, exec_lo, s34
.LBB718_236:
	s_delay_alu instid0(SALU_CYCLE_1)
	s_or_b32 exec_lo, exec_lo, s1
	s_and_saveexec_b32 s1, s58
	s_cbranch_execz .LBB718_240
; %bb.237:
	global_load_u8 v29, v[2:3], off offset:704
	s_waitcnt vmcnt(0)
	v_dual_mov_b32 v30, 0 :: v_dual_and_b32 v29, 1, v29
	s_delay_alu instid0(VALU_DEP_1) | instskip(NEXT) | instid1(VALU_DEP_1)
	v_cmp_eq_u32_e64 s0, 1, v29
	s_xor_b32 s0, s0, -1
	s_delay_alu instid0(SALU_CYCLE_1)
	s_and_saveexec_b32 s34, s0
	s_cbranch_execz .LBB718_239
; %bb.238:
	v_sub_f32_e32 v28, v28, v45
	s_delay_alu instid0(VALU_DEP_1) | instskip(NEXT) | instid1(VALU_DEP_1)
	v_mul_f32_e32 v29, 0x3fb8aa3b, v28
	v_fma_f32 v30, 0x3fb8aa3b, v28, -v29
	v_rndne_f32_e32 v47, v29
	s_delay_alu instid0(VALU_DEP_1) | instskip(SKIP_1) | instid1(VALU_DEP_2)
	v_dual_sub_f32 v29, v29, v47 :: v_dual_fmamk_f32 v30, v28, 0x32a5705f, v30
	v_cmp_ngt_f32_e64 s0, 0xc2ce8ed0, v28
	v_add_f32_e32 v29, v29, v30
	v_cvt_i32_f32_e32 v30, v47
	s_delay_alu instid0(VALU_DEP_2) | instskip(SKIP_2) | instid1(VALU_DEP_1)
	v_exp_f32_e32 v29, v29
	s_waitcnt_depctr 0xfff
	v_ldexp_f32 v29, v29, v30
	v_cndmask_b32_e64 v29, 0, v29, s0
	v_cmp_nlt_f32_e64 s0, 0x42b17218, v28
	s_delay_alu instid0(VALU_DEP_1) | instskip(NEXT) | instid1(VALU_DEP_1)
	v_cndmask_b32_e64 v30, 0x7f800000, v29, s0
	v_add_f32_e32 v46, v46, v30
.LBB718_239:
	s_or_b32 exec_lo, exec_lo, s34
.LBB718_240:
	s_delay_alu instid0(SALU_CYCLE_1)
	s_or_b32 exec_lo, exec_lo, s1
	v_dual_mov_b32 v28, 0 :: v_dual_mov_b32 v29, 0
	s_and_saveexec_b32 s1, s57
	s_cbranch_execz .LBB718_244
; %bb.241:
	global_load_u8 v29, v[2:3], off offset:768
	s_waitcnt vmcnt(0)
	v_and_b32_e32 v29, 1, v29
	s_delay_alu instid0(VALU_DEP_1) | instskip(SKIP_1) | instid1(VALU_DEP_2)
	v_cmp_eq_u32_e64 s0, 1, v29
	v_mov_b32_e32 v29, 0
	s_xor_b32 s0, s0, -1
	s_delay_alu instid0(SALU_CYCLE_1)
	s_and_saveexec_b32 s34, s0
	s_cbranch_execz .LBB718_243
; %bb.242:
	v_sub_f32_e32 v27, v27, v45
	s_delay_alu instid0(VALU_DEP_1) | instskip(SKIP_1) | instid1(VALU_DEP_2)
	v_mul_f32_e32 v29, 0x3fb8aa3b, v27
	v_cmp_ngt_f32_e64 s0, 0xc2ce8ed0, v27
	v_fma_f32 v47, 0x3fb8aa3b, v27, -v29
	v_rndne_f32_e32 v48, v29
	s_delay_alu instid0(VALU_DEP_2) | instskip(NEXT) | instid1(VALU_DEP_2)
	v_fmamk_f32 v47, v27, 0x32a5705f, v47
	v_sub_f32_e32 v29, v29, v48
	s_delay_alu instid0(VALU_DEP_1) | instskip(SKIP_1) | instid1(VALU_DEP_2)
	v_add_f32_e32 v29, v29, v47
	v_cvt_i32_f32_e32 v47, v48
	v_exp_f32_e32 v29, v29
	s_waitcnt_depctr 0xfff
	v_ldexp_f32 v29, v29, v47
	s_delay_alu instid0(VALU_DEP_1) | instskip(SKIP_1) | instid1(VALU_DEP_1)
	v_cndmask_b32_e64 v29, 0, v29, s0
	v_cmp_nlt_f32_e64 s0, 0x42b17218, v27
	v_cndmask_b32_e64 v29, 0x7f800000, v29, s0
	s_delay_alu instid0(VALU_DEP_1)
	v_add_f32_e32 v46, v46, v29
.LBB718_243:
	s_or_b32 exec_lo, exec_lo, s34
.LBB718_244:
	s_delay_alu instid0(SALU_CYCLE_1)
	s_or_b32 exec_lo, exec_lo, s1
	s_and_saveexec_b32 s1, s56
	s_cbranch_execz .LBB718_248
; %bb.245:
	global_load_u8 v27, v[2:3], off offset:832
	s_waitcnt vmcnt(0)
	v_dual_mov_b32 v28, 0 :: v_dual_and_b32 v27, 1, v27
	s_delay_alu instid0(VALU_DEP_1) | instskip(NEXT) | instid1(VALU_DEP_1)
	v_cmp_eq_u32_e64 s0, 1, v27
	s_xor_b32 s0, s0, -1
	s_delay_alu instid0(SALU_CYCLE_1)
	s_and_saveexec_b32 s34, s0
	s_cbranch_execz .LBB718_247
; %bb.246:
	v_sub_f32_e32 v26, v26, v45
	s_delay_alu instid0(VALU_DEP_1) | instskip(NEXT) | instid1(VALU_DEP_1)
	v_mul_f32_e32 v27, 0x3fb8aa3b, v26
	v_fma_f32 v28, 0x3fb8aa3b, v26, -v27
	v_rndne_f32_e32 v47, v27
	s_delay_alu instid0(VALU_DEP_1) | instskip(SKIP_1) | instid1(VALU_DEP_2)
	v_dual_sub_f32 v27, v27, v47 :: v_dual_fmamk_f32 v28, v26, 0x32a5705f, v28
	v_cmp_ngt_f32_e64 s0, 0xc2ce8ed0, v26
	v_add_f32_e32 v27, v27, v28
	v_cvt_i32_f32_e32 v28, v47
	s_delay_alu instid0(VALU_DEP_2) | instskip(SKIP_2) | instid1(VALU_DEP_1)
	v_exp_f32_e32 v27, v27
	s_waitcnt_depctr 0xfff
	v_ldexp_f32 v27, v27, v28
	v_cndmask_b32_e64 v27, 0, v27, s0
	v_cmp_nlt_f32_e64 s0, 0x42b17218, v26
	s_delay_alu instid0(VALU_DEP_1) | instskip(NEXT) | instid1(VALU_DEP_1)
	v_cndmask_b32_e64 v28, 0x7f800000, v27, s0
	v_add_f32_e32 v46, v46, v28
.LBB718_247:
	s_or_b32 exec_lo, exec_lo, s34
.LBB718_248:
	s_delay_alu instid0(SALU_CYCLE_1)
	s_or_b32 exec_lo, exec_lo, s1
	v_dual_mov_b32 v26, 0 :: v_dual_mov_b32 v27, 0
	s_and_saveexec_b32 s1, s55
	s_cbranch_execz .LBB718_252
; %bb.249:
	global_load_u8 v27, v[2:3], off offset:896
	s_waitcnt vmcnt(0)
	v_and_b32_e32 v27, 1, v27
	s_delay_alu instid0(VALU_DEP_1) | instskip(SKIP_1) | instid1(VALU_DEP_2)
	v_cmp_eq_u32_e64 s0, 1, v27
	v_mov_b32_e32 v27, 0
	s_xor_b32 s0, s0, -1
	s_delay_alu instid0(SALU_CYCLE_1)
	s_and_saveexec_b32 s34, s0
	s_cbranch_execz .LBB718_251
; %bb.250:
	v_sub_f32_e32 v25, v25, v45
	s_delay_alu instid0(VALU_DEP_1) | instskip(SKIP_1) | instid1(VALU_DEP_2)
	v_mul_f32_e32 v27, 0x3fb8aa3b, v25
	v_cmp_ngt_f32_e64 s0, 0xc2ce8ed0, v25
	v_fma_f32 v47, 0x3fb8aa3b, v25, -v27
	v_rndne_f32_e32 v48, v27
	s_delay_alu instid0(VALU_DEP_2) | instskip(NEXT) | instid1(VALU_DEP_2)
	v_fmamk_f32 v47, v25, 0x32a5705f, v47
	v_sub_f32_e32 v27, v27, v48
	s_delay_alu instid0(VALU_DEP_1) | instskip(SKIP_1) | instid1(VALU_DEP_2)
	v_add_f32_e32 v27, v27, v47
	v_cvt_i32_f32_e32 v47, v48
	v_exp_f32_e32 v27, v27
	s_waitcnt_depctr 0xfff
	v_ldexp_f32 v27, v27, v47
	s_delay_alu instid0(VALU_DEP_1) | instskip(SKIP_1) | instid1(VALU_DEP_1)
	v_cndmask_b32_e64 v27, 0, v27, s0
	v_cmp_nlt_f32_e64 s0, 0x42b17218, v25
	v_cndmask_b32_e64 v27, 0x7f800000, v27, s0
	s_delay_alu instid0(VALU_DEP_1)
	v_add_f32_e32 v46, v46, v27
.LBB718_251:
	s_or_b32 exec_lo, exec_lo, s34
.LBB718_252:
	s_delay_alu instid0(SALU_CYCLE_1)
	s_or_b32 exec_lo, exec_lo, s1
	s_and_saveexec_b32 s1, s54
	s_cbranch_execz .LBB718_256
; %bb.253:
	global_load_u8 v25, v[2:3], off offset:960
	s_waitcnt vmcnt(0)
	v_dual_mov_b32 v26, 0 :: v_dual_and_b32 v25, 1, v25
	s_delay_alu instid0(VALU_DEP_1) | instskip(NEXT) | instid1(VALU_DEP_1)
	v_cmp_eq_u32_e64 s0, 1, v25
	s_xor_b32 s0, s0, -1
	s_delay_alu instid0(SALU_CYCLE_1)
	s_and_saveexec_b32 s34, s0
	s_cbranch_execz .LBB718_255
; %bb.254:
	v_sub_f32_e32 v24, v24, v45
	s_delay_alu instid0(VALU_DEP_1) | instskip(NEXT) | instid1(VALU_DEP_1)
	v_mul_f32_e32 v25, 0x3fb8aa3b, v24
	v_fma_f32 v26, 0x3fb8aa3b, v24, -v25
	v_rndne_f32_e32 v47, v25
	s_delay_alu instid0(VALU_DEP_1) | instskip(SKIP_1) | instid1(VALU_DEP_2)
	v_dual_sub_f32 v25, v25, v47 :: v_dual_fmamk_f32 v26, v24, 0x32a5705f, v26
	v_cmp_ngt_f32_e64 s0, 0xc2ce8ed0, v24
	v_add_f32_e32 v25, v25, v26
	v_cvt_i32_f32_e32 v26, v47
	s_delay_alu instid0(VALU_DEP_2) | instskip(SKIP_2) | instid1(VALU_DEP_1)
	v_exp_f32_e32 v25, v25
	s_waitcnt_depctr 0xfff
	v_ldexp_f32 v25, v25, v26
	v_cndmask_b32_e64 v25, 0, v25, s0
	v_cmp_nlt_f32_e64 s0, 0x42b17218, v24
	s_delay_alu instid0(VALU_DEP_1) | instskip(NEXT) | instid1(VALU_DEP_1)
	v_cndmask_b32_e64 v26, 0x7f800000, v25, s0
	v_add_f32_e32 v46, v46, v26
.LBB718_255:
	s_or_b32 exec_lo, exec_lo, s34
.LBB718_256:
	s_delay_alu instid0(SALU_CYCLE_1)
	s_or_b32 exec_lo, exec_lo, s1
	v_dual_mov_b32 v24, 0 :: v_dual_mov_b32 v25, 0
	s_and_saveexec_b32 s1, s53
	s_cbranch_execz .LBB718_260
; %bb.257:
	global_load_u8 v25, v[2:3], off offset:1024
	s_waitcnt vmcnt(0)
	v_and_b32_e32 v25, 1, v25
	s_delay_alu instid0(VALU_DEP_1) | instskip(SKIP_1) | instid1(VALU_DEP_2)
	v_cmp_eq_u32_e64 s0, 1, v25
	v_mov_b32_e32 v25, 0
	s_xor_b32 s0, s0, -1
	s_delay_alu instid0(SALU_CYCLE_1)
	s_and_saveexec_b32 s34, s0
	s_cbranch_execz .LBB718_259
; %bb.258:
	v_sub_f32_e32 v23, v23, v45
	s_delay_alu instid0(VALU_DEP_1) | instskip(SKIP_1) | instid1(VALU_DEP_2)
	v_mul_f32_e32 v25, 0x3fb8aa3b, v23
	v_cmp_ngt_f32_e64 s0, 0xc2ce8ed0, v23
	v_fma_f32 v47, 0x3fb8aa3b, v23, -v25
	v_rndne_f32_e32 v48, v25
	s_delay_alu instid0(VALU_DEP_2) | instskip(NEXT) | instid1(VALU_DEP_2)
	v_fmamk_f32 v47, v23, 0x32a5705f, v47
	v_sub_f32_e32 v25, v25, v48
	s_delay_alu instid0(VALU_DEP_1) | instskip(SKIP_1) | instid1(VALU_DEP_2)
	v_add_f32_e32 v25, v25, v47
	v_cvt_i32_f32_e32 v47, v48
	v_exp_f32_e32 v25, v25
	s_waitcnt_depctr 0xfff
	v_ldexp_f32 v25, v25, v47
	s_delay_alu instid0(VALU_DEP_1) | instskip(SKIP_1) | instid1(VALU_DEP_1)
	v_cndmask_b32_e64 v25, 0, v25, s0
	v_cmp_nlt_f32_e64 s0, 0x42b17218, v23
	v_cndmask_b32_e64 v25, 0x7f800000, v25, s0
	s_delay_alu instid0(VALU_DEP_1)
	v_add_f32_e32 v46, v46, v25
.LBB718_259:
	s_or_b32 exec_lo, exec_lo, s34
.LBB718_260:
	s_delay_alu instid0(SALU_CYCLE_1)
	s_or_b32 exec_lo, exec_lo, s1
	s_and_saveexec_b32 s1, s52
	s_cbranch_execz .LBB718_264
; %bb.261:
	global_load_u8 v23, v[2:3], off offset:1088
	s_waitcnt vmcnt(0)
	v_dual_mov_b32 v24, 0 :: v_dual_and_b32 v23, 1, v23
	s_delay_alu instid0(VALU_DEP_1) | instskip(NEXT) | instid1(VALU_DEP_1)
	v_cmp_eq_u32_e64 s0, 1, v23
	s_xor_b32 s0, s0, -1
	s_delay_alu instid0(SALU_CYCLE_1)
	s_and_saveexec_b32 s34, s0
	s_cbranch_execz .LBB718_263
; %bb.262:
	v_sub_f32_e32 v22, v22, v45
	s_delay_alu instid0(VALU_DEP_1) | instskip(NEXT) | instid1(VALU_DEP_1)
	v_mul_f32_e32 v23, 0x3fb8aa3b, v22
	v_fma_f32 v24, 0x3fb8aa3b, v22, -v23
	v_rndne_f32_e32 v47, v23
	s_delay_alu instid0(VALU_DEP_1) | instskip(SKIP_1) | instid1(VALU_DEP_2)
	v_dual_sub_f32 v23, v23, v47 :: v_dual_fmamk_f32 v24, v22, 0x32a5705f, v24
	v_cmp_ngt_f32_e64 s0, 0xc2ce8ed0, v22
	v_add_f32_e32 v23, v23, v24
	v_cvt_i32_f32_e32 v24, v47
	s_delay_alu instid0(VALU_DEP_2) | instskip(SKIP_2) | instid1(VALU_DEP_1)
	v_exp_f32_e32 v23, v23
	s_waitcnt_depctr 0xfff
	v_ldexp_f32 v23, v23, v24
	v_cndmask_b32_e64 v23, 0, v23, s0
	v_cmp_nlt_f32_e64 s0, 0x42b17218, v22
	s_delay_alu instid0(VALU_DEP_1) | instskip(NEXT) | instid1(VALU_DEP_1)
	v_cndmask_b32_e64 v24, 0x7f800000, v23, s0
	v_add_f32_e32 v46, v46, v24
.LBB718_263:
	s_or_b32 exec_lo, exec_lo, s34
.LBB718_264:
	s_delay_alu instid0(SALU_CYCLE_1)
	s_or_b32 exec_lo, exec_lo, s1
	v_dual_mov_b32 v22, 0 :: v_dual_mov_b32 v23, 0
	s_and_saveexec_b32 s1, s51
	s_cbranch_execz .LBB718_268
; %bb.265:
	global_load_u8 v23, v[2:3], off offset:1152
	s_waitcnt vmcnt(0)
	v_and_b32_e32 v23, 1, v23
	s_delay_alu instid0(VALU_DEP_1) | instskip(SKIP_1) | instid1(VALU_DEP_2)
	v_cmp_eq_u32_e64 s0, 1, v23
	v_mov_b32_e32 v23, 0
	s_xor_b32 s0, s0, -1
	s_delay_alu instid0(SALU_CYCLE_1)
	s_and_saveexec_b32 s34, s0
	s_cbranch_execz .LBB718_267
; %bb.266:
	v_sub_f32_e32 v21, v21, v45
	s_delay_alu instid0(VALU_DEP_1) | instskip(SKIP_1) | instid1(VALU_DEP_2)
	v_mul_f32_e32 v23, 0x3fb8aa3b, v21
	v_cmp_ngt_f32_e64 s0, 0xc2ce8ed0, v21
	v_fma_f32 v47, 0x3fb8aa3b, v21, -v23
	v_rndne_f32_e32 v48, v23
	s_delay_alu instid0(VALU_DEP_2) | instskip(NEXT) | instid1(VALU_DEP_2)
	v_fmamk_f32 v47, v21, 0x32a5705f, v47
	v_sub_f32_e32 v23, v23, v48
	s_delay_alu instid0(VALU_DEP_1) | instskip(SKIP_1) | instid1(VALU_DEP_2)
	v_add_f32_e32 v23, v23, v47
	v_cvt_i32_f32_e32 v47, v48
	v_exp_f32_e32 v23, v23
	s_waitcnt_depctr 0xfff
	v_ldexp_f32 v23, v23, v47
	s_delay_alu instid0(VALU_DEP_1) | instskip(SKIP_1) | instid1(VALU_DEP_1)
	v_cndmask_b32_e64 v23, 0, v23, s0
	v_cmp_nlt_f32_e64 s0, 0x42b17218, v21
	v_cndmask_b32_e64 v23, 0x7f800000, v23, s0
	s_delay_alu instid0(VALU_DEP_1)
	v_add_f32_e32 v46, v46, v23
.LBB718_267:
	s_or_b32 exec_lo, exec_lo, s34
.LBB718_268:
	s_delay_alu instid0(SALU_CYCLE_1)
	s_or_b32 exec_lo, exec_lo, s1
	s_and_saveexec_b32 s1, s50
	s_cbranch_execz .LBB718_272
; %bb.269:
	global_load_u8 v21, v[2:3], off offset:1216
	s_waitcnt vmcnt(0)
	v_dual_mov_b32 v22, 0 :: v_dual_and_b32 v21, 1, v21
	s_delay_alu instid0(VALU_DEP_1) | instskip(NEXT) | instid1(VALU_DEP_1)
	v_cmp_eq_u32_e64 s0, 1, v21
	s_xor_b32 s0, s0, -1
	s_delay_alu instid0(SALU_CYCLE_1)
	s_and_saveexec_b32 s34, s0
	s_cbranch_execz .LBB718_271
; %bb.270:
	v_sub_f32_e32 v20, v20, v45
	s_delay_alu instid0(VALU_DEP_1) | instskip(NEXT) | instid1(VALU_DEP_1)
	v_mul_f32_e32 v21, 0x3fb8aa3b, v20
	v_fma_f32 v22, 0x3fb8aa3b, v20, -v21
	v_rndne_f32_e32 v47, v21
	s_delay_alu instid0(VALU_DEP_1) | instskip(SKIP_1) | instid1(VALU_DEP_2)
	v_dual_sub_f32 v21, v21, v47 :: v_dual_fmamk_f32 v22, v20, 0x32a5705f, v22
	v_cmp_ngt_f32_e64 s0, 0xc2ce8ed0, v20
	v_add_f32_e32 v21, v21, v22
	v_cvt_i32_f32_e32 v22, v47
	s_delay_alu instid0(VALU_DEP_2) | instskip(SKIP_2) | instid1(VALU_DEP_1)
	v_exp_f32_e32 v21, v21
	s_waitcnt_depctr 0xfff
	v_ldexp_f32 v21, v21, v22
	v_cndmask_b32_e64 v21, 0, v21, s0
	v_cmp_nlt_f32_e64 s0, 0x42b17218, v20
	s_delay_alu instid0(VALU_DEP_1) | instskip(NEXT) | instid1(VALU_DEP_1)
	v_cndmask_b32_e64 v22, 0x7f800000, v21, s0
	v_add_f32_e32 v46, v46, v22
.LBB718_271:
	s_or_b32 exec_lo, exec_lo, s34
.LBB718_272:
	s_delay_alu instid0(SALU_CYCLE_1)
	s_or_b32 exec_lo, exec_lo, s1
	v_dual_mov_b32 v20, 0 :: v_dual_mov_b32 v21, 0
	s_and_saveexec_b32 s1, s49
	s_cbranch_execz .LBB718_276
; %bb.273:
	global_load_u8 v21, v[2:3], off offset:1280
	s_waitcnt vmcnt(0)
	v_and_b32_e32 v21, 1, v21
	s_delay_alu instid0(VALU_DEP_1) | instskip(SKIP_1) | instid1(VALU_DEP_2)
	v_cmp_eq_u32_e64 s0, 1, v21
	v_mov_b32_e32 v21, 0
	s_xor_b32 s0, s0, -1
	s_delay_alu instid0(SALU_CYCLE_1)
	s_and_saveexec_b32 s34, s0
	s_cbranch_execz .LBB718_275
; %bb.274:
	v_sub_f32_e32 v19, v19, v45
	s_delay_alu instid0(VALU_DEP_1) | instskip(SKIP_1) | instid1(VALU_DEP_2)
	v_mul_f32_e32 v21, 0x3fb8aa3b, v19
	v_cmp_ngt_f32_e64 s0, 0xc2ce8ed0, v19
	v_fma_f32 v47, 0x3fb8aa3b, v19, -v21
	v_rndne_f32_e32 v48, v21
	s_delay_alu instid0(VALU_DEP_2) | instskip(NEXT) | instid1(VALU_DEP_2)
	v_fmamk_f32 v47, v19, 0x32a5705f, v47
	v_sub_f32_e32 v21, v21, v48
	s_delay_alu instid0(VALU_DEP_1) | instskip(SKIP_1) | instid1(VALU_DEP_2)
	v_add_f32_e32 v21, v21, v47
	v_cvt_i32_f32_e32 v47, v48
	v_exp_f32_e32 v21, v21
	s_waitcnt_depctr 0xfff
	v_ldexp_f32 v21, v21, v47
	s_delay_alu instid0(VALU_DEP_1) | instskip(SKIP_1) | instid1(VALU_DEP_1)
	v_cndmask_b32_e64 v21, 0, v21, s0
	v_cmp_nlt_f32_e64 s0, 0x42b17218, v19
	v_cndmask_b32_e64 v21, 0x7f800000, v21, s0
	s_delay_alu instid0(VALU_DEP_1)
	v_add_f32_e32 v46, v46, v21
.LBB718_275:
	s_or_b32 exec_lo, exec_lo, s34
.LBB718_276:
	s_delay_alu instid0(SALU_CYCLE_1)
	s_or_b32 exec_lo, exec_lo, s1
	s_and_saveexec_b32 s1, s48
	s_cbranch_execz .LBB718_280
; %bb.277:
	global_load_u8 v19, v[2:3], off offset:1344
	s_waitcnt vmcnt(0)
	v_dual_mov_b32 v20, 0 :: v_dual_and_b32 v19, 1, v19
	s_delay_alu instid0(VALU_DEP_1) | instskip(NEXT) | instid1(VALU_DEP_1)
	v_cmp_eq_u32_e64 s0, 1, v19
	s_xor_b32 s0, s0, -1
	s_delay_alu instid0(SALU_CYCLE_1)
	s_and_saveexec_b32 s34, s0
	s_cbranch_execz .LBB718_279
; %bb.278:
	v_sub_f32_e32 v18, v18, v45
	s_delay_alu instid0(VALU_DEP_1) | instskip(NEXT) | instid1(VALU_DEP_1)
	v_mul_f32_e32 v19, 0x3fb8aa3b, v18
	v_fma_f32 v20, 0x3fb8aa3b, v18, -v19
	v_rndne_f32_e32 v47, v19
	s_delay_alu instid0(VALU_DEP_1) | instskip(SKIP_1) | instid1(VALU_DEP_2)
	v_dual_sub_f32 v19, v19, v47 :: v_dual_fmamk_f32 v20, v18, 0x32a5705f, v20
	v_cmp_ngt_f32_e64 s0, 0xc2ce8ed0, v18
	v_add_f32_e32 v19, v19, v20
	v_cvt_i32_f32_e32 v20, v47
	s_delay_alu instid0(VALU_DEP_2) | instskip(SKIP_2) | instid1(VALU_DEP_1)
	v_exp_f32_e32 v19, v19
	s_waitcnt_depctr 0xfff
	v_ldexp_f32 v19, v19, v20
	v_cndmask_b32_e64 v19, 0, v19, s0
	v_cmp_nlt_f32_e64 s0, 0x42b17218, v18
	s_delay_alu instid0(VALU_DEP_1) | instskip(NEXT) | instid1(VALU_DEP_1)
	v_cndmask_b32_e64 v20, 0x7f800000, v19, s0
	v_add_f32_e32 v46, v46, v20
.LBB718_279:
	s_or_b32 exec_lo, exec_lo, s34
.LBB718_280:
	s_delay_alu instid0(SALU_CYCLE_1)
	s_or_b32 exec_lo, exec_lo, s1
	v_dual_mov_b32 v18, 0 :: v_dual_mov_b32 v19, 0
	s_and_saveexec_b32 s1, s47
	s_cbranch_execz .LBB718_284
; %bb.281:
	global_load_u8 v19, v[2:3], off offset:1408
	s_waitcnt vmcnt(0)
	v_and_b32_e32 v19, 1, v19
	s_delay_alu instid0(VALU_DEP_1) | instskip(SKIP_1) | instid1(VALU_DEP_2)
	v_cmp_eq_u32_e64 s0, 1, v19
	v_mov_b32_e32 v19, 0
	s_xor_b32 s0, s0, -1
	s_delay_alu instid0(SALU_CYCLE_1)
	s_and_saveexec_b32 s34, s0
	s_cbranch_execz .LBB718_283
; %bb.282:
	v_sub_f32_e32 v17, v17, v45
	s_delay_alu instid0(VALU_DEP_1) | instskip(SKIP_1) | instid1(VALU_DEP_2)
	v_mul_f32_e32 v19, 0x3fb8aa3b, v17
	v_cmp_ngt_f32_e64 s0, 0xc2ce8ed0, v17
	v_fma_f32 v47, 0x3fb8aa3b, v17, -v19
	v_rndne_f32_e32 v48, v19
	s_delay_alu instid0(VALU_DEP_2) | instskip(NEXT) | instid1(VALU_DEP_2)
	v_fmamk_f32 v47, v17, 0x32a5705f, v47
	v_sub_f32_e32 v19, v19, v48
	s_delay_alu instid0(VALU_DEP_1) | instskip(SKIP_1) | instid1(VALU_DEP_2)
	v_add_f32_e32 v19, v19, v47
	v_cvt_i32_f32_e32 v47, v48
	v_exp_f32_e32 v19, v19
	s_waitcnt_depctr 0xfff
	v_ldexp_f32 v19, v19, v47
	s_delay_alu instid0(VALU_DEP_1) | instskip(SKIP_1) | instid1(VALU_DEP_1)
	v_cndmask_b32_e64 v19, 0, v19, s0
	v_cmp_nlt_f32_e64 s0, 0x42b17218, v17
	v_cndmask_b32_e64 v19, 0x7f800000, v19, s0
	s_delay_alu instid0(VALU_DEP_1)
	v_add_f32_e32 v46, v46, v19
.LBB718_283:
	s_or_b32 exec_lo, exec_lo, s34
.LBB718_284:
	s_delay_alu instid0(SALU_CYCLE_1)
	s_or_b32 exec_lo, exec_lo, s1
	s_and_saveexec_b32 s1, s46
	s_cbranch_execz .LBB718_288
; %bb.285:
	global_load_u8 v17, v[2:3], off offset:1472
	s_waitcnt vmcnt(0)
	v_dual_mov_b32 v18, 0 :: v_dual_and_b32 v17, 1, v17
	s_delay_alu instid0(VALU_DEP_1) | instskip(NEXT) | instid1(VALU_DEP_1)
	v_cmp_eq_u32_e64 s0, 1, v17
	s_xor_b32 s0, s0, -1
	s_delay_alu instid0(SALU_CYCLE_1)
	s_and_saveexec_b32 s34, s0
	s_cbranch_execz .LBB718_287
; %bb.286:
	v_sub_f32_e32 v16, v16, v45
	s_delay_alu instid0(VALU_DEP_1) | instskip(NEXT) | instid1(VALU_DEP_1)
	v_mul_f32_e32 v17, 0x3fb8aa3b, v16
	v_fma_f32 v18, 0x3fb8aa3b, v16, -v17
	v_rndne_f32_e32 v47, v17
	s_delay_alu instid0(VALU_DEP_1) | instskip(SKIP_1) | instid1(VALU_DEP_2)
	v_dual_sub_f32 v17, v17, v47 :: v_dual_fmamk_f32 v18, v16, 0x32a5705f, v18
	v_cmp_ngt_f32_e64 s0, 0xc2ce8ed0, v16
	v_add_f32_e32 v17, v17, v18
	v_cvt_i32_f32_e32 v18, v47
	s_delay_alu instid0(VALU_DEP_2) | instskip(SKIP_2) | instid1(VALU_DEP_1)
	v_exp_f32_e32 v17, v17
	s_waitcnt_depctr 0xfff
	v_ldexp_f32 v17, v17, v18
	v_cndmask_b32_e64 v17, 0, v17, s0
	v_cmp_nlt_f32_e64 s0, 0x42b17218, v16
	s_delay_alu instid0(VALU_DEP_1) | instskip(NEXT) | instid1(VALU_DEP_1)
	v_cndmask_b32_e64 v18, 0x7f800000, v17, s0
	v_add_f32_e32 v46, v46, v18
.LBB718_287:
	s_or_b32 exec_lo, exec_lo, s34
.LBB718_288:
	s_delay_alu instid0(SALU_CYCLE_1)
	s_or_b32 exec_lo, exec_lo, s1
	v_dual_mov_b32 v16, 0 :: v_dual_mov_b32 v17, 0
	s_and_saveexec_b32 s1, s45
	s_cbranch_execz .LBB718_292
; %bb.289:
	global_load_u8 v17, v[2:3], off offset:1536
	s_waitcnt vmcnt(0)
	v_and_b32_e32 v17, 1, v17
	s_delay_alu instid0(VALU_DEP_1) | instskip(SKIP_1) | instid1(VALU_DEP_2)
	v_cmp_eq_u32_e64 s0, 1, v17
	v_mov_b32_e32 v17, 0
	s_xor_b32 s0, s0, -1
	s_delay_alu instid0(SALU_CYCLE_1)
	s_and_saveexec_b32 s34, s0
	s_cbranch_execz .LBB718_291
; %bb.290:
	v_sub_f32_e32 v15, v15, v45
	s_delay_alu instid0(VALU_DEP_1) | instskip(SKIP_1) | instid1(VALU_DEP_2)
	v_mul_f32_e32 v17, 0x3fb8aa3b, v15
	v_cmp_ngt_f32_e64 s0, 0xc2ce8ed0, v15
	v_fma_f32 v47, 0x3fb8aa3b, v15, -v17
	v_rndne_f32_e32 v48, v17
	s_delay_alu instid0(VALU_DEP_2) | instskip(NEXT) | instid1(VALU_DEP_2)
	v_fmamk_f32 v47, v15, 0x32a5705f, v47
	v_sub_f32_e32 v17, v17, v48
	s_delay_alu instid0(VALU_DEP_1) | instskip(SKIP_1) | instid1(VALU_DEP_2)
	v_add_f32_e32 v17, v17, v47
	v_cvt_i32_f32_e32 v47, v48
	v_exp_f32_e32 v17, v17
	s_waitcnt_depctr 0xfff
	v_ldexp_f32 v17, v17, v47
	s_delay_alu instid0(VALU_DEP_1) | instskip(SKIP_1) | instid1(VALU_DEP_1)
	v_cndmask_b32_e64 v17, 0, v17, s0
	v_cmp_nlt_f32_e64 s0, 0x42b17218, v15
	v_cndmask_b32_e64 v17, 0x7f800000, v17, s0
	s_delay_alu instid0(VALU_DEP_1)
	v_add_f32_e32 v46, v46, v17
.LBB718_291:
	s_or_b32 exec_lo, exec_lo, s34
.LBB718_292:
	s_delay_alu instid0(SALU_CYCLE_1)
	s_or_b32 exec_lo, exec_lo, s1
	s_and_saveexec_b32 s1, s44
	s_cbranch_execz .LBB718_296
; %bb.293:
	global_load_u8 v15, v[2:3], off offset:1600
	s_waitcnt vmcnt(0)
	v_dual_mov_b32 v16, 0 :: v_dual_and_b32 v15, 1, v15
	s_delay_alu instid0(VALU_DEP_1) | instskip(NEXT) | instid1(VALU_DEP_1)
	v_cmp_eq_u32_e64 s0, 1, v15
	s_xor_b32 s0, s0, -1
	s_delay_alu instid0(SALU_CYCLE_1)
	s_and_saveexec_b32 s34, s0
	s_cbranch_execz .LBB718_295
; %bb.294:
	v_sub_f32_e32 v14, v14, v45
	s_delay_alu instid0(VALU_DEP_1) | instskip(NEXT) | instid1(VALU_DEP_1)
	v_mul_f32_e32 v15, 0x3fb8aa3b, v14
	v_fma_f32 v16, 0x3fb8aa3b, v14, -v15
	v_rndne_f32_e32 v47, v15
	s_delay_alu instid0(VALU_DEP_1) | instskip(SKIP_1) | instid1(VALU_DEP_2)
	v_dual_sub_f32 v15, v15, v47 :: v_dual_fmamk_f32 v16, v14, 0x32a5705f, v16
	v_cmp_ngt_f32_e64 s0, 0xc2ce8ed0, v14
	v_add_f32_e32 v15, v15, v16
	v_cvt_i32_f32_e32 v16, v47
	s_delay_alu instid0(VALU_DEP_2) | instskip(SKIP_2) | instid1(VALU_DEP_1)
	v_exp_f32_e32 v15, v15
	s_waitcnt_depctr 0xfff
	v_ldexp_f32 v15, v15, v16
	v_cndmask_b32_e64 v15, 0, v15, s0
	v_cmp_nlt_f32_e64 s0, 0x42b17218, v14
	s_delay_alu instid0(VALU_DEP_1) | instskip(NEXT) | instid1(VALU_DEP_1)
	v_cndmask_b32_e64 v16, 0x7f800000, v15, s0
	v_add_f32_e32 v46, v46, v16
.LBB718_295:
	s_or_b32 exec_lo, exec_lo, s34
.LBB718_296:
	s_delay_alu instid0(SALU_CYCLE_1)
	s_or_b32 exec_lo, exec_lo, s1
	v_dual_mov_b32 v14, 0 :: v_dual_mov_b32 v15, 0
	s_and_saveexec_b32 s1, s43
	s_cbranch_execz .LBB718_300
; %bb.297:
	global_load_u8 v15, v[2:3], off offset:1664
	s_waitcnt vmcnt(0)
	v_and_b32_e32 v15, 1, v15
	s_delay_alu instid0(VALU_DEP_1) | instskip(SKIP_1) | instid1(VALU_DEP_2)
	v_cmp_eq_u32_e64 s0, 1, v15
	v_mov_b32_e32 v15, 0
	s_xor_b32 s0, s0, -1
	s_delay_alu instid0(SALU_CYCLE_1)
	s_and_saveexec_b32 s34, s0
	s_cbranch_execz .LBB718_299
; %bb.298:
	v_sub_f32_e32 v13, v13, v45
	s_delay_alu instid0(VALU_DEP_1) | instskip(SKIP_1) | instid1(VALU_DEP_2)
	v_mul_f32_e32 v15, 0x3fb8aa3b, v13
	v_cmp_ngt_f32_e64 s0, 0xc2ce8ed0, v13
	v_fma_f32 v47, 0x3fb8aa3b, v13, -v15
	v_rndne_f32_e32 v48, v15
	s_delay_alu instid0(VALU_DEP_2) | instskip(NEXT) | instid1(VALU_DEP_2)
	v_fmamk_f32 v47, v13, 0x32a5705f, v47
	v_sub_f32_e32 v15, v15, v48
	s_delay_alu instid0(VALU_DEP_1) | instskip(SKIP_1) | instid1(VALU_DEP_2)
	v_add_f32_e32 v15, v15, v47
	v_cvt_i32_f32_e32 v47, v48
	v_exp_f32_e32 v15, v15
	s_waitcnt_depctr 0xfff
	v_ldexp_f32 v15, v15, v47
	s_delay_alu instid0(VALU_DEP_1) | instskip(SKIP_1) | instid1(VALU_DEP_1)
	v_cndmask_b32_e64 v15, 0, v15, s0
	v_cmp_nlt_f32_e64 s0, 0x42b17218, v13
	v_cndmask_b32_e64 v15, 0x7f800000, v15, s0
	s_delay_alu instid0(VALU_DEP_1)
	v_add_f32_e32 v46, v46, v15
.LBB718_299:
	s_or_b32 exec_lo, exec_lo, s34
.LBB718_300:
	s_delay_alu instid0(SALU_CYCLE_1)
	s_or_b32 exec_lo, exec_lo, s1
	s_and_saveexec_b32 s1, s41
	s_cbranch_execz .LBB718_304
; %bb.301:
	global_load_u8 v13, v[2:3], off offset:1728
	s_waitcnt vmcnt(0)
	v_dual_mov_b32 v14, 0 :: v_dual_and_b32 v13, 1, v13
	s_delay_alu instid0(VALU_DEP_1) | instskip(NEXT) | instid1(VALU_DEP_1)
	v_cmp_eq_u32_e64 s0, 1, v13
	s_xor_b32 s0, s0, -1
	s_delay_alu instid0(SALU_CYCLE_1)
	s_and_saveexec_b32 s34, s0
	s_cbranch_execz .LBB718_303
; %bb.302:
	v_sub_f32_e32 v12, v12, v45
	s_delay_alu instid0(VALU_DEP_1) | instskip(NEXT) | instid1(VALU_DEP_1)
	v_mul_f32_e32 v13, 0x3fb8aa3b, v12
	v_fma_f32 v14, 0x3fb8aa3b, v12, -v13
	v_rndne_f32_e32 v47, v13
	s_delay_alu instid0(VALU_DEP_1) | instskip(SKIP_1) | instid1(VALU_DEP_2)
	v_dual_sub_f32 v13, v13, v47 :: v_dual_fmamk_f32 v14, v12, 0x32a5705f, v14
	v_cmp_ngt_f32_e64 s0, 0xc2ce8ed0, v12
	v_add_f32_e32 v13, v13, v14
	v_cvt_i32_f32_e32 v14, v47
	s_delay_alu instid0(VALU_DEP_2) | instskip(SKIP_2) | instid1(VALU_DEP_1)
	v_exp_f32_e32 v13, v13
	s_waitcnt_depctr 0xfff
	v_ldexp_f32 v13, v13, v14
	v_cndmask_b32_e64 v13, 0, v13, s0
	v_cmp_nlt_f32_e64 s0, 0x42b17218, v12
	s_delay_alu instid0(VALU_DEP_1) | instskip(NEXT) | instid1(VALU_DEP_1)
	v_cndmask_b32_e64 v14, 0x7f800000, v13, s0
	v_add_f32_e32 v46, v46, v14
.LBB718_303:
	s_or_b32 exec_lo, exec_lo, s34
.LBB718_304:
	s_delay_alu instid0(SALU_CYCLE_1)
	s_or_b32 exec_lo, exec_lo, s1
	v_dual_mov_b32 v12, 0 :: v_dual_mov_b32 v13, 0
	s_and_saveexec_b32 s1, s40
	s_cbranch_execz .LBB718_308
; %bb.305:
	global_load_u8 v13, v[2:3], off offset:1792
	s_waitcnt vmcnt(0)
	v_and_b32_e32 v13, 1, v13
	s_delay_alu instid0(VALU_DEP_1) | instskip(SKIP_1) | instid1(VALU_DEP_2)
	v_cmp_eq_u32_e64 s0, 1, v13
	v_mov_b32_e32 v13, 0
	s_xor_b32 s0, s0, -1
	s_delay_alu instid0(SALU_CYCLE_1)
	s_and_saveexec_b32 s34, s0
	s_cbranch_execz .LBB718_307
; %bb.306:
	v_sub_f32_e32 v11, v11, v45
	s_delay_alu instid0(VALU_DEP_1) | instskip(SKIP_1) | instid1(VALU_DEP_2)
	v_mul_f32_e32 v13, 0x3fb8aa3b, v11
	v_cmp_ngt_f32_e64 s0, 0xc2ce8ed0, v11
	v_fma_f32 v47, 0x3fb8aa3b, v11, -v13
	v_rndne_f32_e32 v48, v13
	s_delay_alu instid0(VALU_DEP_2) | instskip(NEXT) | instid1(VALU_DEP_2)
	v_fmamk_f32 v47, v11, 0x32a5705f, v47
	v_sub_f32_e32 v13, v13, v48
	s_delay_alu instid0(VALU_DEP_1) | instskip(SKIP_1) | instid1(VALU_DEP_2)
	v_add_f32_e32 v13, v13, v47
	v_cvt_i32_f32_e32 v47, v48
	v_exp_f32_e32 v13, v13
	s_waitcnt_depctr 0xfff
	v_ldexp_f32 v13, v13, v47
	s_delay_alu instid0(VALU_DEP_1) | instskip(SKIP_1) | instid1(VALU_DEP_1)
	v_cndmask_b32_e64 v13, 0, v13, s0
	v_cmp_nlt_f32_e64 s0, 0x42b17218, v11
	v_cndmask_b32_e64 v13, 0x7f800000, v13, s0
	s_delay_alu instid0(VALU_DEP_1)
	v_add_f32_e32 v46, v46, v13
.LBB718_307:
	s_or_b32 exec_lo, exec_lo, s34
.LBB718_308:
	s_delay_alu instid0(SALU_CYCLE_1)
	s_or_b32 exec_lo, exec_lo, s1
	s_and_saveexec_b32 s1, s39
	s_cbranch_execz .LBB718_312
; %bb.309:
	global_load_u8 v11, v[2:3], off offset:1856
	s_waitcnt vmcnt(0)
	v_dual_mov_b32 v12, 0 :: v_dual_and_b32 v11, 1, v11
	s_delay_alu instid0(VALU_DEP_1) | instskip(NEXT) | instid1(VALU_DEP_1)
	v_cmp_eq_u32_e64 s0, 1, v11
	s_xor_b32 s0, s0, -1
	s_delay_alu instid0(SALU_CYCLE_1)
	s_and_saveexec_b32 s34, s0
	s_cbranch_execz .LBB718_311
; %bb.310:
	v_sub_f32_e32 v10, v10, v45
	s_delay_alu instid0(VALU_DEP_1) | instskip(NEXT) | instid1(VALU_DEP_1)
	v_mul_f32_e32 v11, 0x3fb8aa3b, v10
	v_fma_f32 v12, 0x3fb8aa3b, v10, -v11
	v_rndne_f32_e32 v47, v11
	s_delay_alu instid0(VALU_DEP_1) | instskip(SKIP_1) | instid1(VALU_DEP_2)
	v_dual_sub_f32 v11, v11, v47 :: v_dual_fmamk_f32 v12, v10, 0x32a5705f, v12
	v_cmp_ngt_f32_e64 s0, 0xc2ce8ed0, v10
	v_add_f32_e32 v11, v11, v12
	v_cvt_i32_f32_e32 v12, v47
	s_delay_alu instid0(VALU_DEP_2) | instskip(SKIP_2) | instid1(VALU_DEP_1)
	v_exp_f32_e32 v11, v11
	s_waitcnt_depctr 0xfff
	v_ldexp_f32 v11, v11, v12
	v_cndmask_b32_e64 v11, 0, v11, s0
	v_cmp_nlt_f32_e64 s0, 0x42b17218, v10
	s_delay_alu instid0(VALU_DEP_1) | instskip(NEXT) | instid1(VALU_DEP_1)
	v_cndmask_b32_e64 v12, 0x7f800000, v11, s0
	v_add_f32_e32 v46, v46, v12
.LBB718_311:
	s_or_b32 exec_lo, exec_lo, s34
.LBB718_312:
	s_delay_alu instid0(SALU_CYCLE_1)
	s_or_b32 exec_lo, exec_lo, s1
	v_dual_mov_b32 v10, 0 :: v_dual_mov_b32 v11, 0
	s_and_saveexec_b32 s1, s38
	s_cbranch_execz .LBB718_316
; %bb.313:
	global_load_u8 v11, v[2:3], off offset:1920
	s_waitcnt vmcnt(0)
	v_and_b32_e32 v11, 1, v11
	s_delay_alu instid0(VALU_DEP_1) | instskip(SKIP_1) | instid1(VALU_DEP_2)
	v_cmp_eq_u32_e64 s0, 1, v11
	v_mov_b32_e32 v11, 0
	s_xor_b32 s0, s0, -1
	s_delay_alu instid0(SALU_CYCLE_1)
	s_and_saveexec_b32 s34, s0
	s_cbranch_execz .LBB718_315
; %bb.314:
	v_sub_f32_e32 v9, v9, v45
	s_delay_alu instid0(VALU_DEP_1) | instskip(SKIP_1) | instid1(VALU_DEP_2)
	v_mul_f32_e32 v11, 0x3fb8aa3b, v9
	v_cmp_ngt_f32_e64 s0, 0xc2ce8ed0, v9
	v_fma_f32 v47, 0x3fb8aa3b, v9, -v11
	v_rndne_f32_e32 v48, v11
	s_delay_alu instid0(VALU_DEP_2) | instskip(NEXT) | instid1(VALU_DEP_2)
	v_fmamk_f32 v47, v9, 0x32a5705f, v47
	v_sub_f32_e32 v11, v11, v48
	s_delay_alu instid0(VALU_DEP_1) | instskip(SKIP_1) | instid1(VALU_DEP_2)
	v_add_f32_e32 v11, v11, v47
	v_cvt_i32_f32_e32 v47, v48
	v_exp_f32_e32 v11, v11
	s_waitcnt_depctr 0xfff
	v_ldexp_f32 v11, v11, v47
	s_delay_alu instid0(VALU_DEP_1) | instskip(SKIP_1) | instid1(VALU_DEP_1)
	v_cndmask_b32_e64 v11, 0, v11, s0
	v_cmp_nlt_f32_e64 s0, 0x42b17218, v9
	v_cndmask_b32_e64 v11, 0x7f800000, v11, s0
	s_delay_alu instid0(VALU_DEP_1)
	v_add_f32_e32 v46, v46, v11
.LBB718_315:
	s_or_b32 exec_lo, exec_lo, s34
.LBB718_316:
	s_delay_alu instid0(SALU_CYCLE_1)
	s_or_b32 exec_lo, exec_lo, s1
	s_and_saveexec_b32 s1, s35
	s_cbranch_execz .LBB718_320
; %bb.317:
	global_load_u8 v2, v[2:3], off offset:1984
	v_mov_b32_e32 v10, 0
	s_waitcnt vmcnt(0)
	v_and_b32_e32 v2, 1, v2
	s_delay_alu instid0(VALU_DEP_1) | instskip(NEXT) | instid1(VALU_DEP_1)
	v_cmp_eq_u32_e64 s0, 1, v2
	s_xor_b32 s0, s0, -1
	s_delay_alu instid0(SALU_CYCLE_1)
	s_and_saveexec_b32 s34, s0
	s_cbranch_execz .LBB718_319
; %bb.318:
	v_sub_f32_e32 v2, v8, v45
	s_delay_alu instid0(VALU_DEP_1) | instskip(NEXT) | instid1(VALU_DEP_1)
	v_mul_f32_e32 v3, 0x3fb8aa3b, v2
	v_fma_f32 v8, 0x3fb8aa3b, v2, -v3
	v_rndne_f32_e32 v9, v3
	s_delay_alu instid0(VALU_DEP_1) | instskip(NEXT) | instid1(VALU_DEP_1)
	v_dual_fmamk_f32 v8, v2, 0x32a5705f, v8 :: v_dual_sub_f32 v3, v3, v9
	v_add_f32_e32 v3, v3, v8
	v_cvt_i32_f32_e32 v8, v9
	v_cmp_ngt_f32_e64 s0, 0xc2ce8ed0, v2
	s_delay_alu instid0(VALU_DEP_3) | instskip(SKIP_2) | instid1(VALU_DEP_1)
	v_exp_f32_e32 v3, v3
	s_waitcnt_depctr 0xfff
	v_ldexp_f32 v3, v3, v8
	v_cndmask_b32_e64 v3, 0, v3, s0
	v_cmp_nlt_f32_e64 s0, 0x42b17218, v2
	s_delay_alu instid0(VALU_DEP_1) | instskip(NEXT) | instid1(VALU_DEP_1)
	v_cndmask_b32_e64 v10, 0x7f800000, v3, s0
	v_add_f32_e32 v46, v46, v10
.LBB718_319:
	s_or_b32 exec_lo, exec_lo, s34
.LBB718_320:
	s_delay_alu instid0(SALU_CYCLE_1)
	s_or_b32 exec_lo, exec_lo, s1
	ds_bpermute_b32 v2, v4, v46
	s_mov_b32 s1, exec_lo
	s_waitcnt lgkmcnt(0)
	v_add_f32_e32 v2, v46, v2
	ds_bpermute_b32 v3, v6, v2
	s_waitcnt lgkmcnt(0)
	v_add_f32_e32 v2, v2, v3
	ds_bpermute_b32 v3, v40, v2
	;; [unrolled: 3-line block ×5, first 2 shown]
	v_cmpx_lt_i32_e32 0, v7
	s_cbranch_execz .LBB718_354
; %bb.321:
	s_and_b32 exec_lo, exec_lo, vcc_lo
	s_cbranch_execz .LBB718_354
; %bb.322:
	s_waitcnt lgkmcnt(0)
	v_add_f32_e32 v2, v2, v3
	s_delay_alu instid0(VALU_DEP_1) | instskip(SKIP_2) | instid1(VALU_DEP_3)
	v_div_scale_f32 v3, null, v2, v2, v43
	v_div_scale_f32 v7, vcc_lo, v43, v2, v43
	v_cmp_eq_f32_e64 s0, 0, v2
	v_rcp_f32_e32 v4, v3
	s_waitcnt_depctr 0xfff
	v_fma_f32 v6, -v3, v4, 1.0
	s_delay_alu instid0(VALU_DEP_1) | instskip(NEXT) | instid1(VALU_DEP_1)
	v_fmac_f32_e32 v4, v6, v4
	v_mul_f32_e32 v6, v7, v4
	s_delay_alu instid0(VALU_DEP_1) | instskip(NEXT) | instid1(VALU_DEP_1)
	v_fma_f32 v8, -v3, v6, v7
	v_fmac_f32_e32 v6, v8, v4
	s_delay_alu instid0(VALU_DEP_1) | instskip(NEXT) | instid1(VALU_DEP_1)
	v_fma_f32 v3, -v3, v6, v7
	v_div_fmas_f32 v3, v3, v4, v6
	v_add_co_u32 v0, vcc_lo, s36, v0
	v_add_co_ci_u32_e32 v1, vcc_lo, s37, v1, vcc_lo
	s_delay_alu instid0(VALU_DEP_3) | instskip(NEXT) | instid1(VALU_DEP_1)
	v_div_fixup_f32 v3, v3, v2, v43
	v_cndmask_b32_e64 v3, v3, 0x7fc00000, s0
	global_store_b32 v[0:1], v3, off
	s_and_b32 exec_lo, exec_lo, s33
	s_cbranch_execz .LBB718_354
; %bb.323:
	v_div_scale_f32 v3, null, v2, v2, v5
	s_delay_alu instid0(VALU_DEP_1) | instskip(SKIP_2) | instid1(VALU_DEP_1)
	v_rcp_f32_e32 v4, v3
	s_waitcnt_depctr 0xfff
	v_fma_f32 v6, -v3, v4, 1.0
	v_fmac_f32_e32 v4, v6, v4
	v_div_scale_f32 v6, vcc_lo, v5, v2, v5
	s_delay_alu instid0(VALU_DEP_1) | instskip(NEXT) | instid1(VALU_DEP_1)
	v_mul_f32_e32 v7, v6, v4
	v_fma_f32 v8, -v3, v7, v6
	s_delay_alu instid0(VALU_DEP_1) | instskip(NEXT) | instid1(VALU_DEP_1)
	v_fmac_f32_e32 v7, v8, v4
	v_fma_f32 v3, -v3, v7, v6
	s_delay_alu instid0(VALU_DEP_1) | instskip(NEXT) | instid1(VALU_DEP_1)
	v_div_fmas_f32 v3, v3, v4, v7
	v_div_fixup_f32 v3, v3, v2, v5
	s_delay_alu instid0(VALU_DEP_1)
	v_cndmask_b32_e64 v3, v3, 0x7fc00000, s0
	global_store_b32 v[0:1], v3, off offset:256
	s_and_b32 exec_lo, exec_lo, s31
	s_cbranch_execz .LBB718_354
; %bb.324:
	v_div_scale_f32 v3, null, v2, v2, v39
	s_delay_alu instid0(VALU_DEP_1) | instskip(SKIP_2) | instid1(VALU_DEP_1)
	v_rcp_f32_e32 v4, v3
	s_waitcnt_depctr 0xfff
	v_fma_f32 v5, -v3, v4, 1.0
	v_fmac_f32_e32 v4, v5, v4
	v_div_scale_f32 v5, vcc_lo, v39, v2, v39
	s_delay_alu instid0(VALU_DEP_1) | instskip(NEXT) | instid1(VALU_DEP_1)
	v_mul_f32_e32 v6, v5, v4
	v_fma_f32 v7, -v3, v6, v5
	s_delay_alu instid0(VALU_DEP_1) | instskip(NEXT) | instid1(VALU_DEP_1)
	v_fmac_f32_e32 v6, v7, v4
	v_fma_f32 v3, -v3, v6, v5
	s_delay_alu instid0(VALU_DEP_1) | instskip(NEXT) | instid1(VALU_DEP_1)
	v_div_fmas_f32 v3, v3, v4, v6
	v_div_fixup_f32 v3, v3, v2, v39
	s_delay_alu instid0(VALU_DEP_1)
	v_cndmask_b32_e64 v3, v3, 0x7fc00000, s0
	global_store_b32 v[0:1], v3, off offset:512
	;; [unrolled: 22-line block ×15, first 2 shown]
	s_and_b32 exec_lo, exec_lo, s17
	s_cbranch_execz .LBB718_354
; %bb.338:
	v_div_scale_f32 v3, null, v2, v2, v25
	v_div_scale_f32 v6, vcc_lo, v25, v2, v25
	s_delay_alu instid0(VALU_DEP_2) | instskip(SKIP_2) | instid1(VALU_DEP_1)
	v_rcp_f32_e32 v4, v3
	s_waitcnt_depctr 0xfff
	v_fma_f32 v5, -v3, v4, 1.0
	v_fmac_f32_e32 v4, v5, v4
	s_delay_alu instid0(VALU_DEP_1) | instskip(NEXT) | instid1(VALU_DEP_1)
	v_mul_f32_e32 v5, v6, v4
	v_fma_f32 v7, -v3, v5, v6
	s_delay_alu instid0(VALU_DEP_1) | instskip(NEXT) | instid1(VALU_DEP_1)
	v_fmac_f32_e32 v5, v7, v4
	v_fma_f32 v3, -v3, v5, v6
	s_delay_alu instid0(VALU_DEP_1) | instskip(SKIP_2) | instid1(VALU_DEP_3)
	v_div_fmas_f32 v3, v3, v4, v5
	v_add_co_u32 v0, vcc_lo, 0x1000, v0
	v_add_co_ci_u32_e32 v1, vcc_lo, 0, v1, vcc_lo
	v_div_fixup_f32 v3, v3, v2, v25
	s_delay_alu instid0(VALU_DEP_1)
	v_cndmask_b32_e64 v3, v3, 0x7fc00000, s0
	global_store_b32 v[0:1], v3, off
	s_and_b32 exec_lo, exec_lo, s16
	s_cbranch_execz .LBB718_354
; %bb.339:
	v_div_scale_f32 v3, null, v2, v2, v24
	s_delay_alu instid0(VALU_DEP_1) | instskip(SKIP_2) | instid1(VALU_DEP_1)
	v_rcp_f32_e32 v4, v3
	s_waitcnt_depctr 0xfff
	v_fma_f32 v5, -v3, v4, 1.0
	v_fmac_f32_e32 v4, v5, v4
	v_div_scale_f32 v5, vcc_lo, v24, v2, v24
	s_delay_alu instid0(VALU_DEP_1) | instskip(NEXT) | instid1(VALU_DEP_1)
	v_mul_f32_e32 v6, v5, v4
	v_fma_f32 v7, -v3, v6, v5
	s_delay_alu instid0(VALU_DEP_1) | instskip(NEXT) | instid1(VALU_DEP_1)
	v_fmac_f32_e32 v6, v7, v4
	v_fma_f32 v3, -v3, v6, v5
	s_delay_alu instid0(VALU_DEP_1) | instskip(NEXT) | instid1(VALU_DEP_1)
	v_div_fmas_f32 v3, v3, v4, v6
	v_div_fixup_f32 v3, v3, v2, v24
	s_delay_alu instid0(VALU_DEP_1)
	v_cndmask_b32_e64 v3, v3, 0x7fc00000, s0
	global_store_b32 v[0:1], v3, off offset:256
	s_and_b32 exec_lo, exec_lo, s15
	s_cbranch_execz .LBB718_354
; %bb.340:
	v_div_scale_f32 v3, null, v2, v2, v23
	s_delay_alu instid0(VALU_DEP_1) | instskip(SKIP_2) | instid1(VALU_DEP_1)
	v_rcp_f32_e32 v4, v3
	s_waitcnt_depctr 0xfff
	v_fma_f32 v5, -v3, v4, 1.0
	v_fmac_f32_e32 v4, v5, v4
	v_div_scale_f32 v5, vcc_lo, v23, v2, v23
	s_delay_alu instid0(VALU_DEP_1) | instskip(NEXT) | instid1(VALU_DEP_1)
	v_mul_f32_e32 v6, v5, v4
	v_fma_f32 v7, -v3, v6, v5
	s_delay_alu instid0(VALU_DEP_1) | instskip(NEXT) | instid1(VALU_DEP_1)
	v_fmac_f32_e32 v6, v7, v4
	v_fma_f32 v3, -v3, v6, v5
	s_delay_alu instid0(VALU_DEP_1) | instskip(NEXT) | instid1(VALU_DEP_1)
	v_div_fmas_f32 v3, v3, v4, v6
	v_div_fixup_f32 v3, v3, v2, v23
	s_delay_alu instid0(VALU_DEP_1)
	v_cndmask_b32_e64 v3, v3, 0x7fc00000, s0
	global_store_b32 v[0:1], v3, off offset:512
	;; [unrolled: 22-line block ×15, first 2 shown]
.LBB718_354:
	s_nop 0
	s_sendmsg sendmsg(MSG_DEALLOC_VGPRS)
	s_endpgm
	.section	.rodata,"a",@progbits
	.p2align	6, 0x0
	.amdhsa_kernel _ZN12_GLOBAL__N_120softmax_warp_forwardIfffLi11ELb0ELb1ELi64EEEvPT0_PKT_iiiPKbib
		.amdhsa_group_segment_fixed_size 0
		.amdhsa_private_segment_fixed_size 0
		.amdhsa_kernarg_size 304
		.amdhsa_user_sgpr_count 15
		.amdhsa_user_sgpr_dispatch_ptr 0
		.amdhsa_user_sgpr_queue_ptr 0
		.amdhsa_user_sgpr_kernarg_segment_ptr 1
		.amdhsa_user_sgpr_dispatch_id 0
		.amdhsa_user_sgpr_private_segment_size 0
		.amdhsa_wavefront_size32 1
		.amdhsa_uses_dynamic_stack 0
		.amdhsa_enable_private_segment 0
		.amdhsa_system_sgpr_workgroup_id_x 1
		.amdhsa_system_sgpr_workgroup_id_y 0
		.amdhsa_system_sgpr_workgroup_id_z 0
		.amdhsa_system_sgpr_workgroup_info 0
		.amdhsa_system_vgpr_workitem_id 1
		.amdhsa_next_free_vgpr 49
		.amdhsa_next_free_sgpr 71
		.amdhsa_reserve_vcc 1
		.amdhsa_float_round_mode_32 0
		.amdhsa_float_round_mode_16_64 0
		.amdhsa_float_denorm_mode_32 3
		.amdhsa_float_denorm_mode_16_64 3
		.amdhsa_dx10_clamp 1
		.amdhsa_ieee_mode 1
		.amdhsa_fp16_overflow 0
		.amdhsa_workgroup_processor_mode 1
		.amdhsa_memory_ordered 1
		.amdhsa_forward_progress 0
		.amdhsa_shared_vgpr_count 0
		.amdhsa_exception_fp_ieee_invalid_op 0
		.amdhsa_exception_fp_denorm_src 0
		.amdhsa_exception_fp_ieee_div_zero 0
		.amdhsa_exception_fp_ieee_overflow 0
		.amdhsa_exception_fp_ieee_underflow 0
		.amdhsa_exception_fp_ieee_inexact 0
		.amdhsa_exception_int_div_zero 0
	.end_amdhsa_kernel
	.section	.text._ZN12_GLOBAL__N_120softmax_warp_forwardIfffLi11ELb0ELb1ELi64EEEvPT0_PKT_iiiPKbib,"axG",@progbits,_ZN12_GLOBAL__N_120softmax_warp_forwardIfffLi11ELb0ELb1ELi64EEEvPT0_PKT_iiiPKbib,comdat
.Lfunc_end718:
	.size	_ZN12_GLOBAL__N_120softmax_warp_forwardIfffLi11ELb0ELb1ELi64EEEvPT0_PKT_iiiPKbib, .Lfunc_end718-_ZN12_GLOBAL__N_120softmax_warp_forwardIfffLi11ELb0ELb1ELi64EEEvPT0_PKT_iiiPKbib
                                        ; -- End function
	.section	.AMDGPU.csdata,"",@progbits
; Kernel info:
; codeLenInByte = 16976
; NumSgprs: 73
; NumVgprs: 49
; ScratchSize: 0
; MemoryBound: 0
; FloatMode: 240
; IeeeMode: 1
; LDSByteSize: 0 bytes/workgroup (compile time only)
; SGPRBlocks: 9
; VGPRBlocks: 6
; NumSGPRsForWavesPerEU: 73
; NumVGPRsForWavesPerEU: 49
; Occupancy: 16
; WaveLimiterHint : 0
; COMPUTE_PGM_RSRC2:SCRATCH_EN: 0
; COMPUTE_PGM_RSRC2:USER_SGPR: 15
; COMPUTE_PGM_RSRC2:TRAP_HANDLER: 0
; COMPUTE_PGM_RSRC2:TGID_X_EN: 1
; COMPUTE_PGM_RSRC2:TGID_Y_EN: 0
; COMPUTE_PGM_RSRC2:TGID_Z_EN: 0
; COMPUTE_PGM_RSRC2:TIDIG_COMP_CNT: 1
	.section	.text._ZN12_GLOBAL__N_120softmax_warp_forwardIfffLi11ELb0ELb1ELi32EEEvPT0_PKT_iiiPKbib,"axG",@progbits,_ZN12_GLOBAL__N_120softmax_warp_forwardIfffLi11ELb0ELb1ELi32EEEvPT0_PKT_iiiPKbib,comdat
	.globl	_ZN12_GLOBAL__N_120softmax_warp_forwardIfffLi11ELb0ELb1ELi32EEEvPT0_PKT_iiiPKbib ; -- Begin function _ZN12_GLOBAL__N_120softmax_warp_forwardIfffLi11ELb0ELb1ELi32EEEvPT0_PKT_iiiPKbib
	.p2align	8
	.type	_ZN12_GLOBAL__N_120softmax_warp_forwardIfffLi11ELb0ELb1ELi32EEEvPT0_PKT_iiiPKbib,@function
_ZN12_GLOBAL__N_120softmax_warp_forwardIfffLi11ELb0ELb1ELi32EEEvPT0_PKT_iiiPKbib: ; @_ZN12_GLOBAL__N_120softmax_warp_forwardIfffLi11ELb0ELb1ELi32EEEvPT0_PKT_iiiPKbib
; %bb.0:
	s_clause 0x1
	s_load_b32 s2, s[0:1], 0x3c
	s_load_b128 s[72:75], s[0:1], 0x10
	v_bfe_u32 v3, v0, 10, 10
	s_waitcnt lgkmcnt(0)
	s_lshr_b32 s2, s2, 16
	s_delay_alu instid0(VALU_DEP_1) | instid1(SALU_CYCLE_1)
	v_mad_u64_u32 v[1:2], null, s15, s2, v[3:4]
	s_load_b64 s[2:3], s[0:1], 0x28
	v_and_b32_e32 v2, 0x3ff, v0
	s_delay_alu instid0(VALU_DEP_2) | instskip(NEXT) | instid1(VALU_DEP_1)
	v_mul_lo_u32 v7, v1, s73
	v_add_nc_u32_e32 v5, v7, v2
	s_delay_alu instid0(VALU_DEP_1) | instskip(SKIP_3) | instid1(VALU_DEP_2)
	v_ashrrev_i32_e32 v6, 31, v5
	v_mov_b32_e32 v3, v5
	s_waitcnt lgkmcnt(0)
	s_bitcmp0_b32 s3, 0
	v_mov_b32_e32 v4, v6
	s_cbranch_scc1 .LBB719_2
; %bb.1:
	s_abs_i32 s3, s2
	v_sub_nc_u32_e32 v4, 0, v7
	v_cvt_f32_u32_e32 v0, s3
	s_sub_i32 s4, 0, s3
	s_delay_alu instid0(VALU_DEP_2) | instskip(NEXT) | instid1(VALU_DEP_2)
	v_max_i32_e32 v4, v7, v4
	v_rcp_iflag_f32_e32 v0, v0
	s_waitcnt_depctr 0xfff
	v_mul_f32_e32 v0, 0x4f7ffffe, v0
	s_delay_alu instid0(VALU_DEP_1) | instskip(NEXT) | instid1(VALU_DEP_1)
	v_cvt_u32_f32_e32 v0, v0
	v_mul_lo_u32 v3, s4, v0
	s_delay_alu instid0(VALU_DEP_1) | instskip(NEXT) | instid1(VALU_DEP_1)
	v_mul_hi_u32 v3, v0, v3
	v_add_nc_u32_e32 v0, v0, v3
	s_delay_alu instid0(VALU_DEP_1) | instskip(NEXT) | instid1(VALU_DEP_1)
	v_mul_hi_u32 v0, v4, v0
	v_mul_lo_u32 v3, v0, s3
	s_delay_alu instid0(VALU_DEP_1) | instskip(SKIP_1) | instid1(VALU_DEP_2)
	v_sub_nc_u32_e32 v3, v4, v3
	v_add_nc_u32_e32 v4, 1, v0
	v_subrev_nc_u32_e32 v8, s3, v3
	v_cmp_le_u32_e32 vcc_lo, s3, v3
	s_delay_alu instid0(VALU_DEP_2) | instskip(NEXT) | instid1(VALU_DEP_4)
	v_cndmask_b32_e32 v3, v3, v8, vcc_lo
	v_cndmask_b32_e32 v0, v0, v4, vcc_lo
	v_xor_b32_e32 v4, s2, v7
	s_delay_alu instid0(VALU_DEP_3) | instskip(NEXT) | instid1(VALU_DEP_3)
	v_cmp_le_u32_e32 vcc_lo, s3, v3
	v_add_nc_u32_e32 v7, 1, v0
	s_delay_alu instid0(VALU_DEP_3) | instskip(NEXT) | instid1(VALU_DEP_2)
	v_ashrrev_i32_e32 v4, 31, v4
	v_cndmask_b32_e32 v0, v0, v7, vcc_lo
	s_delay_alu instid0(VALU_DEP_1) | instskip(NEXT) | instid1(VALU_DEP_1)
	v_xor_b32_e32 v0, v0, v4
	v_sub_nc_u32_e32 v0, v0, v4
	s_delay_alu instid0(VALU_DEP_1) | instskip(NEXT) | instid1(VALU_DEP_1)
	v_mad_u64_u32 v[3:4], null, v0, s73, v[2:3]
	v_ashrrev_i32_e32 v4, 31, v3
.LBB719_2:
	s_load_b128 s[4:7], s[0:1], 0x0
	v_sub_nc_u32_e32 v7, s72, v1
	v_lshlrev_b64 v[0:1], 2, v[5:6]
                                        ; implicit-def: $vgpr80 : SGPR spill to VGPR lane
	v_cmp_gt_i32_e32 vcc_lo, s74, v2
	v_dual_mov_b32 v70, 0xff800000 :: v_dual_mov_b32 v71, 0xff800000
	s_delay_alu instid0(VALU_DEP_4) | instskip(NEXT) | instid1(VALU_DEP_1)
	v_cmp_lt_i32_e64 s66, 0, v7
	s_and_b32 s28, s66, vcc_lo
	s_waitcnt lgkmcnt(0)
	v_add_co_u32 v5, s2, s6, v0
	v_writelane_b32 v80, s4, 0
	v_add_co_ci_u32_e64 v6, s2, s7, v1, s2
	v_writelane_b32 v80, s5, 1
	v_writelane_b32 v80, s6, 2
	;; [unrolled: 1-line block ×3, first 2 shown]
	s_and_saveexec_b32 s2, s28
	s_cbranch_execz .LBB719_4
; %bb.3:
	global_load_b32 v71, v[5:6], off
.LBB719_4:
	s_or_b32 exec_lo, exec_lo, s2
	v_add_nc_u32_e32 v8, 32, v2
	s_delay_alu instid0(VALU_DEP_1) | instskip(NEXT) | instid1(VALU_DEP_1)
	v_cmp_gt_i32_e64 s65, s74, v8
	s_and_b32 s27, s66, s65
	s_delay_alu instid0(SALU_CYCLE_1)
	s_and_saveexec_b32 s2, s27
	s_cbranch_execz .LBB719_6
; %bb.5:
	global_load_b32 v70, v[5:6], off offset:128
.LBB719_6:
	s_or_b32 exec_lo, exec_lo, s2
	v_dual_mov_b32 v69, 0xff800000 :: v_dual_add_nc_u32 v8, 64, v2
	v_mov_b32_e32 v68, 0xff800000
	s_delay_alu instid0(VALU_DEP_2) | instskip(NEXT) | instid1(VALU_DEP_1)
	v_cmp_gt_i32_e64 s64, s74, v8
	s_and_b32 s26, s66, s64
	s_delay_alu instid0(SALU_CYCLE_1)
	s_and_saveexec_b32 s2, s26
	s_cbranch_execz .LBB719_8
; %bb.7:
	global_load_b32 v69, v[5:6], off offset:256
.LBB719_8:
	s_or_b32 exec_lo, exec_lo, s2
	v_add_nc_u32_e32 v8, 0x60, v2
	s_delay_alu instid0(VALU_DEP_1) | instskip(NEXT) | instid1(VALU_DEP_1)
	v_cmp_gt_i32_e64 s63, s74, v8
	s_and_b32 s25, s66, s63
	s_delay_alu instid0(SALU_CYCLE_1)
	s_and_saveexec_b32 s2, s25
	s_cbranch_execz .LBB719_10
; %bb.9:
	global_load_b32 v68, v[5:6], off offset:384
.LBB719_10:
	s_or_b32 exec_lo, exec_lo, s2
	v_add_nc_u32_e32 v8, 0x80, v2
	v_dual_mov_b32 v66, 0xff800000 :: v_dual_mov_b32 v67, 0xff800000
	s_delay_alu instid0(VALU_DEP_2) | instskip(NEXT) | instid1(VALU_DEP_1)
	v_cmp_gt_i32_e64 s62, s74, v8
	s_and_b32 s24, s66, s62
	s_delay_alu instid0(SALU_CYCLE_1)
	s_and_saveexec_b32 s2, s24
	s_cbranch_execz .LBB719_12
; %bb.11:
	global_load_b32 v67, v[5:6], off offset:512
.LBB719_12:
	s_or_b32 exec_lo, exec_lo, s2
	v_add_nc_u32_e32 v8, 0xa0, v2
	s_delay_alu instid0(VALU_DEP_1) | instskip(NEXT) | instid1(VALU_DEP_1)
	v_cmp_gt_i32_e64 s61, s74, v8
	s_and_b32 s23, s66, s61
	s_delay_alu instid0(SALU_CYCLE_1)
	s_and_saveexec_b32 s2, s23
	s_cbranch_execz .LBB719_14
; %bb.13:
	global_load_b32 v66, v[5:6], off offset:640
.LBB719_14:
	s_or_b32 exec_lo, exec_lo, s2
	v_add_nc_u32_e32 v8, 0xc0, v2
	v_dual_mov_b32 v64, 0xff800000 :: v_dual_mov_b32 v65, 0xff800000
	;; [unrolled: 23-line block ×13, first 2 shown]
	s_delay_alu instid0(VALU_DEP_2) | instskip(NEXT) | instid1(VALU_DEP_1)
	v_cmp_gt_i32_e64 s38, s74, v8
	s_and_b32 vcc_hi, s66, s38
	s_delay_alu instid0(SALU_CYCLE_1)
	s_and_saveexec_b32 s2, vcc_hi
	s_cbranch_execz .LBB719_60
; %bb.59:
	global_load_b32 v43, v[5:6], off offset:3584
.LBB719_60:
	s_or_b32 exec_lo, exec_lo, s2
	v_add_nc_u32_e32 v8, 0x3a0, v2
	s_delay_alu instid0(VALU_DEP_1) | instskip(NEXT) | instid1(VALU_DEP_1)
	v_cmp_gt_i32_e64 s37, s74, v8
	s_and_b32 s104, s66, s37
	s_delay_alu instid0(SALU_CYCLE_1)
	s_and_saveexec_b32 s2, s104
	s_cbranch_execz .LBB719_62
; %bb.61:
	global_load_b32 v42, v[5:6], off offset:3712
.LBB719_62:
	s_or_b32 exec_lo, exec_lo, s2
	v_add_nc_u32_e32 v8, 0x3c0, v2
	v_dual_mov_b32 v40, 0xff800000 :: v_dual_mov_b32 v41, 0xff800000
	s_delay_alu instid0(VALU_DEP_2) | instskip(NEXT) | instid1(VALU_DEP_1)
	v_cmp_gt_i32_e64 s36, s74, v8
	s_and_b32 s103, s66, s36
	s_delay_alu instid0(SALU_CYCLE_1)
	s_and_saveexec_b32 s2, s103
	s_cbranch_execz .LBB719_64
; %bb.63:
	global_load_b32 v41, v[5:6], off offset:3840
.LBB719_64:
	s_or_b32 exec_lo, exec_lo, s2
	v_add_nc_u32_e32 v8, 0x3e0, v2
	s_delay_alu instid0(VALU_DEP_1) | instskip(NEXT) | instid1(VALU_DEP_1)
	v_cmp_gt_i32_e64 s35, s74, v8
	s_and_b32 s102, s66, s35
	s_delay_alu instid0(SALU_CYCLE_1)
	s_and_saveexec_b32 s2, s102
	s_cbranch_execz .LBB719_66
; %bb.65:
	global_load_b32 v40, v[5:6], off offset:3968
.LBB719_66:
	s_or_b32 exec_lo, exec_lo, s2
	v_or_b32_e32 v8, 0x400, v2
	v_dual_mov_b32 v38, 0xff800000 :: v_dual_mov_b32 v39, 0xff800000
	s_delay_alu instid0(VALU_DEP_2) | instskip(NEXT) | instid1(VALU_DEP_1)
	v_cmp_gt_i32_e64 s34, s74, v8
	s_and_b32 s101, s66, s34
	s_delay_alu instid0(SALU_CYCLE_1)
	s_and_saveexec_b32 s29, s101
	s_cbranch_execz .LBB719_68
; %bb.67:
	v_add_co_u32 v8, s2, 0x1000, v5
	s_delay_alu instid0(VALU_DEP_1)
	v_add_co_ci_u32_e64 v9, s2, 0, v6, s2
	global_load_b32 v39, v[8:9], off
.LBB719_68:
	s_or_b32 exec_lo, exec_lo, s29
	v_add_nc_u32_e32 v8, 0x420, v2
	s_delay_alu instid0(VALU_DEP_1) | instskip(NEXT) | instid1(VALU_DEP_1)
	v_cmp_gt_i32_e64 s33, s74, v8
	s_and_b32 s100, s66, s33
	s_delay_alu instid0(SALU_CYCLE_1)
	s_and_saveexec_b32 s29, s100
	s_cbranch_execz .LBB719_70
; %bb.69:
	v_add_co_u32 v8, s2, 0x1000, v5
	s_delay_alu instid0(VALU_DEP_1)
	v_add_co_ci_u32_e64 v9, s2, 0, v6, s2
	global_load_b32 v38, v[8:9], off offset:128
.LBB719_70:
	s_or_b32 exec_lo, exec_lo, s29
	v_add_nc_u32_e32 v8, 0x440, v2
	v_dual_mov_b32 v36, 0xff800000 :: v_dual_mov_b32 v37, 0xff800000
	s_delay_alu instid0(VALU_DEP_2) | instskip(NEXT) | instid1(VALU_DEP_1)
	v_cmp_gt_i32_e64 s31, s74, v8
	s_and_b32 s99, s66, s31
	s_delay_alu instid0(SALU_CYCLE_1)
	s_and_saveexec_b32 s29, s99
	s_cbranch_execz .LBB719_72
; %bb.71:
	v_add_co_u32 v8, s2, 0x1000, v5
	s_delay_alu instid0(VALU_DEP_1)
	v_add_co_ci_u32_e64 v9, s2, 0, v6, s2
	global_load_b32 v37, v[8:9], off offset:256
.LBB719_72:
	s_or_b32 exec_lo, exec_lo, s29
	v_add_nc_u32_e32 v8, 0x460, v2
	s_delay_alu instid0(VALU_DEP_1) | instskip(NEXT) | instid1(VALU_DEP_1)
	v_cmp_gt_i32_e64 s30, s74, v8
	s_and_b32 s98, s66, s30
	s_delay_alu instid0(SALU_CYCLE_1)
	s_and_saveexec_b32 s29, s98
	s_cbranch_execz .LBB719_74
; %bb.73:
	v_add_co_u32 v8, s2, 0x1000, v5
	s_delay_alu instid0(VALU_DEP_1)
	v_add_co_ci_u32_e64 v9, s2, 0, v6, s2
	global_load_b32 v36, v[8:9], off offset:384
.LBB719_74:
	s_or_b32 exec_lo, exec_lo, s29
	v_add_nc_u32_e32 v8, 0x480, v2
	v_dual_mov_b32 v34, 0xff800000 :: v_dual_mov_b32 v35, 0xff800000
	s_delay_alu instid0(VALU_DEP_2) | instskip(NEXT) | instid1(VALU_DEP_1)
	v_cmp_gt_i32_e64 s29, s74, v8
	s_and_b32 s97, s66, s29
	s_delay_alu instid0(SALU_CYCLE_1)
	s_and_saveexec_b32 s67, s97
	s_cbranch_execz .LBB719_76
; %bb.75:
	v_add_co_u32 v8, s2, 0x1000, v5
	s_delay_alu instid0(VALU_DEP_1)
	v_add_co_ci_u32_e64 v9, s2, 0, v6, s2
	global_load_b32 v35, v[8:9], off offset:512
.LBB719_76:
	s_or_b32 exec_lo, exec_lo, s67
	v_add_nc_u32_e32 v8, 0x4a0, v2
	s_delay_alu instid0(VALU_DEP_1) | instskip(NEXT) | instid1(VALU_DEP_1)
	v_cmp_gt_i32_e64 s2, s74, v8
	s_and_b32 s96, s66, s2
	v_writelane_b32 v80, s2, 4
	s_and_saveexec_b32 s67, s96
	s_cbranch_execz .LBB719_78
; %bb.77:
	v_add_co_u32 v8, s2, 0x1000, v5
	s_delay_alu instid0(VALU_DEP_1)
	v_add_co_ci_u32_e64 v9, s2, 0, v6, s2
	global_load_b32 v34, v[8:9], off offset:640
.LBB719_78:
	s_or_b32 exec_lo, exec_lo, s67
	v_add_nc_u32_e32 v8, 0x4c0, v2
	v_dual_mov_b32 v32, 0xff800000 :: v_dual_mov_b32 v33, 0xff800000
	s_delay_alu instid0(VALU_DEP_2) | instskip(NEXT) | instid1(VALU_DEP_1)
	v_cmp_gt_i32_e64 s2, s74, v8
	s_and_b32 s95, s66, s2
	v_writelane_b32 v80, s2, 5
	s_and_saveexec_b32 s67, s95
	s_cbranch_execz .LBB719_80
; %bb.79:
	v_add_co_u32 v8, s2, 0x1000, v5
	s_delay_alu instid0(VALU_DEP_1)
	v_add_co_ci_u32_e64 v9, s2, 0, v6, s2
	global_load_b32 v33, v[8:9], off offset:768
.LBB719_80:
	s_or_b32 exec_lo, exec_lo, s67
	v_add_nc_u32_e32 v8, 0x4e0, v2
	s_delay_alu instid0(VALU_DEP_1) | instskip(NEXT) | instid1(VALU_DEP_1)
	v_cmp_gt_i32_e64 s2, s74, v8
	s_and_b32 s94, s66, s2
	v_writelane_b32 v80, s2, 6
	s_and_saveexec_b32 s67, s94
	s_cbranch_execz .LBB719_82
; %bb.81:
	v_add_co_u32 v8, s2, 0x1000, v5
	s_delay_alu instid0(VALU_DEP_1)
	v_add_co_ci_u32_e64 v9, s2, 0, v6, s2
	global_load_b32 v32, v[8:9], off offset:896
.LBB719_82:
	s_or_b32 exec_lo, exec_lo, s67
	v_add_nc_u32_e32 v8, 0x500, v2
	v_dual_mov_b32 v30, 0xff800000 :: v_dual_mov_b32 v31, 0xff800000
	s_delay_alu instid0(VALU_DEP_2) | instskip(NEXT) | instid1(VALU_DEP_1)
	v_cmp_gt_i32_e64 s2, s74, v8
	s_and_b32 s93, s66, s2
	v_writelane_b32 v80, s2, 7
	;; [unrolled: 29-line block ×12, first 2 shown]
	s_and_saveexec_b32 s67, s72
	s_cbranch_execz .LBB719_124
; %bb.123:
	v_add_co_u32 v8, s2, 0x1000, v5
	s_delay_alu instid0(VALU_DEP_1)
	v_add_co_ci_u32_e64 v9, s2, 0, v6, s2
	global_load_b32 v11, v[8:9], off offset:3584
.LBB719_124:
	s_or_b32 exec_lo, exec_lo, s67
	v_add_nc_u32_e32 v8, 0x7a0, v2
	s_delay_alu instid0(VALU_DEP_1) | instskip(NEXT) | instid1(VALU_DEP_1)
	v_cmp_gt_i32_e64 s2, s74, v8
	s_and_b32 s71, s66, s2
	v_writelane_b32 v80, s2, 28
	s_and_saveexec_b32 s67, s71
	s_cbranch_execz .LBB719_126
; %bb.125:
	v_add_co_u32 v8, s2, 0x1000, v5
	s_delay_alu instid0(VALU_DEP_1)
	v_add_co_ci_u32_e64 v9, s2, 0, v6, s2
	global_load_b32 v10, v[8:9], off offset:3712
.LBB719_126:
	s_or_b32 exec_lo, exec_lo, s67
	v_add_nc_u32_e32 v8, 0x7c0, v2
	v_mov_b32_e32 v9, 0xff800000
	s_delay_alu instid0(VALU_DEP_2) | instskip(SKIP_1) | instid1(VALU_DEP_2)
	v_cmp_gt_i32_e64 s2, s74, v8
	v_mov_b32_e32 v8, 0xff800000
	s_and_b32 s70, s66, s2
	v_writelane_b32 v80, s2, 29
	s_and_saveexec_b32 s67, s70
	s_cbranch_execz .LBB719_128
; %bb.127:
	v_add_co_u32 v72, s2, 0x1000, v5
	s_delay_alu instid0(VALU_DEP_1)
	v_add_co_ci_u32_e64 v73, s2, 0, v6, s2
	global_load_b32 v9, v[72:73], off offset:3840
.LBB719_128:
	s_or_b32 exec_lo, exec_lo, s67
	v_add_nc_u32_e32 v2, 0x7e0, v2
	s_delay_alu instid0(VALU_DEP_1) | instskip(NEXT) | instid1(VALU_DEP_1)
	v_cmp_gt_i32_e64 s2, s74, v2
	s_and_b32 s67, s66, s2
	v_writelane_b32 v80, s2, 30
	s_and_saveexec_b32 s74, s67
	s_cbranch_execz .LBB719_130
; %bb.129:
	v_add_co_u32 v5, s66, 0x1000, v5
	s_delay_alu instid0(VALU_DEP_1)
	v_add_co_ci_u32_e64 v6, s66, 0, v6, s66
	global_load_b32 v8, v[5:6], off offset:3968
.LBB719_130:
	s_or_b32 exec_lo, exec_lo, s74
	s_load_b64 s[0:1], s[0:1], 0x20
	s_waitcnt lgkmcnt(0)
	v_add_co_u32 v2, s0, s0, v3
	s_delay_alu instid0(VALU_DEP_1)
	v_add_co_ci_u32_e64 v3, s0, s1, v4, s0
	s_mov_b32 s1, 0
	s_and_saveexec_b32 s66, s28
	s_cbranch_execnz .LBB719_194
; %bb.131:
	s_or_b32 exec_lo, exec_lo, s66
	s_waitcnt vmcnt(0)
	v_mov_b32_e32 v4, v71
	s_and_saveexec_b32 s66, s27
	s_cbranch_execnz .LBB719_195
.LBB719_132:
	s_or_b32 exec_lo, exec_lo, s66
	s_and_saveexec_b32 s66, s26
	s_cbranch_execnz .LBB719_198
.LBB719_133:
	s_or_b32 exec_lo, exec_lo, s66
	s_and_saveexec_b32 s66, s25
	s_cbranch_execnz .LBB719_201
.LBB719_134:
	s_or_b32 exec_lo, exec_lo, s66
	s_and_saveexec_b32 s66, s24
	s_cbranch_execnz .LBB719_204
.LBB719_135:
	s_or_b32 exec_lo, exec_lo, s66
	s_and_saveexec_b32 s66, s23
	s_cbranch_execnz .LBB719_207
.LBB719_136:
	s_or_b32 exec_lo, exec_lo, s66
	s_and_saveexec_b32 s66, s22
	s_cbranch_execnz .LBB719_210
.LBB719_137:
	s_or_b32 exec_lo, exec_lo, s66
	s_and_saveexec_b32 s66, s21
	s_cbranch_execnz .LBB719_213
.LBB719_138:
	s_or_b32 exec_lo, exec_lo, s66
	s_and_saveexec_b32 s66, s20
	s_cbranch_execnz .LBB719_216
.LBB719_139:
	s_or_b32 exec_lo, exec_lo, s66
	s_and_saveexec_b32 s66, s19
	s_cbranch_execnz .LBB719_219
.LBB719_140:
	s_or_b32 exec_lo, exec_lo, s66
	s_and_saveexec_b32 s66, s18
	s_cbranch_execnz .LBB719_222
.LBB719_141:
	s_or_b32 exec_lo, exec_lo, s66
	s_and_saveexec_b32 s66, s17
	s_cbranch_execnz .LBB719_225
.LBB719_142:
	s_or_b32 exec_lo, exec_lo, s66
	s_and_saveexec_b32 s66, s16
	s_cbranch_execnz .LBB719_228
.LBB719_143:
	s_or_b32 exec_lo, exec_lo, s66
	s_and_saveexec_b32 s66, s15
	s_cbranch_execnz .LBB719_231
.LBB719_144:
	s_or_b32 exec_lo, exec_lo, s66
	s_and_saveexec_b32 s66, s14
	s_cbranch_execnz .LBB719_234
.LBB719_145:
	s_or_b32 exec_lo, exec_lo, s66
	s_and_saveexec_b32 s66, s13
	s_cbranch_execnz .LBB719_237
.LBB719_146:
	s_or_b32 exec_lo, exec_lo, s66
	s_and_saveexec_b32 s66, s12
	s_cbranch_execnz .LBB719_240
.LBB719_147:
	s_or_b32 exec_lo, exec_lo, s66
	s_and_saveexec_b32 s66, s11
	s_cbranch_execnz .LBB719_243
.LBB719_148:
	s_or_b32 exec_lo, exec_lo, s66
	s_and_saveexec_b32 s66, s10
	s_cbranch_execnz .LBB719_246
.LBB719_149:
	s_or_b32 exec_lo, exec_lo, s66
	s_and_saveexec_b32 s66, s9
	s_cbranch_execnz .LBB719_249
.LBB719_150:
	s_or_b32 exec_lo, exec_lo, s66
	s_and_saveexec_b32 s66, s8
	s_cbranch_execnz .LBB719_252
.LBB719_151:
	s_or_b32 exec_lo, exec_lo, s66
	s_and_saveexec_b32 s66, s7
	s_cbranch_execnz .LBB719_255
.LBB719_152:
	s_or_b32 exec_lo, exec_lo, s66
	s_and_saveexec_b32 s66, s6
	s_cbranch_execnz .LBB719_258
.LBB719_153:
	s_or_b32 exec_lo, exec_lo, s66
	s_and_saveexec_b32 s66, s5
	s_cbranch_execnz .LBB719_261
.LBB719_154:
	s_or_b32 exec_lo, exec_lo, s66
	s_and_saveexec_b32 s66, s4
	s_cbranch_execnz .LBB719_264
.LBB719_155:
	s_or_b32 exec_lo, exec_lo, s66
	s_and_saveexec_b32 s66, s3
	s_cbranch_execnz .LBB719_267
.LBB719_156:
	s_or_b32 exec_lo, exec_lo, s66
	s_and_saveexec_b32 s66, s69
	s_cbranch_execnz .LBB719_270
.LBB719_157:
	s_or_b32 exec_lo, exec_lo, s66
	s_and_saveexec_b32 s66, s68
	s_cbranch_execnz .LBB719_273
.LBB719_158:
	s_or_b32 exec_lo, exec_lo, s66
	s_and_saveexec_b32 s66, vcc_hi
	s_cbranch_execnz .LBB719_276
.LBB719_159:
	s_or_b32 exec_lo, exec_lo, s66
	s_and_saveexec_b32 s66, s104
	s_cbranch_execnz .LBB719_279
.LBB719_160:
	s_or_b32 exec_lo, exec_lo, s66
	s_and_saveexec_b32 s66, s103
	s_cbranch_execnz .LBB719_282
.LBB719_161:
	s_or_b32 exec_lo, exec_lo, s66
	s_and_saveexec_b32 s66, s102
	s_cbranch_execnz .LBB719_285
.LBB719_162:
	s_or_b32 exec_lo, exec_lo, s66
	s_and_saveexec_b32 s66, s101
	s_cbranch_execnz .LBB719_288
.LBB719_163:
	s_or_b32 exec_lo, exec_lo, s66
	s_and_saveexec_b32 s66, s100
	s_cbranch_execnz .LBB719_291
.LBB719_164:
	s_or_b32 exec_lo, exec_lo, s66
	s_and_saveexec_b32 s66, s99
	s_cbranch_execnz .LBB719_294
.LBB719_165:
	s_or_b32 exec_lo, exec_lo, s66
	s_and_saveexec_b32 s66, s98
	s_cbranch_execnz .LBB719_297
.LBB719_166:
	s_or_b32 exec_lo, exec_lo, s66
	s_and_saveexec_b32 s66, s97
	s_cbranch_execnz .LBB719_300
.LBB719_167:
	s_or_b32 exec_lo, exec_lo, s66
	s_and_saveexec_b32 s66, s96
	s_cbranch_execnz .LBB719_303
.LBB719_168:
	s_or_b32 exec_lo, exec_lo, s66
	s_and_saveexec_b32 s66, s95
	s_cbranch_execnz .LBB719_306
.LBB719_169:
	s_or_b32 exec_lo, exec_lo, s66
	s_and_saveexec_b32 s66, s94
	s_cbranch_execnz .LBB719_309
.LBB719_170:
	s_or_b32 exec_lo, exec_lo, s66
	s_and_saveexec_b32 s66, s93
	s_cbranch_execnz .LBB719_312
.LBB719_171:
	s_or_b32 exec_lo, exec_lo, s66
	s_and_saveexec_b32 s66, s92
	s_cbranch_execnz .LBB719_315
.LBB719_172:
	s_or_b32 exec_lo, exec_lo, s66
	s_and_saveexec_b32 s66, s91
	s_cbranch_execnz .LBB719_318
.LBB719_173:
	s_or_b32 exec_lo, exec_lo, s66
	s_and_saveexec_b32 s66, s90
	s_cbranch_execnz .LBB719_321
.LBB719_174:
	s_or_b32 exec_lo, exec_lo, s66
	s_and_saveexec_b32 s66, s89
	s_cbranch_execnz .LBB719_324
.LBB719_175:
	s_or_b32 exec_lo, exec_lo, s66
	s_and_saveexec_b32 s66, s88
	s_cbranch_execnz .LBB719_327
.LBB719_176:
	s_or_b32 exec_lo, exec_lo, s66
	s_and_saveexec_b32 s66, s87
	s_cbranch_execnz .LBB719_330
.LBB719_177:
	s_or_b32 exec_lo, exec_lo, s66
	s_and_saveexec_b32 s66, s86
	s_cbranch_execnz .LBB719_333
.LBB719_178:
	s_or_b32 exec_lo, exec_lo, s66
	s_and_saveexec_b32 s66, s85
	s_cbranch_execnz .LBB719_336
.LBB719_179:
	s_or_b32 exec_lo, exec_lo, s66
	s_and_saveexec_b32 s66, s84
	s_cbranch_execnz .LBB719_339
.LBB719_180:
	s_or_b32 exec_lo, exec_lo, s66
	s_and_saveexec_b32 s66, s83
	s_cbranch_execnz .LBB719_342
.LBB719_181:
	s_or_b32 exec_lo, exec_lo, s66
	s_and_saveexec_b32 s66, s82
	s_cbranch_execnz .LBB719_345
.LBB719_182:
	s_or_b32 exec_lo, exec_lo, s66
	s_and_saveexec_b32 s66, s81
	s_cbranch_execnz .LBB719_348
.LBB719_183:
	s_or_b32 exec_lo, exec_lo, s66
	s_and_saveexec_b32 s66, s80
	s_cbranch_execnz .LBB719_351
.LBB719_184:
	s_or_b32 exec_lo, exec_lo, s66
	s_and_saveexec_b32 s66, s79
	s_cbranch_execnz .LBB719_354
.LBB719_185:
	s_or_b32 exec_lo, exec_lo, s66
	s_and_saveexec_b32 s66, s78
	s_cbranch_execnz .LBB719_357
.LBB719_186:
	s_or_b32 exec_lo, exec_lo, s66
	s_and_saveexec_b32 s66, s77
	s_cbranch_execnz .LBB719_360
.LBB719_187:
	s_or_b32 exec_lo, exec_lo, s66
	s_and_saveexec_b32 s66, s76
	s_cbranch_execnz .LBB719_363
.LBB719_188:
	s_or_b32 exec_lo, exec_lo, s66
	s_and_saveexec_b32 s66, s75
	s_cbranch_execnz .LBB719_366
.LBB719_189:
	s_or_b32 exec_lo, exec_lo, s66
	s_and_saveexec_b32 s66, s73
	s_cbranch_execnz .LBB719_369
.LBB719_190:
	s_or_b32 exec_lo, exec_lo, s66
	s_and_saveexec_b32 s66, s72
	s_cbranch_execnz .LBB719_372
.LBB719_191:
	s_or_b32 exec_lo, exec_lo, s66
	s_and_saveexec_b32 s66, s71
	s_cbranch_execnz .LBB719_375
.LBB719_192:
	s_or_b32 exec_lo, exec_lo, s66
	s_and_saveexec_b32 s66, s70
	s_cbranch_execnz .LBB719_378
.LBB719_193:
	s_or_b32 exec_lo, exec_lo, s66
	s_and_saveexec_b32 s66, s67
	s_cbranch_execnz .LBB719_381
	s_branch .LBB719_384
.LBB719_194:
	global_load_u8 v4, v[2:3], off
	s_waitcnt vmcnt(0)
	v_and_b32_e32 v4, 1, v4
	s_delay_alu instid0(VALU_DEP_1) | instskip(NEXT) | instid1(VALU_DEP_1)
	v_cmp_eq_u32_e64 s0, 1, v4
	s_xor_b32 s0, s0, -1
	s_delay_alu instid0(SALU_CYCLE_1)
	s_and_b32 s1, s0, exec_lo
	s_or_b32 exec_lo, exec_lo, s66
	v_mov_b32_e32 v4, v71
	s_and_saveexec_b32 s66, s27
	s_cbranch_execz .LBB719_132
.LBB719_195:
	global_load_u8 v4, v[2:3], off offset:32
	s_waitcnt vmcnt(0)
	v_and_b32_e32 v4, 1, v4
	s_delay_alu instid0(VALU_DEP_1) | instskip(SKIP_1) | instid1(VALU_DEP_2)
	v_cmp_eq_u32_e64 s0, 1, v4
	v_mov_b32_e32 v4, v71
	s_xor_b32 s2, s0, -1
	s_mov_b32 s0, s1
	s_and_saveexec_b32 s74, s2
; %bb.196:
	v_cmp_gt_f32_e64 s0, v71, v70
	s_delay_alu instid0(VALU_DEP_1) | instskip(NEXT) | instid1(SALU_CYCLE_1)
	s_and_b32 s0, s1, s0
	v_cndmask_b32_e64 v4, v70, v71, s0
	s_or_b32 s0, s1, exec_lo
; %bb.197:
	s_or_b32 exec_lo, exec_lo, s74
	s_delay_alu instid0(SALU_CYCLE_1) | instskip(SKIP_1) | instid1(SALU_CYCLE_1)
	s_and_not1_b32 s1, s1, exec_lo
	s_and_b32 s0, s0, exec_lo
	s_or_b32 s1, s1, s0
	s_or_b32 exec_lo, exec_lo, s66
	s_and_saveexec_b32 s66, s26
	s_cbranch_execz .LBB719_133
.LBB719_198:
	global_load_u8 v5, v[2:3], off offset:64
	s_waitcnt vmcnt(0)
	v_and_b32_e32 v5, 1, v5
	s_delay_alu instid0(VALU_DEP_1) | instskip(NEXT) | instid1(VALU_DEP_1)
	v_cmp_eq_u32_e64 s0, 1, v5
	s_xor_b32 s2, s0, -1
	s_mov_b32 s0, s1
	s_and_saveexec_b32 s74, s2
; %bb.199:
	v_cmp_gt_f32_e64 s0, v4, v69
	s_delay_alu instid0(VALU_DEP_1) | instskip(NEXT) | instid1(SALU_CYCLE_1)
	s_and_b32 s0, s1, s0
	v_cndmask_b32_e64 v4, v69, v4, s0
	s_or_b32 s0, s1, exec_lo
; %bb.200:
	s_or_b32 exec_lo, exec_lo, s74
	s_delay_alu instid0(SALU_CYCLE_1) | instskip(SKIP_1) | instid1(SALU_CYCLE_1)
	s_and_not1_b32 s1, s1, exec_lo
	s_and_b32 s0, s0, exec_lo
	s_or_b32 s1, s1, s0
	s_or_b32 exec_lo, exec_lo, s66
	s_and_saveexec_b32 s66, s25
	s_cbranch_execz .LBB719_134
.LBB719_201:
	global_load_u8 v5, v[2:3], off offset:96
	s_waitcnt vmcnt(0)
	v_and_b32_e32 v5, 1, v5
	s_delay_alu instid0(VALU_DEP_1) | instskip(NEXT) | instid1(VALU_DEP_1)
	v_cmp_eq_u32_e64 s0, 1, v5
	s_xor_b32 s2, s0, -1
	s_mov_b32 s0, s1
	s_and_saveexec_b32 s74, s2
; %bb.202:
	v_cmp_gt_f32_e64 s0, v4, v68
	s_delay_alu instid0(VALU_DEP_1) | instskip(NEXT) | instid1(SALU_CYCLE_1)
	s_and_b32 s0, s1, s0
	v_cndmask_b32_e64 v4, v68, v4, s0
	s_or_b32 s0, s1, exec_lo
; %bb.203:
	s_or_b32 exec_lo, exec_lo, s74
	s_delay_alu instid0(SALU_CYCLE_1) | instskip(SKIP_1) | instid1(SALU_CYCLE_1)
	s_and_not1_b32 s1, s1, exec_lo
	s_and_b32 s0, s0, exec_lo
	s_or_b32 s1, s1, s0
	s_or_b32 exec_lo, exec_lo, s66
	s_and_saveexec_b32 s66, s24
	s_cbranch_execz .LBB719_135
.LBB719_204:
	global_load_u8 v5, v[2:3], off offset:128
	s_waitcnt vmcnt(0)
	v_and_b32_e32 v5, 1, v5
	s_delay_alu instid0(VALU_DEP_1) | instskip(NEXT) | instid1(VALU_DEP_1)
	v_cmp_eq_u32_e64 s0, 1, v5
	s_xor_b32 s2, s0, -1
	s_mov_b32 s0, s1
	s_and_saveexec_b32 s74, s2
; %bb.205:
	v_cmp_gt_f32_e64 s0, v4, v67
	s_delay_alu instid0(VALU_DEP_1) | instskip(NEXT) | instid1(SALU_CYCLE_1)
	s_and_b32 s0, s1, s0
	v_cndmask_b32_e64 v4, v67, v4, s0
	s_or_b32 s0, s1, exec_lo
; %bb.206:
	s_or_b32 exec_lo, exec_lo, s74
	s_delay_alu instid0(SALU_CYCLE_1) | instskip(SKIP_1) | instid1(SALU_CYCLE_1)
	s_and_not1_b32 s1, s1, exec_lo
	s_and_b32 s0, s0, exec_lo
	s_or_b32 s1, s1, s0
	s_or_b32 exec_lo, exec_lo, s66
	s_and_saveexec_b32 s66, s23
	s_cbranch_execz .LBB719_136
.LBB719_207:
	global_load_u8 v5, v[2:3], off offset:160
	s_waitcnt vmcnt(0)
	v_and_b32_e32 v5, 1, v5
	s_delay_alu instid0(VALU_DEP_1) | instskip(NEXT) | instid1(VALU_DEP_1)
	v_cmp_eq_u32_e64 s0, 1, v5
	s_xor_b32 s2, s0, -1
	s_mov_b32 s0, s1
	s_and_saveexec_b32 s74, s2
; %bb.208:
	v_cmp_gt_f32_e64 s0, v4, v66
	s_delay_alu instid0(VALU_DEP_1) | instskip(NEXT) | instid1(SALU_CYCLE_1)
	s_and_b32 s0, s1, s0
	v_cndmask_b32_e64 v4, v66, v4, s0
	s_or_b32 s0, s1, exec_lo
; %bb.209:
	s_or_b32 exec_lo, exec_lo, s74
	s_delay_alu instid0(SALU_CYCLE_1) | instskip(SKIP_1) | instid1(SALU_CYCLE_1)
	s_and_not1_b32 s1, s1, exec_lo
	s_and_b32 s0, s0, exec_lo
	s_or_b32 s1, s1, s0
	s_or_b32 exec_lo, exec_lo, s66
	s_and_saveexec_b32 s66, s22
	s_cbranch_execz .LBB719_137
.LBB719_210:
	global_load_u8 v5, v[2:3], off offset:192
	s_waitcnt vmcnt(0)
	v_and_b32_e32 v5, 1, v5
	s_delay_alu instid0(VALU_DEP_1) | instskip(NEXT) | instid1(VALU_DEP_1)
	v_cmp_eq_u32_e64 s0, 1, v5
	s_xor_b32 s2, s0, -1
	s_mov_b32 s0, s1
	s_and_saveexec_b32 s74, s2
; %bb.211:
	v_cmp_gt_f32_e64 s0, v4, v65
	s_delay_alu instid0(VALU_DEP_1) | instskip(NEXT) | instid1(SALU_CYCLE_1)
	s_and_b32 s0, s1, s0
	v_cndmask_b32_e64 v4, v65, v4, s0
	s_or_b32 s0, s1, exec_lo
; %bb.212:
	s_or_b32 exec_lo, exec_lo, s74
	s_delay_alu instid0(SALU_CYCLE_1) | instskip(SKIP_1) | instid1(SALU_CYCLE_1)
	s_and_not1_b32 s1, s1, exec_lo
	s_and_b32 s0, s0, exec_lo
	s_or_b32 s1, s1, s0
	s_or_b32 exec_lo, exec_lo, s66
	s_and_saveexec_b32 s66, s21
	s_cbranch_execz .LBB719_138
.LBB719_213:
	global_load_u8 v5, v[2:3], off offset:224
	s_waitcnt vmcnt(0)
	v_and_b32_e32 v5, 1, v5
	s_delay_alu instid0(VALU_DEP_1) | instskip(NEXT) | instid1(VALU_DEP_1)
	v_cmp_eq_u32_e64 s0, 1, v5
	s_xor_b32 s2, s0, -1
	s_mov_b32 s0, s1
	s_and_saveexec_b32 s74, s2
; %bb.214:
	v_cmp_gt_f32_e64 s0, v4, v64
	s_delay_alu instid0(VALU_DEP_1) | instskip(NEXT) | instid1(SALU_CYCLE_1)
	s_and_b32 s0, s1, s0
	v_cndmask_b32_e64 v4, v64, v4, s0
	s_or_b32 s0, s1, exec_lo
; %bb.215:
	s_or_b32 exec_lo, exec_lo, s74
	s_delay_alu instid0(SALU_CYCLE_1) | instskip(SKIP_1) | instid1(SALU_CYCLE_1)
	s_and_not1_b32 s1, s1, exec_lo
	s_and_b32 s0, s0, exec_lo
	s_or_b32 s1, s1, s0
	s_or_b32 exec_lo, exec_lo, s66
	s_and_saveexec_b32 s66, s20
	s_cbranch_execz .LBB719_139
.LBB719_216:
	global_load_u8 v5, v[2:3], off offset:256
	s_waitcnt vmcnt(0)
	v_and_b32_e32 v5, 1, v5
	s_delay_alu instid0(VALU_DEP_1) | instskip(NEXT) | instid1(VALU_DEP_1)
	v_cmp_eq_u32_e64 s0, 1, v5
	s_xor_b32 s2, s0, -1
	s_mov_b32 s0, s1
	s_and_saveexec_b32 s74, s2
; %bb.217:
	v_cmp_gt_f32_e64 s0, v4, v63
	s_delay_alu instid0(VALU_DEP_1) | instskip(NEXT) | instid1(SALU_CYCLE_1)
	s_and_b32 s0, s1, s0
	v_cndmask_b32_e64 v4, v63, v4, s0
	s_or_b32 s0, s1, exec_lo
; %bb.218:
	s_or_b32 exec_lo, exec_lo, s74
	s_delay_alu instid0(SALU_CYCLE_1) | instskip(SKIP_1) | instid1(SALU_CYCLE_1)
	s_and_not1_b32 s1, s1, exec_lo
	s_and_b32 s0, s0, exec_lo
	s_or_b32 s1, s1, s0
	s_or_b32 exec_lo, exec_lo, s66
	s_and_saveexec_b32 s66, s19
	s_cbranch_execz .LBB719_140
.LBB719_219:
	global_load_u8 v5, v[2:3], off offset:288
	s_waitcnt vmcnt(0)
	v_and_b32_e32 v5, 1, v5
	s_delay_alu instid0(VALU_DEP_1) | instskip(NEXT) | instid1(VALU_DEP_1)
	v_cmp_eq_u32_e64 s0, 1, v5
	s_xor_b32 s2, s0, -1
	s_mov_b32 s0, s1
	s_and_saveexec_b32 s74, s2
; %bb.220:
	v_cmp_gt_f32_e64 s0, v4, v62
	s_delay_alu instid0(VALU_DEP_1) | instskip(NEXT) | instid1(SALU_CYCLE_1)
	s_and_b32 s0, s1, s0
	v_cndmask_b32_e64 v4, v62, v4, s0
	s_or_b32 s0, s1, exec_lo
; %bb.221:
	s_or_b32 exec_lo, exec_lo, s74
	s_delay_alu instid0(SALU_CYCLE_1) | instskip(SKIP_1) | instid1(SALU_CYCLE_1)
	s_and_not1_b32 s1, s1, exec_lo
	s_and_b32 s0, s0, exec_lo
	s_or_b32 s1, s1, s0
	s_or_b32 exec_lo, exec_lo, s66
	s_and_saveexec_b32 s66, s18
	s_cbranch_execz .LBB719_141
.LBB719_222:
	global_load_u8 v5, v[2:3], off offset:320
	s_waitcnt vmcnt(0)
	v_and_b32_e32 v5, 1, v5
	s_delay_alu instid0(VALU_DEP_1) | instskip(NEXT) | instid1(VALU_DEP_1)
	v_cmp_eq_u32_e64 s0, 1, v5
	s_xor_b32 s2, s0, -1
	s_mov_b32 s0, s1
	s_and_saveexec_b32 s74, s2
; %bb.223:
	v_cmp_gt_f32_e64 s0, v4, v61
	s_delay_alu instid0(VALU_DEP_1) | instskip(NEXT) | instid1(SALU_CYCLE_1)
	s_and_b32 s0, s1, s0
	v_cndmask_b32_e64 v4, v61, v4, s0
	s_or_b32 s0, s1, exec_lo
; %bb.224:
	s_or_b32 exec_lo, exec_lo, s74
	s_delay_alu instid0(SALU_CYCLE_1) | instskip(SKIP_1) | instid1(SALU_CYCLE_1)
	s_and_not1_b32 s1, s1, exec_lo
	s_and_b32 s0, s0, exec_lo
	s_or_b32 s1, s1, s0
	s_or_b32 exec_lo, exec_lo, s66
	s_and_saveexec_b32 s66, s17
	s_cbranch_execz .LBB719_142
.LBB719_225:
	global_load_u8 v5, v[2:3], off offset:352
	s_waitcnt vmcnt(0)
	v_and_b32_e32 v5, 1, v5
	s_delay_alu instid0(VALU_DEP_1) | instskip(NEXT) | instid1(VALU_DEP_1)
	v_cmp_eq_u32_e64 s0, 1, v5
	s_xor_b32 s2, s0, -1
	s_mov_b32 s0, s1
	s_and_saveexec_b32 s74, s2
; %bb.226:
	v_cmp_gt_f32_e64 s0, v4, v60
	s_delay_alu instid0(VALU_DEP_1) | instskip(NEXT) | instid1(SALU_CYCLE_1)
	s_and_b32 s0, s1, s0
	v_cndmask_b32_e64 v4, v60, v4, s0
	s_or_b32 s0, s1, exec_lo
; %bb.227:
	s_or_b32 exec_lo, exec_lo, s74
	s_delay_alu instid0(SALU_CYCLE_1) | instskip(SKIP_1) | instid1(SALU_CYCLE_1)
	s_and_not1_b32 s1, s1, exec_lo
	s_and_b32 s0, s0, exec_lo
	s_or_b32 s1, s1, s0
	s_or_b32 exec_lo, exec_lo, s66
	s_and_saveexec_b32 s66, s16
	s_cbranch_execz .LBB719_143
.LBB719_228:
	global_load_u8 v5, v[2:3], off offset:384
	s_waitcnt vmcnt(0)
	v_and_b32_e32 v5, 1, v5
	s_delay_alu instid0(VALU_DEP_1) | instskip(NEXT) | instid1(VALU_DEP_1)
	v_cmp_eq_u32_e64 s0, 1, v5
	s_xor_b32 s2, s0, -1
	s_mov_b32 s0, s1
	s_and_saveexec_b32 s74, s2
; %bb.229:
	v_cmp_gt_f32_e64 s0, v4, v59
	s_delay_alu instid0(VALU_DEP_1) | instskip(NEXT) | instid1(SALU_CYCLE_1)
	s_and_b32 s0, s1, s0
	v_cndmask_b32_e64 v4, v59, v4, s0
	s_or_b32 s0, s1, exec_lo
; %bb.230:
	s_or_b32 exec_lo, exec_lo, s74
	s_delay_alu instid0(SALU_CYCLE_1) | instskip(SKIP_1) | instid1(SALU_CYCLE_1)
	s_and_not1_b32 s1, s1, exec_lo
	s_and_b32 s0, s0, exec_lo
	s_or_b32 s1, s1, s0
	s_or_b32 exec_lo, exec_lo, s66
	s_and_saveexec_b32 s66, s15
	s_cbranch_execz .LBB719_144
.LBB719_231:
	global_load_u8 v5, v[2:3], off offset:416
	s_waitcnt vmcnt(0)
	v_and_b32_e32 v5, 1, v5
	s_delay_alu instid0(VALU_DEP_1) | instskip(NEXT) | instid1(VALU_DEP_1)
	v_cmp_eq_u32_e64 s0, 1, v5
	s_xor_b32 s2, s0, -1
	s_mov_b32 s0, s1
	s_and_saveexec_b32 s74, s2
; %bb.232:
	v_cmp_gt_f32_e64 s0, v4, v58
	s_delay_alu instid0(VALU_DEP_1) | instskip(NEXT) | instid1(SALU_CYCLE_1)
	s_and_b32 s0, s1, s0
	v_cndmask_b32_e64 v4, v58, v4, s0
	s_or_b32 s0, s1, exec_lo
; %bb.233:
	s_or_b32 exec_lo, exec_lo, s74
	s_delay_alu instid0(SALU_CYCLE_1) | instskip(SKIP_1) | instid1(SALU_CYCLE_1)
	s_and_not1_b32 s1, s1, exec_lo
	s_and_b32 s0, s0, exec_lo
	s_or_b32 s1, s1, s0
	s_or_b32 exec_lo, exec_lo, s66
	s_and_saveexec_b32 s66, s14
	s_cbranch_execz .LBB719_145
.LBB719_234:
	global_load_u8 v5, v[2:3], off offset:448
	s_waitcnt vmcnt(0)
	v_and_b32_e32 v5, 1, v5
	s_delay_alu instid0(VALU_DEP_1) | instskip(NEXT) | instid1(VALU_DEP_1)
	v_cmp_eq_u32_e64 s0, 1, v5
	s_xor_b32 s2, s0, -1
	s_mov_b32 s0, s1
	s_and_saveexec_b32 s74, s2
; %bb.235:
	v_cmp_gt_f32_e64 s0, v4, v57
	s_delay_alu instid0(VALU_DEP_1) | instskip(NEXT) | instid1(SALU_CYCLE_1)
	s_and_b32 s0, s1, s0
	v_cndmask_b32_e64 v4, v57, v4, s0
	s_or_b32 s0, s1, exec_lo
; %bb.236:
	s_or_b32 exec_lo, exec_lo, s74
	s_delay_alu instid0(SALU_CYCLE_1) | instskip(SKIP_1) | instid1(SALU_CYCLE_1)
	s_and_not1_b32 s1, s1, exec_lo
	s_and_b32 s0, s0, exec_lo
	s_or_b32 s1, s1, s0
	s_or_b32 exec_lo, exec_lo, s66
	s_and_saveexec_b32 s66, s13
	s_cbranch_execz .LBB719_146
.LBB719_237:
	global_load_u8 v5, v[2:3], off offset:480
	s_waitcnt vmcnt(0)
	v_and_b32_e32 v5, 1, v5
	s_delay_alu instid0(VALU_DEP_1) | instskip(NEXT) | instid1(VALU_DEP_1)
	v_cmp_eq_u32_e64 s0, 1, v5
	s_xor_b32 s2, s0, -1
	s_mov_b32 s0, s1
	s_and_saveexec_b32 s74, s2
; %bb.238:
	v_cmp_gt_f32_e64 s0, v4, v56
	s_delay_alu instid0(VALU_DEP_1) | instskip(NEXT) | instid1(SALU_CYCLE_1)
	s_and_b32 s0, s1, s0
	v_cndmask_b32_e64 v4, v56, v4, s0
	s_or_b32 s0, s1, exec_lo
; %bb.239:
	s_or_b32 exec_lo, exec_lo, s74
	s_delay_alu instid0(SALU_CYCLE_1) | instskip(SKIP_1) | instid1(SALU_CYCLE_1)
	s_and_not1_b32 s1, s1, exec_lo
	s_and_b32 s0, s0, exec_lo
	s_or_b32 s1, s1, s0
	s_or_b32 exec_lo, exec_lo, s66
	s_and_saveexec_b32 s66, s12
	s_cbranch_execz .LBB719_147
.LBB719_240:
	global_load_u8 v5, v[2:3], off offset:512
	s_waitcnt vmcnt(0)
	v_and_b32_e32 v5, 1, v5
	s_delay_alu instid0(VALU_DEP_1) | instskip(NEXT) | instid1(VALU_DEP_1)
	v_cmp_eq_u32_e64 s0, 1, v5
	s_xor_b32 s2, s0, -1
	s_mov_b32 s0, s1
	s_and_saveexec_b32 s74, s2
; %bb.241:
	v_cmp_gt_f32_e64 s0, v4, v55
	s_delay_alu instid0(VALU_DEP_1) | instskip(NEXT) | instid1(SALU_CYCLE_1)
	s_and_b32 s0, s1, s0
	v_cndmask_b32_e64 v4, v55, v4, s0
	s_or_b32 s0, s1, exec_lo
; %bb.242:
	s_or_b32 exec_lo, exec_lo, s74
	s_delay_alu instid0(SALU_CYCLE_1) | instskip(SKIP_1) | instid1(SALU_CYCLE_1)
	s_and_not1_b32 s1, s1, exec_lo
	s_and_b32 s0, s0, exec_lo
	s_or_b32 s1, s1, s0
	s_or_b32 exec_lo, exec_lo, s66
	s_and_saveexec_b32 s66, s11
	s_cbranch_execz .LBB719_148
.LBB719_243:
	global_load_u8 v5, v[2:3], off offset:544
	s_waitcnt vmcnt(0)
	v_and_b32_e32 v5, 1, v5
	s_delay_alu instid0(VALU_DEP_1) | instskip(NEXT) | instid1(VALU_DEP_1)
	v_cmp_eq_u32_e64 s0, 1, v5
	s_xor_b32 s2, s0, -1
	s_mov_b32 s0, s1
	s_and_saveexec_b32 s74, s2
; %bb.244:
	v_cmp_gt_f32_e64 s0, v4, v54
	s_delay_alu instid0(VALU_DEP_1) | instskip(NEXT) | instid1(SALU_CYCLE_1)
	s_and_b32 s0, s1, s0
	v_cndmask_b32_e64 v4, v54, v4, s0
	s_or_b32 s0, s1, exec_lo
; %bb.245:
	s_or_b32 exec_lo, exec_lo, s74
	s_delay_alu instid0(SALU_CYCLE_1) | instskip(SKIP_1) | instid1(SALU_CYCLE_1)
	s_and_not1_b32 s1, s1, exec_lo
	s_and_b32 s0, s0, exec_lo
	s_or_b32 s1, s1, s0
	s_or_b32 exec_lo, exec_lo, s66
	s_and_saveexec_b32 s66, s10
	s_cbranch_execz .LBB719_149
.LBB719_246:
	global_load_u8 v5, v[2:3], off offset:576
	s_waitcnt vmcnt(0)
	v_and_b32_e32 v5, 1, v5
	s_delay_alu instid0(VALU_DEP_1) | instskip(NEXT) | instid1(VALU_DEP_1)
	v_cmp_eq_u32_e64 s0, 1, v5
	s_xor_b32 s2, s0, -1
	s_mov_b32 s0, s1
	s_and_saveexec_b32 s74, s2
; %bb.247:
	v_cmp_gt_f32_e64 s0, v4, v53
	s_delay_alu instid0(VALU_DEP_1) | instskip(NEXT) | instid1(SALU_CYCLE_1)
	s_and_b32 s0, s1, s0
	v_cndmask_b32_e64 v4, v53, v4, s0
	s_or_b32 s0, s1, exec_lo
; %bb.248:
	s_or_b32 exec_lo, exec_lo, s74
	s_delay_alu instid0(SALU_CYCLE_1) | instskip(SKIP_1) | instid1(SALU_CYCLE_1)
	s_and_not1_b32 s1, s1, exec_lo
	s_and_b32 s0, s0, exec_lo
	s_or_b32 s1, s1, s0
	s_or_b32 exec_lo, exec_lo, s66
	s_and_saveexec_b32 s66, s9
	s_cbranch_execz .LBB719_150
.LBB719_249:
	global_load_u8 v5, v[2:3], off offset:608
	s_waitcnt vmcnt(0)
	v_and_b32_e32 v5, 1, v5
	s_delay_alu instid0(VALU_DEP_1) | instskip(NEXT) | instid1(VALU_DEP_1)
	v_cmp_eq_u32_e64 s0, 1, v5
	s_xor_b32 s2, s0, -1
	s_mov_b32 s0, s1
	s_and_saveexec_b32 s74, s2
; %bb.250:
	v_cmp_gt_f32_e64 s0, v4, v52
	s_delay_alu instid0(VALU_DEP_1) | instskip(NEXT) | instid1(SALU_CYCLE_1)
	s_and_b32 s0, s1, s0
	v_cndmask_b32_e64 v4, v52, v4, s0
	s_or_b32 s0, s1, exec_lo
; %bb.251:
	s_or_b32 exec_lo, exec_lo, s74
	s_delay_alu instid0(SALU_CYCLE_1) | instskip(SKIP_1) | instid1(SALU_CYCLE_1)
	s_and_not1_b32 s1, s1, exec_lo
	s_and_b32 s0, s0, exec_lo
	s_or_b32 s1, s1, s0
	s_or_b32 exec_lo, exec_lo, s66
	s_and_saveexec_b32 s66, s8
	s_cbranch_execz .LBB719_151
.LBB719_252:
	global_load_u8 v5, v[2:3], off offset:640
	s_waitcnt vmcnt(0)
	v_and_b32_e32 v5, 1, v5
	s_delay_alu instid0(VALU_DEP_1) | instskip(NEXT) | instid1(VALU_DEP_1)
	v_cmp_eq_u32_e64 s0, 1, v5
	s_xor_b32 s2, s0, -1
	s_mov_b32 s0, s1
	s_and_saveexec_b32 s74, s2
; %bb.253:
	v_cmp_gt_f32_e64 s0, v4, v51
	s_delay_alu instid0(VALU_DEP_1) | instskip(NEXT) | instid1(SALU_CYCLE_1)
	s_and_b32 s0, s1, s0
	v_cndmask_b32_e64 v4, v51, v4, s0
	s_or_b32 s0, s1, exec_lo
; %bb.254:
	s_or_b32 exec_lo, exec_lo, s74
	s_delay_alu instid0(SALU_CYCLE_1) | instskip(SKIP_1) | instid1(SALU_CYCLE_1)
	s_and_not1_b32 s1, s1, exec_lo
	s_and_b32 s0, s0, exec_lo
	s_or_b32 s1, s1, s0
	s_or_b32 exec_lo, exec_lo, s66
	s_and_saveexec_b32 s66, s7
	s_cbranch_execz .LBB719_152
.LBB719_255:
	global_load_u8 v5, v[2:3], off offset:672
	s_waitcnt vmcnt(0)
	v_and_b32_e32 v5, 1, v5
	s_delay_alu instid0(VALU_DEP_1) | instskip(NEXT) | instid1(VALU_DEP_1)
	v_cmp_eq_u32_e64 s0, 1, v5
	s_xor_b32 s2, s0, -1
	s_mov_b32 s0, s1
	s_and_saveexec_b32 s74, s2
; %bb.256:
	v_cmp_gt_f32_e64 s0, v4, v50
	s_delay_alu instid0(VALU_DEP_1) | instskip(NEXT) | instid1(SALU_CYCLE_1)
	s_and_b32 s0, s1, s0
	v_cndmask_b32_e64 v4, v50, v4, s0
	s_or_b32 s0, s1, exec_lo
; %bb.257:
	s_or_b32 exec_lo, exec_lo, s74
	s_delay_alu instid0(SALU_CYCLE_1) | instskip(SKIP_1) | instid1(SALU_CYCLE_1)
	s_and_not1_b32 s1, s1, exec_lo
	s_and_b32 s0, s0, exec_lo
	s_or_b32 s1, s1, s0
	s_or_b32 exec_lo, exec_lo, s66
	s_and_saveexec_b32 s66, s6
	s_cbranch_execz .LBB719_153
.LBB719_258:
	global_load_u8 v5, v[2:3], off offset:704
	s_waitcnt vmcnt(0)
	v_and_b32_e32 v5, 1, v5
	s_delay_alu instid0(VALU_DEP_1) | instskip(NEXT) | instid1(VALU_DEP_1)
	v_cmp_eq_u32_e64 s0, 1, v5
	s_xor_b32 s2, s0, -1
	s_mov_b32 s0, s1
	s_and_saveexec_b32 s74, s2
; %bb.259:
	v_cmp_gt_f32_e64 s0, v4, v49
	s_delay_alu instid0(VALU_DEP_1) | instskip(NEXT) | instid1(SALU_CYCLE_1)
	s_and_b32 s0, s1, s0
	v_cndmask_b32_e64 v4, v49, v4, s0
	s_or_b32 s0, s1, exec_lo
; %bb.260:
	s_or_b32 exec_lo, exec_lo, s74
	s_delay_alu instid0(SALU_CYCLE_1) | instskip(SKIP_1) | instid1(SALU_CYCLE_1)
	s_and_not1_b32 s1, s1, exec_lo
	s_and_b32 s0, s0, exec_lo
	s_or_b32 s1, s1, s0
	s_or_b32 exec_lo, exec_lo, s66
	s_and_saveexec_b32 s66, s5
	s_cbranch_execz .LBB719_154
.LBB719_261:
	global_load_u8 v5, v[2:3], off offset:736
	s_waitcnt vmcnt(0)
	v_and_b32_e32 v5, 1, v5
	s_delay_alu instid0(VALU_DEP_1) | instskip(NEXT) | instid1(VALU_DEP_1)
	v_cmp_eq_u32_e64 s0, 1, v5
	s_xor_b32 s2, s0, -1
	s_mov_b32 s0, s1
	s_and_saveexec_b32 s74, s2
; %bb.262:
	v_cmp_gt_f32_e64 s0, v4, v48
	s_delay_alu instid0(VALU_DEP_1) | instskip(NEXT) | instid1(SALU_CYCLE_1)
	s_and_b32 s0, s1, s0
	v_cndmask_b32_e64 v4, v48, v4, s0
	s_or_b32 s0, s1, exec_lo
; %bb.263:
	s_or_b32 exec_lo, exec_lo, s74
	s_delay_alu instid0(SALU_CYCLE_1) | instskip(SKIP_1) | instid1(SALU_CYCLE_1)
	s_and_not1_b32 s1, s1, exec_lo
	s_and_b32 s0, s0, exec_lo
	s_or_b32 s1, s1, s0
	s_or_b32 exec_lo, exec_lo, s66
	s_and_saveexec_b32 s66, s4
	s_cbranch_execz .LBB719_155
.LBB719_264:
	global_load_u8 v5, v[2:3], off offset:768
	s_waitcnt vmcnt(0)
	v_and_b32_e32 v5, 1, v5
	s_delay_alu instid0(VALU_DEP_1) | instskip(NEXT) | instid1(VALU_DEP_1)
	v_cmp_eq_u32_e64 s0, 1, v5
	s_xor_b32 s2, s0, -1
	s_mov_b32 s0, s1
	s_and_saveexec_b32 s74, s2
; %bb.265:
	v_cmp_gt_f32_e64 s0, v4, v47
	s_delay_alu instid0(VALU_DEP_1) | instskip(NEXT) | instid1(SALU_CYCLE_1)
	s_and_b32 s0, s1, s0
	v_cndmask_b32_e64 v4, v47, v4, s0
	s_or_b32 s0, s1, exec_lo
; %bb.266:
	s_or_b32 exec_lo, exec_lo, s74
	s_delay_alu instid0(SALU_CYCLE_1) | instskip(SKIP_1) | instid1(SALU_CYCLE_1)
	s_and_not1_b32 s1, s1, exec_lo
	s_and_b32 s0, s0, exec_lo
	s_or_b32 s1, s1, s0
	s_or_b32 exec_lo, exec_lo, s66
	s_and_saveexec_b32 s66, s3
	s_cbranch_execz .LBB719_156
.LBB719_267:
	global_load_u8 v5, v[2:3], off offset:800
	s_waitcnt vmcnt(0)
	v_and_b32_e32 v5, 1, v5
	s_delay_alu instid0(VALU_DEP_1) | instskip(NEXT) | instid1(VALU_DEP_1)
	v_cmp_eq_u32_e64 s0, 1, v5
	s_xor_b32 s2, s0, -1
	s_mov_b32 s0, s1
	s_and_saveexec_b32 s74, s2
; %bb.268:
	v_cmp_gt_f32_e64 s0, v4, v46
	s_delay_alu instid0(VALU_DEP_1) | instskip(NEXT) | instid1(SALU_CYCLE_1)
	s_and_b32 s0, s1, s0
	v_cndmask_b32_e64 v4, v46, v4, s0
	s_or_b32 s0, s1, exec_lo
; %bb.269:
	s_or_b32 exec_lo, exec_lo, s74
	s_delay_alu instid0(SALU_CYCLE_1) | instskip(SKIP_1) | instid1(SALU_CYCLE_1)
	s_and_not1_b32 s1, s1, exec_lo
	s_and_b32 s0, s0, exec_lo
	s_or_b32 s1, s1, s0
	s_or_b32 exec_lo, exec_lo, s66
	s_and_saveexec_b32 s66, s69
	s_cbranch_execz .LBB719_157
.LBB719_270:
	global_load_u8 v5, v[2:3], off offset:832
	s_waitcnt vmcnt(0)
	v_and_b32_e32 v5, 1, v5
	s_delay_alu instid0(VALU_DEP_1) | instskip(NEXT) | instid1(VALU_DEP_1)
	v_cmp_eq_u32_e64 s0, 1, v5
	s_xor_b32 s2, s0, -1
	s_mov_b32 s0, s1
	s_and_saveexec_b32 s74, s2
; %bb.271:
	v_cmp_gt_f32_e64 s0, v4, v45
	s_delay_alu instid0(VALU_DEP_1) | instskip(NEXT) | instid1(SALU_CYCLE_1)
	s_and_b32 s0, s1, s0
	v_cndmask_b32_e64 v4, v45, v4, s0
	s_or_b32 s0, s1, exec_lo
; %bb.272:
	s_or_b32 exec_lo, exec_lo, s74
	s_delay_alu instid0(SALU_CYCLE_1) | instskip(SKIP_1) | instid1(SALU_CYCLE_1)
	s_and_not1_b32 s1, s1, exec_lo
	s_and_b32 s0, s0, exec_lo
	s_or_b32 s1, s1, s0
	s_or_b32 exec_lo, exec_lo, s66
	s_and_saveexec_b32 s66, s68
	s_cbranch_execz .LBB719_158
.LBB719_273:
	global_load_u8 v5, v[2:3], off offset:864
	s_waitcnt vmcnt(0)
	v_and_b32_e32 v5, 1, v5
	s_delay_alu instid0(VALU_DEP_1) | instskip(NEXT) | instid1(VALU_DEP_1)
	v_cmp_eq_u32_e64 s0, 1, v5
	s_xor_b32 s2, s0, -1
	s_mov_b32 s0, s1
	s_and_saveexec_b32 s74, s2
; %bb.274:
	v_cmp_gt_f32_e64 s0, v4, v44
	s_delay_alu instid0(VALU_DEP_1) | instskip(NEXT) | instid1(SALU_CYCLE_1)
	s_and_b32 s0, s1, s0
	v_cndmask_b32_e64 v4, v44, v4, s0
	s_or_b32 s0, s1, exec_lo
; %bb.275:
	s_or_b32 exec_lo, exec_lo, s74
	s_delay_alu instid0(SALU_CYCLE_1) | instskip(SKIP_1) | instid1(SALU_CYCLE_1)
	s_and_not1_b32 s1, s1, exec_lo
	s_and_b32 s0, s0, exec_lo
	s_or_b32 s1, s1, s0
	s_or_b32 exec_lo, exec_lo, s66
	s_and_saveexec_b32 s66, vcc_hi
	s_cbranch_execz .LBB719_159
.LBB719_276:
	global_load_u8 v5, v[2:3], off offset:896
	s_waitcnt vmcnt(0)
	v_and_b32_e32 v5, 1, v5
	s_delay_alu instid0(VALU_DEP_1) | instskip(NEXT) | instid1(VALU_DEP_1)
	v_cmp_eq_u32_e64 s0, 1, v5
	s_xor_b32 s2, s0, -1
	s_mov_b32 s0, s1
	s_and_saveexec_b32 s74, s2
; %bb.277:
	v_cmp_gt_f32_e64 s0, v4, v43
	s_delay_alu instid0(VALU_DEP_1) | instskip(NEXT) | instid1(SALU_CYCLE_1)
	s_and_b32 s0, s1, s0
	v_cndmask_b32_e64 v4, v43, v4, s0
	s_or_b32 s0, s1, exec_lo
; %bb.278:
	s_or_b32 exec_lo, exec_lo, s74
	s_delay_alu instid0(SALU_CYCLE_1) | instskip(SKIP_1) | instid1(SALU_CYCLE_1)
	s_and_not1_b32 s1, s1, exec_lo
	s_and_b32 s0, s0, exec_lo
	s_or_b32 s1, s1, s0
	s_or_b32 exec_lo, exec_lo, s66
	s_and_saveexec_b32 s66, s104
	s_cbranch_execz .LBB719_160
.LBB719_279:
	global_load_u8 v5, v[2:3], off offset:928
	s_waitcnt vmcnt(0)
	v_and_b32_e32 v5, 1, v5
	s_delay_alu instid0(VALU_DEP_1) | instskip(NEXT) | instid1(VALU_DEP_1)
	v_cmp_eq_u32_e64 s0, 1, v5
	s_xor_b32 s2, s0, -1
	s_mov_b32 s0, s1
	s_and_saveexec_b32 s74, s2
; %bb.280:
	v_cmp_gt_f32_e64 s0, v4, v42
	s_delay_alu instid0(VALU_DEP_1) | instskip(NEXT) | instid1(SALU_CYCLE_1)
	s_and_b32 s0, s1, s0
	v_cndmask_b32_e64 v4, v42, v4, s0
	s_or_b32 s0, s1, exec_lo
; %bb.281:
	s_or_b32 exec_lo, exec_lo, s74
	s_delay_alu instid0(SALU_CYCLE_1) | instskip(SKIP_1) | instid1(SALU_CYCLE_1)
	s_and_not1_b32 s1, s1, exec_lo
	s_and_b32 s0, s0, exec_lo
	s_or_b32 s1, s1, s0
	s_or_b32 exec_lo, exec_lo, s66
	s_and_saveexec_b32 s66, s103
	s_cbranch_execz .LBB719_161
.LBB719_282:
	global_load_u8 v5, v[2:3], off offset:960
	s_waitcnt vmcnt(0)
	v_and_b32_e32 v5, 1, v5
	s_delay_alu instid0(VALU_DEP_1) | instskip(NEXT) | instid1(VALU_DEP_1)
	v_cmp_eq_u32_e64 s0, 1, v5
	s_xor_b32 s2, s0, -1
	s_mov_b32 s0, s1
	s_and_saveexec_b32 s74, s2
; %bb.283:
	v_cmp_gt_f32_e64 s0, v4, v41
	s_delay_alu instid0(VALU_DEP_1) | instskip(NEXT) | instid1(SALU_CYCLE_1)
	s_and_b32 s0, s1, s0
	v_cndmask_b32_e64 v4, v41, v4, s0
	s_or_b32 s0, s1, exec_lo
; %bb.284:
	s_or_b32 exec_lo, exec_lo, s74
	s_delay_alu instid0(SALU_CYCLE_1) | instskip(SKIP_1) | instid1(SALU_CYCLE_1)
	s_and_not1_b32 s1, s1, exec_lo
	s_and_b32 s0, s0, exec_lo
	s_or_b32 s1, s1, s0
	s_or_b32 exec_lo, exec_lo, s66
	s_and_saveexec_b32 s66, s102
	s_cbranch_execz .LBB719_162
.LBB719_285:
	global_load_u8 v5, v[2:3], off offset:992
	s_waitcnt vmcnt(0)
	v_and_b32_e32 v5, 1, v5
	s_delay_alu instid0(VALU_DEP_1) | instskip(NEXT) | instid1(VALU_DEP_1)
	v_cmp_eq_u32_e64 s0, 1, v5
	s_xor_b32 s2, s0, -1
	s_mov_b32 s0, s1
	s_and_saveexec_b32 s74, s2
; %bb.286:
	v_cmp_gt_f32_e64 s0, v4, v40
	s_delay_alu instid0(VALU_DEP_1) | instskip(NEXT) | instid1(SALU_CYCLE_1)
	s_and_b32 s0, s1, s0
	v_cndmask_b32_e64 v4, v40, v4, s0
	s_or_b32 s0, s1, exec_lo
; %bb.287:
	s_or_b32 exec_lo, exec_lo, s74
	s_delay_alu instid0(SALU_CYCLE_1) | instskip(SKIP_1) | instid1(SALU_CYCLE_1)
	s_and_not1_b32 s1, s1, exec_lo
	s_and_b32 s0, s0, exec_lo
	s_or_b32 s1, s1, s0
	s_or_b32 exec_lo, exec_lo, s66
	s_and_saveexec_b32 s66, s101
	s_cbranch_execz .LBB719_163
.LBB719_288:
	global_load_u8 v5, v[2:3], off offset:1024
	s_waitcnt vmcnt(0)
	v_and_b32_e32 v5, 1, v5
	s_delay_alu instid0(VALU_DEP_1) | instskip(NEXT) | instid1(VALU_DEP_1)
	v_cmp_eq_u32_e64 s0, 1, v5
	s_xor_b32 s2, s0, -1
	s_mov_b32 s0, s1
	s_and_saveexec_b32 s74, s2
; %bb.289:
	v_cmp_gt_f32_e64 s0, v4, v39
	s_delay_alu instid0(VALU_DEP_1) | instskip(NEXT) | instid1(SALU_CYCLE_1)
	s_and_b32 s0, s1, s0
	v_cndmask_b32_e64 v4, v39, v4, s0
	s_or_b32 s0, s1, exec_lo
; %bb.290:
	s_or_b32 exec_lo, exec_lo, s74
	s_delay_alu instid0(SALU_CYCLE_1) | instskip(SKIP_1) | instid1(SALU_CYCLE_1)
	s_and_not1_b32 s1, s1, exec_lo
	s_and_b32 s0, s0, exec_lo
	s_or_b32 s1, s1, s0
	s_or_b32 exec_lo, exec_lo, s66
	s_and_saveexec_b32 s66, s100
	s_cbranch_execz .LBB719_164
.LBB719_291:
	global_load_u8 v5, v[2:3], off offset:1056
	s_waitcnt vmcnt(0)
	v_and_b32_e32 v5, 1, v5
	s_delay_alu instid0(VALU_DEP_1) | instskip(NEXT) | instid1(VALU_DEP_1)
	v_cmp_eq_u32_e64 s0, 1, v5
	s_xor_b32 s2, s0, -1
	s_mov_b32 s0, s1
	s_and_saveexec_b32 s74, s2
; %bb.292:
	v_cmp_gt_f32_e64 s0, v4, v38
	s_delay_alu instid0(VALU_DEP_1) | instskip(NEXT) | instid1(SALU_CYCLE_1)
	s_and_b32 s0, s1, s0
	v_cndmask_b32_e64 v4, v38, v4, s0
	s_or_b32 s0, s1, exec_lo
; %bb.293:
	s_or_b32 exec_lo, exec_lo, s74
	s_delay_alu instid0(SALU_CYCLE_1) | instskip(SKIP_1) | instid1(SALU_CYCLE_1)
	s_and_not1_b32 s1, s1, exec_lo
	s_and_b32 s0, s0, exec_lo
	s_or_b32 s1, s1, s0
	s_or_b32 exec_lo, exec_lo, s66
	s_and_saveexec_b32 s66, s99
	s_cbranch_execz .LBB719_165
.LBB719_294:
	global_load_u8 v5, v[2:3], off offset:1088
	s_waitcnt vmcnt(0)
	v_and_b32_e32 v5, 1, v5
	s_delay_alu instid0(VALU_DEP_1) | instskip(NEXT) | instid1(VALU_DEP_1)
	v_cmp_eq_u32_e64 s0, 1, v5
	s_xor_b32 s2, s0, -1
	s_mov_b32 s0, s1
	s_and_saveexec_b32 s74, s2
; %bb.295:
	v_cmp_gt_f32_e64 s0, v4, v37
	s_delay_alu instid0(VALU_DEP_1) | instskip(NEXT) | instid1(SALU_CYCLE_1)
	s_and_b32 s0, s1, s0
	v_cndmask_b32_e64 v4, v37, v4, s0
	s_or_b32 s0, s1, exec_lo
; %bb.296:
	s_or_b32 exec_lo, exec_lo, s74
	s_delay_alu instid0(SALU_CYCLE_1) | instskip(SKIP_1) | instid1(SALU_CYCLE_1)
	s_and_not1_b32 s1, s1, exec_lo
	s_and_b32 s0, s0, exec_lo
	s_or_b32 s1, s1, s0
	s_or_b32 exec_lo, exec_lo, s66
	s_and_saveexec_b32 s66, s98
	s_cbranch_execz .LBB719_166
.LBB719_297:
	global_load_u8 v5, v[2:3], off offset:1120
	s_waitcnt vmcnt(0)
	v_and_b32_e32 v5, 1, v5
	s_delay_alu instid0(VALU_DEP_1) | instskip(NEXT) | instid1(VALU_DEP_1)
	v_cmp_eq_u32_e64 s0, 1, v5
	s_xor_b32 s2, s0, -1
	s_mov_b32 s0, s1
	s_and_saveexec_b32 s74, s2
; %bb.298:
	v_cmp_gt_f32_e64 s0, v4, v36
	s_delay_alu instid0(VALU_DEP_1) | instskip(NEXT) | instid1(SALU_CYCLE_1)
	s_and_b32 s0, s1, s0
	v_cndmask_b32_e64 v4, v36, v4, s0
	s_or_b32 s0, s1, exec_lo
; %bb.299:
	s_or_b32 exec_lo, exec_lo, s74
	s_delay_alu instid0(SALU_CYCLE_1) | instskip(SKIP_1) | instid1(SALU_CYCLE_1)
	s_and_not1_b32 s1, s1, exec_lo
	s_and_b32 s0, s0, exec_lo
	s_or_b32 s1, s1, s0
	s_or_b32 exec_lo, exec_lo, s66
	s_and_saveexec_b32 s66, s97
	s_cbranch_execz .LBB719_167
.LBB719_300:
	global_load_u8 v5, v[2:3], off offset:1152
	s_waitcnt vmcnt(0)
	v_and_b32_e32 v5, 1, v5
	s_delay_alu instid0(VALU_DEP_1) | instskip(NEXT) | instid1(VALU_DEP_1)
	v_cmp_eq_u32_e64 s0, 1, v5
	s_xor_b32 s2, s0, -1
	s_mov_b32 s0, s1
	s_and_saveexec_b32 s74, s2
; %bb.301:
	v_cmp_gt_f32_e64 s0, v4, v35
	s_delay_alu instid0(VALU_DEP_1) | instskip(NEXT) | instid1(SALU_CYCLE_1)
	s_and_b32 s0, s1, s0
	v_cndmask_b32_e64 v4, v35, v4, s0
	s_or_b32 s0, s1, exec_lo
; %bb.302:
	s_or_b32 exec_lo, exec_lo, s74
	s_delay_alu instid0(SALU_CYCLE_1) | instskip(SKIP_1) | instid1(SALU_CYCLE_1)
	s_and_not1_b32 s1, s1, exec_lo
	s_and_b32 s0, s0, exec_lo
	s_or_b32 s1, s1, s0
	s_or_b32 exec_lo, exec_lo, s66
	s_and_saveexec_b32 s66, s96
	s_cbranch_execz .LBB719_168
.LBB719_303:
	global_load_u8 v5, v[2:3], off offset:1184
	s_waitcnt vmcnt(0)
	v_and_b32_e32 v5, 1, v5
	s_delay_alu instid0(VALU_DEP_1) | instskip(NEXT) | instid1(VALU_DEP_1)
	v_cmp_eq_u32_e64 s0, 1, v5
	s_xor_b32 s2, s0, -1
	s_mov_b32 s0, s1
	s_and_saveexec_b32 s74, s2
; %bb.304:
	v_cmp_gt_f32_e64 s0, v4, v34
	s_delay_alu instid0(VALU_DEP_1) | instskip(NEXT) | instid1(SALU_CYCLE_1)
	s_and_b32 s0, s1, s0
	v_cndmask_b32_e64 v4, v34, v4, s0
	s_or_b32 s0, s1, exec_lo
; %bb.305:
	s_or_b32 exec_lo, exec_lo, s74
	s_delay_alu instid0(SALU_CYCLE_1) | instskip(SKIP_1) | instid1(SALU_CYCLE_1)
	s_and_not1_b32 s1, s1, exec_lo
	s_and_b32 s0, s0, exec_lo
	s_or_b32 s1, s1, s0
	s_or_b32 exec_lo, exec_lo, s66
	s_and_saveexec_b32 s66, s95
	s_cbranch_execz .LBB719_169
.LBB719_306:
	global_load_u8 v5, v[2:3], off offset:1216
	s_waitcnt vmcnt(0)
	v_and_b32_e32 v5, 1, v5
	s_delay_alu instid0(VALU_DEP_1) | instskip(NEXT) | instid1(VALU_DEP_1)
	v_cmp_eq_u32_e64 s0, 1, v5
	s_xor_b32 s2, s0, -1
	s_mov_b32 s0, s1
	s_and_saveexec_b32 s74, s2
; %bb.307:
	v_cmp_gt_f32_e64 s0, v4, v33
	s_delay_alu instid0(VALU_DEP_1) | instskip(NEXT) | instid1(SALU_CYCLE_1)
	s_and_b32 s0, s1, s0
	v_cndmask_b32_e64 v4, v33, v4, s0
	s_or_b32 s0, s1, exec_lo
; %bb.308:
	s_or_b32 exec_lo, exec_lo, s74
	s_delay_alu instid0(SALU_CYCLE_1) | instskip(SKIP_1) | instid1(SALU_CYCLE_1)
	s_and_not1_b32 s1, s1, exec_lo
	s_and_b32 s0, s0, exec_lo
	s_or_b32 s1, s1, s0
	s_or_b32 exec_lo, exec_lo, s66
	s_and_saveexec_b32 s66, s94
	s_cbranch_execz .LBB719_170
.LBB719_309:
	global_load_u8 v5, v[2:3], off offset:1248
	s_waitcnt vmcnt(0)
	v_and_b32_e32 v5, 1, v5
	s_delay_alu instid0(VALU_DEP_1) | instskip(NEXT) | instid1(VALU_DEP_1)
	v_cmp_eq_u32_e64 s0, 1, v5
	s_xor_b32 s2, s0, -1
	s_mov_b32 s0, s1
	s_and_saveexec_b32 s74, s2
; %bb.310:
	v_cmp_gt_f32_e64 s0, v4, v32
	s_delay_alu instid0(VALU_DEP_1) | instskip(NEXT) | instid1(SALU_CYCLE_1)
	s_and_b32 s0, s1, s0
	v_cndmask_b32_e64 v4, v32, v4, s0
	s_or_b32 s0, s1, exec_lo
; %bb.311:
	s_or_b32 exec_lo, exec_lo, s74
	s_delay_alu instid0(SALU_CYCLE_1) | instskip(SKIP_1) | instid1(SALU_CYCLE_1)
	s_and_not1_b32 s1, s1, exec_lo
	s_and_b32 s0, s0, exec_lo
	s_or_b32 s1, s1, s0
	s_or_b32 exec_lo, exec_lo, s66
	s_and_saveexec_b32 s66, s93
	s_cbranch_execz .LBB719_171
.LBB719_312:
	global_load_u8 v5, v[2:3], off offset:1280
	s_waitcnt vmcnt(0)
	v_and_b32_e32 v5, 1, v5
	s_delay_alu instid0(VALU_DEP_1) | instskip(NEXT) | instid1(VALU_DEP_1)
	v_cmp_eq_u32_e64 s0, 1, v5
	s_xor_b32 s2, s0, -1
	s_mov_b32 s0, s1
	s_and_saveexec_b32 s74, s2
; %bb.313:
	v_cmp_gt_f32_e64 s0, v4, v31
	s_delay_alu instid0(VALU_DEP_1) | instskip(NEXT) | instid1(SALU_CYCLE_1)
	s_and_b32 s0, s1, s0
	v_cndmask_b32_e64 v4, v31, v4, s0
	s_or_b32 s0, s1, exec_lo
; %bb.314:
	s_or_b32 exec_lo, exec_lo, s74
	s_delay_alu instid0(SALU_CYCLE_1) | instskip(SKIP_1) | instid1(SALU_CYCLE_1)
	s_and_not1_b32 s1, s1, exec_lo
	s_and_b32 s0, s0, exec_lo
	s_or_b32 s1, s1, s0
	s_or_b32 exec_lo, exec_lo, s66
	s_and_saveexec_b32 s66, s92
	s_cbranch_execz .LBB719_172
.LBB719_315:
	global_load_u8 v5, v[2:3], off offset:1312
	s_waitcnt vmcnt(0)
	v_and_b32_e32 v5, 1, v5
	s_delay_alu instid0(VALU_DEP_1) | instskip(NEXT) | instid1(VALU_DEP_1)
	v_cmp_eq_u32_e64 s0, 1, v5
	s_xor_b32 s2, s0, -1
	s_mov_b32 s0, s1
	s_and_saveexec_b32 s74, s2
; %bb.316:
	v_cmp_gt_f32_e64 s0, v4, v30
	s_delay_alu instid0(VALU_DEP_1) | instskip(NEXT) | instid1(SALU_CYCLE_1)
	s_and_b32 s0, s1, s0
	v_cndmask_b32_e64 v4, v30, v4, s0
	s_or_b32 s0, s1, exec_lo
; %bb.317:
	s_or_b32 exec_lo, exec_lo, s74
	s_delay_alu instid0(SALU_CYCLE_1) | instskip(SKIP_1) | instid1(SALU_CYCLE_1)
	s_and_not1_b32 s1, s1, exec_lo
	s_and_b32 s0, s0, exec_lo
	s_or_b32 s1, s1, s0
	s_or_b32 exec_lo, exec_lo, s66
	s_and_saveexec_b32 s66, s91
	s_cbranch_execz .LBB719_173
.LBB719_318:
	global_load_u8 v5, v[2:3], off offset:1344
	s_waitcnt vmcnt(0)
	v_and_b32_e32 v5, 1, v5
	s_delay_alu instid0(VALU_DEP_1) | instskip(NEXT) | instid1(VALU_DEP_1)
	v_cmp_eq_u32_e64 s0, 1, v5
	s_xor_b32 s2, s0, -1
	s_mov_b32 s0, s1
	s_and_saveexec_b32 s74, s2
; %bb.319:
	v_cmp_gt_f32_e64 s0, v4, v29
	s_delay_alu instid0(VALU_DEP_1) | instskip(NEXT) | instid1(SALU_CYCLE_1)
	s_and_b32 s0, s1, s0
	v_cndmask_b32_e64 v4, v29, v4, s0
	s_or_b32 s0, s1, exec_lo
; %bb.320:
	s_or_b32 exec_lo, exec_lo, s74
	s_delay_alu instid0(SALU_CYCLE_1) | instskip(SKIP_1) | instid1(SALU_CYCLE_1)
	s_and_not1_b32 s1, s1, exec_lo
	s_and_b32 s0, s0, exec_lo
	s_or_b32 s1, s1, s0
	s_or_b32 exec_lo, exec_lo, s66
	s_and_saveexec_b32 s66, s90
	s_cbranch_execz .LBB719_174
.LBB719_321:
	global_load_u8 v5, v[2:3], off offset:1376
	s_waitcnt vmcnt(0)
	v_and_b32_e32 v5, 1, v5
	s_delay_alu instid0(VALU_DEP_1) | instskip(NEXT) | instid1(VALU_DEP_1)
	v_cmp_eq_u32_e64 s0, 1, v5
	s_xor_b32 s2, s0, -1
	s_mov_b32 s0, s1
	s_and_saveexec_b32 s74, s2
; %bb.322:
	v_cmp_gt_f32_e64 s0, v4, v28
	s_delay_alu instid0(VALU_DEP_1) | instskip(NEXT) | instid1(SALU_CYCLE_1)
	s_and_b32 s0, s1, s0
	v_cndmask_b32_e64 v4, v28, v4, s0
	s_or_b32 s0, s1, exec_lo
; %bb.323:
	s_or_b32 exec_lo, exec_lo, s74
	s_delay_alu instid0(SALU_CYCLE_1) | instskip(SKIP_1) | instid1(SALU_CYCLE_1)
	s_and_not1_b32 s1, s1, exec_lo
	s_and_b32 s0, s0, exec_lo
	s_or_b32 s1, s1, s0
	s_or_b32 exec_lo, exec_lo, s66
	s_and_saveexec_b32 s66, s89
	s_cbranch_execz .LBB719_175
.LBB719_324:
	global_load_u8 v5, v[2:3], off offset:1408
	s_waitcnt vmcnt(0)
	v_and_b32_e32 v5, 1, v5
	s_delay_alu instid0(VALU_DEP_1) | instskip(NEXT) | instid1(VALU_DEP_1)
	v_cmp_eq_u32_e64 s0, 1, v5
	s_xor_b32 s2, s0, -1
	s_mov_b32 s0, s1
	s_and_saveexec_b32 s74, s2
; %bb.325:
	v_cmp_gt_f32_e64 s0, v4, v27
	s_delay_alu instid0(VALU_DEP_1) | instskip(NEXT) | instid1(SALU_CYCLE_1)
	s_and_b32 s0, s1, s0
	v_cndmask_b32_e64 v4, v27, v4, s0
	s_or_b32 s0, s1, exec_lo
; %bb.326:
	s_or_b32 exec_lo, exec_lo, s74
	s_delay_alu instid0(SALU_CYCLE_1) | instskip(SKIP_1) | instid1(SALU_CYCLE_1)
	s_and_not1_b32 s1, s1, exec_lo
	s_and_b32 s0, s0, exec_lo
	s_or_b32 s1, s1, s0
	s_or_b32 exec_lo, exec_lo, s66
	s_and_saveexec_b32 s66, s88
	s_cbranch_execz .LBB719_176
.LBB719_327:
	global_load_u8 v5, v[2:3], off offset:1440
	s_waitcnt vmcnt(0)
	v_and_b32_e32 v5, 1, v5
	s_delay_alu instid0(VALU_DEP_1) | instskip(NEXT) | instid1(VALU_DEP_1)
	v_cmp_eq_u32_e64 s0, 1, v5
	s_xor_b32 s2, s0, -1
	s_mov_b32 s0, s1
	s_and_saveexec_b32 s74, s2
; %bb.328:
	v_cmp_gt_f32_e64 s0, v4, v26
	s_delay_alu instid0(VALU_DEP_1) | instskip(NEXT) | instid1(SALU_CYCLE_1)
	s_and_b32 s0, s1, s0
	v_cndmask_b32_e64 v4, v26, v4, s0
	s_or_b32 s0, s1, exec_lo
; %bb.329:
	s_or_b32 exec_lo, exec_lo, s74
	s_delay_alu instid0(SALU_CYCLE_1) | instskip(SKIP_1) | instid1(SALU_CYCLE_1)
	s_and_not1_b32 s1, s1, exec_lo
	s_and_b32 s0, s0, exec_lo
	s_or_b32 s1, s1, s0
	s_or_b32 exec_lo, exec_lo, s66
	s_and_saveexec_b32 s66, s87
	s_cbranch_execz .LBB719_177
.LBB719_330:
	global_load_u8 v5, v[2:3], off offset:1472
	s_waitcnt vmcnt(0)
	v_and_b32_e32 v5, 1, v5
	s_delay_alu instid0(VALU_DEP_1) | instskip(NEXT) | instid1(VALU_DEP_1)
	v_cmp_eq_u32_e64 s0, 1, v5
	s_xor_b32 s2, s0, -1
	s_mov_b32 s0, s1
	s_and_saveexec_b32 s74, s2
; %bb.331:
	v_cmp_gt_f32_e64 s0, v4, v25
	s_delay_alu instid0(VALU_DEP_1) | instskip(NEXT) | instid1(SALU_CYCLE_1)
	s_and_b32 s0, s1, s0
	v_cndmask_b32_e64 v4, v25, v4, s0
	s_or_b32 s0, s1, exec_lo
; %bb.332:
	s_or_b32 exec_lo, exec_lo, s74
	s_delay_alu instid0(SALU_CYCLE_1) | instskip(SKIP_1) | instid1(SALU_CYCLE_1)
	s_and_not1_b32 s1, s1, exec_lo
	s_and_b32 s0, s0, exec_lo
	s_or_b32 s1, s1, s0
	s_or_b32 exec_lo, exec_lo, s66
	s_and_saveexec_b32 s66, s86
	s_cbranch_execz .LBB719_178
.LBB719_333:
	global_load_u8 v5, v[2:3], off offset:1504
	s_waitcnt vmcnt(0)
	v_and_b32_e32 v5, 1, v5
	s_delay_alu instid0(VALU_DEP_1) | instskip(NEXT) | instid1(VALU_DEP_1)
	v_cmp_eq_u32_e64 s0, 1, v5
	s_xor_b32 s2, s0, -1
	s_mov_b32 s0, s1
	s_and_saveexec_b32 s74, s2
; %bb.334:
	v_cmp_gt_f32_e64 s0, v4, v24
	s_delay_alu instid0(VALU_DEP_1) | instskip(NEXT) | instid1(SALU_CYCLE_1)
	s_and_b32 s0, s1, s0
	v_cndmask_b32_e64 v4, v24, v4, s0
	s_or_b32 s0, s1, exec_lo
; %bb.335:
	s_or_b32 exec_lo, exec_lo, s74
	s_delay_alu instid0(SALU_CYCLE_1) | instskip(SKIP_1) | instid1(SALU_CYCLE_1)
	s_and_not1_b32 s1, s1, exec_lo
	s_and_b32 s0, s0, exec_lo
	s_or_b32 s1, s1, s0
	s_or_b32 exec_lo, exec_lo, s66
	s_and_saveexec_b32 s66, s85
	s_cbranch_execz .LBB719_179
.LBB719_336:
	global_load_u8 v5, v[2:3], off offset:1536
	s_waitcnt vmcnt(0)
	v_and_b32_e32 v5, 1, v5
	s_delay_alu instid0(VALU_DEP_1) | instskip(NEXT) | instid1(VALU_DEP_1)
	v_cmp_eq_u32_e64 s0, 1, v5
	s_xor_b32 s2, s0, -1
	s_mov_b32 s0, s1
	s_and_saveexec_b32 s74, s2
; %bb.337:
	v_cmp_gt_f32_e64 s0, v4, v23
	s_delay_alu instid0(VALU_DEP_1) | instskip(NEXT) | instid1(SALU_CYCLE_1)
	s_and_b32 s0, s1, s0
	v_cndmask_b32_e64 v4, v23, v4, s0
	s_or_b32 s0, s1, exec_lo
; %bb.338:
	s_or_b32 exec_lo, exec_lo, s74
	s_delay_alu instid0(SALU_CYCLE_1) | instskip(SKIP_1) | instid1(SALU_CYCLE_1)
	s_and_not1_b32 s1, s1, exec_lo
	s_and_b32 s0, s0, exec_lo
	s_or_b32 s1, s1, s0
	s_or_b32 exec_lo, exec_lo, s66
	s_and_saveexec_b32 s66, s84
	s_cbranch_execz .LBB719_180
.LBB719_339:
	global_load_u8 v5, v[2:3], off offset:1568
	s_waitcnt vmcnt(0)
	v_and_b32_e32 v5, 1, v5
	s_delay_alu instid0(VALU_DEP_1) | instskip(NEXT) | instid1(VALU_DEP_1)
	v_cmp_eq_u32_e64 s0, 1, v5
	s_xor_b32 s2, s0, -1
	s_mov_b32 s0, s1
	s_and_saveexec_b32 s74, s2
; %bb.340:
	v_cmp_gt_f32_e64 s0, v4, v22
	s_delay_alu instid0(VALU_DEP_1) | instskip(NEXT) | instid1(SALU_CYCLE_1)
	s_and_b32 s0, s1, s0
	v_cndmask_b32_e64 v4, v22, v4, s0
	s_or_b32 s0, s1, exec_lo
; %bb.341:
	s_or_b32 exec_lo, exec_lo, s74
	s_delay_alu instid0(SALU_CYCLE_1) | instskip(SKIP_1) | instid1(SALU_CYCLE_1)
	s_and_not1_b32 s1, s1, exec_lo
	s_and_b32 s0, s0, exec_lo
	s_or_b32 s1, s1, s0
	s_or_b32 exec_lo, exec_lo, s66
	s_and_saveexec_b32 s66, s83
	s_cbranch_execz .LBB719_181
.LBB719_342:
	global_load_u8 v5, v[2:3], off offset:1600
	s_waitcnt vmcnt(0)
	v_and_b32_e32 v5, 1, v5
	s_delay_alu instid0(VALU_DEP_1) | instskip(NEXT) | instid1(VALU_DEP_1)
	v_cmp_eq_u32_e64 s0, 1, v5
	s_xor_b32 s2, s0, -1
	s_mov_b32 s0, s1
	s_and_saveexec_b32 s74, s2
; %bb.343:
	v_cmp_gt_f32_e64 s0, v4, v21
	s_delay_alu instid0(VALU_DEP_1) | instskip(NEXT) | instid1(SALU_CYCLE_1)
	s_and_b32 s0, s1, s0
	v_cndmask_b32_e64 v4, v21, v4, s0
	s_or_b32 s0, s1, exec_lo
; %bb.344:
	s_or_b32 exec_lo, exec_lo, s74
	s_delay_alu instid0(SALU_CYCLE_1) | instskip(SKIP_1) | instid1(SALU_CYCLE_1)
	s_and_not1_b32 s1, s1, exec_lo
	s_and_b32 s0, s0, exec_lo
	s_or_b32 s1, s1, s0
	s_or_b32 exec_lo, exec_lo, s66
	s_and_saveexec_b32 s66, s82
	s_cbranch_execz .LBB719_182
.LBB719_345:
	global_load_u8 v5, v[2:3], off offset:1632
	s_waitcnt vmcnt(0)
	v_and_b32_e32 v5, 1, v5
	s_delay_alu instid0(VALU_DEP_1) | instskip(NEXT) | instid1(VALU_DEP_1)
	v_cmp_eq_u32_e64 s0, 1, v5
	s_xor_b32 s2, s0, -1
	s_mov_b32 s0, s1
	s_and_saveexec_b32 s74, s2
; %bb.346:
	v_cmp_gt_f32_e64 s0, v4, v20
	s_delay_alu instid0(VALU_DEP_1) | instskip(NEXT) | instid1(SALU_CYCLE_1)
	s_and_b32 s0, s1, s0
	v_cndmask_b32_e64 v4, v20, v4, s0
	s_or_b32 s0, s1, exec_lo
; %bb.347:
	s_or_b32 exec_lo, exec_lo, s74
	s_delay_alu instid0(SALU_CYCLE_1) | instskip(SKIP_1) | instid1(SALU_CYCLE_1)
	s_and_not1_b32 s1, s1, exec_lo
	s_and_b32 s0, s0, exec_lo
	s_or_b32 s1, s1, s0
	s_or_b32 exec_lo, exec_lo, s66
	s_and_saveexec_b32 s66, s81
	s_cbranch_execz .LBB719_183
.LBB719_348:
	global_load_u8 v5, v[2:3], off offset:1664
	s_waitcnt vmcnt(0)
	v_and_b32_e32 v5, 1, v5
	s_delay_alu instid0(VALU_DEP_1) | instskip(NEXT) | instid1(VALU_DEP_1)
	v_cmp_eq_u32_e64 s0, 1, v5
	s_xor_b32 s2, s0, -1
	s_mov_b32 s0, s1
	s_and_saveexec_b32 s74, s2
; %bb.349:
	v_cmp_gt_f32_e64 s0, v4, v19
	s_delay_alu instid0(VALU_DEP_1) | instskip(NEXT) | instid1(SALU_CYCLE_1)
	s_and_b32 s0, s1, s0
	v_cndmask_b32_e64 v4, v19, v4, s0
	s_or_b32 s0, s1, exec_lo
; %bb.350:
	s_or_b32 exec_lo, exec_lo, s74
	s_delay_alu instid0(SALU_CYCLE_1) | instskip(SKIP_1) | instid1(SALU_CYCLE_1)
	s_and_not1_b32 s1, s1, exec_lo
	s_and_b32 s0, s0, exec_lo
	s_or_b32 s1, s1, s0
	s_or_b32 exec_lo, exec_lo, s66
	s_and_saveexec_b32 s66, s80
	s_cbranch_execz .LBB719_184
.LBB719_351:
	global_load_u8 v5, v[2:3], off offset:1696
	s_waitcnt vmcnt(0)
	v_and_b32_e32 v5, 1, v5
	s_delay_alu instid0(VALU_DEP_1) | instskip(NEXT) | instid1(VALU_DEP_1)
	v_cmp_eq_u32_e64 s0, 1, v5
	s_xor_b32 s2, s0, -1
	s_mov_b32 s0, s1
	s_and_saveexec_b32 s74, s2
; %bb.352:
	v_cmp_gt_f32_e64 s0, v4, v18
	s_delay_alu instid0(VALU_DEP_1) | instskip(NEXT) | instid1(SALU_CYCLE_1)
	s_and_b32 s0, s1, s0
	v_cndmask_b32_e64 v4, v18, v4, s0
	s_or_b32 s0, s1, exec_lo
; %bb.353:
	s_or_b32 exec_lo, exec_lo, s74
	s_delay_alu instid0(SALU_CYCLE_1) | instskip(SKIP_1) | instid1(SALU_CYCLE_1)
	s_and_not1_b32 s1, s1, exec_lo
	s_and_b32 s0, s0, exec_lo
	s_or_b32 s1, s1, s0
	s_or_b32 exec_lo, exec_lo, s66
	s_and_saveexec_b32 s66, s79
	s_cbranch_execz .LBB719_185
.LBB719_354:
	global_load_u8 v5, v[2:3], off offset:1728
	s_waitcnt vmcnt(0)
	v_and_b32_e32 v5, 1, v5
	s_delay_alu instid0(VALU_DEP_1) | instskip(NEXT) | instid1(VALU_DEP_1)
	v_cmp_eq_u32_e64 s0, 1, v5
	s_xor_b32 s2, s0, -1
	s_mov_b32 s0, s1
	s_and_saveexec_b32 s74, s2
; %bb.355:
	v_cmp_gt_f32_e64 s0, v4, v17
	s_delay_alu instid0(VALU_DEP_1) | instskip(NEXT) | instid1(SALU_CYCLE_1)
	s_and_b32 s0, s1, s0
	v_cndmask_b32_e64 v4, v17, v4, s0
	s_or_b32 s0, s1, exec_lo
; %bb.356:
	s_or_b32 exec_lo, exec_lo, s74
	s_delay_alu instid0(SALU_CYCLE_1) | instskip(SKIP_1) | instid1(SALU_CYCLE_1)
	s_and_not1_b32 s1, s1, exec_lo
	s_and_b32 s0, s0, exec_lo
	s_or_b32 s1, s1, s0
	s_or_b32 exec_lo, exec_lo, s66
	s_and_saveexec_b32 s66, s78
	s_cbranch_execz .LBB719_186
.LBB719_357:
	global_load_u8 v5, v[2:3], off offset:1760
	s_waitcnt vmcnt(0)
	v_and_b32_e32 v5, 1, v5
	s_delay_alu instid0(VALU_DEP_1) | instskip(NEXT) | instid1(VALU_DEP_1)
	v_cmp_eq_u32_e64 s0, 1, v5
	s_xor_b32 s2, s0, -1
	s_mov_b32 s0, s1
	s_and_saveexec_b32 s74, s2
; %bb.358:
	v_cmp_gt_f32_e64 s0, v4, v16
	s_delay_alu instid0(VALU_DEP_1) | instskip(NEXT) | instid1(SALU_CYCLE_1)
	s_and_b32 s0, s1, s0
	v_cndmask_b32_e64 v4, v16, v4, s0
	s_or_b32 s0, s1, exec_lo
; %bb.359:
	s_or_b32 exec_lo, exec_lo, s74
	s_delay_alu instid0(SALU_CYCLE_1) | instskip(SKIP_1) | instid1(SALU_CYCLE_1)
	s_and_not1_b32 s1, s1, exec_lo
	s_and_b32 s0, s0, exec_lo
	s_or_b32 s1, s1, s0
	s_or_b32 exec_lo, exec_lo, s66
	s_and_saveexec_b32 s66, s77
	s_cbranch_execz .LBB719_187
.LBB719_360:
	global_load_u8 v5, v[2:3], off offset:1792
	s_waitcnt vmcnt(0)
	v_and_b32_e32 v5, 1, v5
	s_delay_alu instid0(VALU_DEP_1) | instskip(NEXT) | instid1(VALU_DEP_1)
	v_cmp_eq_u32_e64 s0, 1, v5
	s_xor_b32 s2, s0, -1
	s_mov_b32 s0, s1
	s_and_saveexec_b32 s74, s2
; %bb.361:
	v_cmp_gt_f32_e64 s0, v4, v15
	s_delay_alu instid0(VALU_DEP_1) | instskip(NEXT) | instid1(SALU_CYCLE_1)
	s_and_b32 s0, s1, s0
	v_cndmask_b32_e64 v4, v15, v4, s0
	s_or_b32 s0, s1, exec_lo
; %bb.362:
	s_or_b32 exec_lo, exec_lo, s74
	s_delay_alu instid0(SALU_CYCLE_1) | instskip(SKIP_1) | instid1(SALU_CYCLE_1)
	s_and_not1_b32 s1, s1, exec_lo
	s_and_b32 s0, s0, exec_lo
	s_or_b32 s1, s1, s0
	s_or_b32 exec_lo, exec_lo, s66
	s_and_saveexec_b32 s66, s76
	s_cbranch_execz .LBB719_188
.LBB719_363:
	global_load_u8 v5, v[2:3], off offset:1824
	s_waitcnt vmcnt(0)
	v_and_b32_e32 v5, 1, v5
	s_delay_alu instid0(VALU_DEP_1) | instskip(NEXT) | instid1(VALU_DEP_1)
	v_cmp_eq_u32_e64 s0, 1, v5
	s_xor_b32 s2, s0, -1
	s_mov_b32 s0, s1
	s_and_saveexec_b32 s74, s2
; %bb.364:
	v_cmp_gt_f32_e64 s0, v4, v14
	s_delay_alu instid0(VALU_DEP_1) | instskip(NEXT) | instid1(SALU_CYCLE_1)
	s_and_b32 s0, s1, s0
	v_cndmask_b32_e64 v4, v14, v4, s0
	s_or_b32 s0, s1, exec_lo
; %bb.365:
	s_or_b32 exec_lo, exec_lo, s74
	s_delay_alu instid0(SALU_CYCLE_1) | instskip(SKIP_1) | instid1(SALU_CYCLE_1)
	s_and_not1_b32 s1, s1, exec_lo
	s_and_b32 s0, s0, exec_lo
	s_or_b32 s1, s1, s0
	s_or_b32 exec_lo, exec_lo, s66
	s_and_saveexec_b32 s66, s75
	s_cbranch_execz .LBB719_189
.LBB719_366:
	global_load_u8 v5, v[2:3], off offset:1856
	s_waitcnt vmcnt(0)
	v_and_b32_e32 v5, 1, v5
	s_delay_alu instid0(VALU_DEP_1) | instskip(NEXT) | instid1(VALU_DEP_1)
	v_cmp_eq_u32_e64 s0, 1, v5
	s_xor_b32 s2, s0, -1
	s_mov_b32 s0, s1
	s_and_saveexec_b32 s74, s2
; %bb.367:
	v_cmp_gt_f32_e64 s0, v4, v13
	s_delay_alu instid0(VALU_DEP_1) | instskip(NEXT) | instid1(SALU_CYCLE_1)
	s_and_b32 s0, s1, s0
	v_cndmask_b32_e64 v4, v13, v4, s0
	s_or_b32 s0, s1, exec_lo
; %bb.368:
	s_or_b32 exec_lo, exec_lo, s74
	s_delay_alu instid0(SALU_CYCLE_1) | instskip(SKIP_1) | instid1(SALU_CYCLE_1)
	s_and_not1_b32 s1, s1, exec_lo
	s_and_b32 s0, s0, exec_lo
	s_or_b32 s1, s1, s0
	s_or_b32 exec_lo, exec_lo, s66
	s_and_saveexec_b32 s66, s73
	s_cbranch_execz .LBB719_190
.LBB719_369:
	global_load_u8 v5, v[2:3], off offset:1888
	s_waitcnt vmcnt(0)
	v_and_b32_e32 v5, 1, v5
	s_delay_alu instid0(VALU_DEP_1) | instskip(NEXT) | instid1(VALU_DEP_1)
	v_cmp_eq_u32_e64 s0, 1, v5
	s_xor_b32 s2, s0, -1
	s_mov_b32 s0, s1
	s_and_saveexec_b32 s74, s2
; %bb.370:
	v_cmp_gt_f32_e64 s0, v4, v12
	s_delay_alu instid0(VALU_DEP_1) | instskip(NEXT) | instid1(SALU_CYCLE_1)
	s_and_b32 s0, s1, s0
	v_cndmask_b32_e64 v4, v12, v4, s0
	s_or_b32 s0, s1, exec_lo
; %bb.371:
	s_or_b32 exec_lo, exec_lo, s74
	s_delay_alu instid0(SALU_CYCLE_1) | instskip(SKIP_1) | instid1(SALU_CYCLE_1)
	s_and_not1_b32 s1, s1, exec_lo
	s_and_b32 s0, s0, exec_lo
	s_or_b32 s1, s1, s0
	s_or_b32 exec_lo, exec_lo, s66
	s_and_saveexec_b32 s66, s72
	s_cbranch_execz .LBB719_191
.LBB719_372:
	global_load_u8 v5, v[2:3], off offset:1920
	s_waitcnt vmcnt(0)
	v_and_b32_e32 v5, 1, v5
	s_delay_alu instid0(VALU_DEP_1) | instskip(NEXT) | instid1(VALU_DEP_1)
	v_cmp_eq_u32_e64 s0, 1, v5
	s_xor_b32 s2, s0, -1
	s_mov_b32 s0, s1
	s_and_saveexec_b32 s74, s2
; %bb.373:
	v_cmp_gt_f32_e64 s0, v4, v11
	s_delay_alu instid0(VALU_DEP_1) | instskip(NEXT) | instid1(SALU_CYCLE_1)
	s_and_b32 s0, s1, s0
	v_cndmask_b32_e64 v4, v11, v4, s0
	s_or_b32 s0, s1, exec_lo
; %bb.374:
	s_or_b32 exec_lo, exec_lo, s74
	s_delay_alu instid0(SALU_CYCLE_1) | instskip(SKIP_1) | instid1(SALU_CYCLE_1)
	s_and_not1_b32 s1, s1, exec_lo
	s_and_b32 s0, s0, exec_lo
	s_or_b32 s1, s1, s0
	s_or_b32 exec_lo, exec_lo, s66
	s_and_saveexec_b32 s66, s71
	s_cbranch_execz .LBB719_192
.LBB719_375:
	global_load_u8 v5, v[2:3], off offset:1952
	s_waitcnt vmcnt(0)
	v_and_b32_e32 v5, 1, v5
	s_delay_alu instid0(VALU_DEP_1) | instskip(NEXT) | instid1(VALU_DEP_1)
	v_cmp_eq_u32_e64 s0, 1, v5
	s_xor_b32 s2, s0, -1
	s_mov_b32 s0, s1
	s_and_saveexec_b32 s74, s2
; %bb.376:
	v_cmp_gt_f32_e64 s0, v4, v10
	s_delay_alu instid0(VALU_DEP_1) | instskip(NEXT) | instid1(SALU_CYCLE_1)
	s_and_b32 s0, s1, s0
	v_cndmask_b32_e64 v4, v10, v4, s0
	s_or_b32 s0, s1, exec_lo
; %bb.377:
	s_or_b32 exec_lo, exec_lo, s74
	s_delay_alu instid0(SALU_CYCLE_1) | instskip(SKIP_1) | instid1(SALU_CYCLE_1)
	s_and_not1_b32 s1, s1, exec_lo
	s_and_b32 s0, s0, exec_lo
	s_or_b32 s1, s1, s0
	s_or_b32 exec_lo, exec_lo, s66
	s_and_saveexec_b32 s66, s70
	s_cbranch_execz .LBB719_193
.LBB719_378:
	global_load_u8 v5, v[2:3], off offset:1984
	s_waitcnt vmcnt(0)
	v_and_b32_e32 v5, 1, v5
	s_delay_alu instid0(VALU_DEP_1) | instskip(NEXT) | instid1(VALU_DEP_1)
	v_cmp_eq_u32_e64 s0, 1, v5
	s_xor_b32 s2, s0, -1
	s_mov_b32 s0, s1
	s_and_saveexec_b32 s74, s2
; %bb.379:
	v_cmp_gt_f32_e64 s0, v4, v9
	s_delay_alu instid0(VALU_DEP_1) | instskip(NEXT) | instid1(SALU_CYCLE_1)
	s_and_b32 s0, s1, s0
	v_cndmask_b32_e64 v4, v9, v4, s0
	s_or_b32 s0, s1, exec_lo
; %bb.380:
	s_or_b32 exec_lo, exec_lo, s74
	s_delay_alu instid0(SALU_CYCLE_1) | instskip(SKIP_1) | instid1(SALU_CYCLE_1)
	s_and_not1_b32 s1, s1, exec_lo
	s_and_b32 s0, s0, exec_lo
	s_or_b32 s1, s1, s0
	s_or_b32 exec_lo, exec_lo, s66
	s_and_saveexec_b32 s66, s67
	s_cbranch_execz .LBB719_384
.LBB719_381:
	global_load_u8 v5, v[2:3], off offset:2016
	s_waitcnt vmcnt(0)
	v_and_b32_e32 v5, 1, v5
	s_delay_alu instid0(VALU_DEP_1) | instskip(NEXT) | instid1(VALU_DEP_1)
	v_cmp_eq_u32_e64 s0, 1, v5
	s_xor_b32 s2, s0, -1
	s_mov_b32 s0, s1
	s_and_saveexec_b32 s74, s2
; %bb.382:
	v_cmp_gt_f32_e64 s0, v4, v8
	s_delay_alu instid0(VALU_DEP_1) | instskip(NEXT) | instid1(SALU_CYCLE_1)
	s_and_b32 s0, s1, s0
	v_cndmask_b32_e64 v4, v8, v4, s0
	s_or_b32 s0, s1, exec_lo
; %bb.383:
	s_or_b32 exec_lo, exec_lo, s74
	s_delay_alu instid0(SALU_CYCLE_1) | instskip(SKIP_1) | instid1(SALU_CYCLE_1)
	s_and_not1_b32 s1, s1, exec_lo
	s_and_b32 s0, s0, exec_lo
	s_or_b32 s1, s1, s0
.LBB719_384:
	s_or_b32 exec_lo, exec_lo, s66
	v_mbcnt_lo_u32_b32 v74, -1, 0
	v_cndmask_b32_e64 v4, 0xff800000, v4, s1
	s_delay_alu instid0(VALU_DEP_2) | instskip(SKIP_1) | instid1(VALU_DEP_2)
	v_xor_b32_e32 v5, 16, v74
	v_xor_b32_e32 v6, 8, v74
	v_cmp_gt_i32_e64 s0, 32, v5
	s_delay_alu instid0(VALU_DEP_1) | instskip(NEXT) | instid1(VALU_DEP_3)
	v_cndmask_b32_e64 v5, v74, v5, s0
	v_cmp_gt_i32_e64 s0, 32, v6
	s_delay_alu instid0(VALU_DEP_2) | instskip(NEXT) | instid1(VALU_DEP_2)
	v_lshlrev_b32_e32 v5, 2, v5
	v_cndmask_b32_e64 v6, v74, v6, s0
	ds_bpermute_b32 v72, v5, v4
	v_lshlrev_b32_e32 v6, 2, v6
	s_waitcnt lgkmcnt(0)
	v_cmp_lt_f32_e64 s0, v4, v72
	s_delay_alu instid0(VALU_DEP_1) | instskip(SKIP_3) | instid1(VALU_DEP_1)
	v_cndmask_b32_e64 v4, v4, v72, s0
	v_xor_b32_e32 v72, 4, v74
	ds_bpermute_b32 v73, v6, v4
	v_cmp_gt_i32_e64 s0, 32, v72
	v_cndmask_b32_e64 v72, v74, v72, s0
	s_delay_alu instid0(VALU_DEP_1) | instskip(SKIP_2) | instid1(VALU_DEP_1)
	v_lshlrev_b32_e32 v72, 2, v72
	s_waitcnt lgkmcnt(0)
	v_cmp_lt_f32_e64 s0, v4, v73
	v_cndmask_b32_e64 v4, v4, v73, s0
	v_xor_b32_e32 v73, 2, v74
	ds_bpermute_b32 v75, v72, v4
	v_cmp_gt_i32_e64 s0, 32, v73
	s_delay_alu instid0(VALU_DEP_1) | instskip(NEXT) | instid1(VALU_DEP_1)
	v_cndmask_b32_e64 v73, v74, v73, s0
	v_lshlrev_b32_e32 v73, 2, v73
	s_waitcnt lgkmcnt(0)
	v_cmp_lt_f32_e64 s0, v4, v75
	s_delay_alu instid0(VALU_DEP_1) | instskip(SKIP_3) | instid1(VALU_DEP_1)
	v_cndmask_b32_e64 v4, v4, v75, s0
	v_xor_b32_e32 v75, 1, v74
	ds_bpermute_b32 v76, v73, v4
	v_cmp_gt_i32_e64 s0, 32, v75
	v_cndmask_b32_e64 v74, v74, v75, s0
	s_delay_alu instid0(VALU_DEP_1) | instskip(SKIP_2) | instid1(VALU_DEP_1)
	v_lshlrev_b32_e32 v75, 2, v74
	s_waitcnt lgkmcnt(0)
	v_cmp_lt_f32_e64 s0, v4, v76
	v_cndmask_b32_e64 v74, v4, v76, s0
	v_mov_b32_e32 v4, 0
	ds_bpermute_b32 v76, v75, v74
	s_waitcnt lgkmcnt(0)
	v_cmp_lt_f32_e64 s0, v74, v76
	s_delay_alu instid0(VALU_DEP_1)
	v_cndmask_b32_e64 v76, v74, v76, s0
	v_mov_b32_e32 v74, 0
	s_and_saveexec_b32 s1, s28
	s_cbranch_execz .LBB719_388
; %bb.385:
	global_load_u8 v74, v[2:3], off
	s_waitcnt vmcnt(0)
	v_and_b32_e32 v74, 1, v74
	s_delay_alu instid0(VALU_DEP_1) | instskip(SKIP_1) | instid1(VALU_DEP_2)
	v_cmp_eq_u32_e64 s0, 1, v74
	v_mov_b32_e32 v74, 0
	s_xor_b32 s0, s0, -1
	s_delay_alu instid0(SALU_CYCLE_1)
	s_and_saveexec_b32 s28, s0
	s_cbranch_execz .LBB719_387
; %bb.386:
	v_sub_f32_e32 v71, v71, v76
	s_delay_alu instid0(VALU_DEP_1) | instskip(NEXT) | instid1(VALU_DEP_1)
	v_mul_f32_e32 v74, 0x3fb8aa3b, v71
	v_fma_f32 v77, 0x3fb8aa3b, v71, -v74
	v_rndne_f32_e32 v78, v74
	s_delay_alu instid0(VALU_DEP_1) | instskip(SKIP_1) | instid1(VALU_DEP_2)
	v_dual_sub_f32 v74, v74, v78 :: v_dual_fmamk_f32 v77, v71, 0x32a5705f, v77
	v_cmp_ngt_f32_e64 s0, 0xc2ce8ed0, v71
	v_add_f32_e32 v74, v74, v77
	v_cvt_i32_f32_e32 v77, v78
	s_delay_alu instid0(VALU_DEP_2) | instskip(SKIP_2) | instid1(VALU_DEP_1)
	v_exp_f32_e32 v74, v74
	s_waitcnt_depctr 0xfff
	v_ldexp_f32 v74, v74, v77
	v_cndmask_b32_e64 v74, 0, v74, s0
	v_cmp_nlt_f32_e64 s0, 0x42b17218, v71
	s_delay_alu instid0(VALU_DEP_1)
	v_cndmask_b32_e64 v74, 0x7f800000, v74, s0
.LBB719_387:
	s_or_b32 exec_lo, exec_lo, s28
.LBB719_388:
	s_delay_alu instid0(SALU_CYCLE_1) | instskip(NEXT) | instid1(VALU_DEP_1)
	s_or_b32 exec_lo, exec_lo, s1
	v_mov_b32_e32 v77, v74
	s_and_saveexec_b32 s1, s27
	s_cbranch_execz .LBB719_392
; %bb.389:
	global_load_u8 v4, v[2:3], off offset:32
	s_waitcnt vmcnt(0)
	v_dual_mov_b32 v77, v74 :: v_dual_and_b32 v4, 1, v4
	s_delay_alu instid0(VALU_DEP_1) | instskip(SKIP_1) | instid1(VALU_DEP_2)
	v_cmp_eq_u32_e64 s0, 1, v4
	v_mov_b32_e32 v4, 0
	s_xor_b32 s0, s0, -1
	s_delay_alu instid0(SALU_CYCLE_1)
	s_and_saveexec_b32 s27, s0
	s_cbranch_execz .LBB719_391
; %bb.390:
	v_sub_f32_e32 v4, v70, v76
	s_delay_alu instid0(VALU_DEP_1) | instskip(SKIP_1) | instid1(VALU_DEP_2)
	v_mul_f32_e32 v70, 0x3fb8aa3b, v4
	v_cmp_ngt_f32_e64 s0, 0xc2ce8ed0, v4
	v_fma_f32 v71, 0x3fb8aa3b, v4, -v70
	v_rndne_f32_e32 v77, v70
	s_delay_alu instid0(VALU_DEP_1) | instskip(NEXT) | instid1(VALU_DEP_1)
	v_dual_fmamk_f32 v71, v4, 0x32a5705f, v71 :: v_dual_sub_f32 v70, v70, v77
	v_add_f32_e32 v70, v70, v71
	v_cvt_i32_f32_e32 v71, v77
	s_delay_alu instid0(VALU_DEP_2) | instskip(SKIP_2) | instid1(VALU_DEP_1)
	v_exp_f32_e32 v70, v70
	s_waitcnt_depctr 0xfff
	v_ldexp_f32 v70, v70, v71
	v_cndmask_b32_e64 v70, 0, v70, s0
	v_cmp_nlt_f32_e64 s0, 0x42b17218, v4
	s_delay_alu instid0(VALU_DEP_1) | instskip(NEXT) | instid1(VALU_DEP_1)
	v_cndmask_b32_e64 v4, 0x7f800000, v70, s0
	v_add_f32_e32 v77, v74, v4
.LBB719_391:
	s_or_b32 exec_lo, exec_lo, s27
.LBB719_392:
	s_delay_alu instid0(SALU_CYCLE_1)
	s_or_b32 exec_lo, exec_lo, s1
	v_dual_mov_b32 v70, 0 :: v_dual_mov_b32 v71, 0
	s_and_saveexec_b32 s1, s26
	s_cbranch_execz .LBB719_396
; %bb.393:
	global_load_u8 v71, v[2:3], off offset:64
	s_waitcnt vmcnt(0)
	v_and_b32_e32 v71, 1, v71
	s_delay_alu instid0(VALU_DEP_1) | instskip(SKIP_1) | instid1(VALU_DEP_2)
	v_cmp_eq_u32_e64 s0, 1, v71
	v_mov_b32_e32 v71, 0
	s_xor_b32 s0, s0, -1
	s_delay_alu instid0(SALU_CYCLE_1)
	s_and_saveexec_b32 s26, s0
	s_cbranch_execz .LBB719_395
; %bb.394:
	v_sub_f32_e32 v69, v69, v76
	s_delay_alu instid0(VALU_DEP_1) | instskip(SKIP_1) | instid1(VALU_DEP_2)
	v_mul_f32_e32 v71, 0x3fb8aa3b, v69
	v_cmp_ngt_f32_e64 s0, 0xc2ce8ed0, v69
	v_fma_f32 v78, 0x3fb8aa3b, v69, -v71
	v_rndne_f32_e32 v79, v71
	s_delay_alu instid0(VALU_DEP_1) | instskip(NEXT) | instid1(VALU_DEP_1)
	v_dual_fmamk_f32 v78, v69, 0x32a5705f, v78 :: v_dual_sub_f32 v71, v71, v79
	v_add_f32_e32 v71, v71, v78
	v_cvt_i32_f32_e32 v78, v79
	s_delay_alu instid0(VALU_DEP_2) | instskip(SKIP_2) | instid1(VALU_DEP_1)
	v_exp_f32_e32 v71, v71
	s_waitcnt_depctr 0xfff
	v_ldexp_f32 v71, v71, v78
	v_cndmask_b32_e64 v71, 0, v71, s0
	v_cmp_nlt_f32_e64 s0, 0x42b17218, v69
	s_delay_alu instid0(VALU_DEP_1) | instskip(NEXT) | instid1(VALU_DEP_1)
	v_cndmask_b32_e64 v71, 0x7f800000, v71, s0
	v_add_f32_e32 v77, v77, v71
.LBB719_395:
	s_or_b32 exec_lo, exec_lo, s26
.LBB719_396:
	s_delay_alu instid0(SALU_CYCLE_1)
	s_or_b32 exec_lo, exec_lo, s1
	s_and_saveexec_b32 s1, s25
	s_cbranch_execz .LBB719_400
; %bb.397:
	global_load_u8 v69, v[2:3], off offset:96
	s_waitcnt vmcnt(0)
	v_dual_mov_b32 v70, 0 :: v_dual_and_b32 v69, 1, v69
	s_delay_alu instid0(VALU_DEP_1) | instskip(NEXT) | instid1(VALU_DEP_1)
	v_cmp_eq_u32_e64 s0, 1, v69
	s_xor_b32 s0, s0, -1
	s_delay_alu instid0(SALU_CYCLE_1)
	s_and_saveexec_b32 s25, s0
	s_cbranch_execz .LBB719_399
; %bb.398:
	v_sub_f32_e32 v68, v68, v76
	s_delay_alu instid0(VALU_DEP_1) | instskip(NEXT) | instid1(VALU_DEP_1)
	v_mul_f32_e32 v69, 0x3fb8aa3b, v68
	v_fma_f32 v70, 0x3fb8aa3b, v68, -v69
	v_rndne_f32_e32 v78, v69
	s_delay_alu instid0(VALU_DEP_1) | instskip(SKIP_1) | instid1(VALU_DEP_2)
	v_dual_sub_f32 v69, v69, v78 :: v_dual_fmamk_f32 v70, v68, 0x32a5705f, v70
	v_cmp_ngt_f32_e64 s0, 0xc2ce8ed0, v68
	v_add_f32_e32 v69, v69, v70
	v_cvt_i32_f32_e32 v70, v78
	s_delay_alu instid0(VALU_DEP_2) | instskip(SKIP_2) | instid1(VALU_DEP_1)
	v_exp_f32_e32 v69, v69
	s_waitcnt_depctr 0xfff
	v_ldexp_f32 v69, v69, v70
	v_cndmask_b32_e64 v69, 0, v69, s0
	v_cmp_nlt_f32_e64 s0, 0x42b17218, v68
	s_delay_alu instid0(VALU_DEP_1) | instskip(NEXT) | instid1(VALU_DEP_1)
	v_cndmask_b32_e64 v70, 0x7f800000, v69, s0
	v_add_f32_e32 v77, v77, v70
.LBB719_399:
	s_or_b32 exec_lo, exec_lo, s25
.LBB719_400:
	s_delay_alu instid0(SALU_CYCLE_1)
	s_or_b32 exec_lo, exec_lo, s1
	v_dual_mov_b32 v68, 0 :: v_dual_mov_b32 v69, 0
	s_and_saveexec_b32 s1, s24
	s_cbranch_execz .LBB719_404
; %bb.401:
	global_load_u8 v69, v[2:3], off offset:128
	s_waitcnt vmcnt(0)
	v_and_b32_e32 v69, 1, v69
	s_delay_alu instid0(VALU_DEP_1) | instskip(SKIP_1) | instid1(VALU_DEP_2)
	v_cmp_eq_u32_e64 s0, 1, v69
	v_mov_b32_e32 v69, 0
	s_xor_b32 s0, s0, -1
	s_delay_alu instid0(SALU_CYCLE_1)
	s_and_saveexec_b32 s24, s0
	s_cbranch_execz .LBB719_403
; %bb.402:
	v_sub_f32_e32 v67, v67, v76
	s_delay_alu instid0(VALU_DEP_1) | instskip(SKIP_1) | instid1(VALU_DEP_2)
	v_mul_f32_e32 v69, 0x3fb8aa3b, v67
	v_cmp_ngt_f32_e64 s0, 0xc2ce8ed0, v67
	v_fma_f32 v78, 0x3fb8aa3b, v67, -v69
	v_rndne_f32_e32 v79, v69
	s_delay_alu instid0(VALU_DEP_1) | instskip(NEXT) | instid1(VALU_DEP_1)
	v_dual_fmamk_f32 v78, v67, 0x32a5705f, v78 :: v_dual_sub_f32 v69, v69, v79
	v_add_f32_e32 v69, v69, v78
	v_cvt_i32_f32_e32 v78, v79
	s_delay_alu instid0(VALU_DEP_2) | instskip(SKIP_2) | instid1(VALU_DEP_1)
	v_exp_f32_e32 v69, v69
	s_waitcnt_depctr 0xfff
	v_ldexp_f32 v69, v69, v78
	v_cndmask_b32_e64 v69, 0, v69, s0
	v_cmp_nlt_f32_e64 s0, 0x42b17218, v67
	s_delay_alu instid0(VALU_DEP_1) | instskip(NEXT) | instid1(VALU_DEP_1)
	v_cndmask_b32_e64 v69, 0x7f800000, v69, s0
	v_add_f32_e32 v77, v77, v69
.LBB719_403:
	s_or_b32 exec_lo, exec_lo, s24
.LBB719_404:
	s_delay_alu instid0(SALU_CYCLE_1)
	s_or_b32 exec_lo, exec_lo, s1
	s_and_saveexec_b32 s1, s23
	s_cbranch_execz .LBB719_408
; %bb.405:
	global_load_u8 v67, v[2:3], off offset:160
	s_waitcnt vmcnt(0)
	v_dual_mov_b32 v68, 0 :: v_dual_and_b32 v67, 1, v67
	s_delay_alu instid0(VALU_DEP_1) | instskip(NEXT) | instid1(VALU_DEP_1)
	v_cmp_eq_u32_e64 s0, 1, v67
	s_xor_b32 s0, s0, -1
	s_delay_alu instid0(SALU_CYCLE_1)
	s_and_saveexec_b32 s23, s0
	s_cbranch_execz .LBB719_407
; %bb.406:
	v_sub_f32_e32 v66, v66, v76
	s_delay_alu instid0(VALU_DEP_1) | instskip(NEXT) | instid1(VALU_DEP_1)
	v_mul_f32_e32 v67, 0x3fb8aa3b, v66
	v_fma_f32 v68, 0x3fb8aa3b, v66, -v67
	v_rndne_f32_e32 v78, v67
	s_delay_alu instid0(VALU_DEP_1) | instskip(SKIP_1) | instid1(VALU_DEP_2)
	v_dual_sub_f32 v67, v67, v78 :: v_dual_fmamk_f32 v68, v66, 0x32a5705f, v68
	v_cmp_ngt_f32_e64 s0, 0xc2ce8ed0, v66
	v_add_f32_e32 v67, v67, v68
	v_cvt_i32_f32_e32 v68, v78
	s_delay_alu instid0(VALU_DEP_2) | instskip(SKIP_2) | instid1(VALU_DEP_1)
	v_exp_f32_e32 v67, v67
	s_waitcnt_depctr 0xfff
	v_ldexp_f32 v67, v67, v68
	v_cndmask_b32_e64 v67, 0, v67, s0
	v_cmp_nlt_f32_e64 s0, 0x42b17218, v66
	s_delay_alu instid0(VALU_DEP_1) | instskip(NEXT) | instid1(VALU_DEP_1)
	v_cndmask_b32_e64 v68, 0x7f800000, v67, s0
	v_add_f32_e32 v77, v77, v68
.LBB719_407:
	s_or_b32 exec_lo, exec_lo, s23
.LBB719_408:
	s_delay_alu instid0(SALU_CYCLE_1)
	s_or_b32 exec_lo, exec_lo, s1
	v_dual_mov_b32 v66, 0 :: v_dual_mov_b32 v67, 0
	s_and_saveexec_b32 s1, s22
	s_cbranch_execz .LBB719_412
; %bb.409:
	global_load_u8 v67, v[2:3], off offset:192
	s_waitcnt vmcnt(0)
	v_and_b32_e32 v67, 1, v67
	s_delay_alu instid0(VALU_DEP_1) | instskip(SKIP_1) | instid1(VALU_DEP_2)
	v_cmp_eq_u32_e64 s0, 1, v67
	v_mov_b32_e32 v67, 0
	s_xor_b32 s0, s0, -1
	s_delay_alu instid0(SALU_CYCLE_1)
	s_and_saveexec_b32 s22, s0
	s_cbranch_execz .LBB719_411
; %bb.410:
	v_sub_f32_e32 v65, v65, v76
	s_delay_alu instid0(VALU_DEP_1) | instskip(SKIP_1) | instid1(VALU_DEP_2)
	v_mul_f32_e32 v67, 0x3fb8aa3b, v65
	v_cmp_ngt_f32_e64 s0, 0xc2ce8ed0, v65
	v_fma_f32 v78, 0x3fb8aa3b, v65, -v67
	v_rndne_f32_e32 v79, v67
	s_delay_alu instid0(VALU_DEP_1) | instskip(NEXT) | instid1(VALU_DEP_1)
	v_dual_fmamk_f32 v78, v65, 0x32a5705f, v78 :: v_dual_sub_f32 v67, v67, v79
	v_add_f32_e32 v67, v67, v78
	v_cvt_i32_f32_e32 v78, v79
	s_delay_alu instid0(VALU_DEP_2) | instskip(SKIP_2) | instid1(VALU_DEP_1)
	v_exp_f32_e32 v67, v67
	s_waitcnt_depctr 0xfff
	v_ldexp_f32 v67, v67, v78
	v_cndmask_b32_e64 v67, 0, v67, s0
	v_cmp_nlt_f32_e64 s0, 0x42b17218, v65
	s_delay_alu instid0(VALU_DEP_1) | instskip(NEXT) | instid1(VALU_DEP_1)
	v_cndmask_b32_e64 v67, 0x7f800000, v67, s0
	v_add_f32_e32 v77, v77, v67
.LBB719_411:
	s_or_b32 exec_lo, exec_lo, s22
.LBB719_412:
	s_delay_alu instid0(SALU_CYCLE_1)
	s_or_b32 exec_lo, exec_lo, s1
	s_and_saveexec_b32 s1, s21
	s_cbranch_execz .LBB719_416
; %bb.413:
	global_load_u8 v65, v[2:3], off offset:224
	s_waitcnt vmcnt(0)
	v_dual_mov_b32 v66, 0 :: v_dual_and_b32 v65, 1, v65
	s_delay_alu instid0(VALU_DEP_1) | instskip(NEXT) | instid1(VALU_DEP_1)
	v_cmp_eq_u32_e64 s0, 1, v65
	s_xor_b32 s0, s0, -1
	s_delay_alu instid0(SALU_CYCLE_1)
	s_and_saveexec_b32 s21, s0
	s_cbranch_execz .LBB719_415
; %bb.414:
	v_sub_f32_e32 v64, v64, v76
	s_delay_alu instid0(VALU_DEP_1) | instskip(NEXT) | instid1(VALU_DEP_1)
	v_mul_f32_e32 v65, 0x3fb8aa3b, v64
	v_fma_f32 v66, 0x3fb8aa3b, v64, -v65
	v_rndne_f32_e32 v78, v65
	s_delay_alu instid0(VALU_DEP_1) | instskip(SKIP_1) | instid1(VALU_DEP_2)
	v_dual_sub_f32 v65, v65, v78 :: v_dual_fmamk_f32 v66, v64, 0x32a5705f, v66
	v_cmp_ngt_f32_e64 s0, 0xc2ce8ed0, v64
	v_add_f32_e32 v65, v65, v66
	v_cvt_i32_f32_e32 v66, v78
	s_delay_alu instid0(VALU_DEP_2) | instskip(SKIP_2) | instid1(VALU_DEP_1)
	v_exp_f32_e32 v65, v65
	s_waitcnt_depctr 0xfff
	v_ldexp_f32 v65, v65, v66
	v_cndmask_b32_e64 v65, 0, v65, s0
	v_cmp_nlt_f32_e64 s0, 0x42b17218, v64
	s_delay_alu instid0(VALU_DEP_1) | instskip(NEXT) | instid1(VALU_DEP_1)
	v_cndmask_b32_e64 v66, 0x7f800000, v65, s0
	v_add_f32_e32 v77, v77, v66
.LBB719_415:
	s_or_b32 exec_lo, exec_lo, s21
.LBB719_416:
	s_delay_alu instid0(SALU_CYCLE_1)
	s_or_b32 exec_lo, exec_lo, s1
	v_dual_mov_b32 v64, 0 :: v_dual_mov_b32 v65, 0
	s_and_saveexec_b32 s1, s20
	s_cbranch_execz .LBB719_420
; %bb.417:
	global_load_u8 v65, v[2:3], off offset:256
	s_waitcnt vmcnt(0)
	v_and_b32_e32 v65, 1, v65
	s_delay_alu instid0(VALU_DEP_1) | instskip(SKIP_1) | instid1(VALU_DEP_2)
	v_cmp_eq_u32_e64 s0, 1, v65
	v_mov_b32_e32 v65, 0
	s_xor_b32 s0, s0, -1
	s_delay_alu instid0(SALU_CYCLE_1)
	s_and_saveexec_b32 s20, s0
	s_cbranch_execz .LBB719_419
; %bb.418:
	v_sub_f32_e32 v63, v63, v76
	s_delay_alu instid0(VALU_DEP_1) | instskip(SKIP_1) | instid1(VALU_DEP_2)
	v_mul_f32_e32 v65, 0x3fb8aa3b, v63
	v_cmp_ngt_f32_e64 s0, 0xc2ce8ed0, v63
	v_fma_f32 v78, 0x3fb8aa3b, v63, -v65
	v_rndne_f32_e32 v79, v65
	s_delay_alu instid0(VALU_DEP_1) | instskip(NEXT) | instid1(VALU_DEP_1)
	v_dual_fmamk_f32 v78, v63, 0x32a5705f, v78 :: v_dual_sub_f32 v65, v65, v79
	v_add_f32_e32 v65, v65, v78
	v_cvt_i32_f32_e32 v78, v79
	s_delay_alu instid0(VALU_DEP_2) | instskip(SKIP_2) | instid1(VALU_DEP_1)
	v_exp_f32_e32 v65, v65
	s_waitcnt_depctr 0xfff
	v_ldexp_f32 v65, v65, v78
	v_cndmask_b32_e64 v65, 0, v65, s0
	v_cmp_nlt_f32_e64 s0, 0x42b17218, v63
	s_delay_alu instid0(VALU_DEP_1) | instskip(NEXT) | instid1(VALU_DEP_1)
	v_cndmask_b32_e64 v65, 0x7f800000, v65, s0
	v_add_f32_e32 v77, v77, v65
.LBB719_419:
	s_or_b32 exec_lo, exec_lo, s20
.LBB719_420:
	s_delay_alu instid0(SALU_CYCLE_1)
	s_or_b32 exec_lo, exec_lo, s1
	s_and_saveexec_b32 s1, s19
	s_cbranch_execz .LBB719_424
; %bb.421:
	global_load_u8 v63, v[2:3], off offset:288
	s_waitcnt vmcnt(0)
	v_dual_mov_b32 v64, 0 :: v_dual_and_b32 v63, 1, v63
	s_delay_alu instid0(VALU_DEP_1) | instskip(NEXT) | instid1(VALU_DEP_1)
	v_cmp_eq_u32_e64 s0, 1, v63
	s_xor_b32 s0, s0, -1
	s_delay_alu instid0(SALU_CYCLE_1)
	s_and_saveexec_b32 s19, s0
	s_cbranch_execz .LBB719_423
; %bb.422:
	v_sub_f32_e32 v62, v62, v76
	s_delay_alu instid0(VALU_DEP_1) | instskip(NEXT) | instid1(VALU_DEP_1)
	v_mul_f32_e32 v63, 0x3fb8aa3b, v62
	v_fma_f32 v64, 0x3fb8aa3b, v62, -v63
	v_rndne_f32_e32 v78, v63
	s_delay_alu instid0(VALU_DEP_1) | instskip(SKIP_1) | instid1(VALU_DEP_2)
	v_dual_sub_f32 v63, v63, v78 :: v_dual_fmamk_f32 v64, v62, 0x32a5705f, v64
	v_cmp_ngt_f32_e64 s0, 0xc2ce8ed0, v62
	v_add_f32_e32 v63, v63, v64
	v_cvt_i32_f32_e32 v64, v78
	s_delay_alu instid0(VALU_DEP_2) | instskip(SKIP_2) | instid1(VALU_DEP_1)
	v_exp_f32_e32 v63, v63
	s_waitcnt_depctr 0xfff
	v_ldexp_f32 v63, v63, v64
	v_cndmask_b32_e64 v63, 0, v63, s0
	v_cmp_nlt_f32_e64 s0, 0x42b17218, v62
	s_delay_alu instid0(VALU_DEP_1) | instskip(NEXT) | instid1(VALU_DEP_1)
	v_cndmask_b32_e64 v64, 0x7f800000, v63, s0
	v_add_f32_e32 v77, v77, v64
.LBB719_423:
	s_or_b32 exec_lo, exec_lo, s19
.LBB719_424:
	s_delay_alu instid0(SALU_CYCLE_1)
	s_or_b32 exec_lo, exec_lo, s1
	v_dual_mov_b32 v62, 0 :: v_dual_mov_b32 v63, 0
	s_and_saveexec_b32 s1, s18
	s_cbranch_execz .LBB719_428
; %bb.425:
	global_load_u8 v63, v[2:3], off offset:320
	s_waitcnt vmcnt(0)
	v_and_b32_e32 v63, 1, v63
	s_delay_alu instid0(VALU_DEP_1) | instskip(SKIP_1) | instid1(VALU_DEP_2)
	v_cmp_eq_u32_e64 s0, 1, v63
	v_mov_b32_e32 v63, 0
	s_xor_b32 s0, s0, -1
	s_delay_alu instid0(SALU_CYCLE_1)
	s_and_saveexec_b32 s18, s0
	s_cbranch_execz .LBB719_427
; %bb.426:
	v_sub_f32_e32 v61, v61, v76
	s_delay_alu instid0(VALU_DEP_1) | instskip(SKIP_1) | instid1(VALU_DEP_2)
	v_mul_f32_e32 v63, 0x3fb8aa3b, v61
	v_cmp_ngt_f32_e64 s0, 0xc2ce8ed0, v61
	v_fma_f32 v78, 0x3fb8aa3b, v61, -v63
	v_rndne_f32_e32 v79, v63
	s_delay_alu instid0(VALU_DEP_1) | instskip(NEXT) | instid1(VALU_DEP_1)
	v_dual_fmamk_f32 v78, v61, 0x32a5705f, v78 :: v_dual_sub_f32 v63, v63, v79
	v_add_f32_e32 v63, v63, v78
	v_cvt_i32_f32_e32 v78, v79
	s_delay_alu instid0(VALU_DEP_2) | instskip(SKIP_2) | instid1(VALU_DEP_1)
	v_exp_f32_e32 v63, v63
	s_waitcnt_depctr 0xfff
	v_ldexp_f32 v63, v63, v78
	v_cndmask_b32_e64 v63, 0, v63, s0
	v_cmp_nlt_f32_e64 s0, 0x42b17218, v61
	s_delay_alu instid0(VALU_DEP_1) | instskip(NEXT) | instid1(VALU_DEP_1)
	v_cndmask_b32_e64 v63, 0x7f800000, v63, s0
	v_add_f32_e32 v77, v77, v63
.LBB719_427:
	s_or_b32 exec_lo, exec_lo, s18
.LBB719_428:
	s_delay_alu instid0(SALU_CYCLE_1)
	s_or_b32 exec_lo, exec_lo, s1
	s_and_saveexec_b32 s1, s17
	s_cbranch_execz .LBB719_432
; %bb.429:
	global_load_u8 v61, v[2:3], off offset:352
	s_waitcnt vmcnt(0)
	v_dual_mov_b32 v62, 0 :: v_dual_and_b32 v61, 1, v61
	s_delay_alu instid0(VALU_DEP_1) | instskip(NEXT) | instid1(VALU_DEP_1)
	v_cmp_eq_u32_e64 s0, 1, v61
	s_xor_b32 s0, s0, -1
	s_delay_alu instid0(SALU_CYCLE_1)
	s_and_saveexec_b32 s17, s0
	s_cbranch_execz .LBB719_431
; %bb.430:
	v_sub_f32_e32 v60, v60, v76
	s_delay_alu instid0(VALU_DEP_1) | instskip(NEXT) | instid1(VALU_DEP_1)
	v_mul_f32_e32 v61, 0x3fb8aa3b, v60
	v_fma_f32 v62, 0x3fb8aa3b, v60, -v61
	v_rndne_f32_e32 v78, v61
	s_delay_alu instid0(VALU_DEP_1) | instskip(SKIP_1) | instid1(VALU_DEP_2)
	v_dual_sub_f32 v61, v61, v78 :: v_dual_fmamk_f32 v62, v60, 0x32a5705f, v62
	v_cmp_ngt_f32_e64 s0, 0xc2ce8ed0, v60
	v_add_f32_e32 v61, v61, v62
	v_cvt_i32_f32_e32 v62, v78
	s_delay_alu instid0(VALU_DEP_2) | instskip(SKIP_2) | instid1(VALU_DEP_1)
	v_exp_f32_e32 v61, v61
	s_waitcnt_depctr 0xfff
	v_ldexp_f32 v61, v61, v62
	v_cndmask_b32_e64 v61, 0, v61, s0
	v_cmp_nlt_f32_e64 s0, 0x42b17218, v60
	s_delay_alu instid0(VALU_DEP_1) | instskip(NEXT) | instid1(VALU_DEP_1)
	v_cndmask_b32_e64 v62, 0x7f800000, v61, s0
	v_add_f32_e32 v77, v77, v62
.LBB719_431:
	s_or_b32 exec_lo, exec_lo, s17
.LBB719_432:
	s_delay_alu instid0(SALU_CYCLE_1)
	s_or_b32 exec_lo, exec_lo, s1
	v_dual_mov_b32 v60, 0 :: v_dual_mov_b32 v61, 0
	s_and_saveexec_b32 s1, s16
	s_cbranch_execz .LBB719_436
; %bb.433:
	global_load_u8 v61, v[2:3], off offset:384
	s_waitcnt vmcnt(0)
	v_and_b32_e32 v61, 1, v61
	s_delay_alu instid0(VALU_DEP_1) | instskip(SKIP_1) | instid1(VALU_DEP_2)
	v_cmp_eq_u32_e64 s0, 1, v61
	v_mov_b32_e32 v61, 0
	s_xor_b32 s0, s0, -1
	s_delay_alu instid0(SALU_CYCLE_1)
	s_and_saveexec_b32 s16, s0
	s_cbranch_execz .LBB719_435
; %bb.434:
	v_sub_f32_e32 v59, v59, v76
	s_delay_alu instid0(VALU_DEP_1) | instskip(SKIP_1) | instid1(VALU_DEP_2)
	v_mul_f32_e32 v61, 0x3fb8aa3b, v59
	v_cmp_ngt_f32_e64 s0, 0xc2ce8ed0, v59
	v_fma_f32 v78, 0x3fb8aa3b, v59, -v61
	v_rndne_f32_e32 v79, v61
	s_delay_alu instid0(VALU_DEP_1) | instskip(NEXT) | instid1(VALU_DEP_1)
	v_dual_fmamk_f32 v78, v59, 0x32a5705f, v78 :: v_dual_sub_f32 v61, v61, v79
	v_add_f32_e32 v61, v61, v78
	v_cvt_i32_f32_e32 v78, v79
	s_delay_alu instid0(VALU_DEP_2) | instskip(SKIP_2) | instid1(VALU_DEP_1)
	v_exp_f32_e32 v61, v61
	s_waitcnt_depctr 0xfff
	v_ldexp_f32 v61, v61, v78
	v_cndmask_b32_e64 v61, 0, v61, s0
	v_cmp_nlt_f32_e64 s0, 0x42b17218, v59
	s_delay_alu instid0(VALU_DEP_1) | instskip(NEXT) | instid1(VALU_DEP_1)
	v_cndmask_b32_e64 v61, 0x7f800000, v61, s0
	v_add_f32_e32 v77, v77, v61
.LBB719_435:
	s_or_b32 exec_lo, exec_lo, s16
.LBB719_436:
	s_delay_alu instid0(SALU_CYCLE_1)
	s_or_b32 exec_lo, exec_lo, s1
	s_and_saveexec_b32 s1, s15
	s_cbranch_execz .LBB719_440
; %bb.437:
	global_load_u8 v59, v[2:3], off offset:416
	s_waitcnt vmcnt(0)
	v_dual_mov_b32 v60, 0 :: v_dual_and_b32 v59, 1, v59
	s_delay_alu instid0(VALU_DEP_1) | instskip(NEXT) | instid1(VALU_DEP_1)
	v_cmp_eq_u32_e64 s0, 1, v59
	s_xor_b32 s0, s0, -1
	s_delay_alu instid0(SALU_CYCLE_1)
	s_and_saveexec_b32 s15, s0
	s_cbranch_execz .LBB719_439
; %bb.438:
	v_sub_f32_e32 v58, v58, v76
	s_delay_alu instid0(VALU_DEP_1) | instskip(NEXT) | instid1(VALU_DEP_1)
	v_mul_f32_e32 v59, 0x3fb8aa3b, v58
	v_fma_f32 v60, 0x3fb8aa3b, v58, -v59
	v_rndne_f32_e32 v78, v59
	s_delay_alu instid0(VALU_DEP_1) | instskip(SKIP_1) | instid1(VALU_DEP_2)
	v_dual_sub_f32 v59, v59, v78 :: v_dual_fmamk_f32 v60, v58, 0x32a5705f, v60
	v_cmp_ngt_f32_e64 s0, 0xc2ce8ed0, v58
	v_add_f32_e32 v59, v59, v60
	v_cvt_i32_f32_e32 v60, v78
	s_delay_alu instid0(VALU_DEP_2) | instskip(SKIP_2) | instid1(VALU_DEP_1)
	v_exp_f32_e32 v59, v59
	s_waitcnt_depctr 0xfff
	v_ldexp_f32 v59, v59, v60
	v_cndmask_b32_e64 v59, 0, v59, s0
	v_cmp_nlt_f32_e64 s0, 0x42b17218, v58
	s_delay_alu instid0(VALU_DEP_1) | instskip(NEXT) | instid1(VALU_DEP_1)
	v_cndmask_b32_e64 v60, 0x7f800000, v59, s0
	v_add_f32_e32 v77, v77, v60
.LBB719_439:
	s_or_b32 exec_lo, exec_lo, s15
.LBB719_440:
	s_delay_alu instid0(SALU_CYCLE_1)
	s_or_b32 exec_lo, exec_lo, s1
	v_dual_mov_b32 v58, 0 :: v_dual_mov_b32 v59, 0
	s_and_saveexec_b32 s1, s14
	s_cbranch_execz .LBB719_444
; %bb.441:
	global_load_u8 v59, v[2:3], off offset:448
	s_waitcnt vmcnt(0)
	v_and_b32_e32 v59, 1, v59
	s_delay_alu instid0(VALU_DEP_1) | instskip(SKIP_1) | instid1(VALU_DEP_2)
	v_cmp_eq_u32_e64 s0, 1, v59
	v_mov_b32_e32 v59, 0
	s_xor_b32 s0, s0, -1
	s_delay_alu instid0(SALU_CYCLE_1)
	s_and_saveexec_b32 s14, s0
	s_cbranch_execz .LBB719_443
; %bb.442:
	v_sub_f32_e32 v57, v57, v76
	s_delay_alu instid0(VALU_DEP_1) | instskip(SKIP_1) | instid1(VALU_DEP_2)
	v_mul_f32_e32 v59, 0x3fb8aa3b, v57
	v_cmp_ngt_f32_e64 s0, 0xc2ce8ed0, v57
	v_fma_f32 v78, 0x3fb8aa3b, v57, -v59
	v_rndne_f32_e32 v79, v59
	s_delay_alu instid0(VALU_DEP_1) | instskip(NEXT) | instid1(VALU_DEP_1)
	v_dual_fmamk_f32 v78, v57, 0x32a5705f, v78 :: v_dual_sub_f32 v59, v59, v79
	v_add_f32_e32 v59, v59, v78
	v_cvt_i32_f32_e32 v78, v79
	s_delay_alu instid0(VALU_DEP_2) | instskip(SKIP_2) | instid1(VALU_DEP_1)
	v_exp_f32_e32 v59, v59
	s_waitcnt_depctr 0xfff
	v_ldexp_f32 v59, v59, v78
	v_cndmask_b32_e64 v59, 0, v59, s0
	v_cmp_nlt_f32_e64 s0, 0x42b17218, v57
	s_delay_alu instid0(VALU_DEP_1) | instskip(NEXT) | instid1(VALU_DEP_1)
	v_cndmask_b32_e64 v59, 0x7f800000, v59, s0
	v_add_f32_e32 v77, v77, v59
.LBB719_443:
	s_or_b32 exec_lo, exec_lo, s14
.LBB719_444:
	s_delay_alu instid0(SALU_CYCLE_1)
	s_or_b32 exec_lo, exec_lo, s1
	s_and_saveexec_b32 s1, s13
	s_cbranch_execz .LBB719_448
; %bb.445:
	global_load_u8 v57, v[2:3], off offset:480
	s_waitcnt vmcnt(0)
	v_dual_mov_b32 v58, 0 :: v_dual_and_b32 v57, 1, v57
	s_delay_alu instid0(VALU_DEP_1) | instskip(NEXT) | instid1(VALU_DEP_1)
	v_cmp_eq_u32_e64 s0, 1, v57
	s_xor_b32 s0, s0, -1
	s_delay_alu instid0(SALU_CYCLE_1)
	s_and_saveexec_b32 s13, s0
	s_cbranch_execz .LBB719_447
; %bb.446:
	v_sub_f32_e32 v56, v56, v76
	s_delay_alu instid0(VALU_DEP_1) | instskip(NEXT) | instid1(VALU_DEP_1)
	v_mul_f32_e32 v57, 0x3fb8aa3b, v56
	v_fma_f32 v58, 0x3fb8aa3b, v56, -v57
	v_rndne_f32_e32 v78, v57
	s_delay_alu instid0(VALU_DEP_1) | instskip(SKIP_1) | instid1(VALU_DEP_2)
	v_dual_sub_f32 v57, v57, v78 :: v_dual_fmamk_f32 v58, v56, 0x32a5705f, v58
	v_cmp_ngt_f32_e64 s0, 0xc2ce8ed0, v56
	v_add_f32_e32 v57, v57, v58
	v_cvt_i32_f32_e32 v58, v78
	s_delay_alu instid0(VALU_DEP_2) | instskip(SKIP_2) | instid1(VALU_DEP_1)
	v_exp_f32_e32 v57, v57
	s_waitcnt_depctr 0xfff
	v_ldexp_f32 v57, v57, v58
	v_cndmask_b32_e64 v57, 0, v57, s0
	v_cmp_nlt_f32_e64 s0, 0x42b17218, v56
	s_delay_alu instid0(VALU_DEP_1) | instskip(NEXT) | instid1(VALU_DEP_1)
	v_cndmask_b32_e64 v58, 0x7f800000, v57, s0
	v_add_f32_e32 v77, v77, v58
.LBB719_447:
	s_or_b32 exec_lo, exec_lo, s13
.LBB719_448:
	s_delay_alu instid0(SALU_CYCLE_1)
	s_or_b32 exec_lo, exec_lo, s1
	v_dual_mov_b32 v56, 0 :: v_dual_mov_b32 v57, 0
	s_and_saveexec_b32 s1, s12
	s_cbranch_execz .LBB719_452
; %bb.449:
	global_load_u8 v57, v[2:3], off offset:512
	s_waitcnt vmcnt(0)
	v_and_b32_e32 v57, 1, v57
	s_delay_alu instid0(VALU_DEP_1) | instskip(SKIP_1) | instid1(VALU_DEP_2)
	v_cmp_eq_u32_e64 s0, 1, v57
	v_mov_b32_e32 v57, 0
	s_xor_b32 s0, s0, -1
	s_delay_alu instid0(SALU_CYCLE_1)
	s_and_saveexec_b32 s12, s0
	s_cbranch_execz .LBB719_451
; %bb.450:
	v_sub_f32_e32 v55, v55, v76
	s_delay_alu instid0(VALU_DEP_1) | instskip(SKIP_1) | instid1(VALU_DEP_2)
	v_mul_f32_e32 v57, 0x3fb8aa3b, v55
	v_cmp_ngt_f32_e64 s0, 0xc2ce8ed0, v55
	v_fma_f32 v78, 0x3fb8aa3b, v55, -v57
	v_rndne_f32_e32 v79, v57
	s_delay_alu instid0(VALU_DEP_1) | instskip(NEXT) | instid1(VALU_DEP_1)
	v_dual_fmamk_f32 v78, v55, 0x32a5705f, v78 :: v_dual_sub_f32 v57, v57, v79
	v_add_f32_e32 v57, v57, v78
	v_cvt_i32_f32_e32 v78, v79
	s_delay_alu instid0(VALU_DEP_2) | instskip(SKIP_2) | instid1(VALU_DEP_1)
	v_exp_f32_e32 v57, v57
	s_waitcnt_depctr 0xfff
	v_ldexp_f32 v57, v57, v78
	v_cndmask_b32_e64 v57, 0, v57, s0
	v_cmp_nlt_f32_e64 s0, 0x42b17218, v55
	s_delay_alu instid0(VALU_DEP_1) | instskip(NEXT) | instid1(VALU_DEP_1)
	v_cndmask_b32_e64 v57, 0x7f800000, v57, s0
	v_add_f32_e32 v77, v77, v57
.LBB719_451:
	s_or_b32 exec_lo, exec_lo, s12
.LBB719_452:
	s_delay_alu instid0(SALU_CYCLE_1)
	s_or_b32 exec_lo, exec_lo, s1
	s_and_saveexec_b32 s1, s11
	s_cbranch_execz .LBB719_456
; %bb.453:
	global_load_u8 v55, v[2:3], off offset:544
	s_waitcnt vmcnt(0)
	v_dual_mov_b32 v56, 0 :: v_dual_and_b32 v55, 1, v55
	s_delay_alu instid0(VALU_DEP_1) | instskip(NEXT) | instid1(VALU_DEP_1)
	v_cmp_eq_u32_e64 s0, 1, v55
	s_xor_b32 s0, s0, -1
	s_delay_alu instid0(SALU_CYCLE_1)
	s_and_saveexec_b32 s11, s0
	s_cbranch_execz .LBB719_455
; %bb.454:
	v_sub_f32_e32 v54, v54, v76
	s_delay_alu instid0(VALU_DEP_1) | instskip(NEXT) | instid1(VALU_DEP_1)
	v_mul_f32_e32 v55, 0x3fb8aa3b, v54
	v_fma_f32 v56, 0x3fb8aa3b, v54, -v55
	v_rndne_f32_e32 v78, v55
	s_delay_alu instid0(VALU_DEP_1) | instskip(SKIP_1) | instid1(VALU_DEP_2)
	v_dual_sub_f32 v55, v55, v78 :: v_dual_fmamk_f32 v56, v54, 0x32a5705f, v56
	v_cmp_ngt_f32_e64 s0, 0xc2ce8ed0, v54
	v_add_f32_e32 v55, v55, v56
	v_cvt_i32_f32_e32 v56, v78
	s_delay_alu instid0(VALU_DEP_2) | instskip(SKIP_2) | instid1(VALU_DEP_1)
	v_exp_f32_e32 v55, v55
	s_waitcnt_depctr 0xfff
	v_ldexp_f32 v55, v55, v56
	v_cndmask_b32_e64 v55, 0, v55, s0
	v_cmp_nlt_f32_e64 s0, 0x42b17218, v54
	s_delay_alu instid0(VALU_DEP_1) | instskip(NEXT) | instid1(VALU_DEP_1)
	v_cndmask_b32_e64 v56, 0x7f800000, v55, s0
	v_add_f32_e32 v77, v77, v56
.LBB719_455:
	s_or_b32 exec_lo, exec_lo, s11
.LBB719_456:
	s_delay_alu instid0(SALU_CYCLE_1)
	s_or_b32 exec_lo, exec_lo, s1
	v_dual_mov_b32 v54, 0 :: v_dual_mov_b32 v55, 0
	s_and_saveexec_b32 s1, s10
	s_cbranch_execz .LBB719_460
; %bb.457:
	global_load_u8 v55, v[2:3], off offset:576
	s_waitcnt vmcnt(0)
	v_and_b32_e32 v55, 1, v55
	s_delay_alu instid0(VALU_DEP_1) | instskip(SKIP_1) | instid1(VALU_DEP_2)
	v_cmp_eq_u32_e64 s0, 1, v55
	v_mov_b32_e32 v55, 0
	s_xor_b32 s0, s0, -1
	s_delay_alu instid0(SALU_CYCLE_1)
	s_and_saveexec_b32 s10, s0
	s_cbranch_execz .LBB719_459
; %bb.458:
	v_sub_f32_e32 v53, v53, v76
	s_delay_alu instid0(VALU_DEP_1) | instskip(SKIP_1) | instid1(VALU_DEP_2)
	v_mul_f32_e32 v55, 0x3fb8aa3b, v53
	v_cmp_ngt_f32_e64 s0, 0xc2ce8ed0, v53
	v_fma_f32 v78, 0x3fb8aa3b, v53, -v55
	v_rndne_f32_e32 v79, v55
	s_delay_alu instid0(VALU_DEP_1) | instskip(NEXT) | instid1(VALU_DEP_1)
	v_dual_fmamk_f32 v78, v53, 0x32a5705f, v78 :: v_dual_sub_f32 v55, v55, v79
	v_add_f32_e32 v55, v55, v78
	v_cvt_i32_f32_e32 v78, v79
	s_delay_alu instid0(VALU_DEP_2) | instskip(SKIP_2) | instid1(VALU_DEP_1)
	v_exp_f32_e32 v55, v55
	s_waitcnt_depctr 0xfff
	v_ldexp_f32 v55, v55, v78
	v_cndmask_b32_e64 v55, 0, v55, s0
	v_cmp_nlt_f32_e64 s0, 0x42b17218, v53
	s_delay_alu instid0(VALU_DEP_1) | instskip(NEXT) | instid1(VALU_DEP_1)
	v_cndmask_b32_e64 v55, 0x7f800000, v55, s0
	v_add_f32_e32 v77, v77, v55
.LBB719_459:
	s_or_b32 exec_lo, exec_lo, s10
.LBB719_460:
	s_delay_alu instid0(SALU_CYCLE_1)
	s_or_b32 exec_lo, exec_lo, s1
	s_and_saveexec_b32 s1, s9
	s_cbranch_execz .LBB719_464
; %bb.461:
	global_load_u8 v53, v[2:3], off offset:608
	s_waitcnt vmcnt(0)
	v_dual_mov_b32 v54, 0 :: v_dual_and_b32 v53, 1, v53
	s_delay_alu instid0(VALU_DEP_1) | instskip(NEXT) | instid1(VALU_DEP_1)
	v_cmp_eq_u32_e64 s0, 1, v53
	s_xor_b32 s0, s0, -1
	s_delay_alu instid0(SALU_CYCLE_1)
	s_and_saveexec_b32 s9, s0
	s_cbranch_execz .LBB719_463
; %bb.462:
	v_sub_f32_e32 v52, v52, v76
	s_delay_alu instid0(VALU_DEP_1) | instskip(NEXT) | instid1(VALU_DEP_1)
	v_mul_f32_e32 v53, 0x3fb8aa3b, v52
	v_fma_f32 v54, 0x3fb8aa3b, v52, -v53
	v_rndne_f32_e32 v78, v53
	s_delay_alu instid0(VALU_DEP_1) | instskip(SKIP_1) | instid1(VALU_DEP_2)
	v_dual_sub_f32 v53, v53, v78 :: v_dual_fmamk_f32 v54, v52, 0x32a5705f, v54
	v_cmp_ngt_f32_e64 s0, 0xc2ce8ed0, v52
	v_add_f32_e32 v53, v53, v54
	v_cvt_i32_f32_e32 v54, v78
	s_delay_alu instid0(VALU_DEP_2) | instskip(SKIP_2) | instid1(VALU_DEP_1)
	v_exp_f32_e32 v53, v53
	s_waitcnt_depctr 0xfff
	v_ldexp_f32 v53, v53, v54
	v_cndmask_b32_e64 v53, 0, v53, s0
	v_cmp_nlt_f32_e64 s0, 0x42b17218, v52
	s_delay_alu instid0(VALU_DEP_1) | instskip(NEXT) | instid1(VALU_DEP_1)
	v_cndmask_b32_e64 v54, 0x7f800000, v53, s0
	v_add_f32_e32 v77, v77, v54
.LBB719_463:
	s_or_b32 exec_lo, exec_lo, s9
.LBB719_464:
	s_delay_alu instid0(SALU_CYCLE_1)
	s_or_b32 exec_lo, exec_lo, s1
	v_dual_mov_b32 v52, 0 :: v_dual_mov_b32 v53, 0
	s_and_saveexec_b32 s1, s8
	s_cbranch_execz .LBB719_468
; %bb.465:
	global_load_u8 v53, v[2:3], off offset:640
	s_waitcnt vmcnt(0)
	v_and_b32_e32 v53, 1, v53
	s_delay_alu instid0(VALU_DEP_1) | instskip(SKIP_1) | instid1(VALU_DEP_2)
	v_cmp_eq_u32_e64 s0, 1, v53
	v_mov_b32_e32 v53, 0
	s_xor_b32 s0, s0, -1
	s_delay_alu instid0(SALU_CYCLE_1)
	s_and_saveexec_b32 s8, s0
	s_cbranch_execz .LBB719_467
; %bb.466:
	v_sub_f32_e32 v51, v51, v76
	s_delay_alu instid0(VALU_DEP_1) | instskip(SKIP_1) | instid1(VALU_DEP_2)
	v_mul_f32_e32 v53, 0x3fb8aa3b, v51
	v_cmp_ngt_f32_e64 s0, 0xc2ce8ed0, v51
	v_fma_f32 v78, 0x3fb8aa3b, v51, -v53
	v_rndne_f32_e32 v79, v53
	s_delay_alu instid0(VALU_DEP_1) | instskip(NEXT) | instid1(VALU_DEP_1)
	v_dual_fmamk_f32 v78, v51, 0x32a5705f, v78 :: v_dual_sub_f32 v53, v53, v79
	v_add_f32_e32 v53, v53, v78
	v_cvt_i32_f32_e32 v78, v79
	s_delay_alu instid0(VALU_DEP_2) | instskip(SKIP_2) | instid1(VALU_DEP_1)
	v_exp_f32_e32 v53, v53
	s_waitcnt_depctr 0xfff
	v_ldexp_f32 v53, v53, v78
	v_cndmask_b32_e64 v53, 0, v53, s0
	v_cmp_nlt_f32_e64 s0, 0x42b17218, v51
	s_delay_alu instid0(VALU_DEP_1) | instskip(NEXT) | instid1(VALU_DEP_1)
	v_cndmask_b32_e64 v53, 0x7f800000, v53, s0
	v_add_f32_e32 v77, v77, v53
.LBB719_467:
	s_or_b32 exec_lo, exec_lo, s8
.LBB719_468:
	s_delay_alu instid0(SALU_CYCLE_1)
	s_or_b32 exec_lo, exec_lo, s1
	s_and_saveexec_b32 s1, s7
	s_cbranch_execz .LBB719_472
; %bb.469:
	global_load_u8 v51, v[2:3], off offset:672
	s_waitcnt vmcnt(0)
	v_dual_mov_b32 v52, 0 :: v_dual_and_b32 v51, 1, v51
	s_delay_alu instid0(VALU_DEP_1) | instskip(NEXT) | instid1(VALU_DEP_1)
	v_cmp_eq_u32_e64 s0, 1, v51
	s_xor_b32 s0, s0, -1
	s_delay_alu instid0(SALU_CYCLE_1)
	s_and_saveexec_b32 s7, s0
	s_cbranch_execz .LBB719_471
; %bb.470:
	v_sub_f32_e32 v50, v50, v76
	s_delay_alu instid0(VALU_DEP_1) | instskip(NEXT) | instid1(VALU_DEP_1)
	v_mul_f32_e32 v51, 0x3fb8aa3b, v50
	v_fma_f32 v52, 0x3fb8aa3b, v50, -v51
	v_rndne_f32_e32 v78, v51
	s_delay_alu instid0(VALU_DEP_1) | instskip(SKIP_1) | instid1(VALU_DEP_2)
	v_dual_sub_f32 v51, v51, v78 :: v_dual_fmamk_f32 v52, v50, 0x32a5705f, v52
	v_cmp_ngt_f32_e64 s0, 0xc2ce8ed0, v50
	v_add_f32_e32 v51, v51, v52
	v_cvt_i32_f32_e32 v52, v78
	s_delay_alu instid0(VALU_DEP_2) | instskip(SKIP_2) | instid1(VALU_DEP_1)
	v_exp_f32_e32 v51, v51
	s_waitcnt_depctr 0xfff
	v_ldexp_f32 v51, v51, v52
	v_cndmask_b32_e64 v51, 0, v51, s0
	v_cmp_nlt_f32_e64 s0, 0x42b17218, v50
	s_delay_alu instid0(VALU_DEP_1) | instskip(NEXT) | instid1(VALU_DEP_1)
	v_cndmask_b32_e64 v52, 0x7f800000, v51, s0
	v_add_f32_e32 v77, v77, v52
.LBB719_471:
	s_or_b32 exec_lo, exec_lo, s7
.LBB719_472:
	s_delay_alu instid0(SALU_CYCLE_1)
	s_or_b32 exec_lo, exec_lo, s1
	v_dual_mov_b32 v50, 0 :: v_dual_mov_b32 v51, 0
	s_and_saveexec_b32 s1, s6
	s_cbranch_execz .LBB719_476
; %bb.473:
	global_load_u8 v51, v[2:3], off offset:704
	s_waitcnt vmcnt(0)
	v_and_b32_e32 v51, 1, v51
	s_delay_alu instid0(VALU_DEP_1) | instskip(SKIP_1) | instid1(VALU_DEP_2)
	v_cmp_eq_u32_e64 s0, 1, v51
	v_mov_b32_e32 v51, 0
	s_xor_b32 s0, s0, -1
	s_delay_alu instid0(SALU_CYCLE_1)
	s_and_saveexec_b32 s6, s0
	s_cbranch_execz .LBB719_475
; %bb.474:
	v_sub_f32_e32 v49, v49, v76
	s_delay_alu instid0(VALU_DEP_1) | instskip(SKIP_1) | instid1(VALU_DEP_2)
	v_mul_f32_e32 v51, 0x3fb8aa3b, v49
	v_cmp_ngt_f32_e64 s0, 0xc2ce8ed0, v49
	v_fma_f32 v78, 0x3fb8aa3b, v49, -v51
	v_rndne_f32_e32 v79, v51
	s_delay_alu instid0(VALU_DEP_1) | instskip(NEXT) | instid1(VALU_DEP_1)
	v_dual_fmamk_f32 v78, v49, 0x32a5705f, v78 :: v_dual_sub_f32 v51, v51, v79
	v_add_f32_e32 v51, v51, v78
	v_cvt_i32_f32_e32 v78, v79
	s_delay_alu instid0(VALU_DEP_2) | instskip(SKIP_2) | instid1(VALU_DEP_1)
	v_exp_f32_e32 v51, v51
	s_waitcnt_depctr 0xfff
	v_ldexp_f32 v51, v51, v78
	v_cndmask_b32_e64 v51, 0, v51, s0
	v_cmp_nlt_f32_e64 s0, 0x42b17218, v49
	s_delay_alu instid0(VALU_DEP_1) | instskip(NEXT) | instid1(VALU_DEP_1)
	v_cndmask_b32_e64 v51, 0x7f800000, v51, s0
	v_add_f32_e32 v77, v77, v51
.LBB719_475:
	s_or_b32 exec_lo, exec_lo, s6
.LBB719_476:
	s_delay_alu instid0(SALU_CYCLE_1)
	s_or_b32 exec_lo, exec_lo, s1
	s_and_saveexec_b32 s1, s5
	s_cbranch_execz .LBB719_480
; %bb.477:
	global_load_u8 v49, v[2:3], off offset:736
	s_waitcnt vmcnt(0)
	v_dual_mov_b32 v50, 0 :: v_dual_and_b32 v49, 1, v49
	s_delay_alu instid0(VALU_DEP_1) | instskip(NEXT) | instid1(VALU_DEP_1)
	v_cmp_eq_u32_e64 s0, 1, v49
	s_xor_b32 s0, s0, -1
	s_delay_alu instid0(SALU_CYCLE_1)
	s_and_saveexec_b32 s5, s0
	s_cbranch_execz .LBB719_479
; %bb.478:
	v_sub_f32_e32 v48, v48, v76
	s_delay_alu instid0(VALU_DEP_1) | instskip(NEXT) | instid1(VALU_DEP_1)
	v_mul_f32_e32 v49, 0x3fb8aa3b, v48
	v_fma_f32 v50, 0x3fb8aa3b, v48, -v49
	v_rndne_f32_e32 v78, v49
	s_delay_alu instid0(VALU_DEP_1) | instskip(SKIP_1) | instid1(VALU_DEP_2)
	v_dual_sub_f32 v49, v49, v78 :: v_dual_fmamk_f32 v50, v48, 0x32a5705f, v50
	v_cmp_ngt_f32_e64 s0, 0xc2ce8ed0, v48
	v_add_f32_e32 v49, v49, v50
	v_cvt_i32_f32_e32 v50, v78
	s_delay_alu instid0(VALU_DEP_2) | instskip(SKIP_2) | instid1(VALU_DEP_1)
	v_exp_f32_e32 v49, v49
	s_waitcnt_depctr 0xfff
	v_ldexp_f32 v49, v49, v50
	v_cndmask_b32_e64 v49, 0, v49, s0
	v_cmp_nlt_f32_e64 s0, 0x42b17218, v48
	s_delay_alu instid0(VALU_DEP_1) | instskip(NEXT) | instid1(VALU_DEP_1)
	v_cndmask_b32_e64 v50, 0x7f800000, v49, s0
	v_add_f32_e32 v77, v77, v50
.LBB719_479:
	s_or_b32 exec_lo, exec_lo, s5
.LBB719_480:
	s_delay_alu instid0(SALU_CYCLE_1)
	s_or_b32 exec_lo, exec_lo, s1
	v_dual_mov_b32 v48, 0 :: v_dual_mov_b32 v49, 0
	s_and_saveexec_b32 s1, s4
	s_cbranch_execz .LBB719_484
; %bb.481:
	global_load_u8 v49, v[2:3], off offset:768
	s_waitcnt vmcnt(0)
	v_and_b32_e32 v49, 1, v49
	s_delay_alu instid0(VALU_DEP_1) | instskip(SKIP_1) | instid1(VALU_DEP_2)
	v_cmp_eq_u32_e64 s0, 1, v49
	v_mov_b32_e32 v49, 0
	s_xor_b32 s0, s0, -1
	s_delay_alu instid0(SALU_CYCLE_1)
	s_and_saveexec_b32 s4, s0
	s_cbranch_execz .LBB719_483
; %bb.482:
	v_sub_f32_e32 v47, v47, v76
	s_delay_alu instid0(VALU_DEP_1) | instskip(SKIP_1) | instid1(VALU_DEP_2)
	v_mul_f32_e32 v49, 0x3fb8aa3b, v47
	v_cmp_ngt_f32_e64 s0, 0xc2ce8ed0, v47
	v_fma_f32 v78, 0x3fb8aa3b, v47, -v49
	v_rndne_f32_e32 v79, v49
	s_delay_alu instid0(VALU_DEP_1) | instskip(NEXT) | instid1(VALU_DEP_1)
	v_dual_fmamk_f32 v78, v47, 0x32a5705f, v78 :: v_dual_sub_f32 v49, v49, v79
	v_add_f32_e32 v49, v49, v78
	v_cvt_i32_f32_e32 v78, v79
	s_delay_alu instid0(VALU_DEP_2) | instskip(SKIP_2) | instid1(VALU_DEP_1)
	v_exp_f32_e32 v49, v49
	s_waitcnt_depctr 0xfff
	v_ldexp_f32 v49, v49, v78
	v_cndmask_b32_e64 v49, 0, v49, s0
	v_cmp_nlt_f32_e64 s0, 0x42b17218, v47
	s_delay_alu instid0(VALU_DEP_1) | instskip(NEXT) | instid1(VALU_DEP_1)
	v_cndmask_b32_e64 v49, 0x7f800000, v49, s0
	v_add_f32_e32 v77, v77, v49
.LBB719_483:
	s_or_b32 exec_lo, exec_lo, s4
.LBB719_484:
	s_delay_alu instid0(SALU_CYCLE_1)
	s_or_b32 exec_lo, exec_lo, s1
	s_and_saveexec_b32 s1, s3
	s_cbranch_execz .LBB719_488
; %bb.485:
	global_load_u8 v47, v[2:3], off offset:800
	s_waitcnt vmcnt(0)
	v_dual_mov_b32 v48, 0 :: v_dual_and_b32 v47, 1, v47
	s_delay_alu instid0(VALU_DEP_1) | instskip(NEXT) | instid1(VALU_DEP_1)
	v_cmp_eq_u32_e64 s0, 1, v47
	s_xor_b32 s0, s0, -1
	s_delay_alu instid0(SALU_CYCLE_1)
	s_and_saveexec_b32 s3, s0
	s_cbranch_execz .LBB719_487
; %bb.486:
	v_sub_f32_e32 v46, v46, v76
	s_delay_alu instid0(VALU_DEP_1) | instskip(NEXT) | instid1(VALU_DEP_1)
	v_mul_f32_e32 v47, 0x3fb8aa3b, v46
	v_fma_f32 v48, 0x3fb8aa3b, v46, -v47
	v_rndne_f32_e32 v78, v47
	s_delay_alu instid0(VALU_DEP_1) | instskip(SKIP_1) | instid1(VALU_DEP_2)
	v_dual_sub_f32 v47, v47, v78 :: v_dual_fmamk_f32 v48, v46, 0x32a5705f, v48
	v_cmp_ngt_f32_e64 s0, 0xc2ce8ed0, v46
	v_add_f32_e32 v47, v47, v48
	v_cvt_i32_f32_e32 v48, v78
	s_delay_alu instid0(VALU_DEP_2) | instskip(SKIP_2) | instid1(VALU_DEP_1)
	v_exp_f32_e32 v47, v47
	s_waitcnt_depctr 0xfff
	v_ldexp_f32 v47, v47, v48
	v_cndmask_b32_e64 v47, 0, v47, s0
	v_cmp_nlt_f32_e64 s0, 0x42b17218, v46
	s_delay_alu instid0(VALU_DEP_1) | instskip(NEXT) | instid1(VALU_DEP_1)
	v_cndmask_b32_e64 v48, 0x7f800000, v47, s0
	v_add_f32_e32 v77, v77, v48
.LBB719_487:
	s_or_b32 exec_lo, exec_lo, s3
.LBB719_488:
	s_delay_alu instid0(SALU_CYCLE_1)
	s_or_b32 exec_lo, exec_lo, s1
	v_dual_mov_b32 v46, 0 :: v_dual_mov_b32 v47, 0
	s_and_saveexec_b32 s1, s69
	s_cbranch_execz .LBB719_492
; %bb.489:
	global_load_u8 v47, v[2:3], off offset:832
	s_waitcnt vmcnt(0)
	v_and_b32_e32 v47, 1, v47
	s_delay_alu instid0(VALU_DEP_1) | instskip(SKIP_1) | instid1(VALU_DEP_2)
	v_cmp_eq_u32_e64 s0, 1, v47
	v_mov_b32_e32 v47, 0
	s_xor_b32 s0, s0, -1
	s_delay_alu instid0(SALU_CYCLE_1)
	s_and_saveexec_b32 s3, s0
	s_cbranch_execz .LBB719_491
; %bb.490:
	v_sub_f32_e32 v45, v45, v76
	s_delay_alu instid0(VALU_DEP_1) | instskip(SKIP_1) | instid1(VALU_DEP_2)
	v_mul_f32_e32 v47, 0x3fb8aa3b, v45
	v_cmp_ngt_f32_e64 s0, 0xc2ce8ed0, v45
	v_fma_f32 v78, 0x3fb8aa3b, v45, -v47
	v_rndne_f32_e32 v79, v47
	s_delay_alu instid0(VALU_DEP_1) | instskip(NEXT) | instid1(VALU_DEP_1)
	v_dual_fmamk_f32 v78, v45, 0x32a5705f, v78 :: v_dual_sub_f32 v47, v47, v79
	v_add_f32_e32 v47, v47, v78
	v_cvt_i32_f32_e32 v78, v79
	s_delay_alu instid0(VALU_DEP_2) | instskip(SKIP_2) | instid1(VALU_DEP_1)
	v_exp_f32_e32 v47, v47
	s_waitcnt_depctr 0xfff
	v_ldexp_f32 v47, v47, v78
	v_cndmask_b32_e64 v47, 0, v47, s0
	v_cmp_nlt_f32_e64 s0, 0x42b17218, v45
	s_delay_alu instid0(VALU_DEP_1) | instskip(NEXT) | instid1(VALU_DEP_1)
	v_cndmask_b32_e64 v47, 0x7f800000, v47, s0
	v_add_f32_e32 v77, v77, v47
.LBB719_491:
	s_or_b32 exec_lo, exec_lo, s3
.LBB719_492:
	s_delay_alu instid0(SALU_CYCLE_1)
	s_or_b32 exec_lo, exec_lo, s1
	s_and_saveexec_b32 s1, s68
	s_cbranch_execz .LBB719_496
; %bb.493:
	global_load_u8 v45, v[2:3], off offset:864
	s_waitcnt vmcnt(0)
	v_dual_mov_b32 v46, 0 :: v_dual_and_b32 v45, 1, v45
	s_delay_alu instid0(VALU_DEP_1) | instskip(NEXT) | instid1(VALU_DEP_1)
	v_cmp_eq_u32_e64 s0, 1, v45
	s_xor_b32 s0, s0, -1
	s_delay_alu instid0(SALU_CYCLE_1)
	s_and_saveexec_b32 s3, s0
	s_cbranch_execz .LBB719_495
; %bb.494:
	v_sub_f32_e32 v44, v44, v76
	s_delay_alu instid0(VALU_DEP_1) | instskip(NEXT) | instid1(VALU_DEP_1)
	v_mul_f32_e32 v45, 0x3fb8aa3b, v44
	v_fma_f32 v46, 0x3fb8aa3b, v44, -v45
	v_rndne_f32_e32 v78, v45
	s_delay_alu instid0(VALU_DEP_1) | instskip(SKIP_1) | instid1(VALU_DEP_2)
	v_dual_sub_f32 v45, v45, v78 :: v_dual_fmamk_f32 v46, v44, 0x32a5705f, v46
	v_cmp_ngt_f32_e64 s0, 0xc2ce8ed0, v44
	v_add_f32_e32 v45, v45, v46
	v_cvt_i32_f32_e32 v46, v78
	s_delay_alu instid0(VALU_DEP_2) | instskip(SKIP_2) | instid1(VALU_DEP_1)
	v_exp_f32_e32 v45, v45
	s_waitcnt_depctr 0xfff
	v_ldexp_f32 v45, v45, v46
	v_cndmask_b32_e64 v45, 0, v45, s0
	v_cmp_nlt_f32_e64 s0, 0x42b17218, v44
	s_delay_alu instid0(VALU_DEP_1) | instskip(NEXT) | instid1(VALU_DEP_1)
	v_cndmask_b32_e64 v46, 0x7f800000, v45, s0
	v_add_f32_e32 v77, v77, v46
.LBB719_495:
	s_or_b32 exec_lo, exec_lo, s3
.LBB719_496:
	s_delay_alu instid0(SALU_CYCLE_1)
	s_or_b32 exec_lo, exec_lo, s1
	v_dual_mov_b32 v44, 0 :: v_dual_mov_b32 v45, 0
	s_and_saveexec_b32 s1, vcc_hi
	s_cbranch_execz .LBB719_500
; %bb.497:
	global_load_u8 v45, v[2:3], off offset:896
	s_waitcnt vmcnt(0)
	v_and_b32_e32 v45, 1, v45
	s_delay_alu instid0(VALU_DEP_1) | instskip(SKIP_1) | instid1(VALU_DEP_2)
	v_cmp_eq_u32_e64 s0, 1, v45
	v_mov_b32_e32 v45, 0
	s_xor_b32 s0, s0, -1
	s_delay_alu instid0(SALU_CYCLE_1)
	s_and_saveexec_b32 s3, s0
	s_cbranch_execz .LBB719_499
; %bb.498:
	v_sub_f32_e32 v43, v43, v76
	s_delay_alu instid0(VALU_DEP_1) | instskip(SKIP_1) | instid1(VALU_DEP_2)
	v_mul_f32_e32 v45, 0x3fb8aa3b, v43
	v_cmp_ngt_f32_e64 s0, 0xc2ce8ed0, v43
	v_fma_f32 v78, 0x3fb8aa3b, v43, -v45
	v_rndne_f32_e32 v79, v45
	s_delay_alu instid0(VALU_DEP_1) | instskip(NEXT) | instid1(VALU_DEP_1)
	v_dual_fmamk_f32 v78, v43, 0x32a5705f, v78 :: v_dual_sub_f32 v45, v45, v79
	v_add_f32_e32 v45, v45, v78
	v_cvt_i32_f32_e32 v78, v79
	s_delay_alu instid0(VALU_DEP_2) | instskip(SKIP_2) | instid1(VALU_DEP_1)
	v_exp_f32_e32 v45, v45
	s_waitcnt_depctr 0xfff
	v_ldexp_f32 v45, v45, v78
	v_cndmask_b32_e64 v45, 0, v45, s0
	v_cmp_nlt_f32_e64 s0, 0x42b17218, v43
	s_delay_alu instid0(VALU_DEP_1) | instskip(NEXT) | instid1(VALU_DEP_1)
	v_cndmask_b32_e64 v45, 0x7f800000, v45, s0
	v_add_f32_e32 v77, v77, v45
.LBB719_499:
	s_or_b32 exec_lo, exec_lo, s3
.LBB719_500:
	s_delay_alu instid0(SALU_CYCLE_1)
	s_or_b32 exec_lo, exec_lo, s1
	s_and_saveexec_b32 s1, s104
	s_cbranch_execz .LBB719_504
; %bb.501:
	global_load_u8 v43, v[2:3], off offset:928
	s_waitcnt vmcnt(0)
	v_dual_mov_b32 v44, 0 :: v_dual_and_b32 v43, 1, v43
	s_delay_alu instid0(VALU_DEP_1) | instskip(NEXT) | instid1(VALU_DEP_1)
	v_cmp_eq_u32_e64 s0, 1, v43
	s_xor_b32 s0, s0, -1
	s_delay_alu instid0(SALU_CYCLE_1)
	s_and_saveexec_b32 s3, s0
	s_cbranch_execz .LBB719_503
; %bb.502:
	v_sub_f32_e32 v42, v42, v76
	s_delay_alu instid0(VALU_DEP_1) | instskip(NEXT) | instid1(VALU_DEP_1)
	v_mul_f32_e32 v43, 0x3fb8aa3b, v42
	v_fma_f32 v44, 0x3fb8aa3b, v42, -v43
	v_rndne_f32_e32 v78, v43
	s_delay_alu instid0(VALU_DEP_1) | instskip(SKIP_1) | instid1(VALU_DEP_2)
	v_dual_sub_f32 v43, v43, v78 :: v_dual_fmamk_f32 v44, v42, 0x32a5705f, v44
	v_cmp_ngt_f32_e64 s0, 0xc2ce8ed0, v42
	v_add_f32_e32 v43, v43, v44
	v_cvt_i32_f32_e32 v44, v78
	s_delay_alu instid0(VALU_DEP_2) | instskip(SKIP_2) | instid1(VALU_DEP_1)
	v_exp_f32_e32 v43, v43
	s_waitcnt_depctr 0xfff
	v_ldexp_f32 v43, v43, v44
	v_cndmask_b32_e64 v43, 0, v43, s0
	v_cmp_nlt_f32_e64 s0, 0x42b17218, v42
	s_delay_alu instid0(VALU_DEP_1) | instskip(NEXT) | instid1(VALU_DEP_1)
	v_cndmask_b32_e64 v44, 0x7f800000, v43, s0
	v_add_f32_e32 v77, v77, v44
.LBB719_503:
	s_or_b32 exec_lo, exec_lo, s3
.LBB719_504:
	s_delay_alu instid0(SALU_CYCLE_1)
	s_or_b32 exec_lo, exec_lo, s1
	v_dual_mov_b32 v42, 0 :: v_dual_mov_b32 v43, 0
	s_and_saveexec_b32 s1, s103
	s_cbranch_execz .LBB719_508
; %bb.505:
	global_load_u8 v43, v[2:3], off offset:960
	s_waitcnt vmcnt(0)
	v_and_b32_e32 v43, 1, v43
	s_delay_alu instid0(VALU_DEP_1) | instskip(SKIP_1) | instid1(VALU_DEP_2)
	v_cmp_eq_u32_e64 s0, 1, v43
	v_mov_b32_e32 v43, 0
	s_xor_b32 s0, s0, -1
	s_delay_alu instid0(SALU_CYCLE_1)
	s_and_saveexec_b32 s3, s0
	s_cbranch_execz .LBB719_507
; %bb.506:
	v_sub_f32_e32 v41, v41, v76
	s_delay_alu instid0(VALU_DEP_1) | instskip(SKIP_1) | instid1(VALU_DEP_2)
	v_mul_f32_e32 v43, 0x3fb8aa3b, v41
	v_cmp_ngt_f32_e64 s0, 0xc2ce8ed0, v41
	v_fma_f32 v78, 0x3fb8aa3b, v41, -v43
	v_rndne_f32_e32 v79, v43
	s_delay_alu instid0(VALU_DEP_1) | instskip(NEXT) | instid1(VALU_DEP_1)
	v_dual_fmamk_f32 v78, v41, 0x32a5705f, v78 :: v_dual_sub_f32 v43, v43, v79
	v_add_f32_e32 v43, v43, v78
	v_cvt_i32_f32_e32 v78, v79
	s_delay_alu instid0(VALU_DEP_2) | instskip(SKIP_2) | instid1(VALU_DEP_1)
	v_exp_f32_e32 v43, v43
	s_waitcnt_depctr 0xfff
	v_ldexp_f32 v43, v43, v78
	v_cndmask_b32_e64 v43, 0, v43, s0
	v_cmp_nlt_f32_e64 s0, 0x42b17218, v41
	s_delay_alu instid0(VALU_DEP_1) | instskip(NEXT) | instid1(VALU_DEP_1)
	v_cndmask_b32_e64 v43, 0x7f800000, v43, s0
	v_add_f32_e32 v77, v77, v43
.LBB719_507:
	s_or_b32 exec_lo, exec_lo, s3
.LBB719_508:
	s_delay_alu instid0(SALU_CYCLE_1)
	s_or_b32 exec_lo, exec_lo, s1
	s_and_saveexec_b32 s1, s102
	s_cbranch_execz .LBB719_512
; %bb.509:
	global_load_u8 v41, v[2:3], off offset:992
	s_waitcnt vmcnt(0)
	v_dual_mov_b32 v42, 0 :: v_dual_and_b32 v41, 1, v41
	s_delay_alu instid0(VALU_DEP_1) | instskip(NEXT) | instid1(VALU_DEP_1)
	v_cmp_eq_u32_e64 s0, 1, v41
	s_xor_b32 s0, s0, -1
	s_delay_alu instid0(SALU_CYCLE_1)
	s_and_saveexec_b32 s3, s0
	s_cbranch_execz .LBB719_511
; %bb.510:
	v_sub_f32_e32 v40, v40, v76
	s_delay_alu instid0(VALU_DEP_1) | instskip(NEXT) | instid1(VALU_DEP_1)
	v_mul_f32_e32 v41, 0x3fb8aa3b, v40
	v_fma_f32 v42, 0x3fb8aa3b, v40, -v41
	v_rndne_f32_e32 v78, v41
	s_delay_alu instid0(VALU_DEP_1) | instskip(SKIP_1) | instid1(VALU_DEP_2)
	v_dual_sub_f32 v41, v41, v78 :: v_dual_fmamk_f32 v42, v40, 0x32a5705f, v42
	v_cmp_ngt_f32_e64 s0, 0xc2ce8ed0, v40
	v_add_f32_e32 v41, v41, v42
	v_cvt_i32_f32_e32 v42, v78
	s_delay_alu instid0(VALU_DEP_2) | instskip(SKIP_2) | instid1(VALU_DEP_1)
	v_exp_f32_e32 v41, v41
	s_waitcnt_depctr 0xfff
	v_ldexp_f32 v41, v41, v42
	v_cndmask_b32_e64 v41, 0, v41, s0
	v_cmp_nlt_f32_e64 s0, 0x42b17218, v40
	s_delay_alu instid0(VALU_DEP_1) | instskip(NEXT) | instid1(VALU_DEP_1)
	v_cndmask_b32_e64 v42, 0x7f800000, v41, s0
	v_add_f32_e32 v77, v77, v42
.LBB719_511:
	s_or_b32 exec_lo, exec_lo, s3
.LBB719_512:
	s_delay_alu instid0(SALU_CYCLE_1)
	s_or_b32 exec_lo, exec_lo, s1
	v_dual_mov_b32 v40, 0 :: v_dual_mov_b32 v41, 0
	s_and_saveexec_b32 s1, s101
	s_cbranch_execz .LBB719_516
; %bb.513:
	global_load_u8 v41, v[2:3], off offset:1024
	s_waitcnt vmcnt(0)
	v_and_b32_e32 v41, 1, v41
	s_delay_alu instid0(VALU_DEP_1) | instskip(SKIP_1) | instid1(VALU_DEP_2)
	v_cmp_eq_u32_e64 s0, 1, v41
	v_mov_b32_e32 v41, 0
	s_xor_b32 s0, s0, -1
	s_delay_alu instid0(SALU_CYCLE_1)
	s_and_saveexec_b32 s3, s0
	s_cbranch_execz .LBB719_515
; %bb.514:
	v_sub_f32_e32 v39, v39, v76
	s_delay_alu instid0(VALU_DEP_1) | instskip(SKIP_1) | instid1(VALU_DEP_2)
	v_mul_f32_e32 v41, 0x3fb8aa3b, v39
	v_cmp_ngt_f32_e64 s0, 0xc2ce8ed0, v39
	v_fma_f32 v78, 0x3fb8aa3b, v39, -v41
	v_rndne_f32_e32 v79, v41
	s_delay_alu instid0(VALU_DEP_1) | instskip(NEXT) | instid1(VALU_DEP_1)
	v_dual_fmamk_f32 v78, v39, 0x32a5705f, v78 :: v_dual_sub_f32 v41, v41, v79
	v_add_f32_e32 v41, v41, v78
	v_cvt_i32_f32_e32 v78, v79
	s_delay_alu instid0(VALU_DEP_2) | instskip(SKIP_2) | instid1(VALU_DEP_1)
	v_exp_f32_e32 v41, v41
	s_waitcnt_depctr 0xfff
	v_ldexp_f32 v41, v41, v78
	v_cndmask_b32_e64 v41, 0, v41, s0
	v_cmp_nlt_f32_e64 s0, 0x42b17218, v39
	s_delay_alu instid0(VALU_DEP_1) | instskip(NEXT) | instid1(VALU_DEP_1)
	v_cndmask_b32_e64 v41, 0x7f800000, v41, s0
	v_add_f32_e32 v77, v77, v41
.LBB719_515:
	s_or_b32 exec_lo, exec_lo, s3
.LBB719_516:
	s_delay_alu instid0(SALU_CYCLE_1)
	s_or_b32 exec_lo, exec_lo, s1
	s_and_saveexec_b32 s1, s100
	s_cbranch_execz .LBB719_520
; %bb.517:
	global_load_u8 v39, v[2:3], off offset:1056
	s_waitcnt vmcnt(0)
	v_dual_mov_b32 v40, 0 :: v_dual_and_b32 v39, 1, v39
	s_delay_alu instid0(VALU_DEP_1) | instskip(NEXT) | instid1(VALU_DEP_1)
	v_cmp_eq_u32_e64 s0, 1, v39
	s_xor_b32 s0, s0, -1
	s_delay_alu instid0(SALU_CYCLE_1)
	s_and_saveexec_b32 s3, s0
	s_cbranch_execz .LBB719_519
; %bb.518:
	v_sub_f32_e32 v38, v38, v76
	s_delay_alu instid0(VALU_DEP_1) | instskip(NEXT) | instid1(VALU_DEP_1)
	v_mul_f32_e32 v39, 0x3fb8aa3b, v38
	v_fma_f32 v40, 0x3fb8aa3b, v38, -v39
	v_rndne_f32_e32 v78, v39
	s_delay_alu instid0(VALU_DEP_1) | instskip(SKIP_1) | instid1(VALU_DEP_2)
	v_dual_sub_f32 v39, v39, v78 :: v_dual_fmamk_f32 v40, v38, 0x32a5705f, v40
	v_cmp_ngt_f32_e64 s0, 0xc2ce8ed0, v38
	v_add_f32_e32 v39, v39, v40
	v_cvt_i32_f32_e32 v40, v78
	s_delay_alu instid0(VALU_DEP_2) | instskip(SKIP_2) | instid1(VALU_DEP_1)
	v_exp_f32_e32 v39, v39
	s_waitcnt_depctr 0xfff
	v_ldexp_f32 v39, v39, v40
	v_cndmask_b32_e64 v39, 0, v39, s0
	v_cmp_nlt_f32_e64 s0, 0x42b17218, v38
	s_delay_alu instid0(VALU_DEP_1) | instskip(NEXT) | instid1(VALU_DEP_1)
	v_cndmask_b32_e64 v40, 0x7f800000, v39, s0
	v_add_f32_e32 v77, v77, v40
.LBB719_519:
	s_or_b32 exec_lo, exec_lo, s3
.LBB719_520:
	s_delay_alu instid0(SALU_CYCLE_1)
	s_or_b32 exec_lo, exec_lo, s1
	v_dual_mov_b32 v38, 0 :: v_dual_mov_b32 v39, 0
	s_and_saveexec_b32 s1, s99
	s_cbranch_execz .LBB719_524
; %bb.521:
	global_load_u8 v39, v[2:3], off offset:1088
	s_waitcnt vmcnt(0)
	v_and_b32_e32 v39, 1, v39
	s_delay_alu instid0(VALU_DEP_1) | instskip(SKIP_1) | instid1(VALU_DEP_2)
	v_cmp_eq_u32_e64 s0, 1, v39
	v_mov_b32_e32 v39, 0
	s_xor_b32 s0, s0, -1
	s_delay_alu instid0(SALU_CYCLE_1)
	s_and_saveexec_b32 s3, s0
	s_cbranch_execz .LBB719_523
; %bb.522:
	v_sub_f32_e32 v37, v37, v76
	s_delay_alu instid0(VALU_DEP_1) | instskip(SKIP_1) | instid1(VALU_DEP_2)
	v_mul_f32_e32 v39, 0x3fb8aa3b, v37
	v_cmp_ngt_f32_e64 s0, 0xc2ce8ed0, v37
	v_fma_f32 v78, 0x3fb8aa3b, v37, -v39
	v_rndne_f32_e32 v79, v39
	s_delay_alu instid0(VALU_DEP_1) | instskip(NEXT) | instid1(VALU_DEP_1)
	v_dual_fmamk_f32 v78, v37, 0x32a5705f, v78 :: v_dual_sub_f32 v39, v39, v79
	v_add_f32_e32 v39, v39, v78
	v_cvt_i32_f32_e32 v78, v79
	s_delay_alu instid0(VALU_DEP_2) | instskip(SKIP_2) | instid1(VALU_DEP_1)
	v_exp_f32_e32 v39, v39
	s_waitcnt_depctr 0xfff
	v_ldexp_f32 v39, v39, v78
	v_cndmask_b32_e64 v39, 0, v39, s0
	v_cmp_nlt_f32_e64 s0, 0x42b17218, v37
	s_delay_alu instid0(VALU_DEP_1) | instskip(NEXT) | instid1(VALU_DEP_1)
	v_cndmask_b32_e64 v39, 0x7f800000, v39, s0
	v_add_f32_e32 v77, v77, v39
.LBB719_523:
	s_or_b32 exec_lo, exec_lo, s3
.LBB719_524:
	s_delay_alu instid0(SALU_CYCLE_1)
	s_or_b32 exec_lo, exec_lo, s1
	s_and_saveexec_b32 s1, s98
	s_cbranch_execz .LBB719_528
; %bb.525:
	global_load_u8 v37, v[2:3], off offset:1120
	s_waitcnt vmcnt(0)
	v_dual_mov_b32 v38, 0 :: v_dual_and_b32 v37, 1, v37
	s_delay_alu instid0(VALU_DEP_1) | instskip(NEXT) | instid1(VALU_DEP_1)
	v_cmp_eq_u32_e64 s0, 1, v37
	s_xor_b32 s0, s0, -1
	s_delay_alu instid0(SALU_CYCLE_1)
	s_and_saveexec_b32 s3, s0
	s_cbranch_execz .LBB719_527
; %bb.526:
	v_sub_f32_e32 v36, v36, v76
	s_delay_alu instid0(VALU_DEP_1) | instskip(NEXT) | instid1(VALU_DEP_1)
	v_mul_f32_e32 v37, 0x3fb8aa3b, v36
	v_fma_f32 v38, 0x3fb8aa3b, v36, -v37
	v_rndne_f32_e32 v78, v37
	s_delay_alu instid0(VALU_DEP_1) | instskip(SKIP_1) | instid1(VALU_DEP_2)
	v_dual_sub_f32 v37, v37, v78 :: v_dual_fmamk_f32 v38, v36, 0x32a5705f, v38
	v_cmp_ngt_f32_e64 s0, 0xc2ce8ed0, v36
	v_add_f32_e32 v37, v37, v38
	v_cvt_i32_f32_e32 v38, v78
	s_delay_alu instid0(VALU_DEP_2) | instskip(SKIP_2) | instid1(VALU_DEP_1)
	v_exp_f32_e32 v37, v37
	s_waitcnt_depctr 0xfff
	v_ldexp_f32 v37, v37, v38
	v_cndmask_b32_e64 v37, 0, v37, s0
	v_cmp_nlt_f32_e64 s0, 0x42b17218, v36
	s_delay_alu instid0(VALU_DEP_1) | instskip(NEXT) | instid1(VALU_DEP_1)
	v_cndmask_b32_e64 v38, 0x7f800000, v37, s0
	v_add_f32_e32 v77, v77, v38
.LBB719_527:
	s_or_b32 exec_lo, exec_lo, s3
.LBB719_528:
	s_delay_alu instid0(SALU_CYCLE_1)
	s_or_b32 exec_lo, exec_lo, s1
	v_dual_mov_b32 v36, 0 :: v_dual_mov_b32 v37, 0
	s_and_saveexec_b32 s1, s97
	s_cbranch_execz .LBB719_532
; %bb.529:
	global_load_u8 v37, v[2:3], off offset:1152
	s_waitcnt vmcnt(0)
	v_and_b32_e32 v37, 1, v37
	s_delay_alu instid0(VALU_DEP_1) | instskip(SKIP_1) | instid1(VALU_DEP_2)
	v_cmp_eq_u32_e64 s0, 1, v37
	v_mov_b32_e32 v37, 0
	s_xor_b32 s0, s0, -1
	s_delay_alu instid0(SALU_CYCLE_1)
	s_and_saveexec_b32 s3, s0
	s_cbranch_execz .LBB719_531
; %bb.530:
	v_sub_f32_e32 v35, v35, v76
	s_delay_alu instid0(VALU_DEP_1) | instskip(SKIP_1) | instid1(VALU_DEP_2)
	v_mul_f32_e32 v37, 0x3fb8aa3b, v35
	v_cmp_ngt_f32_e64 s0, 0xc2ce8ed0, v35
	v_fma_f32 v78, 0x3fb8aa3b, v35, -v37
	v_rndne_f32_e32 v79, v37
	s_delay_alu instid0(VALU_DEP_1) | instskip(NEXT) | instid1(VALU_DEP_1)
	v_dual_fmamk_f32 v78, v35, 0x32a5705f, v78 :: v_dual_sub_f32 v37, v37, v79
	v_add_f32_e32 v37, v37, v78
	v_cvt_i32_f32_e32 v78, v79
	s_delay_alu instid0(VALU_DEP_2) | instskip(SKIP_2) | instid1(VALU_DEP_1)
	v_exp_f32_e32 v37, v37
	s_waitcnt_depctr 0xfff
	v_ldexp_f32 v37, v37, v78
	v_cndmask_b32_e64 v37, 0, v37, s0
	v_cmp_nlt_f32_e64 s0, 0x42b17218, v35
	s_delay_alu instid0(VALU_DEP_1) | instskip(NEXT) | instid1(VALU_DEP_1)
	v_cndmask_b32_e64 v37, 0x7f800000, v37, s0
	v_add_f32_e32 v77, v77, v37
.LBB719_531:
	s_or_b32 exec_lo, exec_lo, s3
.LBB719_532:
	s_delay_alu instid0(SALU_CYCLE_1)
	s_or_b32 exec_lo, exec_lo, s1
	s_and_saveexec_b32 s1, s96
	s_cbranch_execz .LBB719_536
; %bb.533:
	global_load_u8 v35, v[2:3], off offset:1184
	s_waitcnt vmcnt(0)
	v_dual_mov_b32 v36, 0 :: v_dual_and_b32 v35, 1, v35
	s_delay_alu instid0(VALU_DEP_1) | instskip(NEXT) | instid1(VALU_DEP_1)
	v_cmp_eq_u32_e64 s0, 1, v35
	s_xor_b32 s0, s0, -1
	s_delay_alu instid0(SALU_CYCLE_1)
	s_and_saveexec_b32 s3, s0
	s_cbranch_execz .LBB719_535
; %bb.534:
	v_sub_f32_e32 v34, v34, v76
	s_delay_alu instid0(VALU_DEP_1) | instskip(NEXT) | instid1(VALU_DEP_1)
	v_mul_f32_e32 v35, 0x3fb8aa3b, v34
	v_fma_f32 v36, 0x3fb8aa3b, v34, -v35
	v_rndne_f32_e32 v78, v35
	s_delay_alu instid0(VALU_DEP_1) | instskip(SKIP_1) | instid1(VALU_DEP_2)
	v_dual_sub_f32 v35, v35, v78 :: v_dual_fmamk_f32 v36, v34, 0x32a5705f, v36
	v_cmp_ngt_f32_e64 s0, 0xc2ce8ed0, v34
	v_add_f32_e32 v35, v35, v36
	v_cvt_i32_f32_e32 v36, v78
	s_delay_alu instid0(VALU_DEP_2) | instskip(SKIP_2) | instid1(VALU_DEP_1)
	v_exp_f32_e32 v35, v35
	s_waitcnt_depctr 0xfff
	v_ldexp_f32 v35, v35, v36
	v_cndmask_b32_e64 v35, 0, v35, s0
	v_cmp_nlt_f32_e64 s0, 0x42b17218, v34
	s_delay_alu instid0(VALU_DEP_1) | instskip(NEXT) | instid1(VALU_DEP_1)
	v_cndmask_b32_e64 v36, 0x7f800000, v35, s0
	v_add_f32_e32 v77, v77, v36
.LBB719_535:
	s_or_b32 exec_lo, exec_lo, s3
.LBB719_536:
	s_delay_alu instid0(SALU_CYCLE_1)
	s_or_b32 exec_lo, exec_lo, s1
	v_dual_mov_b32 v34, 0 :: v_dual_mov_b32 v35, 0
	s_and_saveexec_b32 s1, s95
	s_cbranch_execz .LBB719_540
; %bb.537:
	global_load_u8 v35, v[2:3], off offset:1216
	s_waitcnt vmcnt(0)
	v_and_b32_e32 v35, 1, v35
	s_delay_alu instid0(VALU_DEP_1) | instskip(SKIP_1) | instid1(VALU_DEP_2)
	v_cmp_eq_u32_e64 s0, 1, v35
	v_mov_b32_e32 v35, 0
	s_xor_b32 s0, s0, -1
	s_delay_alu instid0(SALU_CYCLE_1)
	s_and_saveexec_b32 s3, s0
	s_cbranch_execz .LBB719_539
; %bb.538:
	v_sub_f32_e32 v33, v33, v76
	s_delay_alu instid0(VALU_DEP_1) | instskip(SKIP_1) | instid1(VALU_DEP_2)
	v_mul_f32_e32 v35, 0x3fb8aa3b, v33
	v_cmp_ngt_f32_e64 s0, 0xc2ce8ed0, v33
	v_fma_f32 v78, 0x3fb8aa3b, v33, -v35
	v_rndne_f32_e32 v79, v35
	s_delay_alu instid0(VALU_DEP_1) | instskip(NEXT) | instid1(VALU_DEP_1)
	v_dual_fmamk_f32 v78, v33, 0x32a5705f, v78 :: v_dual_sub_f32 v35, v35, v79
	v_add_f32_e32 v35, v35, v78
	v_cvt_i32_f32_e32 v78, v79
	s_delay_alu instid0(VALU_DEP_2) | instskip(SKIP_2) | instid1(VALU_DEP_1)
	v_exp_f32_e32 v35, v35
	s_waitcnt_depctr 0xfff
	v_ldexp_f32 v35, v35, v78
	v_cndmask_b32_e64 v35, 0, v35, s0
	v_cmp_nlt_f32_e64 s0, 0x42b17218, v33
	s_delay_alu instid0(VALU_DEP_1) | instskip(NEXT) | instid1(VALU_DEP_1)
	v_cndmask_b32_e64 v35, 0x7f800000, v35, s0
	v_add_f32_e32 v77, v77, v35
.LBB719_539:
	s_or_b32 exec_lo, exec_lo, s3
.LBB719_540:
	s_delay_alu instid0(SALU_CYCLE_1)
	s_or_b32 exec_lo, exec_lo, s1
	s_and_saveexec_b32 s1, s94
	s_cbranch_execz .LBB719_544
; %bb.541:
	global_load_u8 v33, v[2:3], off offset:1248
	s_waitcnt vmcnt(0)
	v_dual_mov_b32 v34, 0 :: v_dual_and_b32 v33, 1, v33
	s_delay_alu instid0(VALU_DEP_1) | instskip(NEXT) | instid1(VALU_DEP_1)
	v_cmp_eq_u32_e64 s0, 1, v33
	s_xor_b32 s0, s0, -1
	s_delay_alu instid0(SALU_CYCLE_1)
	s_and_saveexec_b32 s3, s0
	s_cbranch_execz .LBB719_543
; %bb.542:
	v_sub_f32_e32 v32, v32, v76
	s_delay_alu instid0(VALU_DEP_1) | instskip(NEXT) | instid1(VALU_DEP_1)
	v_mul_f32_e32 v33, 0x3fb8aa3b, v32
	v_fma_f32 v34, 0x3fb8aa3b, v32, -v33
	v_rndne_f32_e32 v78, v33
	s_delay_alu instid0(VALU_DEP_1) | instskip(SKIP_1) | instid1(VALU_DEP_2)
	v_dual_sub_f32 v33, v33, v78 :: v_dual_fmamk_f32 v34, v32, 0x32a5705f, v34
	v_cmp_ngt_f32_e64 s0, 0xc2ce8ed0, v32
	v_add_f32_e32 v33, v33, v34
	v_cvt_i32_f32_e32 v34, v78
	s_delay_alu instid0(VALU_DEP_2) | instskip(SKIP_2) | instid1(VALU_DEP_1)
	v_exp_f32_e32 v33, v33
	s_waitcnt_depctr 0xfff
	v_ldexp_f32 v33, v33, v34
	v_cndmask_b32_e64 v33, 0, v33, s0
	v_cmp_nlt_f32_e64 s0, 0x42b17218, v32
	s_delay_alu instid0(VALU_DEP_1) | instskip(NEXT) | instid1(VALU_DEP_1)
	v_cndmask_b32_e64 v34, 0x7f800000, v33, s0
	v_add_f32_e32 v77, v77, v34
.LBB719_543:
	s_or_b32 exec_lo, exec_lo, s3
.LBB719_544:
	s_delay_alu instid0(SALU_CYCLE_1)
	s_or_b32 exec_lo, exec_lo, s1
	v_dual_mov_b32 v32, 0 :: v_dual_mov_b32 v33, 0
	s_and_saveexec_b32 s1, s93
	s_cbranch_execz .LBB719_548
; %bb.545:
	global_load_u8 v33, v[2:3], off offset:1280
	s_waitcnt vmcnt(0)
	v_and_b32_e32 v33, 1, v33
	s_delay_alu instid0(VALU_DEP_1) | instskip(SKIP_1) | instid1(VALU_DEP_2)
	v_cmp_eq_u32_e64 s0, 1, v33
	v_mov_b32_e32 v33, 0
	s_xor_b32 s0, s0, -1
	s_delay_alu instid0(SALU_CYCLE_1)
	s_and_saveexec_b32 s3, s0
	s_cbranch_execz .LBB719_547
; %bb.546:
	v_sub_f32_e32 v31, v31, v76
	s_delay_alu instid0(VALU_DEP_1) | instskip(SKIP_1) | instid1(VALU_DEP_2)
	v_mul_f32_e32 v33, 0x3fb8aa3b, v31
	v_cmp_ngt_f32_e64 s0, 0xc2ce8ed0, v31
	v_fma_f32 v78, 0x3fb8aa3b, v31, -v33
	v_rndne_f32_e32 v79, v33
	s_delay_alu instid0(VALU_DEP_1) | instskip(NEXT) | instid1(VALU_DEP_1)
	v_dual_fmamk_f32 v78, v31, 0x32a5705f, v78 :: v_dual_sub_f32 v33, v33, v79
	v_add_f32_e32 v33, v33, v78
	v_cvt_i32_f32_e32 v78, v79
	s_delay_alu instid0(VALU_DEP_2) | instskip(SKIP_2) | instid1(VALU_DEP_1)
	v_exp_f32_e32 v33, v33
	s_waitcnt_depctr 0xfff
	v_ldexp_f32 v33, v33, v78
	v_cndmask_b32_e64 v33, 0, v33, s0
	v_cmp_nlt_f32_e64 s0, 0x42b17218, v31
	s_delay_alu instid0(VALU_DEP_1) | instskip(NEXT) | instid1(VALU_DEP_1)
	v_cndmask_b32_e64 v33, 0x7f800000, v33, s0
	v_add_f32_e32 v77, v77, v33
.LBB719_547:
	s_or_b32 exec_lo, exec_lo, s3
.LBB719_548:
	s_delay_alu instid0(SALU_CYCLE_1)
	s_or_b32 exec_lo, exec_lo, s1
	s_and_saveexec_b32 s1, s92
	s_cbranch_execz .LBB719_552
; %bb.549:
	global_load_u8 v31, v[2:3], off offset:1312
	s_waitcnt vmcnt(0)
	v_dual_mov_b32 v32, 0 :: v_dual_and_b32 v31, 1, v31
	s_delay_alu instid0(VALU_DEP_1) | instskip(NEXT) | instid1(VALU_DEP_1)
	v_cmp_eq_u32_e64 s0, 1, v31
	s_xor_b32 s0, s0, -1
	s_delay_alu instid0(SALU_CYCLE_1)
	s_and_saveexec_b32 s3, s0
	s_cbranch_execz .LBB719_551
; %bb.550:
	v_sub_f32_e32 v30, v30, v76
	s_delay_alu instid0(VALU_DEP_1) | instskip(NEXT) | instid1(VALU_DEP_1)
	v_mul_f32_e32 v31, 0x3fb8aa3b, v30
	v_fma_f32 v32, 0x3fb8aa3b, v30, -v31
	v_rndne_f32_e32 v78, v31
	s_delay_alu instid0(VALU_DEP_1) | instskip(SKIP_1) | instid1(VALU_DEP_2)
	v_dual_sub_f32 v31, v31, v78 :: v_dual_fmamk_f32 v32, v30, 0x32a5705f, v32
	v_cmp_ngt_f32_e64 s0, 0xc2ce8ed0, v30
	v_add_f32_e32 v31, v31, v32
	v_cvt_i32_f32_e32 v32, v78
	s_delay_alu instid0(VALU_DEP_2) | instskip(SKIP_2) | instid1(VALU_DEP_1)
	v_exp_f32_e32 v31, v31
	s_waitcnt_depctr 0xfff
	v_ldexp_f32 v31, v31, v32
	v_cndmask_b32_e64 v31, 0, v31, s0
	v_cmp_nlt_f32_e64 s0, 0x42b17218, v30
	s_delay_alu instid0(VALU_DEP_1) | instskip(NEXT) | instid1(VALU_DEP_1)
	v_cndmask_b32_e64 v32, 0x7f800000, v31, s0
	v_add_f32_e32 v77, v77, v32
.LBB719_551:
	s_or_b32 exec_lo, exec_lo, s3
.LBB719_552:
	s_delay_alu instid0(SALU_CYCLE_1)
	s_or_b32 exec_lo, exec_lo, s1
	v_dual_mov_b32 v30, 0 :: v_dual_mov_b32 v31, 0
	s_and_saveexec_b32 s1, s91
	s_cbranch_execz .LBB719_556
; %bb.553:
	global_load_u8 v31, v[2:3], off offset:1344
	s_waitcnt vmcnt(0)
	v_and_b32_e32 v31, 1, v31
	s_delay_alu instid0(VALU_DEP_1) | instskip(SKIP_1) | instid1(VALU_DEP_2)
	v_cmp_eq_u32_e64 s0, 1, v31
	v_mov_b32_e32 v31, 0
	s_xor_b32 s0, s0, -1
	s_delay_alu instid0(SALU_CYCLE_1)
	s_and_saveexec_b32 s3, s0
	s_cbranch_execz .LBB719_555
; %bb.554:
	v_sub_f32_e32 v29, v29, v76
	s_delay_alu instid0(VALU_DEP_1) | instskip(SKIP_1) | instid1(VALU_DEP_2)
	v_mul_f32_e32 v31, 0x3fb8aa3b, v29
	v_cmp_ngt_f32_e64 s0, 0xc2ce8ed0, v29
	v_fma_f32 v78, 0x3fb8aa3b, v29, -v31
	v_rndne_f32_e32 v79, v31
	s_delay_alu instid0(VALU_DEP_1) | instskip(NEXT) | instid1(VALU_DEP_1)
	v_dual_fmamk_f32 v78, v29, 0x32a5705f, v78 :: v_dual_sub_f32 v31, v31, v79
	v_add_f32_e32 v31, v31, v78
	v_cvt_i32_f32_e32 v78, v79
	s_delay_alu instid0(VALU_DEP_2) | instskip(SKIP_2) | instid1(VALU_DEP_1)
	v_exp_f32_e32 v31, v31
	s_waitcnt_depctr 0xfff
	v_ldexp_f32 v31, v31, v78
	v_cndmask_b32_e64 v31, 0, v31, s0
	v_cmp_nlt_f32_e64 s0, 0x42b17218, v29
	s_delay_alu instid0(VALU_DEP_1) | instskip(NEXT) | instid1(VALU_DEP_1)
	v_cndmask_b32_e64 v31, 0x7f800000, v31, s0
	v_add_f32_e32 v77, v77, v31
.LBB719_555:
	s_or_b32 exec_lo, exec_lo, s3
.LBB719_556:
	s_delay_alu instid0(SALU_CYCLE_1)
	s_or_b32 exec_lo, exec_lo, s1
	s_and_saveexec_b32 s1, s90
	s_cbranch_execz .LBB719_560
; %bb.557:
	global_load_u8 v29, v[2:3], off offset:1376
	s_waitcnt vmcnt(0)
	v_dual_mov_b32 v30, 0 :: v_dual_and_b32 v29, 1, v29
	s_delay_alu instid0(VALU_DEP_1) | instskip(NEXT) | instid1(VALU_DEP_1)
	v_cmp_eq_u32_e64 s0, 1, v29
	s_xor_b32 s0, s0, -1
	s_delay_alu instid0(SALU_CYCLE_1)
	s_and_saveexec_b32 s3, s0
	s_cbranch_execz .LBB719_559
; %bb.558:
	v_sub_f32_e32 v28, v28, v76
	s_delay_alu instid0(VALU_DEP_1) | instskip(NEXT) | instid1(VALU_DEP_1)
	v_mul_f32_e32 v29, 0x3fb8aa3b, v28
	v_fma_f32 v30, 0x3fb8aa3b, v28, -v29
	v_rndne_f32_e32 v78, v29
	s_delay_alu instid0(VALU_DEP_1) | instskip(SKIP_1) | instid1(VALU_DEP_2)
	v_dual_sub_f32 v29, v29, v78 :: v_dual_fmamk_f32 v30, v28, 0x32a5705f, v30
	v_cmp_ngt_f32_e64 s0, 0xc2ce8ed0, v28
	v_add_f32_e32 v29, v29, v30
	v_cvt_i32_f32_e32 v30, v78
	s_delay_alu instid0(VALU_DEP_2) | instskip(SKIP_2) | instid1(VALU_DEP_1)
	v_exp_f32_e32 v29, v29
	s_waitcnt_depctr 0xfff
	v_ldexp_f32 v29, v29, v30
	v_cndmask_b32_e64 v29, 0, v29, s0
	v_cmp_nlt_f32_e64 s0, 0x42b17218, v28
	s_delay_alu instid0(VALU_DEP_1) | instskip(NEXT) | instid1(VALU_DEP_1)
	v_cndmask_b32_e64 v30, 0x7f800000, v29, s0
	v_add_f32_e32 v77, v77, v30
.LBB719_559:
	s_or_b32 exec_lo, exec_lo, s3
.LBB719_560:
	s_delay_alu instid0(SALU_CYCLE_1)
	s_or_b32 exec_lo, exec_lo, s1
	v_dual_mov_b32 v28, 0 :: v_dual_mov_b32 v29, 0
	s_and_saveexec_b32 s1, s89
	s_cbranch_execz .LBB719_564
; %bb.561:
	global_load_u8 v29, v[2:3], off offset:1408
	s_waitcnt vmcnt(0)
	v_and_b32_e32 v29, 1, v29
	s_delay_alu instid0(VALU_DEP_1) | instskip(SKIP_1) | instid1(VALU_DEP_2)
	v_cmp_eq_u32_e64 s0, 1, v29
	v_mov_b32_e32 v29, 0
	s_xor_b32 s0, s0, -1
	s_delay_alu instid0(SALU_CYCLE_1)
	s_and_saveexec_b32 s3, s0
	s_cbranch_execz .LBB719_563
; %bb.562:
	v_sub_f32_e32 v27, v27, v76
	s_delay_alu instid0(VALU_DEP_1) | instskip(SKIP_1) | instid1(VALU_DEP_2)
	v_mul_f32_e32 v29, 0x3fb8aa3b, v27
	v_cmp_ngt_f32_e64 s0, 0xc2ce8ed0, v27
	v_fma_f32 v78, 0x3fb8aa3b, v27, -v29
	v_rndne_f32_e32 v79, v29
	s_delay_alu instid0(VALU_DEP_1) | instskip(NEXT) | instid1(VALU_DEP_1)
	v_dual_fmamk_f32 v78, v27, 0x32a5705f, v78 :: v_dual_sub_f32 v29, v29, v79
	v_add_f32_e32 v29, v29, v78
	v_cvt_i32_f32_e32 v78, v79
	s_delay_alu instid0(VALU_DEP_2) | instskip(SKIP_2) | instid1(VALU_DEP_1)
	v_exp_f32_e32 v29, v29
	s_waitcnt_depctr 0xfff
	v_ldexp_f32 v29, v29, v78
	v_cndmask_b32_e64 v29, 0, v29, s0
	v_cmp_nlt_f32_e64 s0, 0x42b17218, v27
	s_delay_alu instid0(VALU_DEP_1) | instskip(NEXT) | instid1(VALU_DEP_1)
	v_cndmask_b32_e64 v29, 0x7f800000, v29, s0
	v_add_f32_e32 v77, v77, v29
.LBB719_563:
	s_or_b32 exec_lo, exec_lo, s3
.LBB719_564:
	s_delay_alu instid0(SALU_CYCLE_1)
	s_or_b32 exec_lo, exec_lo, s1
	s_and_saveexec_b32 s1, s88
	s_cbranch_execz .LBB719_568
; %bb.565:
	global_load_u8 v27, v[2:3], off offset:1440
	s_waitcnt vmcnt(0)
	v_dual_mov_b32 v28, 0 :: v_dual_and_b32 v27, 1, v27
	s_delay_alu instid0(VALU_DEP_1) | instskip(NEXT) | instid1(VALU_DEP_1)
	v_cmp_eq_u32_e64 s0, 1, v27
	s_xor_b32 s0, s0, -1
	s_delay_alu instid0(SALU_CYCLE_1)
	s_and_saveexec_b32 s3, s0
	s_cbranch_execz .LBB719_567
; %bb.566:
	v_sub_f32_e32 v26, v26, v76
	s_delay_alu instid0(VALU_DEP_1) | instskip(NEXT) | instid1(VALU_DEP_1)
	v_mul_f32_e32 v27, 0x3fb8aa3b, v26
	v_fma_f32 v28, 0x3fb8aa3b, v26, -v27
	v_rndne_f32_e32 v78, v27
	s_delay_alu instid0(VALU_DEP_1) | instskip(SKIP_1) | instid1(VALU_DEP_2)
	v_dual_sub_f32 v27, v27, v78 :: v_dual_fmamk_f32 v28, v26, 0x32a5705f, v28
	v_cmp_ngt_f32_e64 s0, 0xc2ce8ed0, v26
	v_add_f32_e32 v27, v27, v28
	v_cvt_i32_f32_e32 v28, v78
	s_delay_alu instid0(VALU_DEP_2) | instskip(SKIP_2) | instid1(VALU_DEP_1)
	v_exp_f32_e32 v27, v27
	s_waitcnt_depctr 0xfff
	v_ldexp_f32 v27, v27, v28
	v_cndmask_b32_e64 v27, 0, v27, s0
	v_cmp_nlt_f32_e64 s0, 0x42b17218, v26
	s_delay_alu instid0(VALU_DEP_1) | instskip(NEXT) | instid1(VALU_DEP_1)
	v_cndmask_b32_e64 v28, 0x7f800000, v27, s0
	v_add_f32_e32 v77, v77, v28
.LBB719_567:
	s_or_b32 exec_lo, exec_lo, s3
.LBB719_568:
	s_delay_alu instid0(SALU_CYCLE_1)
	s_or_b32 exec_lo, exec_lo, s1
	v_dual_mov_b32 v26, 0 :: v_dual_mov_b32 v27, 0
	s_and_saveexec_b32 s1, s87
	s_cbranch_execz .LBB719_572
; %bb.569:
	global_load_u8 v27, v[2:3], off offset:1472
	s_waitcnt vmcnt(0)
	v_and_b32_e32 v27, 1, v27
	s_delay_alu instid0(VALU_DEP_1) | instskip(SKIP_1) | instid1(VALU_DEP_2)
	v_cmp_eq_u32_e64 s0, 1, v27
	v_mov_b32_e32 v27, 0
	s_xor_b32 s0, s0, -1
	s_delay_alu instid0(SALU_CYCLE_1)
	s_and_saveexec_b32 s3, s0
	s_cbranch_execz .LBB719_571
; %bb.570:
	v_sub_f32_e32 v25, v25, v76
	s_delay_alu instid0(VALU_DEP_1) | instskip(SKIP_1) | instid1(VALU_DEP_2)
	v_mul_f32_e32 v27, 0x3fb8aa3b, v25
	v_cmp_ngt_f32_e64 s0, 0xc2ce8ed0, v25
	v_fma_f32 v78, 0x3fb8aa3b, v25, -v27
	v_rndne_f32_e32 v79, v27
	s_delay_alu instid0(VALU_DEP_1) | instskip(NEXT) | instid1(VALU_DEP_1)
	v_dual_fmamk_f32 v78, v25, 0x32a5705f, v78 :: v_dual_sub_f32 v27, v27, v79
	v_add_f32_e32 v27, v27, v78
	v_cvt_i32_f32_e32 v78, v79
	s_delay_alu instid0(VALU_DEP_2) | instskip(SKIP_2) | instid1(VALU_DEP_1)
	v_exp_f32_e32 v27, v27
	s_waitcnt_depctr 0xfff
	v_ldexp_f32 v27, v27, v78
	v_cndmask_b32_e64 v27, 0, v27, s0
	v_cmp_nlt_f32_e64 s0, 0x42b17218, v25
	s_delay_alu instid0(VALU_DEP_1) | instskip(NEXT) | instid1(VALU_DEP_1)
	v_cndmask_b32_e64 v27, 0x7f800000, v27, s0
	v_add_f32_e32 v77, v77, v27
.LBB719_571:
	s_or_b32 exec_lo, exec_lo, s3
.LBB719_572:
	s_delay_alu instid0(SALU_CYCLE_1)
	s_or_b32 exec_lo, exec_lo, s1
	s_and_saveexec_b32 s1, s86
	s_cbranch_execz .LBB719_576
; %bb.573:
	global_load_u8 v25, v[2:3], off offset:1504
	s_waitcnt vmcnt(0)
	v_dual_mov_b32 v26, 0 :: v_dual_and_b32 v25, 1, v25
	s_delay_alu instid0(VALU_DEP_1) | instskip(NEXT) | instid1(VALU_DEP_1)
	v_cmp_eq_u32_e64 s0, 1, v25
	s_xor_b32 s0, s0, -1
	s_delay_alu instid0(SALU_CYCLE_1)
	s_and_saveexec_b32 s3, s0
	s_cbranch_execz .LBB719_575
; %bb.574:
	v_sub_f32_e32 v24, v24, v76
	s_delay_alu instid0(VALU_DEP_1) | instskip(NEXT) | instid1(VALU_DEP_1)
	v_mul_f32_e32 v25, 0x3fb8aa3b, v24
	v_fma_f32 v26, 0x3fb8aa3b, v24, -v25
	v_rndne_f32_e32 v78, v25
	s_delay_alu instid0(VALU_DEP_1) | instskip(SKIP_1) | instid1(VALU_DEP_2)
	v_dual_sub_f32 v25, v25, v78 :: v_dual_fmamk_f32 v26, v24, 0x32a5705f, v26
	v_cmp_ngt_f32_e64 s0, 0xc2ce8ed0, v24
	v_add_f32_e32 v25, v25, v26
	v_cvt_i32_f32_e32 v26, v78
	s_delay_alu instid0(VALU_DEP_2) | instskip(SKIP_2) | instid1(VALU_DEP_1)
	v_exp_f32_e32 v25, v25
	s_waitcnt_depctr 0xfff
	v_ldexp_f32 v25, v25, v26
	v_cndmask_b32_e64 v25, 0, v25, s0
	v_cmp_nlt_f32_e64 s0, 0x42b17218, v24
	s_delay_alu instid0(VALU_DEP_1) | instskip(NEXT) | instid1(VALU_DEP_1)
	v_cndmask_b32_e64 v26, 0x7f800000, v25, s0
	v_add_f32_e32 v77, v77, v26
.LBB719_575:
	s_or_b32 exec_lo, exec_lo, s3
.LBB719_576:
	s_delay_alu instid0(SALU_CYCLE_1)
	s_or_b32 exec_lo, exec_lo, s1
	v_dual_mov_b32 v24, 0 :: v_dual_mov_b32 v25, 0
	s_and_saveexec_b32 s1, s85
	s_cbranch_execz .LBB719_580
; %bb.577:
	global_load_u8 v25, v[2:3], off offset:1536
	s_waitcnt vmcnt(0)
	v_and_b32_e32 v25, 1, v25
	s_delay_alu instid0(VALU_DEP_1) | instskip(SKIP_1) | instid1(VALU_DEP_2)
	v_cmp_eq_u32_e64 s0, 1, v25
	v_mov_b32_e32 v25, 0
	s_xor_b32 s0, s0, -1
	s_delay_alu instid0(SALU_CYCLE_1)
	s_and_saveexec_b32 s3, s0
	s_cbranch_execz .LBB719_579
; %bb.578:
	v_sub_f32_e32 v23, v23, v76
	s_delay_alu instid0(VALU_DEP_1) | instskip(SKIP_1) | instid1(VALU_DEP_2)
	v_mul_f32_e32 v25, 0x3fb8aa3b, v23
	v_cmp_ngt_f32_e64 s0, 0xc2ce8ed0, v23
	v_fma_f32 v78, 0x3fb8aa3b, v23, -v25
	v_rndne_f32_e32 v79, v25
	s_delay_alu instid0(VALU_DEP_1) | instskip(NEXT) | instid1(VALU_DEP_1)
	v_dual_fmamk_f32 v78, v23, 0x32a5705f, v78 :: v_dual_sub_f32 v25, v25, v79
	v_add_f32_e32 v25, v25, v78
	v_cvt_i32_f32_e32 v78, v79
	s_delay_alu instid0(VALU_DEP_2) | instskip(SKIP_2) | instid1(VALU_DEP_1)
	v_exp_f32_e32 v25, v25
	s_waitcnt_depctr 0xfff
	v_ldexp_f32 v25, v25, v78
	v_cndmask_b32_e64 v25, 0, v25, s0
	v_cmp_nlt_f32_e64 s0, 0x42b17218, v23
	s_delay_alu instid0(VALU_DEP_1) | instskip(NEXT) | instid1(VALU_DEP_1)
	v_cndmask_b32_e64 v25, 0x7f800000, v25, s0
	v_add_f32_e32 v77, v77, v25
.LBB719_579:
	s_or_b32 exec_lo, exec_lo, s3
.LBB719_580:
	s_delay_alu instid0(SALU_CYCLE_1)
	s_or_b32 exec_lo, exec_lo, s1
	s_and_saveexec_b32 s1, s84
	s_cbranch_execz .LBB719_584
; %bb.581:
	global_load_u8 v23, v[2:3], off offset:1568
	s_waitcnt vmcnt(0)
	v_dual_mov_b32 v24, 0 :: v_dual_and_b32 v23, 1, v23
	s_delay_alu instid0(VALU_DEP_1) | instskip(NEXT) | instid1(VALU_DEP_1)
	v_cmp_eq_u32_e64 s0, 1, v23
	s_xor_b32 s0, s0, -1
	s_delay_alu instid0(SALU_CYCLE_1)
	s_and_saveexec_b32 s3, s0
	s_cbranch_execz .LBB719_583
; %bb.582:
	v_sub_f32_e32 v22, v22, v76
	s_delay_alu instid0(VALU_DEP_1) | instskip(NEXT) | instid1(VALU_DEP_1)
	v_mul_f32_e32 v23, 0x3fb8aa3b, v22
	v_fma_f32 v24, 0x3fb8aa3b, v22, -v23
	v_rndne_f32_e32 v78, v23
	s_delay_alu instid0(VALU_DEP_1) | instskip(SKIP_1) | instid1(VALU_DEP_2)
	v_dual_sub_f32 v23, v23, v78 :: v_dual_fmamk_f32 v24, v22, 0x32a5705f, v24
	v_cmp_ngt_f32_e64 s0, 0xc2ce8ed0, v22
	v_add_f32_e32 v23, v23, v24
	v_cvt_i32_f32_e32 v24, v78
	s_delay_alu instid0(VALU_DEP_2) | instskip(SKIP_2) | instid1(VALU_DEP_1)
	v_exp_f32_e32 v23, v23
	s_waitcnt_depctr 0xfff
	v_ldexp_f32 v23, v23, v24
	v_cndmask_b32_e64 v23, 0, v23, s0
	v_cmp_nlt_f32_e64 s0, 0x42b17218, v22
	s_delay_alu instid0(VALU_DEP_1) | instskip(NEXT) | instid1(VALU_DEP_1)
	v_cndmask_b32_e64 v24, 0x7f800000, v23, s0
	v_add_f32_e32 v77, v77, v24
.LBB719_583:
	s_or_b32 exec_lo, exec_lo, s3
.LBB719_584:
	s_delay_alu instid0(SALU_CYCLE_1)
	s_or_b32 exec_lo, exec_lo, s1
	v_dual_mov_b32 v22, 0 :: v_dual_mov_b32 v23, 0
	s_and_saveexec_b32 s1, s83
	s_cbranch_execz .LBB719_588
; %bb.585:
	global_load_u8 v23, v[2:3], off offset:1600
	s_waitcnt vmcnt(0)
	v_and_b32_e32 v23, 1, v23
	s_delay_alu instid0(VALU_DEP_1) | instskip(SKIP_1) | instid1(VALU_DEP_2)
	v_cmp_eq_u32_e64 s0, 1, v23
	v_mov_b32_e32 v23, 0
	s_xor_b32 s0, s0, -1
	s_delay_alu instid0(SALU_CYCLE_1)
	s_and_saveexec_b32 s3, s0
	s_cbranch_execz .LBB719_587
; %bb.586:
	v_sub_f32_e32 v21, v21, v76
	s_delay_alu instid0(VALU_DEP_1) | instskip(SKIP_1) | instid1(VALU_DEP_2)
	v_mul_f32_e32 v23, 0x3fb8aa3b, v21
	v_cmp_ngt_f32_e64 s0, 0xc2ce8ed0, v21
	v_fma_f32 v78, 0x3fb8aa3b, v21, -v23
	v_rndne_f32_e32 v79, v23
	s_delay_alu instid0(VALU_DEP_1) | instskip(NEXT) | instid1(VALU_DEP_1)
	v_dual_fmamk_f32 v78, v21, 0x32a5705f, v78 :: v_dual_sub_f32 v23, v23, v79
	v_add_f32_e32 v23, v23, v78
	v_cvt_i32_f32_e32 v78, v79
	s_delay_alu instid0(VALU_DEP_2) | instskip(SKIP_2) | instid1(VALU_DEP_1)
	v_exp_f32_e32 v23, v23
	s_waitcnt_depctr 0xfff
	v_ldexp_f32 v23, v23, v78
	v_cndmask_b32_e64 v23, 0, v23, s0
	v_cmp_nlt_f32_e64 s0, 0x42b17218, v21
	s_delay_alu instid0(VALU_DEP_1) | instskip(NEXT) | instid1(VALU_DEP_1)
	v_cndmask_b32_e64 v23, 0x7f800000, v23, s0
	v_add_f32_e32 v77, v77, v23
.LBB719_587:
	s_or_b32 exec_lo, exec_lo, s3
.LBB719_588:
	s_delay_alu instid0(SALU_CYCLE_1)
	s_or_b32 exec_lo, exec_lo, s1
	s_and_saveexec_b32 s1, s82
	s_cbranch_execz .LBB719_592
; %bb.589:
	global_load_u8 v21, v[2:3], off offset:1632
	s_waitcnt vmcnt(0)
	v_dual_mov_b32 v22, 0 :: v_dual_and_b32 v21, 1, v21
	s_delay_alu instid0(VALU_DEP_1) | instskip(NEXT) | instid1(VALU_DEP_1)
	v_cmp_eq_u32_e64 s0, 1, v21
	s_xor_b32 s0, s0, -1
	s_delay_alu instid0(SALU_CYCLE_1)
	s_and_saveexec_b32 s3, s0
	s_cbranch_execz .LBB719_591
; %bb.590:
	v_sub_f32_e32 v20, v20, v76
	s_delay_alu instid0(VALU_DEP_1) | instskip(NEXT) | instid1(VALU_DEP_1)
	v_mul_f32_e32 v21, 0x3fb8aa3b, v20
	v_fma_f32 v22, 0x3fb8aa3b, v20, -v21
	v_rndne_f32_e32 v78, v21
	s_delay_alu instid0(VALU_DEP_1) | instskip(SKIP_1) | instid1(VALU_DEP_2)
	v_dual_sub_f32 v21, v21, v78 :: v_dual_fmamk_f32 v22, v20, 0x32a5705f, v22
	v_cmp_ngt_f32_e64 s0, 0xc2ce8ed0, v20
	v_add_f32_e32 v21, v21, v22
	v_cvt_i32_f32_e32 v22, v78
	s_delay_alu instid0(VALU_DEP_2) | instskip(SKIP_2) | instid1(VALU_DEP_1)
	v_exp_f32_e32 v21, v21
	s_waitcnt_depctr 0xfff
	v_ldexp_f32 v21, v21, v22
	v_cndmask_b32_e64 v21, 0, v21, s0
	v_cmp_nlt_f32_e64 s0, 0x42b17218, v20
	s_delay_alu instid0(VALU_DEP_1) | instskip(NEXT) | instid1(VALU_DEP_1)
	v_cndmask_b32_e64 v22, 0x7f800000, v21, s0
	v_add_f32_e32 v77, v77, v22
.LBB719_591:
	s_or_b32 exec_lo, exec_lo, s3
.LBB719_592:
	s_delay_alu instid0(SALU_CYCLE_1)
	s_or_b32 exec_lo, exec_lo, s1
	v_dual_mov_b32 v20, 0 :: v_dual_mov_b32 v21, 0
	s_and_saveexec_b32 s1, s81
	s_cbranch_execz .LBB719_596
; %bb.593:
	global_load_u8 v21, v[2:3], off offset:1664
	s_waitcnt vmcnt(0)
	v_and_b32_e32 v21, 1, v21
	s_delay_alu instid0(VALU_DEP_1) | instskip(SKIP_1) | instid1(VALU_DEP_2)
	v_cmp_eq_u32_e64 s0, 1, v21
	v_mov_b32_e32 v21, 0
	s_xor_b32 s0, s0, -1
	s_delay_alu instid0(SALU_CYCLE_1)
	s_and_saveexec_b32 s3, s0
	s_cbranch_execz .LBB719_595
; %bb.594:
	v_sub_f32_e32 v19, v19, v76
	s_delay_alu instid0(VALU_DEP_1) | instskip(SKIP_1) | instid1(VALU_DEP_2)
	v_mul_f32_e32 v21, 0x3fb8aa3b, v19
	v_cmp_ngt_f32_e64 s0, 0xc2ce8ed0, v19
	v_fma_f32 v78, 0x3fb8aa3b, v19, -v21
	v_rndne_f32_e32 v79, v21
	s_delay_alu instid0(VALU_DEP_1) | instskip(NEXT) | instid1(VALU_DEP_1)
	v_dual_fmamk_f32 v78, v19, 0x32a5705f, v78 :: v_dual_sub_f32 v21, v21, v79
	v_add_f32_e32 v21, v21, v78
	v_cvt_i32_f32_e32 v78, v79
	s_delay_alu instid0(VALU_DEP_2) | instskip(SKIP_2) | instid1(VALU_DEP_1)
	v_exp_f32_e32 v21, v21
	s_waitcnt_depctr 0xfff
	v_ldexp_f32 v21, v21, v78
	v_cndmask_b32_e64 v21, 0, v21, s0
	v_cmp_nlt_f32_e64 s0, 0x42b17218, v19
	s_delay_alu instid0(VALU_DEP_1) | instskip(NEXT) | instid1(VALU_DEP_1)
	v_cndmask_b32_e64 v21, 0x7f800000, v21, s0
	v_add_f32_e32 v77, v77, v21
.LBB719_595:
	s_or_b32 exec_lo, exec_lo, s3
.LBB719_596:
	s_delay_alu instid0(SALU_CYCLE_1)
	s_or_b32 exec_lo, exec_lo, s1
	s_and_saveexec_b32 s1, s80
	s_cbranch_execz .LBB719_600
; %bb.597:
	global_load_u8 v19, v[2:3], off offset:1696
	s_waitcnt vmcnt(0)
	v_dual_mov_b32 v20, 0 :: v_dual_and_b32 v19, 1, v19
	s_delay_alu instid0(VALU_DEP_1) | instskip(NEXT) | instid1(VALU_DEP_1)
	v_cmp_eq_u32_e64 s0, 1, v19
	s_xor_b32 s0, s0, -1
	s_delay_alu instid0(SALU_CYCLE_1)
	s_and_saveexec_b32 s3, s0
	s_cbranch_execz .LBB719_599
; %bb.598:
	v_sub_f32_e32 v18, v18, v76
	s_delay_alu instid0(VALU_DEP_1) | instskip(NEXT) | instid1(VALU_DEP_1)
	v_mul_f32_e32 v19, 0x3fb8aa3b, v18
	v_fma_f32 v20, 0x3fb8aa3b, v18, -v19
	v_rndne_f32_e32 v78, v19
	s_delay_alu instid0(VALU_DEP_1) | instskip(SKIP_1) | instid1(VALU_DEP_2)
	v_dual_sub_f32 v19, v19, v78 :: v_dual_fmamk_f32 v20, v18, 0x32a5705f, v20
	v_cmp_ngt_f32_e64 s0, 0xc2ce8ed0, v18
	v_add_f32_e32 v19, v19, v20
	v_cvt_i32_f32_e32 v20, v78
	s_delay_alu instid0(VALU_DEP_2) | instskip(SKIP_2) | instid1(VALU_DEP_1)
	v_exp_f32_e32 v19, v19
	s_waitcnt_depctr 0xfff
	v_ldexp_f32 v19, v19, v20
	v_cndmask_b32_e64 v19, 0, v19, s0
	v_cmp_nlt_f32_e64 s0, 0x42b17218, v18
	s_delay_alu instid0(VALU_DEP_1) | instskip(NEXT) | instid1(VALU_DEP_1)
	v_cndmask_b32_e64 v20, 0x7f800000, v19, s0
	v_add_f32_e32 v77, v77, v20
.LBB719_599:
	s_or_b32 exec_lo, exec_lo, s3
.LBB719_600:
	s_delay_alu instid0(SALU_CYCLE_1)
	s_or_b32 exec_lo, exec_lo, s1
	v_dual_mov_b32 v18, 0 :: v_dual_mov_b32 v19, 0
	s_and_saveexec_b32 s1, s79
	s_cbranch_execz .LBB719_604
; %bb.601:
	global_load_u8 v19, v[2:3], off offset:1728
	s_waitcnt vmcnt(0)
	v_and_b32_e32 v19, 1, v19
	s_delay_alu instid0(VALU_DEP_1) | instskip(SKIP_1) | instid1(VALU_DEP_2)
	v_cmp_eq_u32_e64 s0, 1, v19
	v_mov_b32_e32 v19, 0
	s_xor_b32 s0, s0, -1
	s_delay_alu instid0(SALU_CYCLE_1)
	s_and_saveexec_b32 s3, s0
	s_cbranch_execz .LBB719_603
; %bb.602:
	v_sub_f32_e32 v17, v17, v76
	s_delay_alu instid0(VALU_DEP_1) | instskip(SKIP_1) | instid1(VALU_DEP_2)
	v_mul_f32_e32 v19, 0x3fb8aa3b, v17
	v_cmp_ngt_f32_e64 s0, 0xc2ce8ed0, v17
	v_fma_f32 v78, 0x3fb8aa3b, v17, -v19
	v_rndne_f32_e32 v79, v19
	s_delay_alu instid0(VALU_DEP_1) | instskip(NEXT) | instid1(VALU_DEP_1)
	v_dual_fmamk_f32 v78, v17, 0x32a5705f, v78 :: v_dual_sub_f32 v19, v19, v79
	v_add_f32_e32 v19, v19, v78
	v_cvt_i32_f32_e32 v78, v79
	s_delay_alu instid0(VALU_DEP_2) | instskip(SKIP_2) | instid1(VALU_DEP_1)
	v_exp_f32_e32 v19, v19
	s_waitcnt_depctr 0xfff
	v_ldexp_f32 v19, v19, v78
	v_cndmask_b32_e64 v19, 0, v19, s0
	v_cmp_nlt_f32_e64 s0, 0x42b17218, v17
	s_delay_alu instid0(VALU_DEP_1) | instskip(NEXT) | instid1(VALU_DEP_1)
	v_cndmask_b32_e64 v19, 0x7f800000, v19, s0
	v_add_f32_e32 v77, v77, v19
.LBB719_603:
	s_or_b32 exec_lo, exec_lo, s3
.LBB719_604:
	s_delay_alu instid0(SALU_CYCLE_1)
	s_or_b32 exec_lo, exec_lo, s1
	s_and_saveexec_b32 s1, s78
	s_cbranch_execz .LBB719_608
; %bb.605:
	global_load_u8 v17, v[2:3], off offset:1760
	s_waitcnt vmcnt(0)
	v_dual_mov_b32 v18, 0 :: v_dual_and_b32 v17, 1, v17
	s_delay_alu instid0(VALU_DEP_1) | instskip(NEXT) | instid1(VALU_DEP_1)
	v_cmp_eq_u32_e64 s0, 1, v17
	s_xor_b32 s0, s0, -1
	s_delay_alu instid0(SALU_CYCLE_1)
	s_and_saveexec_b32 s3, s0
	s_cbranch_execz .LBB719_607
; %bb.606:
	v_sub_f32_e32 v16, v16, v76
	s_delay_alu instid0(VALU_DEP_1) | instskip(NEXT) | instid1(VALU_DEP_1)
	v_mul_f32_e32 v17, 0x3fb8aa3b, v16
	v_fma_f32 v18, 0x3fb8aa3b, v16, -v17
	v_rndne_f32_e32 v78, v17
	s_delay_alu instid0(VALU_DEP_1) | instskip(SKIP_1) | instid1(VALU_DEP_2)
	v_dual_sub_f32 v17, v17, v78 :: v_dual_fmamk_f32 v18, v16, 0x32a5705f, v18
	v_cmp_ngt_f32_e64 s0, 0xc2ce8ed0, v16
	v_add_f32_e32 v17, v17, v18
	v_cvt_i32_f32_e32 v18, v78
	s_delay_alu instid0(VALU_DEP_2) | instskip(SKIP_2) | instid1(VALU_DEP_1)
	v_exp_f32_e32 v17, v17
	s_waitcnt_depctr 0xfff
	v_ldexp_f32 v17, v17, v18
	v_cndmask_b32_e64 v17, 0, v17, s0
	v_cmp_nlt_f32_e64 s0, 0x42b17218, v16
	s_delay_alu instid0(VALU_DEP_1) | instskip(NEXT) | instid1(VALU_DEP_1)
	v_cndmask_b32_e64 v18, 0x7f800000, v17, s0
	v_add_f32_e32 v77, v77, v18
.LBB719_607:
	s_or_b32 exec_lo, exec_lo, s3
.LBB719_608:
	s_delay_alu instid0(SALU_CYCLE_1)
	s_or_b32 exec_lo, exec_lo, s1
	v_dual_mov_b32 v16, 0 :: v_dual_mov_b32 v17, 0
	s_and_saveexec_b32 s1, s77
	s_cbranch_execz .LBB719_612
; %bb.609:
	global_load_u8 v17, v[2:3], off offset:1792
	s_waitcnt vmcnt(0)
	v_and_b32_e32 v17, 1, v17
	s_delay_alu instid0(VALU_DEP_1) | instskip(SKIP_1) | instid1(VALU_DEP_2)
	v_cmp_eq_u32_e64 s0, 1, v17
	v_mov_b32_e32 v17, 0
	s_xor_b32 s0, s0, -1
	s_delay_alu instid0(SALU_CYCLE_1)
	s_and_saveexec_b32 s3, s0
	s_cbranch_execz .LBB719_611
; %bb.610:
	v_sub_f32_e32 v15, v15, v76
	s_delay_alu instid0(VALU_DEP_1) | instskip(SKIP_1) | instid1(VALU_DEP_2)
	v_mul_f32_e32 v17, 0x3fb8aa3b, v15
	v_cmp_ngt_f32_e64 s0, 0xc2ce8ed0, v15
	v_fma_f32 v78, 0x3fb8aa3b, v15, -v17
	v_rndne_f32_e32 v79, v17
	s_delay_alu instid0(VALU_DEP_1) | instskip(NEXT) | instid1(VALU_DEP_1)
	v_dual_fmamk_f32 v78, v15, 0x32a5705f, v78 :: v_dual_sub_f32 v17, v17, v79
	v_add_f32_e32 v17, v17, v78
	v_cvt_i32_f32_e32 v78, v79
	s_delay_alu instid0(VALU_DEP_2) | instskip(SKIP_2) | instid1(VALU_DEP_1)
	v_exp_f32_e32 v17, v17
	s_waitcnt_depctr 0xfff
	v_ldexp_f32 v17, v17, v78
	v_cndmask_b32_e64 v17, 0, v17, s0
	v_cmp_nlt_f32_e64 s0, 0x42b17218, v15
	s_delay_alu instid0(VALU_DEP_1) | instskip(NEXT) | instid1(VALU_DEP_1)
	v_cndmask_b32_e64 v17, 0x7f800000, v17, s0
	v_add_f32_e32 v77, v77, v17
.LBB719_611:
	s_or_b32 exec_lo, exec_lo, s3
.LBB719_612:
	s_delay_alu instid0(SALU_CYCLE_1)
	s_or_b32 exec_lo, exec_lo, s1
	s_and_saveexec_b32 s1, s76
	s_cbranch_execz .LBB719_616
; %bb.613:
	global_load_u8 v15, v[2:3], off offset:1824
	s_waitcnt vmcnt(0)
	v_dual_mov_b32 v16, 0 :: v_dual_and_b32 v15, 1, v15
	s_delay_alu instid0(VALU_DEP_1) | instskip(NEXT) | instid1(VALU_DEP_1)
	v_cmp_eq_u32_e64 s0, 1, v15
	s_xor_b32 s0, s0, -1
	s_delay_alu instid0(SALU_CYCLE_1)
	s_and_saveexec_b32 s3, s0
	s_cbranch_execz .LBB719_615
; %bb.614:
	v_sub_f32_e32 v14, v14, v76
	s_delay_alu instid0(VALU_DEP_1) | instskip(NEXT) | instid1(VALU_DEP_1)
	v_mul_f32_e32 v15, 0x3fb8aa3b, v14
	v_fma_f32 v16, 0x3fb8aa3b, v14, -v15
	v_rndne_f32_e32 v78, v15
	s_delay_alu instid0(VALU_DEP_1) | instskip(SKIP_1) | instid1(VALU_DEP_2)
	v_dual_sub_f32 v15, v15, v78 :: v_dual_fmamk_f32 v16, v14, 0x32a5705f, v16
	v_cmp_ngt_f32_e64 s0, 0xc2ce8ed0, v14
	v_add_f32_e32 v15, v15, v16
	v_cvt_i32_f32_e32 v16, v78
	s_delay_alu instid0(VALU_DEP_2) | instskip(SKIP_2) | instid1(VALU_DEP_1)
	v_exp_f32_e32 v15, v15
	s_waitcnt_depctr 0xfff
	v_ldexp_f32 v15, v15, v16
	v_cndmask_b32_e64 v15, 0, v15, s0
	v_cmp_nlt_f32_e64 s0, 0x42b17218, v14
	s_delay_alu instid0(VALU_DEP_1) | instskip(NEXT) | instid1(VALU_DEP_1)
	v_cndmask_b32_e64 v16, 0x7f800000, v15, s0
	v_add_f32_e32 v77, v77, v16
.LBB719_615:
	s_or_b32 exec_lo, exec_lo, s3
.LBB719_616:
	s_delay_alu instid0(SALU_CYCLE_1)
	s_or_b32 exec_lo, exec_lo, s1
	v_dual_mov_b32 v14, 0 :: v_dual_mov_b32 v15, 0
	s_and_saveexec_b32 s1, s75
	s_cbranch_execz .LBB719_620
; %bb.617:
	global_load_u8 v15, v[2:3], off offset:1856
	s_waitcnt vmcnt(0)
	v_and_b32_e32 v15, 1, v15
	s_delay_alu instid0(VALU_DEP_1) | instskip(SKIP_1) | instid1(VALU_DEP_2)
	v_cmp_eq_u32_e64 s0, 1, v15
	v_mov_b32_e32 v15, 0
	s_xor_b32 s0, s0, -1
	s_delay_alu instid0(SALU_CYCLE_1)
	s_and_saveexec_b32 s3, s0
	s_cbranch_execz .LBB719_619
; %bb.618:
	v_sub_f32_e32 v13, v13, v76
	s_delay_alu instid0(VALU_DEP_1) | instskip(SKIP_1) | instid1(VALU_DEP_2)
	v_mul_f32_e32 v15, 0x3fb8aa3b, v13
	v_cmp_ngt_f32_e64 s0, 0xc2ce8ed0, v13
	v_fma_f32 v78, 0x3fb8aa3b, v13, -v15
	v_rndne_f32_e32 v79, v15
	s_delay_alu instid0(VALU_DEP_1) | instskip(NEXT) | instid1(VALU_DEP_1)
	v_dual_fmamk_f32 v78, v13, 0x32a5705f, v78 :: v_dual_sub_f32 v15, v15, v79
	v_add_f32_e32 v15, v15, v78
	v_cvt_i32_f32_e32 v78, v79
	s_delay_alu instid0(VALU_DEP_2) | instskip(SKIP_2) | instid1(VALU_DEP_1)
	v_exp_f32_e32 v15, v15
	s_waitcnt_depctr 0xfff
	v_ldexp_f32 v15, v15, v78
	v_cndmask_b32_e64 v15, 0, v15, s0
	v_cmp_nlt_f32_e64 s0, 0x42b17218, v13
	s_delay_alu instid0(VALU_DEP_1) | instskip(NEXT) | instid1(VALU_DEP_1)
	v_cndmask_b32_e64 v15, 0x7f800000, v15, s0
	v_add_f32_e32 v77, v77, v15
.LBB719_619:
	s_or_b32 exec_lo, exec_lo, s3
.LBB719_620:
	s_delay_alu instid0(SALU_CYCLE_1)
	s_or_b32 exec_lo, exec_lo, s1
	s_and_saveexec_b32 s1, s73
	s_cbranch_execz .LBB719_624
; %bb.621:
	global_load_u8 v13, v[2:3], off offset:1888
	s_waitcnt vmcnt(0)
	v_dual_mov_b32 v14, 0 :: v_dual_and_b32 v13, 1, v13
	s_delay_alu instid0(VALU_DEP_1) | instskip(NEXT) | instid1(VALU_DEP_1)
	v_cmp_eq_u32_e64 s0, 1, v13
	s_xor_b32 s0, s0, -1
	s_delay_alu instid0(SALU_CYCLE_1)
	s_and_saveexec_b32 s3, s0
	s_cbranch_execz .LBB719_623
; %bb.622:
	v_sub_f32_e32 v12, v12, v76
	s_delay_alu instid0(VALU_DEP_1) | instskip(NEXT) | instid1(VALU_DEP_1)
	v_mul_f32_e32 v13, 0x3fb8aa3b, v12
	v_fma_f32 v14, 0x3fb8aa3b, v12, -v13
	v_rndne_f32_e32 v78, v13
	s_delay_alu instid0(VALU_DEP_1) | instskip(SKIP_1) | instid1(VALU_DEP_2)
	v_dual_sub_f32 v13, v13, v78 :: v_dual_fmamk_f32 v14, v12, 0x32a5705f, v14
	v_cmp_ngt_f32_e64 s0, 0xc2ce8ed0, v12
	v_add_f32_e32 v13, v13, v14
	v_cvt_i32_f32_e32 v14, v78
	s_delay_alu instid0(VALU_DEP_2) | instskip(SKIP_2) | instid1(VALU_DEP_1)
	v_exp_f32_e32 v13, v13
	s_waitcnt_depctr 0xfff
	v_ldexp_f32 v13, v13, v14
	v_cndmask_b32_e64 v13, 0, v13, s0
	v_cmp_nlt_f32_e64 s0, 0x42b17218, v12
	s_delay_alu instid0(VALU_DEP_1) | instskip(NEXT) | instid1(VALU_DEP_1)
	v_cndmask_b32_e64 v14, 0x7f800000, v13, s0
	v_add_f32_e32 v77, v77, v14
.LBB719_623:
	s_or_b32 exec_lo, exec_lo, s3
.LBB719_624:
	s_delay_alu instid0(SALU_CYCLE_1)
	s_or_b32 exec_lo, exec_lo, s1
	v_dual_mov_b32 v12, 0 :: v_dual_mov_b32 v13, 0
	s_and_saveexec_b32 s1, s72
	s_cbranch_execz .LBB719_628
; %bb.625:
	global_load_u8 v13, v[2:3], off offset:1920
	s_waitcnt vmcnt(0)
	v_and_b32_e32 v13, 1, v13
	s_delay_alu instid0(VALU_DEP_1) | instskip(SKIP_1) | instid1(VALU_DEP_2)
	v_cmp_eq_u32_e64 s0, 1, v13
	v_mov_b32_e32 v13, 0
	s_xor_b32 s0, s0, -1
	s_delay_alu instid0(SALU_CYCLE_1)
	s_and_saveexec_b32 s3, s0
	s_cbranch_execz .LBB719_627
; %bb.626:
	v_sub_f32_e32 v11, v11, v76
	s_delay_alu instid0(VALU_DEP_1) | instskip(SKIP_1) | instid1(VALU_DEP_2)
	v_mul_f32_e32 v13, 0x3fb8aa3b, v11
	v_cmp_ngt_f32_e64 s0, 0xc2ce8ed0, v11
	v_fma_f32 v78, 0x3fb8aa3b, v11, -v13
	v_rndne_f32_e32 v79, v13
	s_delay_alu instid0(VALU_DEP_1) | instskip(NEXT) | instid1(VALU_DEP_1)
	v_dual_fmamk_f32 v78, v11, 0x32a5705f, v78 :: v_dual_sub_f32 v13, v13, v79
	v_add_f32_e32 v13, v13, v78
	v_cvt_i32_f32_e32 v78, v79
	s_delay_alu instid0(VALU_DEP_2) | instskip(SKIP_2) | instid1(VALU_DEP_1)
	v_exp_f32_e32 v13, v13
	s_waitcnt_depctr 0xfff
	v_ldexp_f32 v13, v13, v78
	v_cndmask_b32_e64 v13, 0, v13, s0
	v_cmp_nlt_f32_e64 s0, 0x42b17218, v11
	s_delay_alu instid0(VALU_DEP_1) | instskip(NEXT) | instid1(VALU_DEP_1)
	v_cndmask_b32_e64 v13, 0x7f800000, v13, s0
	v_add_f32_e32 v77, v77, v13
.LBB719_627:
	s_or_b32 exec_lo, exec_lo, s3
.LBB719_628:
	s_delay_alu instid0(SALU_CYCLE_1)
	s_or_b32 exec_lo, exec_lo, s1
	s_and_saveexec_b32 s1, s71
	s_cbranch_execz .LBB719_632
; %bb.629:
	global_load_u8 v11, v[2:3], off offset:1952
	s_waitcnt vmcnt(0)
	v_dual_mov_b32 v12, 0 :: v_dual_and_b32 v11, 1, v11
	s_delay_alu instid0(VALU_DEP_1) | instskip(NEXT) | instid1(VALU_DEP_1)
	v_cmp_eq_u32_e64 s0, 1, v11
	s_xor_b32 s0, s0, -1
	s_delay_alu instid0(SALU_CYCLE_1)
	s_and_saveexec_b32 s3, s0
	s_cbranch_execz .LBB719_631
; %bb.630:
	v_sub_f32_e32 v10, v10, v76
	s_delay_alu instid0(VALU_DEP_1) | instskip(NEXT) | instid1(VALU_DEP_1)
	v_mul_f32_e32 v11, 0x3fb8aa3b, v10
	v_fma_f32 v12, 0x3fb8aa3b, v10, -v11
	v_rndne_f32_e32 v78, v11
	s_delay_alu instid0(VALU_DEP_1) | instskip(SKIP_1) | instid1(VALU_DEP_2)
	v_dual_sub_f32 v11, v11, v78 :: v_dual_fmamk_f32 v12, v10, 0x32a5705f, v12
	v_cmp_ngt_f32_e64 s0, 0xc2ce8ed0, v10
	v_add_f32_e32 v11, v11, v12
	v_cvt_i32_f32_e32 v12, v78
	s_delay_alu instid0(VALU_DEP_2) | instskip(SKIP_2) | instid1(VALU_DEP_1)
	v_exp_f32_e32 v11, v11
	s_waitcnt_depctr 0xfff
	v_ldexp_f32 v11, v11, v12
	v_cndmask_b32_e64 v11, 0, v11, s0
	v_cmp_nlt_f32_e64 s0, 0x42b17218, v10
	s_delay_alu instid0(VALU_DEP_1) | instskip(NEXT) | instid1(VALU_DEP_1)
	v_cndmask_b32_e64 v12, 0x7f800000, v11, s0
	v_add_f32_e32 v77, v77, v12
.LBB719_631:
	s_or_b32 exec_lo, exec_lo, s3
.LBB719_632:
	s_delay_alu instid0(SALU_CYCLE_1)
	s_or_b32 exec_lo, exec_lo, s1
	v_dual_mov_b32 v10, 0 :: v_dual_mov_b32 v11, 0
	s_and_saveexec_b32 s1, s70
	s_cbranch_execz .LBB719_636
; %bb.633:
	global_load_u8 v11, v[2:3], off offset:1984
	s_waitcnt vmcnt(0)
	v_and_b32_e32 v11, 1, v11
	s_delay_alu instid0(VALU_DEP_1) | instskip(SKIP_1) | instid1(VALU_DEP_2)
	v_cmp_eq_u32_e64 s0, 1, v11
	v_mov_b32_e32 v11, 0
	s_xor_b32 s0, s0, -1
	s_delay_alu instid0(SALU_CYCLE_1)
	s_and_saveexec_b32 s3, s0
	s_cbranch_execz .LBB719_635
; %bb.634:
	v_sub_f32_e32 v9, v9, v76
	s_delay_alu instid0(VALU_DEP_1) | instskip(SKIP_1) | instid1(VALU_DEP_2)
	v_mul_f32_e32 v11, 0x3fb8aa3b, v9
	v_cmp_ngt_f32_e64 s0, 0xc2ce8ed0, v9
	v_fma_f32 v78, 0x3fb8aa3b, v9, -v11
	v_rndne_f32_e32 v79, v11
	s_delay_alu instid0(VALU_DEP_1) | instskip(NEXT) | instid1(VALU_DEP_1)
	v_dual_fmamk_f32 v78, v9, 0x32a5705f, v78 :: v_dual_sub_f32 v11, v11, v79
	v_add_f32_e32 v11, v11, v78
	v_cvt_i32_f32_e32 v78, v79
	s_delay_alu instid0(VALU_DEP_2) | instskip(SKIP_2) | instid1(VALU_DEP_1)
	v_exp_f32_e32 v11, v11
	s_waitcnt_depctr 0xfff
	v_ldexp_f32 v11, v11, v78
	v_cndmask_b32_e64 v11, 0, v11, s0
	v_cmp_nlt_f32_e64 s0, 0x42b17218, v9
	s_delay_alu instid0(VALU_DEP_1) | instskip(NEXT) | instid1(VALU_DEP_1)
	v_cndmask_b32_e64 v11, 0x7f800000, v11, s0
	v_add_f32_e32 v77, v77, v11
.LBB719_635:
	s_or_b32 exec_lo, exec_lo, s3
.LBB719_636:
	s_delay_alu instid0(SALU_CYCLE_1)
	s_or_b32 exec_lo, exec_lo, s1
	s_and_saveexec_b32 s1, s67
	s_cbranch_execz .LBB719_640
; %bb.637:
	global_load_u8 v2, v[2:3], off offset:2016
	v_mov_b32_e32 v10, 0
	s_waitcnt vmcnt(0)
	v_and_b32_e32 v2, 1, v2
	s_delay_alu instid0(VALU_DEP_1) | instskip(NEXT) | instid1(VALU_DEP_1)
	v_cmp_eq_u32_e64 s0, 1, v2
	s_xor_b32 s0, s0, -1
	s_delay_alu instid0(SALU_CYCLE_1)
	s_and_saveexec_b32 s3, s0
	s_cbranch_execz .LBB719_639
; %bb.638:
	v_sub_f32_e32 v2, v8, v76
	s_delay_alu instid0(VALU_DEP_1) | instskip(NEXT) | instid1(VALU_DEP_1)
	v_mul_f32_e32 v3, 0x3fb8aa3b, v2
	v_fma_f32 v8, 0x3fb8aa3b, v2, -v3
	v_rndne_f32_e32 v9, v3
	s_delay_alu instid0(VALU_DEP_1) | instskip(SKIP_1) | instid1(VALU_DEP_2)
	v_dual_sub_f32 v3, v3, v9 :: v_dual_fmamk_f32 v8, v2, 0x32a5705f, v8
	v_cmp_ngt_f32_e64 s0, 0xc2ce8ed0, v2
	v_add_f32_e32 v3, v3, v8
	v_cvt_i32_f32_e32 v8, v9
	s_delay_alu instid0(VALU_DEP_2) | instskip(SKIP_2) | instid1(VALU_DEP_1)
	v_exp_f32_e32 v3, v3
	s_waitcnt_depctr 0xfff
	v_ldexp_f32 v3, v3, v8
	v_cndmask_b32_e64 v3, 0, v3, s0
	v_cmp_nlt_f32_e64 s0, 0x42b17218, v2
	s_delay_alu instid0(VALU_DEP_1) | instskip(NEXT) | instid1(VALU_DEP_1)
	v_cndmask_b32_e64 v10, 0x7f800000, v3, s0
	v_add_f32_e32 v77, v77, v10
.LBB719_639:
	s_or_b32 exec_lo, exec_lo, s3
.LBB719_640:
	s_delay_alu instid0(SALU_CYCLE_1)
	s_or_b32 exec_lo, exec_lo, s1
	ds_bpermute_b32 v2, v5, v77
	s_mov_b32 s1, exec_lo
	s_waitcnt lgkmcnt(0)
	v_add_f32_e32 v2, v77, v2
	ds_bpermute_b32 v3, v6, v2
	s_waitcnt lgkmcnt(0)
	v_add_f32_e32 v2, v2, v3
	ds_bpermute_b32 v3, v72, v2
	;; [unrolled: 3-line block ×4, first 2 shown]
	v_cmpx_lt_i32_e32 0, v7
	s_cbranch_execz .LBB719_706
; %bb.641:
	s_and_b32 exec_lo, exec_lo, vcc_lo
	s_cbranch_execz .LBB719_706
; %bb.642:
	s_waitcnt lgkmcnt(0)
	v_add_f32_e32 v2, v2, v3
	v_readlane_b32 s0, v80, 0
	v_readlane_b32 s1, v80, 1
	;; [unrolled: 1-line block ×4, first 2 shown]
	v_div_scale_f32 v3, null, v2, v2, v74
	v_div_scale_f32 v7, vcc_lo, v74, v2, v74
	s_delay_alu instid0(VALU_DEP_2) | instskip(SKIP_2) | instid1(VALU_DEP_1)
	v_rcp_f32_e32 v5, v3
	s_waitcnt_depctr 0xfff
	v_fma_f32 v6, -v3, v5, 1.0
	v_fmac_f32_e32 v5, v6, v5
	s_delay_alu instid0(VALU_DEP_1) | instskip(NEXT) | instid1(VALU_DEP_1)
	v_mul_f32_e32 v6, v7, v5
	v_fma_f32 v8, -v3, v6, v7
	s_delay_alu instid0(VALU_DEP_1) | instskip(NEXT) | instid1(VALU_DEP_1)
	v_fmac_f32_e32 v6, v8, v5
	v_fma_f32 v3, -v3, v6, v7
	s_delay_alu instid0(VALU_DEP_1) | instskip(SKIP_3) | instid1(VALU_DEP_4)
	v_div_fmas_f32 v3, v3, v5, v6
	v_add_co_u32 v0, vcc_lo, s0, v0
	v_cmp_eq_f32_e64 s0, 0, v2
	v_add_co_ci_u32_e32 v1, vcc_lo, s1, v1, vcc_lo
	v_div_fixup_f32 v3, v3, v2, v74
	s_delay_alu instid0(VALU_DEP_1)
	v_cndmask_b32_e64 v3, v3, 0x7fc00000, s0
	global_store_b32 v[0:1], v3, off
	s_and_b32 exec_lo, exec_lo, s65
	s_cbranch_execz .LBB719_706
; %bb.643:
	v_div_scale_f32 v3, null, v2, v2, v4
	s_delay_alu instid0(VALU_DEP_1) | instskip(SKIP_2) | instid1(VALU_DEP_1)
	v_rcp_f32_e32 v5, v3
	s_waitcnt_depctr 0xfff
	v_fma_f32 v6, -v3, v5, 1.0
	v_fmac_f32_e32 v5, v6, v5
	v_div_scale_f32 v6, vcc_lo, v4, v2, v4
	s_delay_alu instid0(VALU_DEP_1) | instskip(NEXT) | instid1(VALU_DEP_1)
	v_mul_f32_e32 v7, v6, v5
	v_fma_f32 v8, -v3, v7, v6
	s_delay_alu instid0(VALU_DEP_1) | instskip(NEXT) | instid1(VALU_DEP_1)
	v_fmac_f32_e32 v7, v8, v5
	v_fma_f32 v3, -v3, v7, v6
	s_delay_alu instid0(VALU_DEP_1) | instskip(NEXT) | instid1(VALU_DEP_1)
	v_div_fmas_f32 v3, v3, v5, v7
	v_div_fixup_f32 v3, v3, v2, v4
	s_delay_alu instid0(VALU_DEP_1)
	v_cndmask_b32_e64 v3, v3, 0x7fc00000, s0
	global_store_b32 v[0:1], v3, off offset:128
	s_and_b32 exec_lo, exec_lo, s64
	s_cbranch_execz .LBB719_706
; %bb.644:
	v_div_scale_f32 v3, null, v2, v2, v71
	s_delay_alu instid0(VALU_DEP_1) | instskip(SKIP_2) | instid1(VALU_DEP_1)
	v_rcp_f32_e32 v4, v3
	s_waitcnt_depctr 0xfff
	v_fma_f32 v5, -v3, v4, 1.0
	v_fmac_f32_e32 v4, v5, v4
	v_div_scale_f32 v5, vcc_lo, v71, v2, v71
	s_delay_alu instid0(VALU_DEP_1) | instskip(NEXT) | instid1(VALU_DEP_1)
	v_mul_f32_e32 v6, v5, v4
	v_fma_f32 v7, -v3, v6, v5
	s_delay_alu instid0(VALU_DEP_1) | instskip(NEXT) | instid1(VALU_DEP_1)
	v_fmac_f32_e32 v6, v7, v4
	v_fma_f32 v3, -v3, v6, v5
	s_delay_alu instid0(VALU_DEP_1) | instskip(NEXT) | instid1(VALU_DEP_1)
	v_div_fmas_f32 v3, v3, v4, v6
	v_div_fixup_f32 v3, v3, v2, v71
	s_delay_alu instid0(VALU_DEP_1)
	v_cndmask_b32_e64 v3, v3, 0x7fc00000, s0
	global_store_b32 v[0:1], v3, off offset:256
	;; [unrolled: 22-line block ×31, first 2 shown]
	s_and_b32 exec_lo, exec_lo, s34
	s_cbranch_execz .LBB719_706
; %bb.674:
	v_div_scale_f32 v3, null, v2, v2, v41
	v_div_scale_f32 v6, vcc_lo, v41, v2, v41
	s_delay_alu instid0(VALU_DEP_2) | instskip(SKIP_2) | instid1(VALU_DEP_1)
	v_rcp_f32_e32 v4, v3
	s_waitcnt_depctr 0xfff
	v_fma_f32 v5, -v3, v4, 1.0
	v_fmac_f32_e32 v4, v5, v4
	s_delay_alu instid0(VALU_DEP_1) | instskip(NEXT) | instid1(VALU_DEP_1)
	v_mul_f32_e32 v5, v6, v4
	v_fma_f32 v7, -v3, v5, v6
	s_delay_alu instid0(VALU_DEP_1) | instskip(NEXT) | instid1(VALU_DEP_1)
	v_fmac_f32_e32 v5, v7, v4
	v_fma_f32 v3, -v3, v5, v6
	s_delay_alu instid0(VALU_DEP_1) | instskip(SKIP_2) | instid1(VALU_DEP_3)
	v_div_fmas_f32 v3, v3, v4, v5
	v_add_co_u32 v0, vcc_lo, 0x1000, v0
	v_add_co_ci_u32_e32 v1, vcc_lo, 0, v1, vcc_lo
	v_div_fixup_f32 v3, v3, v2, v41
	s_delay_alu instid0(VALU_DEP_1)
	v_cndmask_b32_e64 v3, v3, 0x7fc00000, s0
	global_store_b32 v[0:1], v3, off
	s_and_b32 exec_lo, exec_lo, s33
	s_cbranch_execz .LBB719_706
; %bb.675:
	v_div_scale_f32 v3, null, v2, v2, v40
	s_delay_alu instid0(VALU_DEP_1) | instskip(SKIP_2) | instid1(VALU_DEP_1)
	v_rcp_f32_e32 v4, v3
	s_waitcnt_depctr 0xfff
	v_fma_f32 v5, -v3, v4, 1.0
	v_fmac_f32_e32 v4, v5, v4
	v_div_scale_f32 v5, vcc_lo, v40, v2, v40
	s_delay_alu instid0(VALU_DEP_1) | instskip(NEXT) | instid1(VALU_DEP_1)
	v_mul_f32_e32 v6, v5, v4
	v_fma_f32 v7, -v3, v6, v5
	s_delay_alu instid0(VALU_DEP_1) | instskip(NEXT) | instid1(VALU_DEP_1)
	v_fmac_f32_e32 v6, v7, v4
	v_fma_f32 v3, -v3, v6, v5
	s_delay_alu instid0(VALU_DEP_1) | instskip(NEXT) | instid1(VALU_DEP_1)
	v_div_fmas_f32 v3, v3, v4, v6
	v_div_fixup_f32 v3, v3, v2, v40
	s_delay_alu instid0(VALU_DEP_1)
	v_cndmask_b32_e64 v3, v3, 0x7fc00000, s0
	global_store_b32 v[0:1], v3, off offset:128
	s_and_b32 exec_lo, exec_lo, s31
	s_cbranch_execz .LBB719_706
; %bb.676:
	v_div_scale_f32 v3, null, v2, v2, v39
	s_delay_alu instid0(VALU_DEP_1) | instskip(SKIP_2) | instid1(VALU_DEP_1)
	v_rcp_f32_e32 v4, v3
	s_waitcnt_depctr 0xfff
	v_fma_f32 v5, -v3, v4, 1.0
	v_fmac_f32_e32 v4, v5, v4
	v_div_scale_f32 v5, vcc_lo, v39, v2, v39
	s_delay_alu instid0(VALU_DEP_1) | instskip(NEXT) | instid1(VALU_DEP_1)
	v_mul_f32_e32 v6, v5, v4
	v_fma_f32 v7, -v3, v6, v5
	s_delay_alu instid0(VALU_DEP_1) | instskip(NEXT) | instid1(VALU_DEP_1)
	v_fmac_f32_e32 v6, v7, v4
	v_fma_f32 v3, -v3, v6, v5
	s_delay_alu instid0(VALU_DEP_1) | instskip(NEXT) | instid1(VALU_DEP_1)
	v_div_fmas_f32 v3, v3, v4, v6
	v_div_fixup_f32 v3, v3, v2, v39
	s_delay_alu instid0(VALU_DEP_1)
	v_cndmask_b32_e64 v3, v3, 0x7fc00000, s0
	global_store_b32 v[0:1], v3, off offset:256
	;; [unrolled: 22-line block ×3, first 2 shown]
	s_and_b32 exec_lo, exec_lo, s29
	s_cbranch_execz .LBB719_706
; %bb.678:
	v_div_scale_f32 v3, null, v2, v2, v37
	v_readlane_b32 s1, v80, 4
	s_delay_alu instid0(VALU_DEP_2) | instskip(SKIP_2) | instid1(VALU_DEP_1)
	v_rcp_f32_e32 v4, v3
	s_waitcnt_depctr 0xfff
	v_fma_f32 v5, -v3, v4, 1.0
	v_fmac_f32_e32 v4, v5, v4
	v_div_scale_f32 v5, vcc_lo, v37, v2, v37
	s_delay_alu instid0(VALU_DEP_1) | instskip(NEXT) | instid1(VALU_DEP_1)
	v_mul_f32_e32 v6, v5, v4
	v_fma_f32 v7, -v3, v6, v5
	s_delay_alu instid0(VALU_DEP_1) | instskip(NEXT) | instid1(VALU_DEP_1)
	v_fmac_f32_e32 v6, v7, v4
	v_fma_f32 v3, -v3, v6, v5
	s_delay_alu instid0(VALU_DEP_1) | instskip(NEXT) | instid1(VALU_DEP_1)
	v_div_fmas_f32 v3, v3, v4, v6
	v_div_fixup_f32 v3, v3, v2, v37
	s_delay_alu instid0(VALU_DEP_1)
	v_cndmask_b32_e64 v3, v3, 0x7fc00000, s0
	global_store_b32 v[0:1], v3, off offset:512
	s_and_b32 exec_lo, exec_lo, s1
	s_cbranch_execz .LBB719_706
; %bb.679:
	v_div_scale_f32 v3, null, v2, v2, v36
	v_readlane_b32 s1, v80, 5
	s_delay_alu instid0(VALU_DEP_2) | instskip(SKIP_2) | instid1(VALU_DEP_1)
	v_rcp_f32_e32 v4, v3
	s_waitcnt_depctr 0xfff
	v_fma_f32 v5, -v3, v4, 1.0
	v_fmac_f32_e32 v4, v5, v4
	v_div_scale_f32 v5, vcc_lo, v36, v2, v36
	s_delay_alu instid0(VALU_DEP_1) | instskip(NEXT) | instid1(VALU_DEP_1)
	v_mul_f32_e32 v6, v5, v4
	v_fma_f32 v7, -v3, v6, v5
	s_delay_alu instid0(VALU_DEP_1) | instskip(NEXT) | instid1(VALU_DEP_1)
	v_fmac_f32_e32 v6, v7, v4
	v_fma_f32 v3, -v3, v6, v5
	s_delay_alu instid0(VALU_DEP_1) | instskip(NEXT) | instid1(VALU_DEP_1)
	v_div_fmas_f32 v3, v3, v4, v6
	v_div_fixup_f32 v3, v3, v2, v36
	s_delay_alu instid0(VALU_DEP_1)
	v_cndmask_b32_e64 v3, v3, 0x7fc00000, s0
	global_store_b32 v[0:1], v3, off offset:640
	s_and_b32 exec_lo, exec_lo, s1
	s_cbranch_execz .LBB719_706
; %bb.680:
	v_div_scale_f32 v3, null, v2, v2, v35
	v_readlane_b32 s1, v80, 6
	s_delay_alu instid0(VALU_DEP_2) | instskip(SKIP_2) | instid1(VALU_DEP_1)
	v_rcp_f32_e32 v4, v3
	s_waitcnt_depctr 0xfff
	v_fma_f32 v5, -v3, v4, 1.0
	v_fmac_f32_e32 v4, v5, v4
	v_div_scale_f32 v5, vcc_lo, v35, v2, v35
	s_delay_alu instid0(VALU_DEP_1) | instskip(NEXT) | instid1(VALU_DEP_1)
	v_mul_f32_e32 v6, v5, v4
	v_fma_f32 v7, -v3, v6, v5
	s_delay_alu instid0(VALU_DEP_1) | instskip(NEXT) | instid1(VALU_DEP_1)
	v_fmac_f32_e32 v6, v7, v4
	v_fma_f32 v3, -v3, v6, v5
	s_delay_alu instid0(VALU_DEP_1) | instskip(NEXT) | instid1(VALU_DEP_1)
	v_div_fmas_f32 v3, v3, v4, v6
	v_div_fixup_f32 v3, v3, v2, v35
	s_delay_alu instid0(VALU_DEP_1)
	v_cndmask_b32_e64 v3, v3, 0x7fc00000, s0
	global_store_b32 v[0:1], v3, off offset:768
	s_and_b32 exec_lo, exec_lo, s1
	s_cbranch_execz .LBB719_706
; %bb.681:
	v_div_scale_f32 v3, null, v2, v2, v34
	v_readlane_b32 s1, v80, 7
	s_delay_alu instid0(VALU_DEP_2) | instskip(SKIP_2) | instid1(VALU_DEP_1)
	v_rcp_f32_e32 v4, v3
	s_waitcnt_depctr 0xfff
	v_fma_f32 v5, -v3, v4, 1.0
	v_fmac_f32_e32 v4, v5, v4
	v_div_scale_f32 v5, vcc_lo, v34, v2, v34
	s_delay_alu instid0(VALU_DEP_1) | instskip(NEXT) | instid1(VALU_DEP_1)
	v_mul_f32_e32 v6, v5, v4
	v_fma_f32 v7, -v3, v6, v5
	s_delay_alu instid0(VALU_DEP_1) | instskip(NEXT) | instid1(VALU_DEP_1)
	v_fmac_f32_e32 v6, v7, v4
	v_fma_f32 v3, -v3, v6, v5
	s_delay_alu instid0(VALU_DEP_1) | instskip(NEXT) | instid1(VALU_DEP_1)
	v_div_fmas_f32 v3, v3, v4, v6
	v_div_fixup_f32 v3, v3, v2, v34
	s_delay_alu instid0(VALU_DEP_1)
	v_cndmask_b32_e64 v3, v3, 0x7fc00000, s0
	global_store_b32 v[0:1], v3, off offset:896
	s_and_b32 exec_lo, exec_lo, s1
	s_cbranch_execz .LBB719_706
; %bb.682:
	v_div_scale_f32 v3, null, v2, v2, v33
	v_readlane_b32 s1, v80, 8
	s_delay_alu instid0(VALU_DEP_2) | instskip(SKIP_2) | instid1(VALU_DEP_1)
	v_rcp_f32_e32 v4, v3
	s_waitcnt_depctr 0xfff
	v_fma_f32 v5, -v3, v4, 1.0
	v_fmac_f32_e32 v4, v5, v4
	v_div_scale_f32 v5, vcc_lo, v33, v2, v33
	s_delay_alu instid0(VALU_DEP_1) | instskip(NEXT) | instid1(VALU_DEP_1)
	v_mul_f32_e32 v6, v5, v4
	v_fma_f32 v7, -v3, v6, v5
	s_delay_alu instid0(VALU_DEP_1) | instskip(NEXT) | instid1(VALU_DEP_1)
	v_fmac_f32_e32 v6, v7, v4
	v_fma_f32 v3, -v3, v6, v5
	s_delay_alu instid0(VALU_DEP_1) | instskip(NEXT) | instid1(VALU_DEP_1)
	v_div_fmas_f32 v3, v3, v4, v6
	v_div_fixup_f32 v3, v3, v2, v33
	s_delay_alu instid0(VALU_DEP_1)
	v_cndmask_b32_e64 v3, v3, 0x7fc00000, s0
	global_store_b32 v[0:1], v3, off offset:1024
	s_and_b32 exec_lo, exec_lo, s1
	s_cbranch_execz .LBB719_706
; %bb.683:
	v_div_scale_f32 v3, null, v2, v2, v32
	v_readlane_b32 s1, v80, 9
	s_delay_alu instid0(VALU_DEP_2) | instskip(SKIP_2) | instid1(VALU_DEP_1)
	v_rcp_f32_e32 v4, v3
	s_waitcnt_depctr 0xfff
	v_fma_f32 v5, -v3, v4, 1.0
	v_fmac_f32_e32 v4, v5, v4
	v_div_scale_f32 v5, vcc_lo, v32, v2, v32
	s_delay_alu instid0(VALU_DEP_1) | instskip(NEXT) | instid1(VALU_DEP_1)
	v_mul_f32_e32 v6, v5, v4
	v_fma_f32 v7, -v3, v6, v5
	s_delay_alu instid0(VALU_DEP_1) | instskip(NEXT) | instid1(VALU_DEP_1)
	v_fmac_f32_e32 v6, v7, v4
	v_fma_f32 v3, -v3, v6, v5
	s_delay_alu instid0(VALU_DEP_1) | instskip(NEXT) | instid1(VALU_DEP_1)
	v_div_fmas_f32 v3, v3, v4, v6
	v_div_fixup_f32 v3, v3, v2, v32
	s_delay_alu instid0(VALU_DEP_1)
	v_cndmask_b32_e64 v3, v3, 0x7fc00000, s0
	global_store_b32 v[0:1], v3, off offset:1152
	s_and_b32 exec_lo, exec_lo, s1
	s_cbranch_execz .LBB719_706
; %bb.684:
	v_div_scale_f32 v3, null, v2, v2, v31
	v_readlane_b32 s1, v80, 10
	s_delay_alu instid0(VALU_DEP_2) | instskip(SKIP_2) | instid1(VALU_DEP_1)
	v_rcp_f32_e32 v4, v3
	s_waitcnt_depctr 0xfff
	v_fma_f32 v5, -v3, v4, 1.0
	v_fmac_f32_e32 v4, v5, v4
	v_div_scale_f32 v5, vcc_lo, v31, v2, v31
	s_delay_alu instid0(VALU_DEP_1) | instskip(NEXT) | instid1(VALU_DEP_1)
	v_mul_f32_e32 v6, v5, v4
	v_fma_f32 v7, -v3, v6, v5
	s_delay_alu instid0(VALU_DEP_1) | instskip(NEXT) | instid1(VALU_DEP_1)
	v_fmac_f32_e32 v6, v7, v4
	v_fma_f32 v3, -v3, v6, v5
	s_delay_alu instid0(VALU_DEP_1) | instskip(NEXT) | instid1(VALU_DEP_1)
	v_div_fmas_f32 v3, v3, v4, v6
	v_div_fixup_f32 v3, v3, v2, v31
	s_delay_alu instid0(VALU_DEP_1)
	v_cndmask_b32_e64 v3, v3, 0x7fc00000, s0
	global_store_b32 v[0:1], v3, off offset:1280
	s_and_b32 exec_lo, exec_lo, s1
	s_cbranch_execz .LBB719_706
; %bb.685:
	v_div_scale_f32 v3, null, v2, v2, v30
	v_readlane_b32 s1, v80, 11
	s_delay_alu instid0(VALU_DEP_2) | instskip(SKIP_2) | instid1(VALU_DEP_1)
	v_rcp_f32_e32 v4, v3
	s_waitcnt_depctr 0xfff
	v_fma_f32 v5, -v3, v4, 1.0
	v_fmac_f32_e32 v4, v5, v4
	v_div_scale_f32 v5, vcc_lo, v30, v2, v30
	s_delay_alu instid0(VALU_DEP_1) | instskip(NEXT) | instid1(VALU_DEP_1)
	v_mul_f32_e32 v6, v5, v4
	v_fma_f32 v7, -v3, v6, v5
	s_delay_alu instid0(VALU_DEP_1) | instskip(NEXT) | instid1(VALU_DEP_1)
	v_fmac_f32_e32 v6, v7, v4
	v_fma_f32 v3, -v3, v6, v5
	s_delay_alu instid0(VALU_DEP_1) | instskip(NEXT) | instid1(VALU_DEP_1)
	v_div_fmas_f32 v3, v3, v4, v6
	v_div_fixup_f32 v3, v3, v2, v30
	s_delay_alu instid0(VALU_DEP_1)
	v_cndmask_b32_e64 v3, v3, 0x7fc00000, s0
	global_store_b32 v[0:1], v3, off offset:1408
	s_and_b32 exec_lo, exec_lo, s1
	s_cbranch_execz .LBB719_706
; %bb.686:
	v_div_scale_f32 v3, null, v2, v2, v29
	v_readlane_b32 s1, v80, 12
	s_delay_alu instid0(VALU_DEP_2) | instskip(SKIP_2) | instid1(VALU_DEP_1)
	v_rcp_f32_e32 v4, v3
	s_waitcnt_depctr 0xfff
	v_fma_f32 v5, -v3, v4, 1.0
	v_fmac_f32_e32 v4, v5, v4
	v_div_scale_f32 v5, vcc_lo, v29, v2, v29
	s_delay_alu instid0(VALU_DEP_1) | instskip(NEXT) | instid1(VALU_DEP_1)
	v_mul_f32_e32 v6, v5, v4
	v_fma_f32 v7, -v3, v6, v5
	s_delay_alu instid0(VALU_DEP_1) | instskip(NEXT) | instid1(VALU_DEP_1)
	v_fmac_f32_e32 v6, v7, v4
	v_fma_f32 v3, -v3, v6, v5
	s_delay_alu instid0(VALU_DEP_1) | instskip(NEXT) | instid1(VALU_DEP_1)
	v_div_fmas_f32 v3, v3, v4, v6
	v_div_fixup_f32 v3, v3, v2, v29
	s_delay_alu instid0(VALU_DEP_1)
	v_cndmask_b32_e64 v3, v3, 0x7fc00000, s0
	global_store_b32 v[0:1], v3, off offset:1536
	s_and_b32 exec_lo, exec_lo, s1
	s_cbranch_execz .LBB719_706
; %bb.687:
	v_div_scale_f32 v3, null, v2, v2, v28
	v_readlane_b32 s1, v80, 13
	s_delay_alu instid0(VALU_DEP_2) | instskip(SKIP_2) | instid1(VALU_DEP_1)
	v_rcp_f32_e32 v4, v3
	s_waitcnt_depctr 0xfff
	v_fma_f32 v5, -v3, v4, 1.0
	v_fmac_f32_e32 v4, v5, v4
	v_div_scale_f32 v5, vcc_lo, v28, v2, v28
	s_delay_alu instid0(VALU_DEP_1) | instskip(NEXT) | instid1(VALU_DEP_1)
	v_mul_f32_e32 v6, v5, v4
	v_fma_f32 v7, -v3, v6, v5
	s_delay_alu instid0(VALU_DEP_1) | instskip(NEXT) | instid1(VALU_DEP_1)
	v_fmac_f32_e32 v6, v7, v4
	v_fma_f32 v3, -v3, v6, v5
	s_delay_alu instid0(VALU_DEP_1) | instskip(NEXT) | instid1(VALU_DEP_1)
	v_div_fmas_f32 v3, v3, v4, v6
	v_div_fixup_f32 v3, v3, v2, v28
	s_delay_alu instid0(VALU_DEP_1)
	v_cndmask_b32_e64 v3, v3, 0x7fc00000, s0
	global_store_b32 v[0:1], v3, off offset:1664
	s_and_b32 exec_lo, exec_lo, s1
	s_cbranch_execz .LBB719_706
; %bb.688:
	v_div_scale_f32 v3, null, v2, v2, v27
	v_readlane_b32 s1, v80, 14
	s_delay_alu instid0(VALU_DEP_2) | instskip(SKIP_2) | instid1(VALU_DEP_1)
	v_rcp_f32_e32 v4, v3
	s_waitcnt_depctr 0xfff
	v_fma_f32 v5, -v3, v4, 1.0
	v_fmac_f32_e32 v4, v5, v4
	v_div_scale_f32 v5, vcc_lo, v27, v2, v27
	s_delay_alu instid0(VALU_DEP_1) | instskip(NEXT) | instid1(VALU_DEP_1)
	v_mul_f32_e32 v6, v5, v4
	v_fma_f32 v7, -v3, v6, v5
	s_delay_alu instid0(VALU_DEP_1) | instskip(NEXT) | instid1(VALU_DEP_1)
	v_fmac_f32_e32 v6, v7, v4
	v_fma_f32 v3, -v3, v6, v5
	s_delay_alu instid0(VALU_DEP_1) | instskip(NEXT) | instid1(VALU_DEP_1)
	v_div_fmas_f32 v3, v3, v4, v6
	v_div_fixup_f32 v3, v3, v2, v27
	s_delay_alu instid0(VALU_DEP_1)
	v_cndmask_b32_e64 v3, v3, 0x7fc00000, s0
	global_store_b32 v[0:1], v3, off offset:1792
	s_and_b32 exec_lo, exec_lo, s1
	s_cbranch_execz .LBB719_706
; %bb.689:
	v_div_scale_f32 v3, null, v2, v2, v26
	v_readlane_b32 s1, v80, 15
	s_delay_alu instid0(VALU_DEP_2) | instskip(SKIP_2) | instid1(VALU_DEP_1)
	v_rcp_f32_e32 v4, v3
	s_waitcnt_depctr 0xfff
	v_fma_f32 v5, -v3, v4, 1.0
	v_fmac_f32_e32 v4, v5, v4
	v_div_scale_f32 v5, vcc_lo, v26, v2, v26
	s_delay_alu instid0(VALU_DEP_1) | instskip(NEXT) | instid1(VALU_DEP_1)
	v_mul_f32_e32 v6, v5, v4
	v_fma_f32 v7, -v3, v6, v5
	s_delay_alu instid0(VALU_DEP_1) | instskip(NEXT) | instid1(VALU_DEP_1)
	v_fmac_f32_e32 v6, v7, v4
	v_fma_f32 v3, -v3, v6, v5
	s_delay_alu instid0(VALU_DEP_1) | instskip(NEXT) | instid1(VALU_DEP_1)
	v_div_fmas_f32 v3, v3, v4, v6
	v_div_fixup_f32 v3, v3, v2, v26
	s_delay_alu instid0(VALU_DEP_1)
	v_cndmask_b32_e64 v3, v3, 0x7fc00000, s0
	global_store_b32 v[0:1], v3, off offset:1920
	s_and_b32 exec_lo, exec_lo, s1
	s_cbranch_execz .LBB719_706
; %bb.690:
	v_div_scale_f32 v3, null, v2, v2, v25
	v_readlane_b32 s1, v80, 16
	s_delay_alu instid0(VALU_DEP_2) | instskip(SKIP_2) | instid1(VALU_DEP_1)
	v_rcp_f32_e32 v4, v3
	s_waitcnt_depctr 0xfff
	v_fma_f32 v5, -v3, v4, 1.0
	v_fmac_f32_e32 v4, v5, v4
	v_div_scale_f32 v5, vcc_lo, v25, v2, v25
	s_delay_alu instid0(VALU_DEP_1) | instskip(NEXT) | instid1(VALU_DEP_1)
	v_mul_f32_e32 v6, v5, v4
	v_fma_f32 v7, -v3, v6, v5
	s_delay_alu instid0(VALU_DEP_1) | instskip(NEXT) | instid1(VALU_DEP_1)
	v_fmac_f32_e32 v6, v7, v4
	v_fma_f32 v3, -v3, v6, v5
	s_delay_alu instid0(VALU_DEP_1) | instskip(NEXT) | instid1(VALU_DEP_1)
	v_div_fmas_f32 v3, v3, v4, v6
	v_div_fixup_f32 v3, v3, v2, v25
	s_delay_alu instid0(VALU_DEP_1)
	v_cndmask_b32_e64 v3, v3, 0x7fc00000, s0
	global_store_b32 v[0:1], v3, off offset:2048
	s_and_b32 exec_lo, exec_lo, s1
	s_cbranch_execz .LBB719_706
; %bb.691:
	v_div_scale_f32 v3, null, v2, v2, v24
	v_readlane_b32 s1, v80, 17
	s_delay_alu instid0(VALU_DEP_2) | instskip(SKIP_2) | instid1(VALU_DEP_1)
	v_rcp_f32_e32 v4, v3
	s_waitcnt_depctr 0xfff
	v_fma_f32 v5, -v3, v4, 1.0
	v_fmac_f32_e32 v4, v5, v4
	v_div_scale_f32 v5, vcc_lo, v24, v2, v24
	s_delay_alu instid0(VALU_DEP_1) | instskip(NEXT) | instid1(VALU_DEP_1)
	v_mul_f32_e32 v6, v5, v4
	v_fma_f32 v7, -v3, v6, v5
	s_delay_alu instid0(VALU_DEP_1) | instskip(NEXT) | instid1(VALU_DEP_1)
	v_fmac_f32_e32 v6, v7, v4
	v_fma_f32 v3, -v3, v6, v5
	s_delay_alu instid0(VALU_DEP_1) | instskip(NEXT) | instid1(VALU_DEP_1)
	v_div_fmas_f32 v3, v3, v4, v6
	v_div_fixup_f32 v3, v3, v2, v24
	s_delay_alu instid0(VALU_DEP_1)
	v_cndmask_b32_e64 v3, v3, 0x7fc00000, s0
	global_store_b32 v[0:1], v3, off offset:2176
	s_and_b32 exec_lo, exec_lo, s1
	s_cbranch_execz .LBB719_706
; %bb.692:
	v_div_scale_f32 v3, null, v2, v2, v23
	v_readlane_b32 s1, v80, 18
	s_delay_alu instid0(VALU_DEP_2) | instskip(SKIP_2) | instid1(VALU_DEP_1)
	v_rcp_f32_e32 v4, v3
	s_waitcnt_depctr 0xfff
	v_fma_f32 v5, -v3, v4, 1.0
	v_fmac_f32_e32 v4, v5, v4
	v_div_scale_f32 v5, vcc_lo, v23, v2, v23
	s_delay_alu instid0(VALU_DEP_1) | instskip(NEXT) | instid1(VALU_DEP_1)
	v_mul_f32_e32 v6, v5, v4
	v_fma_f32 v7, -v3, v6, v5
	s_delay_alu instid0(VALU_DEP_1) | instskip(NEXT) | instid1(VALU_DEP_1)
	v_fmac_f32_e32 v6, v7, v4
	v_fma_f32 v3, -v3, v6, v5
	s_delay_alu instid0(VALU_DEP_1) | instskip(NEXT) | instid1(VALU_DEP_1)
	v_div_fmas_f32 v3, v3, v4, v6
	v_div_fixup_f32 v3, v3, v2, v23
	s_delay_alu instid0(VALU_DEP_1)
	v_cndmask_b32_e64 v3, v3, 0x7fc00000, s0
	global_store_b32 v[0:1], v3, off offset:2304
	s_and_b32 exec_lo, exec_lo, s1
	s_cbranch_execz .LBB719_706
; %bb.693:
	v_div_scale_f32 v3, null, v2, v2, v22
	v_readlane_b32 s1, v80, 19
	s_delay_alu instid0(VALU_DEP_2) | instskip(SKIP_2) | instid1(VALU_DEP_1)
	v_rcp_f32_e32 v4, v3
	s_waitcnt_depctr 0xfff
	v_fma_f32 v5, -v3, v4, 1.0
	v_fmac_f32_e32 v4, v5, v4
	v_div_scale_f32 v5, vcc_lo, v22, v2, v22
	s_delay_alu instid0(VALU_DEP_1) | instskip(NEXT) | instid1(VALU_DEP_1)
	v_mul_f32_e32 v6, v5, v4
	v_fma_f32 v7, -v3, v6, v5
	s_delay_alu instid0(VALU_DEP_1) | instskip(NEXT) | instid1(VALU_DEP_1)
	v_fmac_f32_e32 v6, v7, v4
	v_fma_f32 v3, -v3, v6, v5
	s_delay_alu instid0(VALU_DEP_1) | instskip(NEXT) | instid1(VALU_DEP_1)
	v_div_fmas_f32 v3, v3, v4, v6
	v_div_fixup_f32 v3, v3, v2, v22
	s_delay_alu instid0(VALU_DEP_1)
	v_cndmask_b32_e64 v3, v3, 0x7fc00000, s0
	global_store_b32 v[0:1], v3, off offset:2432
	s_and_b32 exec_lo, exec_lo, s1
	s_cbranch_execz .LBB719_706
; %bb.694:
	v_div_scale_f32 v3, null, v2, v2, v21
	v_readlane_b32 s1, v80, 20
	s_delay_alu instid0(VALU_DEP_2) | instskip(SKIP_2) | instid1(VALU_DEP_1)
	v_rcp_f32_e32 v4, v3
	s_waitcnt_depctr 0xfff
	v_fma_f32 v5, -v3, v4, 1.0
	v_fmac_f32_e32 v4, v5, v4
	v_div_scale_f32 v5, vcc_lo, v21, v2, v21
	s_delay_alu instid0(VALU_DEP_1) | instskip(NEXT) | instid1(VALU_DEP_1)
	v_mul_f32_e32 v6, v5, v4
	v_fma_f32 v7, -v3, v6, v5
	s_delay_alu instid0(VALU_DEP_1) | instskip(NEXT) | instid1(VALU_DEP_1)
	v_fmac_f32_e32 v6, v7, v4
	v_fma_f32 v3, -v3, v6, v5
	s_delay_alu instid0(VALU_DEP_1) | instskip(NEXT) | instid1(VALU_DEP_1)
	v_div_fmas_f32 v3, v3, v4, v6
	v_div_fixup_f32 v3, v3, v2, v21
	s_delay_alu instid0(VALU_DEP_1)
	v_cndmask_b32_e64 v3, v3, 0x7fc00000, s0
	global_store_b32 v[0:1], v3, off offset:2560
	s_and_b32 exec_lo, exec_lo, s1
	s_cbranch_execz .LBB719_706
; %bb.695:
	v_div_scale_f32 v3, null, v2, v2, v20
	v_readlane_b32 s1, v80, 21
	s_delay_alu instid0(VALU_DEP_2) | instskip(SKIP_2) | instid1(VALU_DEP_1)
	v_rcp_f32_e32 v4, v3
	s_waitcnt_depctr 0xfff
	v_fma_f32 v5, -v3, v4, 1.0
	v_fmac_f32_e32 v4, v5, v4
	v_div_scale_f32 v5, vcc_lo, v20, v2, v20
	s_delay_alu instid0(VALU_DEP_1) | instskip(NEXT) | instid1(VALU_DEP_1)
	v_mul_f32_e32 v6, v5, v4
	v_fma_f32 v7, -v3, v6, v5
	s_delay_alu instid0(VALU_DEP_1) | instskip(NEXT) | instid1(VALU_DEP_1)
	v_fmac_f32_e32 v6, v7, v4
	v_fma_f32 v3, -v3, v6, v5
	s_delay_alu instid0(VALU_DEP_1) | instskip(NEXT) | instid1(VALU_DEP_1)
	v_div_fmas_f32 v3, v3, v4, v6
	v_div_fixup_f32 v3, v3, v2, v20
	s_delay_alu instid0(VALU_DEP_1)
	v_cndmask_b32_e64 v3, v3, 0x7fc00000, s0
	global_store_b32 v[0:1], v3, off offset:2688
	s_and_b32 exec_lo, exec_lo, s1
	s_cbranch_execz .LBB719_706
; %bb.696:
	v_div_scale_f32 v3, null, v2, v2, v19
	v_readlane_b32 s1, v80, 22
	s_delay_alu instid0(VALU_DEP_2) | instskip(SKIP_2) | instid1(VALU_DEP_1)
	v_rcp_f32_e32 v4, v3
	s_waitcnt_depctr 0xfff
	v_fma_f32 v5, -v3, v4, 1.0
	v_fmac_f32_e32 v4, v5, v4
	v_div_scale_f32 v5, vcc_lo, v19, v2, v19
	s_delay_alu instid0(VALU_DEP_1) | instskip(NEXT) | instid1(VALU_DEP_1)
	v_mul_f32_e32 v6, v5, v4
	v_fma_f32 v7, -v3, v6, v5
	s_delay_alu instid0(VALU_DEP_1) | instskip(NEXT) | instid1(VALU_DEP_1)
	v_fmac_f32_e32 v6, v7, v4
	v_fma_f32 v3, -v3, v6, v5
	s_delay_alu instid0(VALU_DEP_1) | instskip(NEXT) | instid1(VALU_DEP_1)
	v_div_fmas_f32 v3, v3, v4, v6
	v_div_fixup_f32 v3, v3, v2, v19
	s_delay_alu instid0(VALU_DEP_1)
	v_cndmask_b32_e64 v3, v3, 0x7fc00000, s0
	global_store_b32 v[0:1], v3, off offset:2816
	s_and_b32 exec_lo, exec_lo, s1
	s_cbranch_execz .LBB719_706
; %bb.697:
	v_div_scale_f32 v3, null, v2, v2, v18
	v_readlane_b32 s1, v80, 23
	s_delay_alu instid0(VALU_DEP_2) | instskip(SKIP_2) | instid1(VALU_DEP_1)
	v_rcp_f32_e32 v4, v3
	s_waitcnt_depctr 0xfff
	v_fma_f32 v5, -v3, v4, 1.0
	v_fmac_f32_e32 v4, v5, v4
	v_div_scale_f32 v5, vcc_lo, v18, v2, v18
	s_delay_alu instid0(VALU_DEP_1) | instskip(NEXT) | instid1(VALU_DEP_1)
	v_mul_f32_e32 v6, v5, v4
	v_fma_f32 v7, -v3, v6, v5
	s_delay_alu instid0(VALU_DEP_1) | instskip(NEXT) | instid1(VALU_DEP_1)
	v_fmac_f32_e32 v6, v7, v4
	v_fma_f32 v3, -v3, v6, v5
	s_delay_alu instid0(VALU_DEP_1) | instskip(NEXT) | instid1(VALU_DEP_1)
	v_div_fmas_f32 v3, v3, v4, v6
	v_div_fixup_f32 v3, v3, v2, v18
	s_delay_alu instid0(VALU_DEP_1)
	v_cndmask_b32_e64 v3, v3, 0x7fc00000, s0
	global_store_b32 v[0:1], v3, off offset:2944
	s_and_b32 exec_lo, exec_lo, s1
	s_cbranch_execz .LBB719_706
; %bb.698:
	v_div_scale_f32 v3, null, v2, v2, v17
	v_readlane_b32 s1, v80, 24
	s_delay_alu instid0(VALU_DEP_2) | instskip(SKIP_2) | instid1(VALU_DEP_1)
	v_rcp_f32_e32 v4, v3
	s_waitcnt_depctr 0xfff
	v_fma_f32 v5, -v3, v4, 1.0
	v_fmac_f32_e32 v4, v5, v4
	v_div_scale_f32 v5, vcc_lo, v17, v2, v17
	s_delay_alu instid0(VALU_DEP_1) | instskip(NEXT) | instid1(VALU_DEP_1)
	v_mul_f32_e32 v6, v5, v4
	v_fma_f32 v7, -v3, v6, v5
	s_delay_alu instid0(VALU_DEP_1) | instskip(NEXT) | instid1(VALU_DEP_1)
	v_fmac_f32_e32 v6, v7, v4
	v_fma_f32 v3, -v3, v6, v5
	s_delay_alu instid0(VALU_DEP_1) | instskip(NEXT) | instid1(VALU_DEP_1)
	v_div_fmas_f32 v3, v3, v4, v6
	v_div_fixup_f32 v3, v3, v2, v17
	s_delay_alu instid0(VALU_DEP_1)
	v_cndmask_b32_e64 v3, v3, 0x7fc00000, s0
	global_store_b32 v[0:1], v3, off offset:3072
	s_and_b32 exec_lo, exec_lo, s1
	s_cbranch_execz .LBB719_706
; %bb.699:
	v_div_scale_f32 v3, null, v2, v2, v16
	v_readlane_b32 s1, v80, 25
	s_delay_alu instid0(VALU_DEP_2) | instskip(SKIP_2) | instid1(VALU_DEP_1)
	v_rcp_f32_e32 v4, v3
	s_waitcnt_depctr 0xfff
	v_fma_f32 v5, -v3, v4, 1.0
	v_fmac_f32_e32 v4, v5, v4
	v_div_scale_f32 v5, vcc_lo, v16, v2, v16
	s_delay_alu instid0(VALU_DEP_1) | instskip(NEXT) | instid1(VALU_DEP_1)
	v_mul_f32_e32 v6, v5, v4
	v_fma_f32 v7, -v3, v6, v5
	s_delay_alu instid0(VALU_DEP_1) | instskip(NEXT) | instid1(VALU_DEP_1)
	v_fmac_f32_e32 v6, v7, v4
	v_fma_f32 v3, -v3, v6, v5
	s_delay_alu instid0(VALU_DEP_1) | instskip(NEXT) | instid1(VALU_DEP_1)
	v_div_fmas_f32 v3, v3, v4, v6
	v_div_fixup_f32 v3, v3, v2, v16
	s_delay_alu instid0(VALU_DEP_1)
	v_cndmask_b32_e64 v3, v3, 0x7fc00000, s0
	global_store_b32 v[0:1], v3, off offset:3200
	s_and_b32 exec_lo, exec_lo, s1
	s_cbranch_execz .LBB719_706
; %bb.700:
	v_div_scale_f32 v3, null, v2, v2, v15
	v_readlane_b32 s1, v80, 26
	s_delay_alu instid0(VALU_DEP_2) | instskip(SKIP_2) | instid1(VALU_DEP_1)
	v_rcp_f32_e32 v4, v3
	s_waitcnt_depctr 0xfff
	v_fma_f32 v5, -v3, v4, 1.0
	v_fmac_f32_e32 v4, v5, v4
	v_div_scale_f32 v5, vcc_lo, v15, v2, v15
	s_delay_alu instid0(VALU_DEP_1) | instskip(NEXT) | instid1(VALU_DEP_1)
	v_mul_f32_e32 v6, v5, v4
	v_fma_f32 v7, -v3, v6, v5
	s_delay_alu instid0(VALU_DEP_1) | instskip(NEXT) | instid1(VALU_DEP_1)
	v_fmac_f32_e32 v6, v7, v4
	v_fma_f32 v3, -v3, v6, v5
	s_delay_alu instid0(VALU_DEP_1) | instskip(NEXT) | instid1(VALU_DEP_1)
	v_div_fmas_f32 v3, v3, v4, v6
	v_div_fixup_f32 v3, v3, v2, v15
	s_delay_alu instid0(VALU_DEP_1)
	v_cndmask_b32_e64 v3, v3, 0x7fc00000, s0
	global_store_b32 v[0:1], v3, off offset:3328
	s_and_b32 exec_lo, exec_lo, s1
	s_cbranch_execz .LBB719_706
; %bb.701:
	v_div_scale_f32 v3, null, v2, v2, v14
	v_readlane_b32 s1, v80, 27
	s_delay_alu instid0(VALU_DEP_2) | instskip(SKIP_2) | instid1(VALU_DEP_1)
	v_rcp_f32_e32 v4, v3
	s_waitcnt_depctr 0xfff
	v_fma_f32 v5, -v3, v4, 1.0
	v_fmac_f32_e32 v4, v5, v4
	v_div_scale_f32 v5, vcc_lo, v14, v2, v14
	s_delay_alu instid0(VALU_DEP_1) | instskip(NEXT) | instid1(VALU_DEP_1)
	v_mul_f32_e32 v6, v5, v4
	v_fma_f32 v7, -v3, v6, v5
	s_delay_alu instid0(VALU_DEP_1) | instskip(NEXT) | instid1(VALU_DEP_1)
	v_fmac_f32_e32 v6, v7, v4
	v_fma_f32 v3, -v3, v6, v5
	s_delay_alu instid0(VALU_DEP_1) | instskip(NEXT) | instid1(VALU_DEP_1)
	v_div_fmas_f32 v3, v3, v4, v6
	v_div_fixup_f32 v3, v3, v2, v14
	s_delay_alu instid0(VALU_DEP_1)
	v_cndmask_b32_e64 v3, v3, 0x7fc00000, s0
	global_store_b32 v[0:1], v3, off offset:3456
	s_and_b32 exec_lo, exec_lo, s1
	s_cbranch_execz .LBB719_706
; %bb.702:
	v_div_scale_f32 v3, null, v2, v2, v13
	v_readlane_b32 s1, v80, 28
	s_delay_alu instid0(VALU_DEP_2) | instskip(SKIP_2) | instid1(VALU_DEP_1)
	v_rcp_f32_e32 v4, v3
	s_waitcnt_depctr 0xfff
	v_fma_f32 v5, -v3, v4, 1.0
	v_fmac_f32_e32 v4, v5, v4
	v_div_scale_f32 v5, vcc_lo, v13, v2, v13
	s_delay_alu instid0(VALU_DEP_1) | instskip(NEXT) | instid1(VALU_DEP_1)
	v_mul_f32_e32 v6, v5, v4
	v_fma_f32 v7, -v3, v6, v5
	s_delay_alu instid0(VALU_DEP_1) | instskip(NEXT) | instid1(VALU_DEP_1)
	v_fmac_f32_e32 v6, v7, v4
	v_fma_f32 v3, -v3, v6, v5
	s_delay_alu instid0(VALU_DEP_1) | instskip(NEXT) | instid1(VALU_DEP_1)
	v_div_fmas_f32 v3, v3, v4, v6
	v_div_fixup_f32 v3, v3, v2, v13
	s_delay_alu instid0(VALU_DEP_1)
	v_cndmask_b32_e64 v3, v3, 0x7fc00000, s0
	global_store_b32 v[0:1], v3, off offset:3584
	s_and_b32 exec_lo, exec_lo, s1
	s_cbranch_execz .LBB719_706
; %bb.703:
	v_div_scale_f32 v3, null, v2, v2, v12
	v_readlane_b32 s1, v80, 29
	s_delay_alu instid0(VALU_DEP_2) | instskip(SKIP_2) | instid1(VALU_DEP_1)
	v_rcp_f32_e32 v4, v3
	s_waitcnt_depctr 0xfff
	v_fma_f32 v5, -v3, v4, 1.0
	v_fmac_f32_e32 v4, v5, v4
	v_div_scale_f32 v5, vcc_lo, v12, v2, v12
	s_delay_alu instid0(VALU_DEP_1) | instskip(NEXT) | instid1(VALU_DEP_1)
	v_mul_f32_e32 v6, v5, v4
	v_fma_f32 v7, -v3, v6, v5
	s_delay_alu instid0(VALU_DEP_1) | instskip(NEXT) | instid1(VALU_DEP_1)
	v_fmac_f32_e32 v6, v7, v4
	v_fma_f32 v3, -v3, v6, v5
	s_delay_alu instid0(VALU_DEP_1) | instskip(NEXT) | instid1(VALU_DEP_1)
	v_div_fmas_f32 v3, v3, v4, v6
	v_div_fixup_f32 v3, v3, v2, v12
	s_delay_alu instid0(VALU_DEP_1)
	v_cndmask_b32_e64 v3, v3, 0x7fc00000, s0
	global_store_b32 v[0:1], v3, off offset:3712
	s_and_b32 exec_lo, exec_lo, s1
	s_cbranch_execz .LBB719_706
; %bb.704:
	v_div_scale_f32 v3, null, v2, v2, v11
	v_readlane_b32 s1, v80, 30
	s_delay_alu instid0(VALU_DEP_2) | instskip(SKIP_2) | instid1(VALU_DEP_1)
	v_rcp_f32_e32 v4, v3
	s_waitcnt_depctr 0xfff
	v_fma_f32 v5, -v3, v4, 1.0
	v_fmac_f32_e32 v4, v5, v4
	v_div_scale_f32 v5, vcc_lo, v11, v2, v11
	s_delay_alu instid0(VALU_DEP_1) | instskip(NEXT) | instid1(VALU_DEP_1)
	v_mul_f32_e32 v6, v5, v4
	v_fma_f32 v7, -v3, v6, v5
	s_delay_alu instid0(VALU_DEP_1) | instskip(NEXT) | instid1(VALU_DEP_1)
	v_fmac_f32_e32 v6, v7, v4
	v_fma_f32 v3, -v3, v6, v5
	s_delay_alu instid0(VALU_DEP_1) | instskip(NEXT) | instid1(VALU_DEP_1)
	v_div_fmas_f32 v3, v3, v4, v6
	v_div_fixup_f32 v3, v3, v2, v11
	s_delay_alu instid0(VALU_DEP_1)
	v_cndmask_b32_e64 v3, v3, 0x7fc00000, s0
	global_store_b32 v[0:1], v3, off offset:3840
	s_and_b32 exec_lo, exec_lo, s1
	s_cbranch_execz .LBB719_706
; %bb.705:
	v_div_scale_f32 v3, null, v2, v2, v10
	s_delay_alu instid0(VALU_DEP_1) | instskip(SKIP_2) | instid1(VALU_DEP_1)
	v_rcp_f32_e32 v4, v3
	s_waitcnt_depctr 0xfff
	v_fma_f32 v5, -v3, v4, 1.0
	v_fmac_f32_e32 v4, v5, v4
	v_div_scale_f32 v5, vcc_lo, v10, v2, v10
	s_delay_alu instid0(VALU_DEP_1) | instskip(NEXT) | instid1(VALU_DEP_1)
	v_mul_f32_e32 v6, v5, v4
	v_fma_f32 v7, -v3, v6, v5
	s_delay_alu instid0(VALU_DEP_1) | instskip(NEXT) | instid1(VALU_DEP_1)
	v_fmac_f32_e32 v6, v7, v4
	v_fma_f32 v3, -v3, v6, v5
	s_delay_alu instid0(VALU_DEP_1) | instskip(NEXT) | instid1(VALU_DEP_1)
	v_div_fmas_f32 v3, v3, v4, v6
	v_div_fixup_f32 v2, v3, v2, v10
	s_delay_alu instid0(VALU_DEP_1)
	v_cndmask_b32_e64 v2, v2, 0x7fc00000, s0
	global_store_b32 v[0:1], v2, off offset:3968
.LBB719_706:
	s_nop 0
	s_sendmsg sendmsg(MSG_DEALLOC_VGPRS)
	s_endpgm
	.section	.rodata,"a",@progbits
	.p2align	6, 0x0
	.amdhsa_kernel _ZN12_GLOBAL__N_120softmax_warp_forwardIfffLi11ELb0ELb1ELi32EEEvPT0_PKT_iiiPKbib
		.amdhsa_group_segment_fixed_size 0
		.amdhsa_private_segment_fixed_size 0
		.amdhsa_kernarg_size 304
		.amdhsa_user_sgpr_count 15
		.amdhsa_user_sgpr_dispatch_ptr 0
		.amdhsa_user_sgpr_queue_ptr 0
		.amdhsa_user_sgpr_kernarg_segment_ptr 1
		.amdhsa_user_sgpr_dispatch_id 0
		.amdhsa_user_sgpr_private_segment_size 0
		.amdhsa_wavefront_size32 1
		.amdhsa_uses_dynamic_stack 0
		.amdhsa_enable_private_segment 0
		.amdhsa_system_sgpr_workgroup_id_x 1
		.amdhsa_system_sgpr_workgroup_id_y 0
		.amdhsa_system_sgpr_workgroup_id_z 0
		.amdhsa_system_sgpr_workgroup_info 0
		.amdhsa_system_vgpr_workitem_id 1
		.amdhsa_next_free_vgpr 81
		.amdhsa_next_free_sgpr 105
		.amdhsa_reserve_vcc 1
		.amdhsa_float_round_mode_32 0
		.amdhsa_float_round_mode_16_64 0
		.amdhsa_float_denorm_mode_32 3
		.amdhsa_float_denorm_mode_16_64 3
		.amdhsa_dx10_clamp 1
		.amdhsa_ieee_mode 1
		.amdhsa_fp16_overflow 0
		.amdhsa_workgroup_processor_mode 1
		.amdhsa_memory_ordered 1
		.amdhsa_forward_progress 0
		.amdhsa_shared_vgpr_count 0
		.amdhsa_exception_fp_ieee_invalid_op 0
		.amdhsa_exception_fp_denorm_src 0
		.amdhsa_exception_fp_ieee_div_zero 0
		.amdhsa_exception_fp_ieee_overflow 0
		.amdhsa_exception_fp_ieee_underflow 0
		.amdhsa_exception_fp_ieee_inexact 0
		.amdhsa_exception_int_div_zero 0
	.end_amdhsa_kernel
	.section	.text._ZN12_GLOBAL__N_120softmax_warp_forwardIfffLi11ELb0ELb1ELi32EEEvPT0_PKT_iiiPKbib,"axG",@progbits,_ZN12_GLOBAL__N_120softmax_warp_forwardIfffLi11ELb0ELb1ELi32EEEvPT0_PKT_iiiPKbib,comdat
.Lfunc_end719:
	.size	_ZN12_GLOBAL__N_120softmax_warp_forwardIfffLi11ELb0ELb1ELi32EEEvPT0_PKT_iiiPKbib, .Lfunc_end719-_ZN12_GLOBAL__N_120softmax_warp_forwardIfffLi11ELb0ELb1ELi32EEEvPT0_PKT_iiiPKbib
                                        ; -- End function
	.section	.AMDGPU.csdata,"",@progbits
; Kernel info:
; codeLenInByte = 33292
; NumSgprs: 107
; NumVgprs: 81
; ScratchSize: 0
; MemoryBound: 0
; FloatMode: 240
; IeeeMode: 1
; LDSByteSize: 0 bytes/workgroup (compile time only)
; SGPRBlocks: 13
; VGPRBlocks: 10
; NumSGPRsForWavesPerEU: 107
; NumVGPRsForWavesPerEU: 81
; Occupancy: 16
; WaveLimiterHint : 0
; COMPUTE_PGM_RSRC2:SCRATCH_EN: 0
; COMPUTE_PGM_RSRC2:USER_SGPR: 15
; COMPUTE_PGM_RSRC2:TRAP_HANDLER: 0
; COMPUTE_PGM_RSRC2:TGID_X_EN: 1
; COMPUTE_PGM_RSRC2:TGID_Y_EN: 0
; COMPUTE_PGM_RSRC2:TGID_Z_EN: 0
; COMPUTE_PGM_RSRC2:TIDIG_COMP_CNT: 1
	.section	.text._ZN12_GLOBAL__N_120softmax_warp_forwardIN3c104HalfES2_fLi0ELb0ELb1ELi64EEEvPT0_PKT_iiiPKbib,"axG",@progbits,_ZN12_GLOBAL__N_120softmax_warp_forwardIN3c104HalfES2_fLi0ELb0ELb1ELi64EEEvPT0_PKT_iiiPKbib,comdat
	.globl	_ZN12_GLOBAL__N_120softmax_warp_forwardIN3c104HalfES2_fLi0ELb0ELb1ELi64EEEvPT0_PKT_iiiPKbib ; -- Begin function _ZN12_GLOBAL__N_120softmax_warp_forwardIN3c104HalfES2_fLi0ELb0ELb1ELi64EEEvPT0_PKT_iiiPKbib
	.p2align	8
	.type	_ZN12_GLOBAL__N_120softmax_warp_forwardIN3c104HalfES2_fLi0ELb0ELb1ELi64EEEvPT0_PKT_iiiPKbib,@function
_ZN12_GLOBAL__N_120softmax_warp_forwardIN3c104HalfES2_fLi0ELb0ELb1ELi64EEEvPT0_PKT_iiiPKbib: ; @_ZN12_GLOBAL__N_120softmax_warp_forwardIN3c104HalfES2_fLi0ELb0ELb1ELi64EEEvPT0_PKT_iiiPKbib
; %bb.0:
	s_clause 0x2
	s_load_b64 s[2:3], s[0:1], 0x28
	s_load_b32 s8, s[0:1], 0x3c
	s_load_b128 s[4:7], s[0:1], 0x10
	v_bfe_u32 v1, v0, 10, 10
	v_and_b32_e32 v4, 0x3ff, v0
	s_waitcnt lgkmcnt(0)
	s_bitcmp1_b32 s3, 0
	s_cselect_b32 s12, -1, 0
	s_lshr_b32 s7, s8, 16
	s_bitcmp0_b32 s3, 0
	s_mul_i32 s15, s15, s7
	s_delay_alu instid0(SALU_CYCLE_1) | instskip(NEXT) | instid1(VALU_DEP_1)
	v_add_lshl_u32 v5, s15, v1, 1
	v_mul_lo_u32 v6, v5, s5
	s_delay_alu instid0(VALU_DEP_1) | instskip(NEXT) | instid1(VALU_DEP_1)
	v_add_nc_u32_e32 v0, v6, v4
	v_ashrrev_i32_e32 v1, 31, v0
	s_delay_alu instid0(VALU_DEP_1)
	v_dual_mov_b32 v3, v1 :: v_dual_mov_b32 v2, v0
	s_cbranch_scc1 .LBB720_2
; %bb.1:
	s_abs_i32 s3, s2
	v_sub_nc_u32_e32 v7, 0, v6
	v_cvt_f32_u32_e32 v2, s3
	s_sub_i32 s7, 0, s3
	s_delay_alu instid0(VALU_DEP_2) | instskip(NEXT) | instid1(VALU_DEP_2)
	v_max_i32_e32 v7, v6, v7
	v_rcp_iflag_f32_e32 v2, v2
	v_xor_b32_e32 v6, s2, v6
	s_delay_alu instid0(VALU_DEP_1) | instskip(SKIP_2) | instid1(VALU_DEP_1)
	v_ashrrev_i32_e32 v6, 31, v6
	s_waitcnt_depctr 0xfff
	v_mul_f32_e32 v2, 0x4f7ffffe, v2
	v_cvt_u32_f32_e32 v2, v2
	s_delay_alu instid0(VALU_DEP_1) | instskip(NEXT) | instid1(VALU_DEP_1)
	v_mul_lo_u32 v3, s7, v2
	v_mul_hi_u32 v3, v2, v3
	s_delay_alu instid0(VALU_DEP_1) | instskip(NEXT) | instid1(VALU_DEP_1)
	v_add_nc_u32_e32 v2, v2, v3
	v_mul_hi_u32 v2, v7, v2
	s_delay_alu instid0(VALU_DEP_1) | instskip(NEXT) | instid1(VALU_DEP_1)
	v_mul_lo_u32 v3, v2, s3
	v_sub_nc_u32_e32 v3, v7, v3
	v_add_nc_u32_e32 v7, 1, v2
	s_delay_alu instid0(VALU_DEP_2) | instskip(SKIP_1) | instid1(VALU_DEP_2)
	v_subrev_nc_u32_e32 v8, s3, v3
	v_cmp_le_u32_e32 vcc_lo, s3, v3
	v_dual_cndmask_b32 v3, v3, v8 :: v_dual_cndmask_b32 v2, v2, v7
	s_delay_alu instid0(VALU_DEP_1) | instskip(NEXT) | instid1(VALU_DEP_2)
	v_cmp_le_u32_e32 vcc_lo, s3, v3
	v_add_nc_u32_e32 v7, 1, v2
	s_delay_alu instid0(VALU_DEP_1) | instskip(NEXT) | instid1(VALU_DEP_1)
	v_cndmask_b32_e32 v2, v2, v7, vcc_lo
	v_xor_b32_e32 v2, v2, v6
	s_delay_alu instid0(VALU_DEP_1) | instskip(NEXT) | instid1(VALU_DEP_1)
	v_sub_nc_u32_e32 v6, v2, v6
	v_mad_u64_u32 v[2:3], null, v6, s5, v[4:5]
	s_delay_alu instid0(VALU_DEP_1)
	v_ashrrev_i32_e32 v3, 31, v2
.LBB720_2:
	s_load_b128 s[8:11], s[0:1], 0x0
	v_lshlrev_b64 v[0:1], 1, v[0:1]
	v_sub_nc_u32_e32 v6, s4, v5
	v_cmp_gt_i32_e64 s2, s6, v4
	v_dual_mov_b32 v8, 0xff800000 :: v_dual_mov_b32 v9, 0xff800000
	s_delay_alu instid0(VALU_DEP_3) | instskip(SKIP_2) | instid1(VALU_DEP_1)
	v_cmp_lt_i32_e32 vcc_lo, 0, v6
	s_waitcnt lgkmcnt(0)
	v_add_co_u32 v4, s3, s10, v0
	v_add_co_ci_u32_e64 v5, s3, s11, v1, s3
	s_and_b32 s11, s2, vcc_lo
	s_delay_alu instid0(SALU_CYCLE_1)
	s_and_saveexec_b32 s3, s11
	s_cbranch_execz .LBB720_4
; %bb.3:
	global_load_u16 v7, v[4:5], off
	s_waitcnt vmcnt(0)
	v_cvt_f32_f16_e32 v9, v7
.LBB720_4:
	s_or_b32 exec_lo, exec_lo, s3
	v_cmp_lt_i32_e64 s3, 1, v6
	s_delay_alu instid0(VALU_DEP_1) | instskip(NEXT) | instid1(SALU_CYCLE_1)
	s_and_b32 s10, s2, s3
	s_and_saveexec_b32 s4, s10
	s_cbranch_execz .LBB720_6
; %bb.5:
	s_mov_b32 s7, 0
	s_delay_alu instid0(SALU_CYCLE_1) | instskip(NEXT) | instid1(SALU_CYCLE_1)
	s_lshl_b64 s[14:15], s[6:7], 1
	v_add_co_u32 v4, s3, v4, s14
	s_delay_alu instid0(VALU_DEP_1)
	v_add_co_ci_u32_e64 v5, s3, s15, v5, s3
	global_load_u16 v4, v[4:5], off
	s_waitcnt vmcnt(0)
	v_cvt_f32_f16_e32 v8, v4
.LBB720_6:
	s_or_b32 exec_lo, exec_lo, s4
	s_load_b64 s[0:1], s[0:1], 0x20
	s_waitcnt lgkmcnt(0)
	v_add_co_u32 v4, s0, s0, v2
	s_delay_alu instid0(VALU_DEP_1)
	v_add_co_ci_u32_e64 v5, s0, s1, v3, s0
	v_mov_b32_e32 v2, 0xff800000
	s_and_saveexec_b32 s1, s11
	s_cbranch_execz .LBB720_8
; %bb.7:
	global_load_u8 v2, v[4:5], off
	s_waitcnt vmcnt(0)
	v_and_b32_e32 v2, 1, v2
	s_delay_alu instid0(VALU_DEP_1) | instskip(NEXT) | instid1(VALU_DEP_1)
	v_cmp_eq_u32_e64 s0, 1, v2
	v_cndmask_b32_e64 v2, v9, 0xff800000, s0
.LBB720_8:
	s_or_b32 exec_lo, exec_lo, s1
	s_mov_b32 s4, 0
	s_mov_b32 s0, 0
	s_and_saveexec_b32 s1, s10
	s_cbranch_execz .LBB720_10
; %bb.9:
	s_and_b32 s0, s12, exec_lo
	s_cselect_b32 s0, 0, s6
	s_cselect_b32 s3, 0, 0
	v_add_co_u32 v10, s0, v4, s0
	s_delay_alu instid0(VALU_DEP_1) | instskip(SKIP_3) | instid1(VALU_DEP_1)
	v_add_co_ci_u32_e64 v11, s0, s3, v5, s0
	global_load_u8 v3, v[10:11], off
	s_waitcnt vmcnt(0)
	v_and_b32_e32 v3, 1, v3
	v_cmp_eq_u32_e64 s0, 1, v3
	s_delay_alu instid0(VALU_DEP_1) | instskip(NEXT) | instid1(SALU_CYCLE_1)
	s_xor_b32 s0, s0, -1
	s_and_b32 s0, s0, exec_lo
.LBB720_10:
	s_or_b32 exec_lo, exec_lo, s1
	s_mov_b32 s5, s4
	v_cndmask_b32_e64 v12, v2, v2, s0
	v_dual_mov_b32 v7, 0 :: v_dual_mov_b32 v2, s4
	v_cndmask_b32_e64 v11, 0xff800000, v8, s0
	v_dual_mov_b32 v3, s5 :: v_dual_mov_b32 v10, 0
	s_and_saveexec_b32 s1, s11
	s_cbranch_execnz .LBB720_14
; %bb.11:
	s_or_b32 exec_lo, exec_lo, s1
	s_and_saveexec_b32 s1, s10
	s_cbranch_execnz .LBB720_17
.LBB720_12:
	s_or_b32 exec_lo, exec_lo, s1
	s_and_saveexec_b32 s0, vcc_lo
	s_cbranch_execnz .LBB720_20
.LBB720_13:
	s_nop 0
	s_sendmsg sendmsg(MSG_DEALLOC_VGPRS)
	s_endpgm
.LBB720_14:
	global_load_u8 v2, v[4:5], off
	s_mov_b32 s5, s4
	v_mov_b32_e32 v10, 0
	s_waitcnt vmcnt(0)
	v_and_b32_e32 v2, 1, v2
	s_delay_alu instid0(VALU_DEP_1) | instskip(SKIP_1) | instid1(VALU_DEP_2)
	v_cmp_eq_u32_e64 s0, 1, v2
	v_dual_mov_b32 v2, s4 :: v_dual_mov_b32 v3, s5
	s_xor_b32 s0, s0, -1
	s_delay_alu instid0(SALU_CYCLE_1)
	s_and_saveexec_b32 s3, s0
	s_cbranch_execz .LBB720_16
; %bb.15:
	v_sub_f32_e32 v2, v9, v12
	s_delay_alu instid0(VALU_DEP_1) | instskip(NEXT) | instid1(VALU_DEP_1)
	v_mul_f32_e32 v3, 0x3fb8aa3b, v2
	v_fma_f32 v9, 0x3fb8aa3b, v2, -v3
	v_rndne_f32_e32 v10, v3
	s_delay_alu instid0(VALU_DEP_1) | instskip(NEXT) | instid1(VALU_DEP_3)
	v_sub_f32_e32 v3, v3, v10
	v_fmamk_f32 v9, v2, 0x32a5705f, v9
	v_cmp_ngt_f32_e64 s0, 0xc2ce8ed0, v2
	s_delay_alu instid0(VALU_DEP_2) | instskip(SKIP_1) | instid1(VALU_DEP_2)
	v_add_f32_e32 v3, v3, v9
	v_cvt_i32_f32_e32 v9, v10
	v_exp_f32_e32 v3, v3
	s_waitcnt_depctr 0xfff
	v_ldexp_f32 v3, v3, v9
	s_delay_alu instid0(VALU_DEP_1) | instskip(SKIP_1) | instid1(VALU_DEP_1)
	v_cndmask_b32_e64 v3, 0, v3, s0
	v_cmp_nlt_f32_e64 s0, 0x42b17218, v2
	v_cndmask_b32_e64 v2, 0x7f800000, v3, s0
	s_delay_alu instid0(VALU_DEP_1)
	v_dual_mov_b32 v3, 0 :: v_dual_mov_b32 v10, v2
.LBB720_16:
	s_or_b32 exec_lo, exec_lo, s3
	s_delay_alu instid0(SALU_CYCLE_1)
	s_or_b32 exec_lo, exec_lo, s1
	s_and_saveexec_b32 s1, s10
	s_cbranch_execz .LBB720_12
.LBB720_17:
	s_and_b32 s0, s12, exec_lo
	s_cselect_b32 s0, 0, s6
	s_cselect_b32 s3, 0, 0
	v_add_co_u32 v4, s0, v4, s0
	s_delay_alu instid0(VALU_DEP_1) | instskip(SKIP_4) | instid1(VALU_DEP_1)
	v_add_co_ci_u32_e64 v5, s0, s3, v5, s0
	v_mov_b32_e32 v7, 0
	global_load_u8 v4, v[4:5], off
	s_waitcnt vmcnt(0)
	v_and_b32_e32 v4, 1, v4
	v_cmp_eq_u32_e64 s0, 1, v4
	s_delay_alu instid0(VALU_DEP_1) | instskip(NEXT) | instid1(SALU_CYCLE_1)
	s_xor_b32 s0, s0, -1
	s_and_saveexec_b32 s3, s0
	s_cbranch_execz .LBB720_19
; %bb.18:
	v_sub_f32_e32 v4, v8, v11
	s_delay_alu instid0(VALU_DEP_1) | instskip(NEXT) | instid1(VALU_DEP_1)
	v_mul_f32_e32 v5, 0x3fb8aa3b, v4
	v_fma_f32 v7, 0x3fb8aa3b, v4, -v5
	v_rndne_f32_e32 v8, v5
	s_delay_alu instid0(VALU_DEP_1) | instskip(NEXT) | instid1(VALU_DEP_3)
	v_sub_f32_e32 v5, v5, v8
	v_fmamk_f32 v7, v4, 0x32a5705f, v7
	v_cmp_ngt_f32_e64 s0, 0xc2ce8ed0, v4
	s_delay_alu instid0(VALU_DEP_2) | instskip(SKIP_1) | instid1(VALU_DEP_2)
	v_add_f32_e32 v5, v5, v7
	v_cvt_i32_f32_e32 v7, v8
	v_exp_f32_e32 v5, v5
	s_waitcnt_depctr 0xfff
	v_ldexp_f32 v5, v5, v7
	s_delay_alu instid0(VALU_DEP_1) | instskip(SKIP_1) | instid1(VALU_DEP_1)
	v_cndmask_b32_e64 v5, 0, v5, s0
	v_cmp_nlt_f32_e64 s0, 0x42b17218, v4
	v_cndmask_b32_e64 v7, 0x7f800000, v5, s0
	s_delay_alu instid0(VALU_DEP_1)
	v_add_f32_e32 v3, v3, v7
.LBB720_19:
	s_or_b32 exec_lo, exec_lo, s3
	s_delay_alu instid0(SALU_CYCLE_1)
	s_or_b32 exec_lo, exec_lo, s1
	s_and_saveexec_b32 s0, vcc_lo
	s_cbranch_execz .LBB720_13
.LBB720_20:
	v_add_co_u32 v0, vcc_lo, s8, v0
	v_add_co_ci_u32_e32 v1, vcc_lo, s9, v1, vcc_lo
	s_and_saveexec_b32 s0, s2
	s_cbranch_execz .LBB720_25
; %bb.21:
	s_mov_b32 s1, exec_lo
	v_cmpx_neq_f32_e32 0, v2
	s_xor_b32 s1, exec_lo, s1
	s_cbranch_execz .LBB720_23
; %bb.22:
	v_div_scale_f32 v4, null, v2, v2, v10
	s_delay_alu instid0(VALU_DEP_1) | instskip(SKIP_2) | instid1(VALU_DEP_1)
	v_rcp_f32_e32 v5, v4
	s_waitcnt_depctr 0xfff
	v_fma_f32 v8, -v4, v5, 1.0
	v_fmac_f32_e32 v5, v8, v5
	v_div_scale_f32 v8, vcc_lo, v10, v2, v10
	s_delay_alu instid0(VALU_DEP_1) | instskip(NEXT) | instid1(VALU_DEP_1)
	v_mul_f32_e32 v9, v8, v5
	v_fma_f32 v11, -v4, v9, v8
	s_delay_alu instid0(VALU_DEP_1) | instskip(NEXT) | instid1(VALU_DEP_1)
	v_fmac_f32_e32 v9, v11, v5
	v_fma_f32 v4, -v4, v9, v8
	s_delay_alu instid0(VALU_DEP_1) | instskip(NEXT) | instid1(VALU_DEP_1)
	v_div_fmas_f32 v4, v4, v5, v9
	v_div_fixup_f32 v2, v4, v2, v10
	s_delay_alu instid0(VALU_DEP_1)
	v_cvt_f16_f32_e32 v2, v2
	global_store_b16 v[0:1], v2, off
.LBB720_23:
	s_and_not1_saveexec_b32 s1, s1
	s_cbranch_execz .LBB720_25
; %bb.24:
	v_mov_b32_e32 v2, 0x7e00
	global_store_b16 v[0:1], v2, off
.LBB720_25:
	s_or_b32 exec_lo, exec_lo, s0
	v_cmp_ne_u32_e32 vcc_lo, 1, v6
	s_and_b32 exec_lo, exec_lo, vcc_lo
	s_cbranch_execz .LBB720_13
; %bb.26:
	s_and_b32 exec_lo, exec_lo, s2
	s_cbranch_execz .LBB720_13
; %bb.27:
	s_mov_b32 s7, 0
	s_delay_alu instid0(SALU_CYCLE_1) | instskip(NEXT) | instid1(SALU_CYCLE_1)
	s_lshl_b64 s[0:1], s[6:7], 1
	v_add_co_u32 v0, s0, v0, s0
	s_delay_alu instid0(VALU_DEP_1)
	v_add_co_ci_u32_e64 v1, s0, s1, v1, s0
	s_mov_b32 s0, exec_lo
	v_cmpx_neq_f32_e32 0, v3
	s_xor_b32 s0, exec_lo, s0
	s_cbranch_execz .LBB720_29
; %bb.28:
	v_div_scale_f32 v2, null, v3, v3, v7
	s_delay_alu instid0(VALU_DEP_1) | instskip(SKIP_2) | instid1(VALU_DEP_1)
	v_rcp_f32_e32 v4, v2
	s_waitcnt_depctr 0xfff
	v_fma_f32 v5, -v2, v4, 1.0
	v_fmac_f32_e32 v4, v5, v4
	v_div_scale_f32 v5, vcc_lo, v7, v3, v7
	s_delay_alu instid0(VALU_DEP_1) | instskip(NEXT) | instid1(VALU_DEP_1)
	v_mul_f32_e32 v6, v5, v4
	v_fma_f32 v8, -v2, v6, v5
	s_delay_alu instid0(VALU_DEP_1) | instskip(NEXT) | instid1(VALU_DEP_1)
	v_fmac_f32_e32 v6, v8, v4
	v_fma_f32 v2, -v2, v6, v5
	s_delay_alu instid0(VALU_DEP_1) | instskip(NEXT) | instid1(VALU_DEP_1)
	v_div_fmas_f32 v2, v2, v4, v6
	v_div_fixup_f32 v2, v2, v3, v7
	s_delay_alu instid0(VALU_DEP_1)
	v_cvt_f16_f32_e32 v2, v2
	global_store_b16 v[0:1], v2, off
                                        ; implicit-def: $vgpr0_vgpr1
.LBB720_29:
	s_and_not1_saveexec_b32 s0, s0
	s_cbranch_execz .LBB720_13
; %bb.30:
	v_mov_b32_e32 v2, 0x7e00
	global_store_b16 v[0:1], v2, off
	s_nop 0
	s_sendmsg sendmsg(MSG_DEALLOC_VGPRS)
	s_endpgm
	.section	.rodata,"a",@progbits
	.p2align	6, 0x0
	.amdhsa_kernel _ZN12_GLOBAL__N_120softmax_warp_forwardIN3c104HalfES2_fLi0ELb0ELb1ELi64EEEvPT0_PKT_iiiPKbib
		.amdhsa_group_segment_fixed_size 0
		.amdhsa_private_segment_fixed_size 0
		.amdhsa_kernarg_size 304
		.amdhsa_user_sgpr_count 15
		.amdhsa_user_sgpr_dispatch_ptr 0
		.amdhsa_user_sgpr_queue_ptr 0
		.amdhsa_user_sgpr_kernarg_segment_ptr 1
		.amdhsa_user_sgpr_dispatch_id 0
		.amdhsa_user_sgpr_private_segment_size 0
		.amdhsa_wavefront_size32 1
		.amdhsa_uses_dynamic_stack 0
		.amdhsa_enable_private_segment 0
		.amdhsa_system_sgpr_workgroup_id_x 1
		.amdhsa_system_sgpr_workgroup_id_y 0
		.amdhsa_system_sgpr_workgroup_id_z 0
		.amdhsa_system_sgpr_workgroup_info 0
		.amdhsa_system_vgpr_workitem_id 1
		.amdhsa_next_free_vgpr 13
		.amdhsa_next_free_sgpr 16
		.amdhsa_reserve_vcc 1
		.amdhsa_float_round_mode_32 0
		.amdhsa_float_round_mode_16_64 0
		.amdhsa_float_denorm_mode_32 3
		.amdhsa_float_denorm_mode_16_64 3
		.amdhsa_dx10_clamp 1
		.amdhsa_ieee_mode 1
		.amdhsa_fp16_overflow 0
		.amdhsa_workgroup_processor_mode 1
		.amdhsa_memory_ordered 1
		.amdhsa_forward_progress 0
		.amdhsa_shared_vgpr_count 0
		.amdhsa_exception_fp_ieee_invalid_op 0
		.amdhsa_exception_fp_denorm_src 0
		.amdhsa_exception_fp_ieee_div_zero 0
		.amdhsa_exception_fp_ieee_overflow 0
		.amdhsa_exception_fp_ieee_underflow 0
		.amdhsa_exception_fp_ieee_inexact 0
		.amdhsa_exception_int_div_zero 0
	.end_amdhsa_kernel
	.section	.text._ZN12_GLOBAL__N_120softmax_warp_forwardIN3c104HalfES2_fLi0ELb0ELb1ELi64EEEvPT0_PKT_iiiPKbib,"axG",@progbits,_ZN12_GLOBAL__N_120softmax_warp_forwardIN3c104HalfES2_fLi0ELb0ELb1ELi64EEEvPT0_PKT_iiiPKbib,comdat
.Lfunc_end720:
	.size	_ZN12_GLOBAL__N_120softmax_warp_forwardIN3c104HalfES2_fLi0ELb0ELb1ELi64EEEvPT0_PKT_iiiPKbib, .Lfunc_end720-_ZN12_GLOBAL__N_120softmax_warp_forwardIN3c104HalfES2_fLi0ELb0ELb1ELi64EEEvPT0_PKT_iiiPKbib
                                        ; -- End function
	.section	.AMDGPU.csdata,"",@progbits
; Kernel info:
; codeLenInByte = 1568
; NumSgprs: 18
; NumVgprs: 13
; ScratchSize: 0
; MemoryBound: 0
; FloatMode: 240
; IeeeMode: 1
; LDSByteSize: 0 bytes/workgroup (compile time only)
; SGPRBlocks: 2
; VGPRBlocks: 1
; NumSGPRsForWavesPerEU: 18
; NumVGPRsForWavesPerEU: 13
; Occupancy: 16
; WaveLimiterHint : 0
; COMPUTE_PGM_RSRC2:SCRATCH_EN: 0
; COMPUTE_PGM_RSRC2:USER_SGPR: 15
; COMPUTE_PGM_RSRC2:TRAP_HANDLER: 0
; COMPUTE_PGM_RSRC2:TGID_X_EN: 1
; COMPUTE_PGM_RSRC2:TGID_Y_EN: 0
; COMPUTE_PGM_RSRC2:TGID_Z_EN: 0
; COMPUTE_PGM_RSRC2:TIDIG_COMP_CNT: 1
	.section	.text._ZN12_GLOBAL__N_120softmax_warp_forwardIN3c104HalfES2_fLi0ELb0ELb1ELi32EEEvPT0_PKT_iiiPKbib,"axG",@progbits,_ZN12_GLOBAL__N_120softmax_warp_forwardIN3c104HalfES2_fLi0ELb0ELb1ELi32EEEvPT0_PKT_iiiPKbib,comdat
	.globl	_ZN12_GLOBAL__N_120softmax_warp_forwardIN3c104HalfES2_fLi0ELb0ELb1ELi32EEEvPT0_PKT_iiiPKbib ; -- Begin function _ZN12_GLOBAL__N_120softmax_warp_forwardIN3c104HalfES2_fLi0ELb0ELb1ELi32EEEvPT0_PKT_iiiPKbib
	.p2align	8
	.type	_ZN12_GLOBAL__N_120softmax_warp_forwardIN3c104HalfES2_fLi0ELb0ELb1ELi32EEEvPT0_PKT_iiiPKbib,@function
_ZN12_GLOBAL__N_120softmax_warp_forwardIN3c104HalfES2_fLi0ELb0ELb1ELi32EEEvPT0_PKT_iiiPKbib: ; @_ZN12_GLOBAL__N_120softmax_warp_forwardIN3c104HalfES2_fLi0ELb0ELb1ELi32EEEvPT0_PKT_iiiPKbib
; %bb.0:
	s_clause 0x2
	s_load_b64 s[2:3], s[0:1], 0x28
	s_load_b32 s8, s[0:1], 0x3c
	s_load_b128 s[4:7], s[0:1], 0x10
	v_bfe_u32 v1, v0, 10, 10
	v_and_b32_e32 v4, 0x3ff, v0
	s_waitcnt lgkmcnt(0)
	s_bitcmp1_b32 s3, 0
	s_cselect_b32 s12, -1, 0
	s_lshr_b32 s7, s8, 16
	s_bitcmp0_b32 s3, 0
	s_mul_i32 s15, s15, s7
	s_delay_alu instid0(SALU_CYCLE_1) | instskip(NEXT) | instid1(VALU_DEP_1)
	v_add_lshl_u32 v5, s15, v1, 1
	v_mul_lo_u32 v6, v5, s5
	s_delay_alu instid0(VALU_DEP_1) | instskip(NEXT) | instid1(VALU_DEP_1)
	v_add_nc_u32_e32 v0, v6, v4
	v_ashrrev_i32_e32 v1, 31, v0
	s_delay_alu instid0(VALU_DEP_1)
	v_dual_mov_b32 v3, v1 :: v_dual_mov_b32 v2, v0
	s_cbranch_scc1 .LBB721_2
; %bb.1:
	s_abs_i32 s3, s2
	v_sub_nc_u32_e32 v7, 0, v6
	v_cvt_f32_u32_e32 v2, s3
	s_sub_i32 s7, 0, s3
	s_delay_alu instid0(VALU_DEP_2) | instskip(NEXT) | instid1(VALU_DEP_2)
	v_max_i32_e32 v7, v6, v7
	v_rcp_iflag_f32_e32 v2, v2
	v_xor_b32_e32 v6, s2, v6
	s_delay_alu instid0(VALU_DEP_1) | instskip(SKIP_2) | instid1(VALU_DEP_1)
	v_ashrrev_i32_e32 v6, 31, v6
	s_waitcnt_depctr 0xfff
	v_mul_f32_e32 v2, 0x4f7ffffe, v2
	v_cvt_u32_f32_e32 v2, v2
	s_delay_alu instid0(VALU_DEP_1) | instskip(NEXT) | instid1(VALU_DEP_1)
	v_mul_lo_u32 v3, s7, v2
	v_mul_hi_u32 v3, v2, v3
	s_delay_alu instid0(VALU_DEP_1) | instskip(NEXT) | instid1(VALU_DEP_1)
	v_add_nc_u32_e32 v2, v2, v3
	v_mul_hi_u32 v2, v7, v2
	s_delay_alu instid0(VALU_DEP_1) | instskip(NEXT) | instid1(VALU_DEP_1)
	v_mul_lo_u32 v3, v2, s3
	v_sub_nc_u32_e32 v3, v7, v3
	v_add_nc_u32_e32 v7, 1, v2
	s_delay_alu instid0(VALU_DEP_2) | instskip(SKIP_1) | instid1(VALU_DEP_2)
	v_subrev_nc_u32_e32 v8, s3, v3
	v_cmp_le_u32_e32 vcc_lo, s3, v3
	v_dual_cndmask_b32 v3, v3, v8 :: v_dual_cndmask_b32 v2, v2, v7
	s_delay_alu instid0(VALU_DEP_1) | instskip(NEXT) | instid1(VALU_DEP_2)
	v_cmp_le_u32_e32 vcc_lo, s3, v3
	v_add_nc_u32_e32 v7, 1, v2
	s_delay_alu instid0(VALU_DEP_1) | instskip(NEXT) | instid1(VALU_DEP_1)
	v_cndmask_b32_e32 v2, v2, v7, vcc_lo
	v_xor_b32_e32 v2, v2, v6
	s_delay_alu instid0(VALU_DEP_1) | instskip(NEXT) | instid1(VALU_DEP_1)
	v_sub_nc_u32_e32 v6, v2, v6
	v_mad_u64_u32 v[2:3], null, v6, s5, v[4:5]
	s_delay_alu instid0(VALU_DEP_1)
	v_ashrrev_i32_e32 v3, 31, v2
.LBB721_2:
	s_load_b128 s[8:11], s[0:1], 0x0
	v_lshlrev_b64 v[0:1], 1, v[0:1]
	v_sub_nc_u32_e32 v6, s4, v5
	v_cmp_gt_i32_e64 s2, s6, v4
	v_dual_mov_b32 v8, 0xff800000 :: v_dual_mov_b32 v9, 0xff800000
	s_delay_alu instid0(VALU_DEP_3) | instskip(SKIP_2) | instid1(VALU_DEP_1)
	v_cmp_lt_i32_e32 vcc_lo, 0, v6
	s_waitcnt lgkmcnt(0)
	v_add_co_u32 v4, s3, s10, v0
	v_add_co_ci_u32_e64 v5, s3, s11, v1, s3
	s_and_b32 s11, s2, vcc_lo
	s_delay_alu instid0(SALU_CYCLE_1)
	s_and_saveexec_b32 s3, s11
	s_cbranch_execz .LBB721_4
; %bb.3:
	global_load_u16 v7, v[4:5], off
	s_waitcnt vmcnt(0)
	v_cvt_f32_f16_e32 v9, v7
.LBB721_4:
	s_or_b32 exec_lo, exec_lo, s3
	v_cmp_lt_i32_e64 s3, 1, v6
	s_delay_alu instid0(VALU_DEP_1) | instskip(NEXT) | instid1(SALU_CYCLE_1)
	s_and_b32 s10, s2, s3
	s_and_saveexec_b32 s4, s10
	s_cbranch_execz .LBB721_6
; %bb.5:
	s_mov_b32 s7, 0
	s_delay_alu instid0(SALU_CYCLE_1) | instskip(NEXT) | instid1(SALU_CYCLE_1)
	s_lshl_b64 s[14:15], s[6:7], 1
	v_add_co_u32 v4, s3, v4, s14
	s_delay_alu instid0(VALU_DEP_1)
	v_add_co_ci_u32_e64 v5, s3, s15, v5, s3
	global_load_u16 v4, v[4:5], off
	s_waitcnt vmcnt(0)
	v_cvt_f32_f16_e32 v8, v4
.LBB721_6:
	s_or_b32 exec_lo, exec_lo, s4
	s_load_b64 s[0:1], s[0:1], 0x20
	s_waitcnt lgkmcnt(0)
	v_add_co_u32 v4, s0, s0, v2
	s_delay_alu instid0(VALU_DEP_1)
	v_add_co_ci_u32_e64 v5, s0, s1, v3, s0
	v_mov_b32_e32 v2, 0xff800000
	s_and_saveexec_b32 s1, s11
	s_cbranch_execz .LBB721_8
; %bb.7:
	global_load_u8 v2, v[4:5], off
	s_waitcnt vmcnt(0)
	v_and_b32_e32 v2, 1, v2
	s_delay_alu instid0(VALU_DEP_1) | instskip(NEXT) | instid1(VALU_DEP_1)
	v_cmp_eq_u32_e64 s0, 1, v2
	v_cndmask_b32_e64 v2, v9, 0xff800000, s0
.LBB721_8:
	s_or_b32 exec_lo, exec_lo, s1
	s_mov_b32 s4, 0
	s_mov_b32 s0, 0
	s_and_saveexec_b32 s1, s10
	s_cbranch_execz .LBB721_10
; %bb.9:
	s_and_b32 s0, s12, exec_lo
	s_cselect_b32 s0, 0, s6
	s_cselect_b32 s3, 0, 0
	v_add_co_u32 v10, s0, v4, s0
	s_delay_alu instid0(VALU_DEP_1) | instskip(SKIP_3) | instid1(VALU_DEP_1)
	v_add_co_ci_u32_e64 v11, s0, s3, v5, s0
	global_load_u8 v3, v[10:11], off
	s_waitcnt vmcnt(0)
	v_and_b32_e32 v3, 1, v3
	v_cmp_eq_u32_e64 s0, 1, v3
	s_delay_alu instid0(VALU_DEP_1) | instskip(NEXT) | instid1(SALU_CYCLE_1)
	s_xor_b32 s0, s0, -1
	s_and_b32 s0, s0, exec_lo
.LBB721_10:
	s_or_b32 exec_lo, exec_lo, s1
	s_mov_b32 s5, s4
	v_cndmask_b32_e64 v12, v2, v2, s0
	v_dual_mov_b32 v7, 0 :: v_dual_mov_b32 v2, s4
	v_cndmask_b32_e64 v11, 0xff800000, v8, s0
	v_dual_mov_b32 v3, s5 :: v_dual_mov_b32 v10, 0
	s_and_saveexec_b32 s1, s11
	s_cbranch_execnz .LBB721_14
; %bb.11:
	s_or_b32 exec_lo, exec_lo, s1
	s_and_saveexec_b32 s1, s10
	s_cbranch_execnz .LBB721_17
.LBB721_12:
	s_or_b32 exec_lo, exec_lo, s1
	s_and_saveexec_b32 s0, vcc_lo
	s_cbranch_execnz .LBB721_20
.LBB721_13:
	s_nop 0
	s_sendmsg sendmsg(MSG_DEALLOC_VGPRS)
	s_endpgm
.LBB721_14:
	global_load_u8 v2, v[4:5], off
	s_mov_b32 s5, s4
	v_mov_b32_e32 v10, 0
	s_waitcnt vmcnt(0)
	v_and_b32_e32 v2, 1, v2
	s_delay_alu instid0(VALU_DEP_1) | instskip(SKIP_1) | instid1(VALU_DEP_2)
	v_cmp_eq_u32_e64 s0, 1, v2
	v_dual_mov_b32 v2, s4 :: v_dual_mov_b32 v3, s5
	s_xor_b32 s0, s0, -1
	s_delay_alu instid0(SALU_CYCLE_1)
	s_and_saveexec_b32 s3, s0
	s_cbranch_execz .LBB721_16
; %bb.15:
	v_sub_f32_e32 v2, v9, v12
	s_delay_alu instid0(VALU_DEP_1) | instskip(NEXT) | instid1(VALU_DEP_1)
	v_mul_f32_e32 v3, 0x3fb8aa3b, v2
	v_fma_f32 v9, 0x3fb8aa3b, v2, -v3
	v_rndne_f32_e32 v10, v3
	s_delay_alu instid0(VALU_DEP_1) | instskip(NEXT) | instid1(VALU_DEP_3)
	v_sub_f32_e32 v3, v3, v10
	v_fmamk_f32 v9, v2, 0x32a5705f, v9
	v_cmp_ngt_f32_e64 s0, 0xc2ce8ed0, v2
	s_delay_alu instid0(VALU_DEP_2) | instskip(SKIP_1) | instid1(VALU_DEP_2)
	v_add_f32_e32 v3, v3, v9
	v_cvt_i32_f32_e32 v9, v10
	v_exp_f32_e32 v3, v3
	s_waitcnt_depctr 0xfff
	v_ldexp_f32 v3, v3, v9
	s_delay_alu instid0(VALU_DEP_1) | instskip(SKIP_1) | instid1(VALU_DEP_1)
	v_cndmask_b32_e64 v3, 0, v3, s0
	v_cmp_nlt_f32_e64 s0, 0x42b17218, v2
	v_cndmask_b32_e64 v2, 0x7f800000, v3, s0
	s_delay_alu instid0(VALU_DEP_1)
	v_dual_mov_b32 v3, 0 :: v_dual_mov_b32 v10, v2
.LBB721_16:
	s_or_b32 exec_lo, exec_lo, s3
	s_delay_alu instid0(SALU_CYCLE_1)
	s_or_b32 exec_lo, exec_lo, s1
	s_and_saveexec_b32 s1, s10
	s_cbranch_execz .LBB721_12
.LBB721_17:
	s_and_b32 s0, s12, exec_lo
	s_cselect_b32 s0, 0, s6
	s_cselect_b32 s3, 0, 0
	v_add_co_u32 v4, s0, v4, s0
	s_delay_alu instid0(VALU_DEP_1) | instskip(SKIP_4) | instid1(VALU_DEP_1)
	v_add_co_ci_u32_e64 v5, s0, s3, v5, s0
	v_mov_b32_e32 v7, 0
	global_load_u8 v4, v[4:5], off
	s_waitcnt vmcnt(0)
	v_and_b32_e32 v4, 1, v4
	v_cmp_eq_u32_e64 s0, 1, v4
	s_delay_alu instid0(VALU_DEP_1) | instskip(NEXT) | instid1(SALU_CYCLE_1)
	s_xor_b32 s0, s0, -1
	s_and_saveexec_b32 s3, s0
	s_cbranch_execz .LBB721_19
; %bb.18:
	v_sub_f32_e32 v4, v8, v11
	s_delay_alu instid0(VALU_DEP_1) | instskip(NEXT) | instid1(VALU_DEP_1)
	v_mul_f32_e32 v5, 0x3fb8aa3b, v4
	v_fma_f32 v7, 0x3fb8aa3b, v4, -v5
	v_rndne_f32_e32 v8, v5
	s_delay_alu instid0(VALU_DEP_1) | instskip(NEXT) | instid1(VALU_DEP_3)
	v_sub_f32_e32 v5, v5, v8
	v_fmamk_f32 v7, v4, 0x32a5705f, v7
	v_cmp_ngt_f32_e64 s0, 0xc2ce8ed0, v4
	s_delay_alu instid0(VALU_DEP_2) | instskip(SKIP_1) | instid1(VALU_DEP_2)
	v_add_f32_e32 v5, v5, v7
	v_cvt_i32_f32_e32 v7, v8
	v_exp_f32_e32 v5, v5
	s_waitcnt_depctr 0xfff
	v_ldexp_f32 v5, v5, v7
	s_delay_alu instid0(VALU_DEP_1) | instskip(SKIP_1) | instid1(VALU_DEP_1)
	v_cndmask_b32_e64 v5, 0, v5, s0
	v_cmp_nlt_f32_e64 s0, 0x42b17218, v4
	v_cndmask_b32_e64 v7, 0x7f800000, v5, s0
	s_delay_alu instid0(VALU_DEP_1)
	v_add_f32_e32 v3, v3, v7
.LBB721_19:
	s_or_b32 exec_lo, exec_lo, s3
	s_delay_alu instid0(SALU_CYCLE_1)
	s_or_b32 exec_lo, exec_lo, s1
	s_and_saveexec_b32 s0, vcc_lo
	s_cbranch_execz .LBB721_13
.LBB721_20:
	v_add_co_u32 v0, vcc_lo, s8, v0
	v_add_co_ci_u32_e32 v1, vcc_lo, s9, v1, vcc_lo
	s_and_saveexec_b32 s0, s2
	s_cbranch_execz .LBB721_25
; %bb.21:
	s_mov_b32 s1, exec_lo
	v_cmpx_neq_f32_e32 0, v2
	s_xor_b32 s1, exec_lo, s1
	s_cbranch_execz .LBB721_23
; %bb.22:
	v_div_scale_f32 v4, null, v2, v2, v10
	s_delay_alu instid0(VALU_DEP_1) | instskip(SKIP_2) | instid1(VALU_DEP_1)
	v_rcp_f32_e32 v5, v4
	s_waitcnt_depctr 0xfff
	v_fma_f32 v8, -v4, v5, 1.0
	v_fmac_f32_e32 v5, v8, v5
	v_div_scale_f32 v8, vcc_lo, v10, v2, v10
	s_delay_alu instid0(VALU_DEP_1) | instskip(NEXT) | instid1(VALU_DEP_1)
	v_mul_f32_e32 v9, v8, v5
	v_fma_f32 v11, -v4, v9, v8
	s_delay_alu instid0(VALU_DEP_1) | instskip(NEXT) | instid1(VALU_DEP_1)
	v_fmac_f32_e32 v9, v11, v5
	v_fma_f32 v4, -v4, v9, v8
	s_delay_alu instid0(VALU_DEP_1) | instskip(NEXT) | instid1(VALU_DEP_1)
	v_div_fmas_f32 v4, v4, v5, v9
	v_div_fixup_f32 v2, v4, v2, v10
	s_delay_alu instid0(VALU_DEP_1)
	v_cvt_f16_f32_e32 v2, v2
	global_store_b16 v[0:1], v2, off
.LBB721_23:
	s_and_not1_saveexec_b32 s1, s1
	s_cbranch_execz .LBB721_25
; %bb.24:
	v_mov_b32_e32 v2, 0x7e00
	global_store_b16 v[0:1], v2, off
.LBB721_25:
	s_or_b32 exec_lo, exec_lo, s0
	v_cmp_ne_u32_e32 vcc_lo, 1, v6
	s_and_b32 exec_lo, exec_lo, vcc_lo
	s_cbranch_execz .LBB721_13
; %bb.26:
	s_and_b32 exec_lo, exec_lo, s2
	s_cbranch_execz .LBB721_13
; %bb.27:
	s_mov_b32 s7, 0
	s_delay_alu instid0(SALU_CYCLE_1) | instskip(NEXT) | instid1(SALU_CYCLE_1)
	s_lshl_b64 s[0:1], s[6:7], 1
	v_add_co_u32 v0, s0, v0, s0
	s_delay_alu instid0(VALU_DEP_1)
	v_add_co_ci_u32_e64 v1, s0, s1, v1, s0
	s_mov_b32 s0, exec_lo
	v_cmpx_neq_f32_e32 0, v3
	s_xor_b32 s0, exec_lo, s0
	s_cbranch_execz .LBB721_29
; %bb.28:
	v_div_scale_f32 v2, null, v3, v3, v7
	s_delay_alu instid0(VALU_DEP_1) | instskip(SKIP_2) | instid1(VALU_DEP_1)
	v_rcp_f32_e32 v4, v2
	s_waitcnt_depctr 0xfff
	v_fma_f32 v5, -v2, v4, 1.0
	v_fmac_f32_e32 v4, v5, v4
	v_div_scale_f32 v5, vcc_lo, v7, v3, v7
	s_delay_alu instid0(VALU_DEP_1) | instskip(NEXT) | instid1(VALU_DEP_1)
	v_mul_f32_e32 v6, v5, v4
	v_fma_f32 v8, -v2, v6, v5
	s_delay_alu instid0(VALU_DEP_1) | instskip(NEXT) | instid1(VALU_DEP_1)
	v_fmac_f32_e32 v6, v8, v4
	v_fma_f32 v2, -v2, v6, v5
	s_delay_alu instid0(VALU_DEP_1) | instskip(NEXT) | instid1(VALU_DEP_1)
	v_div_fmas_f32 v2, v2, v4, v6
	v_div_fixup_f32 v2, v2, v3, v7
	s_delay_alu instid0(VALU_DEP_1)
	v_cvt_f16_f32_e32 v2, v2
	global_store_b16 v[0:1], v2, off
                                        ; implicit-def: $vgpr0_vgpr1
.LBB721_29:
	s_and_not1_saveexec_b32 s0, s0
	s_cbranch_execz .LBB721_13
; %bb.30:
	v_mov_b32_e32 v2, 0x7e00
	global_store_b16 v[0:1], v2, off
	s_nop 0
	s_sendmsg sendmsg(MSG_DEALLOC_VGPRS)
	s_endpgm
	.section	.rodata,"a",@progbits
	.p2align	6, 0x0
	.amdhsa_kernel _ZN12_GLOBAL__N_120softmax_warp_forwardIN3c104HalfES2_fLi0ELb0ELb1ELi32EEEvPT0_PKT_iiiPKbib
		.amdhsa_group_segment_fixed_size 0
		.amdhsa_private_segment_fixed_size 0
		.amdhsa_kernarg_size 304
		.amdhsa_user_sgpr_count 15
		.amdhsa_user_sgpr_dispatch_ptr 0
		.amdhsa_user_sgpr_queue_ptr 0
		.amdhsa_user_sgpr_kernarg_segment_ptr 1
		.amdhsa_user_sgpr_dispatch_id 0
		.amdhsa_user_sgpr_private_segment_size 0
		.amdhsa_wavefront_size32 1
		.amdhsa_uses_dynamic_stack 0
		.amdhsa_enable_private_segment 0
		.amdhsa_system_sgpr_workgroup_id_x 1
		.amdhsa_system_sgpr_workgroup_id_y 0
		.amdhsa_system_sgpr_workgroup_id_z 0
		.amdhsa_system_sgpr_workgroup_info 0
		.amdhsa_system_vgpr_workitem_id 1
		.amdhsa_next_free_vgpr 13
		.amdhsa_next_free_sgpr 16
		.amdhsa_reserve_vcc 1
		.amdhsa_float_round_mode_32 0
		.amdhsa_float_round_mode_16_64 0
		.amdhsa_float_denorm_mode_32 3
		.amdhsa_float_denorm_mode_16_64 3
		.amdhsa_dx10_clamp 1
		.amdhsa_ieee_mode 1
		.amdhsa_fp16_overflow 0
		.amdhsa_workgroup_processor_mode 1
		.amdhsa_memory_ordered 1
		.amdhsa_forward_progress 0
		.amdhsa_shared_vgpr_count 0
		.amdhsa_exception_fp_ieee_invalid_op 0
		.amdhsa_exception_fp_denorm_src 0
		.amdhsa_exception_fp_ieee_div_zero 0
		.amdhsa_exception_fp_ieee_overflow 0
		.amdhsa_exception_fp_ieee_underflow 0
		.amdhsa_exception_fp_ieee_inexact 0
		.amdhsa_exception_int_div_zero 0
	.end_amdhsa_kernel
	.section	.text._ZN12_GLOBAL__N_120softmax_warp_forwardIN3c104HalfES2_fLi0ELb0ELb1ELi32EEEvPT0_PKT_iiiPKbib,"axG",@progbits,_ZN12_GLOBAL__N_120softmax_warp_forwardIN3c104HalfES2_fLi0ELb0ELb1ELi32EEEvPT0_PKT_iiiPKbib,comdat
.Lfunc_end721:
	.size	_ZN12_GLOBAL__N_120softmax_warp_forwardIN3c104HalfES2_fLi0ELb0ELb1ELi32EEEvPT0_PKT_iiiPKbib, .Lfunc_end721-_ZN12_GLOBAL__N_120softmax_warp_forwardIN3c104HalfES2_fLi0ELb0ELb1ELi32EEEvPT0_PKT_iiiPKbib
                                        ; -- End function
	.section	.AMDGPU.csdata,"",@progbits
; Kernel info:
; codeLenInByte = 1568
; NumSgprs: 18
; NumVgprs: 13
; ScratchSize: 0
; MemoryBound: 0
; FloatMode: 240
; IeeeMode: 1
; LDSByteSize: 0 bytes/workgroup (compile time only)
; SGPRBlocks: 2
; VGPRBlocks: 1
; NumSGPRsForWavesPerEU: 18
; NumVGPRsForWavesPerEU: 13
; Occupancy: 16
; WaveLimiterHint : 0
; COMPUTE_PGM_RSRC2:SCRATCH_EN: 0
; COMPUTE_PGM_RSRC2:USER_SGPR: 15
; COMPUTE_PGM_RSRC2:TRAP_HANDLER: 0
; COMPUTE_PGM_RSRC2:TGID_X_EN: 1
; COMPUTE_PGM_RSRC2:TGID_Y_EN: 0
; COMPUTE_PGM_RSRC2:TGID_Z_EN: 0
; COMPUTE_PGM_RSRC2:TIDIG_COMP_CNT: 1
	.section	.text._ZN12_GLOBAL__N_120softmax_warp_forwardIN3c104HalfES2_fLi1ELb0ELb1ELi64EEEvPT0_PKT_iiiPKbib,"axG",@progbits,_ZN12_GLOBAL__N_120softmax_warp_forwardIN3c104HalfES2_fLi1ELb0ELb1ELi64EEEvPT0_PKT_iiiPKbib,comdat
	.globl	_ZN12_GLOBAL__N_120softmax_warp_forwardIN3c104HalfES2_fLi1ELb0ELb1ELi64EEEvPT0_PKT_iiiPKbib ; -- Begin function _ZN12_GLOBAL__N_120softmax_warp_forwardIN3c104HalfES2_fLi1ELb0ELb1ELi64EEEvPT0_PKT_iiiPKbib
	.p2align	8
	.type	_ZN12_GLOBAL__N_120softmax_warp_forwardIN3c104HalfES2_fLi1ELb0ELb1ELi64EEEvPT0_PKT_iiiPKbib,@function
_ZN12_GLOBAL__N_120softmax_warp_forwardIN3c104HalfES2_fLi1ELb0ELb1ELi64EEEvPT0_PKT_iiiPKbib: ; @_ZN12_GLOBAL__N_120softmax_warp_forwardIN3c104HalfES2_fLi1ELb0ELb1ELi64EEEvPT0_PKT_iiiPKbib
; %bb.0:
	s_clause 0x2
	s_load_b64 s[2:3], s[0:1], 0x28
	s_load_b32 s8, s[0:1], 0x3c
	s_load_b128 s[4:7], s[0:1], 0x10
	v_bfe_u32 v1, v0, 10, 10
	v_and_b32_e32 v4, 0x3ff, v0
	s_waitcnt lgkmcnt(0)
	s_bitcmp1_b32 s3, 0
	s_cselect_b32 s12, -1, 0
	s_lshr_b32 s7, s8, 16
	s_bitcmp0_b32 s3, 0
	s_mul_i32 s15, s15, s7
	s_delay_alu instid0(SALU_CYCLE_1) | instskip(NEXT) | instid1(VALU_DEP_1)
	v_add_lshl_u32 v5, s15, v1, 1
	v_mul_lo_u32 v6, v5, s5
	s_delay_alu instid0(VALU_DEP_1) | instskip(NEXT) | instid1(VALU_DEP_1)
	v_add_nc_u32_e32 v0, v6, v4
	v_ashrrev_i32_e32 v1, 31, v0
	s_delay_alu instid0(VALU_DEP_1)
	v_dual_mov_b32 v3, v1 :: v_dual_mov_b32 v2, v0
	s_cbranch_scc1 .LBB722_2
; %bb.1:
	s_abs_i32 s3, s2
	v_sub_nc_u32_e32 v7, 0, v6
	v_cvt_f32_u32_e32 v2, s3
	s_sub_i32 s7, 0, s3
	s_delay_alu instid0(VALU_DEP_2) | instskip(NEXT) | instid1(VALU_DEP_2)
	v_max_i32_e32 v7, v6, v7
	v_rcp_iflag_f32_e32 v2, v2
	v_xor_b32_e32 v6, s2, v6
	s_delay_alu instid0(VALU_DEP_1) | instskip(SKIP_2) | instid1(VALU_DEP_1)
	v_ashrrev_i32_e32 v6, 31, v6
	s_waitcnt_depctr 0xfff
	v_mul_f32_e32 v2, 0x4f7ffffe, v2
	v_cvt_u32_f32_e32 v2, v2
	s_delay_alu instid0(VALU_DEP_1) | instskip(NEXT) | instid1(VALU_DEP_1)
	v_mul_lo_u32 v3, s7, v2
	v_mul_hi_u32 v3, v2, v3
	s_delay_alu instid0(VALU_DEP_1) | instskip(NEXT) | instid1(VALU_DEP_1)
	v_add_nc_u32_e32 v2, v2, v3
	v_mul_hi_u32 v2, v7, v2
	s_delay_alu instid0(VALU_DEP_1) | instskip(NEXT) | instid1(VALU_DEP_1)
	v_mul_lo_u32 v3, v2, s3
	v_sub_nc_u32_e32 v3, v7, v3
	v_add_nc_u32_e32 v7, 1, v2
	s_delay_alu instid0(VALU_DEP_2) | instskip(SKIP_1) | instid1(VALU_DEP_2)
	v_subrev_nc_u32_e32 v8, s3, v3
	v_cmp_le_u32_e32 vcc_lo, s3, v3
	v_dual_cndmask_b32 v3, v3, v8 :: v_dual_cndmask_b32 v2, v2, v7
	s_delay_alu instid0(VALU_DEP_1) | instskip(NEXT) | instid1(VALU_DEP_2)
	v_cmp_le_u32_e32 vcc_lo, s3, v3
	v_add_nc_u32_e32 v7, 1, v2
	s_delay_alu instid0(VALU_DEP_1) | instskip(NEXT) | instid1(VALU_DEP_1)
	v_cndmask_b32_e32 v2, v2, v7, vcc_lo
	v_xor_b32_e32 v2, v2, v6
	s_delay_alu instid0(VALU_DEP_1) | instskip(NEXT) | instid1(VALU_DEP_1)
	v_sub_nc_u32_e32 v6, v2, v6
	v_mad_u64_u32 v[2:3], null, v6, s5, v[4:5]
	s_delay_alu instid0(VALU_DEP_1)
	v_ashrrev_i32_e32 v3, 31, v2
.LBB722_2:
	s_load_b128 s[8:11], s[0:1], 0x0
	v_lshlrev_b64 v[0:1], 1, v[0:1]
	v_sub_nc_u32_e32 v6, s4, v5
	v_cmp_gt_i32_e64 s2, s6, v4
	v_mov_b32_e32 v7, 0xff800000
	v_mov_b32_e32 v9, 0xff800000
	s_delay_alu instid0(VALU_DEP_4) | instskip(SKIP_2) | instid1(VALU_DEP_1)
	v_cmp_lt_i32_e32 vcc_lo, 0, v6
	s_waitcnt lgkmcnt(0)
	v_add_co_u32 v4, s3, s10, v0
	v_add_co_ci_u32_e64 v5, s3, s11, v1, s3
	s_and_b32 s11, s2, vcc_lo
	s_delay_alu instid0(SALU_CYCLE_1)
	s_and_saveexec_b32 s3, s11
	s_cbranch_execz .LBB722_4
; %bb.3:
	global_load_u16 v8, v[4:5], off
	s_waitcnt vmcnt(0)
	v_cvt_f32_f16_e32 v9, v8
.LBB722_4:
	s_or_b32 exec_lo, exec_lo, s3
	v_cmp_lt_i32_e64 s3, 1, v6
	s_delay_alu instid0(VALU_DEP_1) | instskip(NEXT) | instid1(SALU_CYCLE_1)
	s_and_b32 s10, s2, s3
	s_and_saveexec_b32 s4, s10
	s_cbranch_execz .LBB722_6
; %bb.5:
	s_mov_b32 s7, 0
	s_delay_alu instid0(SALU_CYCLE_1) | instskip(NEXT) | instid1(SALU_CYCLE_1)
	s_lshl_b64 s[14:15], s[6:7], 1
	v_add_co_u32 v4, s3, v4, s14
	s_delay_alu instid0(VALU_DEP_1)
	v_add_co_ci_u32_e64 v5, s3, s15, v5, s3
	global_load_u16 v4, v[4:5], off
	s_waitcnt vmcnt(0)
	v_cvt_f32_f16_e32 v7, v4
.LBB722_6:
	s_or_b32 exec_lo, exec_lo, s4
	s_load_b64 s[0:1], s[0:1], 0x20
	s_waitcnt lgkmcnt(0)
	v_add_co_u32 v4, s0, s0, v2
	s_delay_alu instid0(VALU_DEP_1)
	v_add_co_ci_u32_e64 v5, s0, s1, v3, s0
	v_mov_b32_e32 v2, 0xff800000
	s_and_saveexec_b32 s1, s11
	s_cbranch_execz .LBB722_8
; %bb.7:
	global_load_u8 v2, v[4:5], off
	s_waitcnt vmcnt(0)
	v_and_b32_e32 v2, 1, v2
	s_delay_alu instid0(VALU_DEP_1) | instskip(NEXT) | instid1(VALU_DEP_1)
	v_cmp_eq_u32_e64 s0, 1, v2
	v_cndmask_b32_e64 v2, v9, 0xff800000, s0
.LBB722_8:
	s_or_b32 exec_lo, exec_lo, s1
	s_mov_b32 s4, 0
	s_mov_b32 s1, 0
	s_and_saveexec_b32 s3, s10
	s_cbranch_execz .LBB722_10
; %bb.9:
	s_and_b32 s0, s12, exec_lo
	s_cselect_b32 s0, 0, s6
	s_cselect_b32 s1, 0, 0
	v_add_co_u32 v10, s0, v4, s0
	s_delay_alu instid0(VALU_DEP_1) | instskip(SKIP_3) | instid1(VALU_DEP_1)
	v_add_co_ci_u32_e64 v11, s0, s1, v5, s0
	global_load_u8 v3, v[10:11], off
	s_waitcnt vmcnt(0)
	v_and_b32_e32 v3, 1, v3
	v_cmp_eq_u32_e64 s0, 1, v3
	s_delay_alu instid0(VALU_DEP_1) | instskip(NEXT) | instid1(SALU_CYCLE_1)
	s_xor_b32 s0, s0, -1
	s_and_b32 s1, s0, exec_lo
.LBB722_10:
	s_or_b32 exec_lo, exec_lo, s3
	v_mbcnt_lo_u32_b32 v3, -1, 0
	s_mov_b32 s5, s4
	v_cndmask_b32_e64 v14, v2, v2, s1
	v_cndmask_b32_e64 v12, 0xff800000, v7, s1
	s_delay_alu instid0(VALU_DEP_3) | instskip(SKIP_1) | instid1(VALU_DEP_2)
	v_dual_mov_b32 v11, 0 :: v_dual_and_b32 v8, 30, v3
	v_xor_b32_e32 v10, 1, v3
	v_add_nc_u32_e32 v8, 2, v8
	s_delay_alu instid0(VALU_DEP_1) | instskip(SKIP_1) | instid1(VALU_DEP_2)
	v_cmp_lt_i32_e64 s0, v10, v8
	v_mov_b32_e32 v8, 0
	v_cndmask_b32_e64 v3, v3, v10, s0
	s_delay_alu instid0(VALU_DEP_1)
	v_lshlrev_b32_e32 v10, 2, v3
	v_dual_mov_b32 v2, s4 :: v_dual_mov_b32 v3, s5
	ds_bpermute_b32 v15, v10, v14
	ds_bpermute_b32 v13, v10, v12
	s_and_saveexec_b32 s1, s11
	s_cbranch_execz .LBB722_14
; %bb.11:
	global_load_u8 v2, v[4:5], off
	s_mov_b32 s5, s4
	s_waitcnt vmcnt(0)
	v_dual_mov_b32 v11, 0 :: v_dual_and_b32 v2, 1, v2
	s_delay_alu instid0(VALU_DEP_1) | instskip(SKIP_1) | instid1(VALU_DEP_2)
	v_cmp_eq_u32_e64 s0, 1, v2
	v_dual_mov_b32 v2, s4 :: v_dual_mov_b32 v3, s5
	s_xor_b32 s0, s0, -1
	s_delay_alu instid0(SALU_CYCLE_1)
	s_and_saveexec_b32 s3, s0
	s_cbranch_execz .LBB722_13
; %bb.12:
	s_waitcnt lgkmcnt(1)
	v_cmp_lt_f32_e64 s0, v14, v15
	s_delay_alu instid0(VALU_DEP_1) | instskip(NEXT) | instid1(VALU_DEP_1)
	v_cndmask_b32_e64 v2, v14, v15, s0
	v_sub_f32_e32 v2, v9, v2
	s_delay_alu instid0(VALU_DEP_1) | instskip(NEXT) | instid1(VALU_DEP_1)
	v_mul_f32_e32 v3, 0x3fb8aa3b, v2
	v_fma_f32 v9, 0x3fb8aa3b, v2, -v3
	v_rndne_f32_e32 v11, v3
	s_delay_alu instid0(VALU_DEP_1) | instskip(NEXT) | instid1(VALU_DEP_3)
	v_sub_f32_e32 v3, v3, v11
	v_fmamk_f32 v9, v2, 0x32a5705f, v9
	v_cmp_ngt_f32_e64 s0, 0xc2ce8ed0, v2
	s_delay_alu instid0(VALU_DEP_2) | instskip(SKIP_1) | instid1(VALU_DEP_2)
	v_add_f32_e32 v3, v3, v9
	v_cvt_i32_f32_e32 v9, v11
	v_exp_f32_e32 v3, v3
	s_waitcnt_depctr 0xfff
	v_ldexp_f32 v3, v3, v9
	s_delay_alu instid0(VALU_DEP_1) | instskip(SKIP_1) | instid1(VALU_DEP_1)
	v_cndmask_b32_e64 v3, 0, v3, s0
	v_cmp_nlt_f32_e64 s0, 0x42b17218, v2
	v_cndmask_b32_e64 v2, 0x7f800000, v3, s0
	v_mov_b32_e32 v3, 0
	s_delay_alu instid0(VALU_DEP_2)
	v_mov_b32_e32 v11, v2
.LBB722_13:
	s_or_b32 exec_lo, exec_lo, s3
.LBB722_14:
	s_delay_alu instid0(SALU_CYCLE_1)
	s_or_b32 exec_lo, exec_lo, s1
	s_and_saveexec_b32 s1, s10
	s_cbranch_execz .LBB722_18
; %bb.15:
	s_and_b32 s0, s12, exec_lo
	s_cselect_b32 s0, 0, s6
	s_cselect_b32 s3, 0, 0
	v_add_co_u32 v4, s0, v4, s0
	s_delay_alu instid0(VALU_DEP_1) | instskip(SKIP_4) | instid1(VALU_DEP_1)
	v_add_co_ci_u32_e64 v5, s0, s3, v5, s0
	v_mov_b32_e32 v8, 0
	global_load_u8 v4, v[4:5], off
	s_waitcnt vmcnt(0)
	v_and_b32_e32 v4, 1, v4
	v_cmp_eq_u32_e64 s0, 1, v4
	s_delay_alu instid0(VALU_DEP_1) | instskip(NEXT) | instid1(SALU_CYCLE_1)
	s_xor_b32 s0, s0, -1
	s_and_saveexec_b32 s3, s0
	s_cbranch_execz .LBB722_17
; %bb.16:
	s_waitcnt lgkmcnt(0)
	v_cmp_lt_f32_e64 s0, v12, v13
	s_delay_alu instid0(VALU_DEP_1) | instskip(NEXT) | instid1(VALU_DEP_1)
	v_cndmask_b32_e64 v4, v12, v13, s0
	v_sub_f32_e32 v4, v7, v4
	s_delay_alu instid0(VALU_DEP_1) | instskip(NEXT) | instid1(VALU_DEP_1)
	v_mul_f32_e32 v5, 0x3fb8aa3b, v4
	v_fma_f32 v7, 0x3fb8aa3b, v4, -v5
	v_rndne_f32_e32 v8, v5
	s_delay_alu instid0(VALU_DEP_2) | instskip(NEXT) | instid1(VALU_DEP_2)
	v_fmamk_f32 v7, v4, 0x32a5705f, v7
	v_sub_f32_e32 v5, v5, v8
	s_delay_alu instid0(VALU_DEP_1) | instskip(SKIP_2) | instid1(VALU_DEP_3)
	v_add_f32_e32 v5, v5, v7
	v_cvt_i32_f32_e32 v7, v8
	v_cmp_ngt_f32_e64 s0, 0xc2ce8ed0, v4
	v_exp_f32_e32 v5, v5
	s_waitcnt_depctr 0xfff
	v_ldexp_f32 v5, v5, v7
	s_delay_alu instid0(VALU_DEP_1) | instskip(SKIP_1) | instid1(VALU_DEP_1)
	v_cndmask_b32_e64 v5, 0, v5, s0
	v_cmp_nlt_f32_e64 s0, 0x42b17218, v4
	v_cndmask_b32_e64 v8, 0x7f800000, v5, s0
	s_delay_alu instid0(VALU_DEP_1)
	v_add_f32_e32 v3, v3, v8
.LBB722_17:
	s_or_b32 exec_lo, exec_lo, s3
.LBB722_18:
	s_delay_alu instid0(SALU_CYCLE_1)
	s_or_b32 exec_lo, exec_lo, s1
	ds_bpermute_b32 v5, v10, v2
	ds_bpermute_b32 v4, v10, v3
	s_and_saveexec_b32 s0, vcc_lo
	s_cbranch_execz .LBB722_30
; %bb.19:
	v_add_co_u32 v0, vcc_lo, s8, v0
	v_add_co_ci_u32_e32 v1, vcc_lo, s9, v1, vcc_lo
	s_and_saveexec_b32 s0, s2
	s_cbranch_execz .LBB722_24
; %bb.20:
	s_waitcnt lgkmcnt(1)
	v_add_f32_e32 v2, v2, v5
	s_mov_b32 s1, exec_lo
	s_delay_alu instid0(VALU_DEP_1)
	v_cmpx_neq_f32_e32 0, v2
	s_xor_b32 s1, exec_lo, s1
	s_cbranch_execz .LBB722_22
; %bb.21:
	v_div_scale_f32 v5, null, v2, v2, v11
	s_delay_alu instid0(VALU_DEP_1) | instskip(SKIP_2) | instid1(VALU_DEP_1)
	v_rcp_f32_e32 v7, v5
	s_waitcnt_depctr 0xfff
	v_fma_f32 v9, -v5, v7, 1.0
	v_fmac_f32_e32 v7, v9, v7
	v_div_scale_f32 v9, vcc_lo, v11, v2, v11
	s_delay_alu instid0(VALU_DEP_1) | instskip(NEXT) | instid1(VALU_DEP_1)
	v_mul_f32_e32 v10, v9, v7
	v_fma_f32 v12, -v5, v10, v9
	s_delay_alu instid0(VALU_DEP_1) | instskip(NEXT) | instid1(VALU_DEP_1)
	v_fmac_f32_e32 v10, v12, v7
	v_fma_f32 v5, -v5, v10, v9
	s_delay_alu instid0(VALU_DEP_1) | instskip(NEXT) | instid1(VALU_DEP_1)
	v_div_fmas_f32 v5, v5, v7, v10
	v_div_fixup_f32 v2, v5, v2, v11
	s_delay_alu instid0(VALU_DEP_1)
	v_cvt_f16_f32_e32 v2, v2
	global_store_b16 v[0:1], v2, off
.LBB722_22:
	s_and_not1_saveexec_b32 s1, s1
	s_cbranch_execz .LBB722_24
; %bb.23:
	v_mov_b32_e32 v2, 0x7e00
	global_store_b16 v[0:1], v2, off
.LBB722_24:
	s_or_b32 exec_lo, exec_lo, s0
	v_cmp_ne_u32_e32 vcc_lo, 1, v6
	s_and_b32 exec_lo, exec_lo, vcc_lo
	s_cbranch_execz .LBB722_30
; %bb.25:
	s_and_b32 exec_lo, exec_lo, s2
	s_cbranch_execz .LBB722_30
; %bb.26:
	s_mov_b32 s7, 0
	s_waitcnt lgkmcnt(0)
	v_add_f32_e32 v2, v3, v4
	s_lshl_b64 s[0:1], s[6:7], 1
	s_delay_alu instid0(SALU_CYCLE_1) | instskip(NEXT) | instid1(VALU_DEP_1)
	v_add_co_u32 v0, s0, v0, s0
	v_add_co_ci_u32_e64 v1, s0, s1, v1, s0
	s_mov_b32 s0, exec_lo
	v_cmpx_neq_f32_e32 0, v2
	s_xor_b32 s0, exec_lo, s0
	s_cbranch_execz .LBB722_28
; %bb.27:
	v_div_scale_f32 v3, null, v2, v2, v8
	s_delay_alu instid0(VALU_DEP_1) | instskip(SKIP_2) | instid1(VALU_DEP_1)
	v_rcp_f32_e32 v4, v3
	s_waitcnt_depctr 0xfff
	v_fma_f32 v5, -v3, v4, 1.0
	v_fmac_f32_e32 v4, v5, v4
	v_div_scale_f32 v5, vcc_lo, v8, v2, v8
	s_delay_alu instid0(VALU_DEP_1) | instskip(NEXT) | instid1(VALU_DEP_1)
	v_mul_f32_e32 v6, v5, v4
	v_fma_f32 v7, -v3, v6, v5
	s_delay_alu instid0(VALU_DEP_1) | instskip(NEXT) | instid1(VALU_DEP_1)
	v_fmac_f32_e32 v6, v7, v4
	v_fma_f32 v3, -v3, v6, v5
	s_delay_alu instid0(VALU_DEP_1) | instskip(NEXT) | instid1(VALU_DEP_1)
	v_div_fmas_f32 v3, v3, v4, v6
	v_div_fixup_f32 v2, v3, v2, v8
	s_delay_alu instid0(VALU_DEP_1)
	v_cvt_f16_f32_e32 v2, v2
	global_store_b16 v[0:1], v2, off
                                        ; implicit-def: $vgpr0_vgpr1
.LBB722_28:
	s_and_not1_saveexec_b32 s0, s0
	s_cbranch_execz .LBB722_30
; %bb.29:
	v_mov_b32_e32 v2, 0x7e00
	global_store_b16 v[0:1], v2, off
.LBB722_30:
	s_nop 0
	s_sendmsg sendmsg(MSG_DEALLOC_VGPRS)
	s_endpgm
	.section	.rodata,"a",@progbits
	.p2align	6, 0x0
	.amdhsa_kernel _ZN12_GLOBAL__N_120softmax_warp_forwardIN3c104HalfES2_fLi1ELb0ELb1ELi64EEEvPT0_PKT_iiiPKbib
		.amdhsa_group_segment_fixed_size 0
		.amdhsa_private_segment_fixed_size 0
		.amdhsa_kernarg_size 304
		.amdhsa_user_sgpr_count 15
		.amdhsa_user_sgpr_dispatch_ptr 0
		.amdhsa_user_sgpr_queue_ptr 0
		.amdhsa_user_sgpr_kernarg_segment_ptr 1
		.amdhsa_user_sgpr_dispatch_id 0
		.amdhsa_user_sgpr_private_segment_size 0
		.amdhsa_wavefront_size32 1
		.amdhsa_uses_dynamic_stack 0
		.amdhsa_enable_private_segment 0
		.amdhsa_system_sgpr_workgroup_id_x 1
		.amdhsa_system_sgpr_workgroup_id_y 0
		.amdhsa_system_sgpr_workgroup_id_z 0
		.amdhsa_system_sgpr_workgroup_info 0
		.amdhsa_system_vgpr_workitem_id 1
		.amdhsa_next_free_vgpr 16
		.amdhsa_next_free_sgpr 16
		.amdhsa_reserve_vcc 1
		.amdhsa_float_round_mode_32 0
		.amdhsa_float_round_mode_16_64 0
		.amdhsa_float_denorm_mode_32 3
		.amdhsa_float_denorm_mode_16_64 3
		.amdhsa_dx10_clamp 1
		.amdhsa_ieee_mode 1
		.amdhsa_fp16_overflow 0
		.amdhsa_workgroup_processor_mode 1
		.amdhsa_memory_ordered 1
		.amdhsa_forward_progress 0
		.amdhsa_shared_vgpr_count 0
		.amdhsa_exception_fp_ieee_invalid_op 0
		.amdhsa_exception_fp_denorm_src 0
		.amdhsa_exception_fp_ieee_div_zero 0
		.amdhsa_exception_fp_ieee_overflow 0
		.amdhsa_exception_fp_ieee_underflow 0
		.amdhsa_exception_fp_ieee_inexact 0
		.amdhsa_exception_int_div_zero 0
	.end_amdhsa_kernel
	.section	.text._ZN12_GLOBAL__N_120softmax_warp_forwardIN3c104HalfES2_fLi1ELb0ELb1ELi64EEEvPT0_PKT_iiiPKbib,"axG",@progbits,_ZN12_GLOBAL__N_120softmax_warp_forwardIN3c104HalfES2_fLi1ELb0ELb1ELi64EEEvPT0_PKT_iiiPKbib,comdat
.Lfunc_end722:
	.size	_ZN12_GLOBAL__N_120softmax_warp_forwardIN3c104HalfES2_fLi1ELb0ELb1ELi64EEEvPT0_PKT_iiiPKbib, .Lfunc_end722-_ZN12_GLOBAL__N_120softmax_warp_forwardIN3c104HalfES2_fLi1ELb0ELb1ELi64EEEvPT0_PKT_iiiPKbib
                                        ; -- End function
	.section	.AMDGPU.csdata,"",@progbits
; Kernel info:
; codeLenInByte = 1684
; NumSgprs: 18
; NumVgprs: 16
; ScratchSize: 0
; MemoryBound: 0
; FloatMode: 240
; IeeeMode: 1
; LDSByteSize: 0 bytes/workgroup (compile time only)
; SGPRBlocks: 2
; VGPRBlocks: 1
; NumSGPRsForWavesPerEU: 18
; NumVGPRsForWavesPerEU: 16
; Occupancy: 16
; WaveLimiterHint : 0
; COMPUTE_PGM_RSRC2:SCRATCH_EN: 0
; COMPUTE_PGM_RSRC2:USER_SGPR: 15
; COMPUTE_PGM_RSRC2:TRAP_HANDLER: 0
; COMPUTE_PGM_RSRC2:TGID_X_EN: 1
; COMPUTE_PGM_RSRC2:TGID_Y_EN: 0
; COMPUTE_PGM_RSRC2:TGID_Z_EN: 0
; COMPUTE_PGM_RSRC2:TIDIG_COMP_CNT: 1
	.section	.text._ZN12_GLOBAL__N_120softmax_warp_forwardIN3c104HalfES2_fLi1ELb0ELb1ELi32EEEvPT0_PKT_iiiPKbib,"axG",@progbits,_ZN12_GLOBAL__N_120softmax_warp_forwardIN3c104HalfES2_fLi1ELb0ELb1ELi32EEEvPT0_PKT_iiiPKbib,comdat
	.globl	_ZN12_GLOBAL__N_120softmax_warp_forwardIN3c104HalfES2_fLi1ELb0ELb1ELi32EEEvPT0_PKT_iiiPKbib ; -- Begin function _ZN12_GLOBAL__N_120softmax_warp_forwardIN3c104HalfES2_fLi1ELb0ELb1ELi32EEEvPT0_PKT_iiiPKbib
	.p2align	8
	.type	_ZN12_GLOBAL__N_120softmax_warp_forwardIN3c104HalfES2_fLi1ELb0ELb1ELi32EEEvPT0_PKT_iiiPKbib,@function
_ZN12_GLOBAL__N_120softmax_warp_forwardIN3c104HalfES2_fLi1ELb0ELb1ELi32EEEvPT0_PKT_iiiPKbib: ; @_ZN12_GLOBAL__N_120softmax_warp_forwardIN3c104HalfES2_fLi1ELb0ELb1ELi32EEEvPT0_PKT_iiiPKbib
; %bb.0:
	s_clause 0x2
	s_load_b64 s[2:3], s[0:1], 0x28
	s_load_b32 s8, s[0:1], 0x3c
	s_load_b128 s[4:7], s[0:1], 0x10
	v_bfe_u32 v1, v0, 10, 10
	v_and_b32_e32 v4, 0x3ff, v0
	s_waitcnt lgkmcnt(0)
	s_bitcmp1_b32 s3, 0
	s_cselect_b32 s12, -1, 0
	s_lshr_b32 s7, s8, 16
	s_bitcmp0_b32 s3, 0
	s_mul_i32 s15, s15, s7
	s_delay_alu instid0(SALU_CYCLE_1) | instskip(NEXT) | instid1(VALU_DEP_1)
	v_add_lshl_u32 v5, s15, v1, 1
	v_mul_lo_u32 v6, v5, s5
	s_delay_alu instid0(VALU_DEP_1) | instskip(NEXT) | instid1(VALU_DEP_1)
	v_add_nc_u32_e32 v0, v6, v4
	v_ashrrev_i32_e32 v1, 31, v0
	s_delay_alu instid0(VALU_DEP_1)
	v_dual_mov_b32 v3, v1 :: v_dual_mov_b32 v2, v0
	s_cbranch_scc1 .LBB723_2
; %bb.1:
	s_abs_i32 s3, s2
	v_sub_nc_u32_e32 v7, 0, v6
	v_cvt_f32_u32_e32 v2, s3
	s_sub_i32 s7, 0, s3
	s_delay_alu instid0(VALU_DEP_2) | instskip(NEXT) | instid1(VALU_DEP_2)
	v_max_i32_e32 v7, v6, v7
	v_rcp_iflag_f32_e32 v2, v2
	v_xor_b32_e32 v6, s2, v6
	s_delay_alu instid0(VALU_DEP_1) | instskip(SKIP_2) | instid1(VALU_DEP_1)
	v_ashrrev_i32_e32 v6, 31, v6
	s_waitcnt_depctr 0xfff
	v_mul_f32_e32 v2, 0x4f7ffffe, v2
	v_cvt_u32_f32_e32 v2, v2
	s_delay_alu instid0(VALU_DEP_1) | instskip(NEXT) | instid1(VALU_DEP_1)
	v_mul_lo_u32 v3, s7, v2
	v_mul_hi_u32 v3, v2, v3
	s_delay_alu instid0(VALU_DEP_1) | instskip(NEXT) | instid1(VALU_DEP_1)
	v_add_nc_u32_e32 v2, v2, v3
	v_mul_hi_u32 v2, v7, v2
	s_delay_alu instid0(VALU_DEP_1) | instskip(NEXT) | instid1(VALU_DEP_1)
	v_mul_lo_u32 v3, v2, s3
	v_sub_nc_u32_e32 v3, v7, v3
	v_add_nc_u32_e32 v7, 1, v2
	s_delay_alu instid0(VALU_DEP_2) | instskip(SKIP_1) | instid1(VALU_DEP_2)
	v_subrev_nc_u32_e32 v8, s3, v3
	v_cmp_le_u32_e32 vcc_lo, s3, v3
	v_dual_cndmask_b32 v3, v3, v8 :: v_dual_cndmask_b32 v2, v2, v7
	s_delay_alu instid0(VALU_DEP_1) | instskip(NEXT) | instid1(VALU_DEP_2)
	v_cmp_le_u32_e32 vcc_lo, s3, v3
	v_add_nc_u32_e32 v7, 1, v2
	s_delay_alu instid0(VALU_DEP_1) | instskip(NEXT) | instid1(VALU_DEP_1)
	v_cndmask_b32_e32 v2, v2, v7, vcc_lo
	v_xor_b32_e32 v2, v2, v6
	s_delay_alu instid0(VALU_DEP_1) | instskip(NEXT) | instid1(VALU_DEP_1)
	v_sub_nc_u32_e32 v6, v2, v6
	v_mad_u64_u32 v[2:3], null, v6, s5, v[4:5]
	s_delay_alu instid0(VALU_DEP_1)
	v_ashrrev_i32_e32 v3, 31, v2
.LBB723_2:
	s_load_b128 s[8:11], s[0:1], 0x0
	v_lshlrev_b64 v[0:1], 1, v[0:1]
	v_sub_nc_u32_e32 v6, s4, v5
	v_cmp_gt_i32_e64 s2, s6, v4
	v_mov_b32_e32 v7, 0xff800000
	v_mov_b32_e32 v9, 0xff800000
	s_delay_alu instid0(VALU_DEP_4) | instskip(SKIP_2) | instid1(VALU_DEP_1)
	v_cmp_lt_i32_e32 vcc_lo, 0, v6
	s_waitcnt lgkmcnt(0)
	v_add_co_u32 v4, s3, s10, v0
	v_add_co_ci_u32_e64 v5, s3, s11, v1, s3
	s_and_b32 s11, s2, vcc_lo
	s_delay_alu instid0(SALU_CYCLE_1)
	s_and_saveexec_b32 s3, s11
	s_cbranch_execz .LBB723_4
; %bb.3:
	global_load_u16 v8, v[4:5], off
	s_waitcnt vmcnt(0)
	v_cvt_f32_f16_e32 v9, v8
.LBB723_4:
	s_or_b32 exec_lo, exec_lo, s3
	v_cmp_lt_i32_e64 s3, 1, v6
	s_delay_alu instid0(VALU_DEP_1) | instskip(NEXT) | instid1(SALU_CYCLE_1)
	s_and_b32 s10, s2, s3
	s_and_saveexec_b32 s4, s10
	s_cbranch_execz .LBB723_6
; %bb.5:
	s_mov_b32 s7, 0
	s_delay_alu instid0(SALU_CYCLE_1) | instskip(NEXT) | instid1(SALU_CYCLE_1)
	s_lshl_b64 s[14:15], s[6:7], 1
	v_add_co_u32 v4, s3, v4, s14
	s_delay_alu instid0(VALU_DEP_1)
	v_add_co_ci_u32_e64 v5, s3, s15, v5, s3
	global_load_u16 v4, v[4:5], off
	s_waitcnt vmcnt(0)
	v_cvt_f32_f16_e32 v7, v4
.LBB723_6:
	s_or_b32 exec_lo, exec_lo, s4
	s_load_b64 s[0:1], s[0:1], 0x20
	s_waitcnt lgkmcnt(0)
	v_add_co_u32 v4, s0, s0, v2
	s_delay_alu instid0(VALU_DEP_1)
	v_add_co_ci_u32_e64 v5, s0, s1, v3, s0
	v_mov_b32_e32 v2, 0xff800000
	s_and_saveexec_b32 s1, s11
	s_cbranch_execz .LBB723_8
; %bb.7:
	global_load_u8 v2, v[4:5], off
	s_waitcnt vmcnt(0)
	v_and_b32_e32 v2, 1, v2
	s_delay_alu instid0(VALU_DEP_1) | instskip(NEXT) | instid1(VALU_DEP_1)
	v_cmp_eq_u32_e64 s0, 1, v2
	v_cndmask_b32_e64 v2, v9, 0xff800000, s0
.LBB723_8:
	s_or_b32 exec_lo, exec_lo, s1
	s_mov_b32 s4, 0
	s_mov_b32 s1, 0
	s_and_saveexec_b32 s3, s10
	s_cbranch_execz .LBB723_10
; %bb.9:
	s_and_b32 s0, s12, exec_lo
	s_cselect_b32 s0, 0, s6
	s_cselect_b32 s1, 0, 0
	v_add_co_u32 v10, s0, v4, s0
	s_delay_alu instid0(VALU_DEP_1) | instskip(SKIP_3) | instid1(VALU_DEP_1)
	v_add_co_ci_u32_e64 v11, s0, s1, v5, s0
	global_load_u8 v3, v[10:11], off
	s_waitcnt vmcnt(0)
	v_and_b32_e32 v3, 1, v3
	v_cmp_eq_u32_e64 s0, 1, v3
	s_delay_alu instid0(VALU_DEP_1) | instskip(NEXT) | instid1(SALU_CYCLE_1)
	s_xor_b32 s0, s0, -1
	s_and_b32 s1, s0, exec_lo
.LBB723_10:
	s_or_b32 exec_lo, exec_lo, s3
	v_mbcnt_lo_u32_b32 v3, -1, 0
	s_mov_b32 s5, s4
	v_cndmask_b32_e64 v14, v2, v2, s1
	v_cndmask_b32_e64 v12, 0xff800000, v7, s1
	s_delay_alu instid0(VALU_DEP_3) | instskip(SKIP_1) | instid1(VALU_DEP_2)
	v_dual_mov_b32 v11, 0 :: v_dual_and_b32 v8, 30, v3
	v_xor_b32_e32 v10, 1, v3
	v_add_nc_u32_e32 v8, 2, v8
	s_delay_alu instid0(VALU_DEP_1) | instskip(SKIP_1) | instid1(VALU_DEP_2)
	v_cmp_lt_i32_e64 s0, v10, v8
	v_mov_b32_e32 v8, 0
	v_cndmask_b32_e64 v3, v3, v10, s0
	s_delay_alu instid0(VALU_DEP_1)
	v_lshlrev_b32_e32 v10, 2, v3
	v_dual_mov_b32 v2, s4 :: v_dual_mov_b32 v3, s5
	ds_bpermute_b32 v15, v10, v14
	ds_bpermute_b32 v13, v10, v12
	s_and_saveexec_b32 s1, s11
	s_cbranch_execz .LBB723_14
; %bb.11:
	global_load_u8 v2, v[4:5], off
	s_mov_b32 s5, s4
	s_waitcnt vmcnt(0)
	v_dual_mov_b32 v11, 0 :: v_dual_and_b32 v2, 1, v2
	s_delay_alu instid0(VALU_DEP_1) | instskip(SKIP_1) | instid1(VALU_DEP_2)
	v_cmp_eq_u32_e64 s0, 1, v2
	v_dual_mov_b32 v2, s4 :: v_dual_mov_b32 v3, s5
	s_xor_b32 s0, s0, -1
	s_delay_alu instid0(SALU_CYCLE_1)
	s_and_saveexec_b32 s3, s0
	s_cbranch_execz .LBB723_13
; %bb.12:
	s_waitcnt lgkmcnt(1)
	v_cmp_lt_f32_e64 s0, v14, v15
	s_delay_alu instid0(VALU_DEP_1) | instskip(NEXT) | instid1(VALU_DEP_1)
	v_cndmask_b32_e64 v2, v14, v15, s0
	v_sub_f32_e32 v2, v9, v2
	s_delay_alu instid0(VALU_DEP_1) | instskip(NEXT) | instid1(VALU_DEP_1)
	v_mul_f32_e32 v3, 0x3fb8aa3b, v2
	v_fma_f32 v9, 0x3fb8aa3b, v2, -v3
	v_rndne_f32_e32 v11, v3
	s_delay_alu instid0(VALU_DEP_1) | instskip(NEXT) | instid1(VALU_DEP_3)
	v_sub_f32_e32 v3, v3, v11
	v_fmamk_f32 v9, v2, 0x32a5705f, v9
	v_cmp_ngt_f32_e64 s0, 0xc2ce8ed0, v2
	s_delay_alu instid0(VALU_DEP_2) | instskip(SKIP_1) | instid1(VALU_DEP_2)
	v_add_f32_e32 v3, v3, v9
	v_cvt_i32_f32_e32 v9, v11
	v_exp_f32_e32 v3, v3
	s_waitcnt_depctr 0xfff
	v_ldexp_f32 v3, v3, v9
	s_delay_alu instid0(VALU_DEP_1) | instskip(SKIP_1) | instid1(VALU_DEP_1)
	v_cndmask_b32_e64 v3, 0, v3, s0
	v_cmp_nlt_f32_e64 s0, 0x42b17218, v2
	v_cndmask_b32_e64 v2, 0x7f800000, v3, s0
	v_mov_b32_e32 v3, 0
	s_delay_alu instid0(VALU_DEP_2)
	v_mov_b32_e32 v11, v2
.LBB723_13:
	s_or_b32 exec_lo, exec_lo, s3
.LBB723_14:
	s_delay_alu instid0(SALU_CYCLE_1)
	s_or_b32 exec_lo, exec_lo, s1
	s_and_saveexec_b32 s1, s10
	s_cbranch_execz .LBB723_18
; %bb.15:
	s_and_b32 s0, s12, exec_lo
	s_cselect_b32 s0, 0, s6
	s_cselect_b32 s3, 0, 0
	v_add_co_u32 v4, s0, v4, s0
	s_delay_alu instid0(VALU_DEP_1) | instskip(SKIP_4) | instid1(VALU_DEP_1)
	v_add_co_ci_u32_e64 v5, s0, s3, v5, s0
	v_mov_b32_e32 v8, 0
	global_load_u8 v4, v[4:5], off
	s_waitcnt vmcnt(0)
	v_and_b32_e32 v4, 1, v4
	v_cmp_eq_u32_e64 s0, 1, v4
	s_delay_alu instid0(VALU_DEP_1) | instskip(NEXT) | instid1(SALU_CYCLE_1)
	s_xor_b32 s0, s0, -1
	s_and_saveexec_b32 s3, s0
	s_cbranch_execz .LBB723_17
; %bb.16:
	s_waitcnt lgkmcnt(0)
	v_cmp_lt_f32_e64 s0, v12, v13
	s_delay_alu instid0(VALU_DEP_1) | instskip(NEXT) | instid1(VALU_DEP_1)
	v_cndmask_b32_e64 v4, v12, v13, s0
	v_sub_f32_e32 v4, v7, v4
	s_delay_alu instid0(VALU_DEP_1) | instskip(NEXT) | instid1(VALU_DEP_1)
	v_mul_f32_e32 v5, 0x3fb8aa3b, v4
	v_fma_f32 v7, 0x3fb8aa3b, v4, -v5
	v_rndne_f32_e32 v8, v5
	s_delay_alu instid0(VALU_DEP_2) | instskip(NEXT) | instid1(VALU_DEP_2)
	v_fmamk_f32 v7, v4, 0x32a5705f, v7
	v_sub_f32_e32 v5, v5, v8
	s_delay_alu instid0(VALU_DEP_1) | instskip(SKIP_2) | instid1(VALU_DEP_3)
	v_add_f32_e32 v5, v5, v7
	v_cvt_i32_f32_e32 v7, v8
	v_cmp_ngt_f32_e64 s0, 0xc2ce8ed0, v4
	v_exp_f32_e32 v5, v5
	s_waitcnt_depctr 0xfff
	v_ldexp_f32 v5, v5, v7
	s_delay_alu instid0(VALU_DEP_1) | instskip(SKIP_1) | instid1(VALU_DEP_1)
	v_cndmask_b32_e64 v5, 0, v5, s0
	v_cmp_nlt_f32_e64 s0, 0x42b17218, v4
	v_cndmask_b32_e64 v8, 0x7f800000, v5, s0
	s_delay_alu instid0(VALU_DEP_1)
	v_add_f32_e32 v3, v3, v8
.LBB723_17:
	s_or_b32 exec_lo, exec_lo, s3
.LBB723_18:
	s_delay_alu instid0(SALU_CYCLE_1)
	s_or_b32 exec_lo, exec_lo, s1
	ds_bpermute_b32 v5, v10, v2
	ds_bpermute_b32 v4, v10, v3
	s_and_saveexec_b32 s0, vcc_lo
	s_cbranch_execz .LBB723_30
; %bb.19:
	v_add_co_u32 v0, vcc_lo, s8, v0
	v_add_co_ci_u32_e32 v1, vcc_lo, s9, v1, vcc_lo
	s_and_saveexec_b32 s0, s2
	s_cbranch_execz .LBB723_24
; %bb.20:
	s_waitcnt lgkmcnt(1)
	v_add_f32_e32 v2, v2, v5
	s_mov_b32 s1, exec_lo
	s_delay_alu instid0(VALU_DEP_1)
	v_cmpx_neq_f32_e32 0, v2
	s_xor_b32 s1, exec_lo, s1
	s_cbranch_execz .LBB723_22
; %bb.21:
	v_div_scale_f32 v5, null, v2, v2, v11
	s_delay_alu instid0(VALU_DEP_1) | instskip(SKIP_2) | instid1(VALU_DEP_1)
	v_rcp_f32_e32 v7, v5
	s_waitcnt_depctr 0xfff
	v_fma_f32 v9, -v5, v7, 1.0
	v_fmac_f32_e32 v7, v9, v7
	v_div_scale_f32 v9, vcc_lo, v11, v2, v11
	s_delay_alu instid0(VALU_DEP_1) | instskip(NEXT) | instid1(VALU_DEP_1)
	v_mul_f32_e32 v10, v9, v7
	v_fma_f32 v12, -v5, v10, v9
	s_delay_alu instid0(VALU_DEP_1) | instskip(NEXT) | instid1(VALU_DEP_1)
	v_fmac_f32_e32 v10, v12, v7
	v_fma_f32 v5, -v5, v10, v9
	s_delay_alu instid0(VALU_DEP_1) | instskip(NEXT) | instid1(VALU_DEP_1)
	v_div_fmas_f32 v5, v5, v7, v10
	v_div_fixup_f32 v2, v5, v2, v11
	s_delay_alu instid0(VALU_DEP_1)
	v_cvt_f16_f32_e32 v2, v2
	global_store_b16 v[0:1], v2, off
.LBB723_22:
	s_and_not1_saveexec_b32 s1, s1
	s_cbranch_execz .LBB723_24
; %bb.23:
	v_mov_b32_e32 v2, 0x7e00
	global_store_b16 v[0:1], v2, off
.LBB723_24:
	s_or_b32 exec_lo, exec_lo, s0
	v_cmp_ne_u32_e32 vcc_lo, 1, v6
	s_and_b32 exec_lo, exec_lo, vcc_lo
	s_cbranch_execz .LBB723_30
; %bb.25:
	s_and_b32 exec_lo, exec_lo, s2
	s_cbranch_execz .LBB723_30
; %bb.26:
	s_mov_b32 s7, 0
	s_waitcnt lgkmcnt(0)
	v_add_f32_e32 v2, v3, v4
	s_lshl_b64 s[0:1], s[6:7], 1
	s_delay_alu instid0(SALU_CYCLE_1) | instskip(NEXT) | instid1(VALU_DEP_1)
	v_add_co_u32 v0, s0, v0, s0
	v_add_co_ci_u32_e64 v1, s0, s1, v1, s0
	s_mov_b32 s0, exec_lo
	v_cmpx_neq_f32_e32 0, v2
	s_xor_b32 s0, exec_lo, s0
	s_cbranch_execz .LBB723_28
; %bb.27:
	v_div_scale_f32 v3, null, v2, v2, v8
	s_delay_alu instid0(VALU_DEP_1) | instskip(SKIP_2) | instid1(VALU_DEP_1)
	v_rcp_f32_e32 v4, v3
	s_waitcnt_depctr 0xfff
	v_fma_f32 v5, -v3, v4, 1.0
	v_fmac_f32_e32 v4, v5, v4
	v_div_scale_f32 v5, vcc_lo, v8, v2, v8
	s_delay_alu instid0(VALU_DEP_1) | instskip(NEXT) | instid1(VALU_DEP_1)
	v_mul_f32_e32 v6, v5, v4
	v_fma_f32 v7, -v3, v6, v5
	s_delay_alu instid0(VALU_DEP_1) | instskip(NEXT) | instid1(VALU_DEP_1)
	v_fmac_f32_e32 v6, v7, v4
	v_fma_f32 v3, -v3, v6, v5
	s_delay_alu instid0(VALU_DEP_1) | instskip(NEXT) | instid1(VALU_DEP_1)
	v_div_fmas_f32 v3, v3, v4, v6
	v_div_fixup_f32 v2, v3, v2, v8
	s_delay_alu instid0(VALU_DEP_1)
	v_cvt_f16_f32_e32 v2, v2
	global_store_b16 v[0:1], v2, off
                                        ; implicit-def: $vgpr0_vgpr1
.LBB723_28:
	s_and_not1_saveexec_b32 s0, s0
	s_cbranch_execz .LBB723_30
; %bb.29:
	v_mov_b32_e32 v2, 0x7e00
	global_store_b16 v[0:1], v2, off
.LBB723_30:
	s_nop 0
	s_sendmsg sendmsg(MSG_DEALLOC_VGPRS)
	s_endpgm
	.section	.rodata,"a",@progbits
	.p2align	6, 0x0
	.amdhsa_kernel _ZN12_GLOBAL__N_120softmax_warp_forwardIN3c104HalfES2_fLi1ELb0ELb1ELi32EEEvPT0_PKT_iiiPKbib
		.amdhsa_group_segment_fixed_size 0
		.amdhsa_private_segment_fixed_size 0
		.amdhsa_kernarg_size 304
		.amdhsa_user_sgpr_count 15
		.amdhsa_user_sgpr_dispatch_ptr 0
		.amdhsa_user_sgpr_queue_ptr 0
		.amdhsa_user_sgpr_kernarg_segment_ptr 1
		.amdhsa_user_sgpr_dispatch_id 0
		.amdhsa_user_sgpr_private_segment_size 0
		.amdhsa_wavefront_size32 1
		.amdhsa_uses_dynamic_stack 0
		.amdhsa_enable_private_segment 0
		.amdhsa_system_sgpr_workgroup_id_x 1
		.amdhsa_system_sgpr_workgroup_id_y 0
		.amdhsa_system_sgpr_workgroup_id_z 0
		.amdhsa_system_sgpr_workgroup_info 0
		.amdhsa_system_vgpr_workitem_id 1
		.amdhsa_next_free_vgpr 16
		.amdhsa_next_free_sgpr 16
		.amdhsa_reserve_vcc 1
		.amdhsa_float_round_mode_32 0
		.amdhsa_float_round_mode_16_64 0
		.amdhsa_float_denorm_mode_32 3
		.amdhsa_float_denorm_mode_16_64 3
		.amdhsa_dx10_clamp 1
		.amdhsa_ieee_mode 1
		.amdhsa_fp16_overflow 0
		.amdhsa_workgroup_processor_mode 1
		.amdhsa_memory_ordered 1
		.amdhsa_forward_progress 0
		.amdhsa_shared_vgpr_count 0
		.amdhsa_exception_fp_ieee_invalid_op 0
		.amdhsa_exception_fp_denorm_src 0
		.amdhsa_exception_fp_ieee_div_zero 0
		.amdhsa_exception_fp_ieee_overflow 0
		.amdhsa_exception_fp_ieee_underflow 0
		.amdhsa_exception_fp_ieee_inexact 0
		.amdhsa_exception_int_div_zero 0
	.end_amdhsa_kernel
	.section	.text._ZN12_GLOBAL__N_120softmax_warp_forwardIN3c104HalfES2_fLi1ELb0ELb1ELi32EEEvPT0_PKT_iiiPKbib,"axG",@progbits,_ZN12_GLOBAL__N_120softmax_warp_forwardIN3c104HalfES2_fLi1ELb0ELb1ELi32EEEvPT0_PKT_iiiPKbib,comdat
.Lfunc_end723:
	.size	_ZN12_GLOBAL__N_120softmax_warp_forwardIN3c104HalfES2_fLi1ELb0ELb1ELi32EEEvPT0_PKT_iiiPKbib, .Lfunc_end723-_ZN12_GLOBAL__N_120softmax_warp_forwardIN3c104HalfES2_fLi1ELb0ELb1ELi32EEEvPT0_PKT_iiiPKbib
                                        ; -- End function
	.section	.AMDGPU.csdata,"",@progbits
; Kernel info:
; codeLenInByte = 1684
; NumSgprs: 18
; NumVgprs: 16
; ScratchSize: 0
; MemoryBound: 0
; FloatMode: 240
; IeeeMode: 1
; LDSByteSize: 0 bytes/workgroup (compile time only)
; SGPRBlocks: 2
; VGPRBlocks: 1
; NumSGPRsForWavesPerEU: 18
; NumVGPRsForWavesPerEU: 16
; Occupancy: 16
; WaveLimiterHint : 0
; COMPUTE_PGM_RSRC2:SCRATCH_EN: 0
; COMPUTE_PGM_RSRC2:USER_SGPR: 15
; COMPUTE_PGM_RSRC2:TRAP_HANDLER: 0
; COMPUTE_PGM_RSRC2:TGID_X_EN: 1
; COMPUTE_PGM_RSRC2:TGID_Y_EN: 0
; COMPUTE_PGM_RSRC2:TGID_Z_EN: 0
; COMPUTE_PGM_RSRC2:TIDIG_COMP_CNT: 1
	.section	.text._ZN12_GLOBAL__N_120softmax_warp_forwardIN3c104HalfES2_fLi2ELb0ELb1ELi64EEEvPT0_PKT_iiiPKbib,"axG",@progbits,_ZN12_GLOBAL__N_120softmax_warp_forwardIN3c104HalfES2_fLi2ELb0ELb1ELi64EEEvPT0_PKT_iiiPKbib,comdat
	.globl	_ZN12_GLOBAL__N_120softmax_warp_forwardIN3c104HalfES2_fLi2ELb0ELb1ELi64EEEvPT0_PKT_iiiPKbib ; -- Begin function _ZN12_GLOBAL__N_120softmax_warp_forwardIN3c104HalfES2_fLi2ELb0ELb1ELi64EEEvPT0_PKT_iiiPKbib
	.p2align	8
	.type	_ZN12_GLOBAL__N_120softmax_warp_forwardIN3c104HalfES2_fLi2ELb0ELb1ELi64EEEvPT0_PKT_iiiPKbib,@function
_ZN12_GLOBAL__N_120softmax_warp_forwardIN3c104HalfES2_fLi2ELb0ELb1ELi64EEEvPT0_PKT_iiiPKbib: ; @_ZN12_GLOBAL__N_120softmax_warp_forwardIN3c104HalfES2_fLi2ELb0ELb1ELi64EEEvPT0_PKT_iiiPKbib
; %bb.0:
	s_clause 0x2
	s_load_b64 s[2:3], s[0:1], 0x28
	s_load_b32 s8, s[0:1], 0x3c
	s_load_b128 s[4:7], s[0:1], 0x10
	v_bfe_u32 v1, v0, 10, 10
	v_and_b32_e32 v4, 0x3ff, v0
	s_waitcnt lgkmcnt(0)
	s_bitcmp1_b32 s3, 0
	s_cselect_b32 s12, -1, 0
	s_lshr_b32 s7, s8, 16
	s_bitcmp0_b32 s3, 0
	s_mul_i32 s15, s15, s7
	s_delay_alu instid0(SALU_CYCLE_1) | instskip(NEXT) | instid1(VALU_DEP_1)
	v_add_lshl_u32 v5, s15, v1, 1
	v_mul_lo_u32 v6, v5, s5
	s_delay_alu instid0(VALU_DEP_1) | instskip(NEXT) | instid1(VALU_DEP_1)
	v_add_nc_u32_e32 v0, v6, v4
	v_ashrrev_i32_e32 v1, 31, v0
	s_delay_alu instid0(VALU_DEP_1)
	v_dual_mov_b32 v3, v1 :: v_dual_mov_b32 v2, v0
	s_cbranch_scc1 .LBB724_2
; %bb.1:
	s_abs_i32 s3, s2
	v_sub_nc_u32_e32 v7, 0, v6
	v_cvt_f32_u32_e32 v2, s3
	s_sub_i32 s7, 0, s3
	s_delay_alu instid0(VALU_DEP_2) | instskip(NEXT) | instid1(VALU_DEP_2)
	v_max_i32_e32 v7, v6, v7
	v_rcp_iflag_f32_e32 v2, v2
	v_xor_b32_e32 v6, s2, v6
	s_delay_alu instid0(VALU_DEP_1) | instskip(SKIP_2) | instid1(VALU_DEP_1)
	v_ashrrev_i32_e32 v6, 31, v6
	s_waitcnt_depctr 0xfff
	v_mul_f32_e32 v2, 0x4f7ffffe, v2
	v_cvt_u32_f32_e32 v2, v2
	s_delay_alu instid0(VALU_DEP_1) | instskip(NEXT) | instid1(VALU_DEP_1)
	v_mul_lo_u32 v3, s7, v2
	v_mul_hi_u32 v3, v2, v3
	s_delay_alu instid0(VALU_DEP_1) | instskip(NEXT) | instid1(VALU_DEP_1)
	v_add_nc_u32_e32 v2, v2, v3
	v_mul_hi_u32 v2, v7, v2
	s_delay_alu instid0(VALU_DEP_1) | instskip(NEXT) | instid1(VALU_DEP_1)
	v_mul_lo_u32 v3, v2, s3
	v_sub_nc_u32_e32 v3, v7, v3
	v_add_nc_u32_e32 v7, 1, v2
	s_delay_alu instid0(VALU_DEP_2) | instskip(SKIP_1) | instid1(VALU_DEP_2)
	v_subrev_nc_u32_e32 v8, s3, v3
	v_cmp_le_u32_e32 vcc_lo, s3, v3
	v_dual_cndmask_b32 v3, v3, v8 :: v_dual_cndmask_b32 v2, v2, v7
	s_delay_alu instid0(VALU_DEP_1) | instskip(NEXT) | instid1(VALU_DEP_2)
	v_cmp_le_u32_e32 vcc_lo, s3, v3
	v_add_nc_u32_e32 v7, 1, v2
	s_delay_alu instid0(VALU_DEP_1) | instskip(NEXT) | instid1(VALU_DEP_1)
	v_cndmask_b32_e32 v2, v2, v7, vcc_lo
	v_xor_b32_e32 v2, v2, v6
	s_delay_alu instid0(VALU_DEP_1) | instskip(NEXT) | instid1(VALU_DEP_1)
	v_sub_nc_u32_e32 v6, v2, v6
	v_mad_u64_u32 v[2:3], null, v6, s5, v[4:5]
	s_delay_alu instid0(VALU_DEP_1)
	v_ashrrev_i32_e32 v3, 31, v2
.LBB724_2:
	s_load_b128 s[8:11], s[0:1], 0x0
	v_lshlrev_b64 v[0:1], 1, v[0:1]
	v_sub_nc_u32_e32 v6, s4, v5
	v_cmp_gt_i32_e64 s2, s6, v4
	v_mov_b32_e32 v7, 0xff800000
	v_mov_b32_e32 v9, 0xff800000
	s_delay_alu instid0(VALU_DEP_4) | instskip(SKIP_2) | instid1(VALU_DEP_1)
	v_cmp_lt_i32_e32 vcc_lo, 0, v6
	s_waitcnt lgkmcnt(0)
	v_add_co_u32 v4, s3, s10, v0
	v_add_co_ci_u32_e64 v5, s3, s11, v1, s3
	s_and_b32 s11, s2, vcc_lo
	s_delay_alu instid0(SALU_CYCLE_1)
	s_and_saveexec_b32 s3, s11
	s_cbranch_execz .LBB724_4
; %bb.3:
	global_load_u16 v8, v[4:5], off
	s_waitcnt vmcnt(0)
	v_cvt_f32_f16_e32 v9, v8
.LBB724_4:
	s_or_b32 exec_lo, exec_lo, s3
	v_cmp_lt_i32_e64 s3, 1, v6
	s_delay_alu instid0(VALU_DEP_1) | instskip(NEXT) | instid1(SALU_CYCLE_1)
	s_and_b32 s10, s2, s3
	s_and_saveexec_b32 s4, s10
	s_cbranch_execz .LBB724_6
; %bb.5:
	s_mov_b32 s7, 0
	s_delay_alu instid0(SALU_CYCLE_1) | instskip(NEXT) | instid1(SALU_CYCLE_1)
	s_lshl_b64 s[14:15], s[6:7], 1
	v_add_co_u32 v4, s3, v4, s14
	s_delay_alu instid0(VALU_DEP_1)
	v_add_co_ci_u32_e64 v5, s3, s15, v5, s3
	global_load_u16 v4, v[4:5], off
	s_waitcnt vmcnt(0)
	v_cvt_f32_f16_e32 v7, v4
.LBB724_6:
	s_or_b32 exec_lo, exec_lo, s4
	s_load_b64 s[0:1], s[0:1], 0x20
	v_mov_b32_e32 v4, 0xff800000
	s_waitcnt lgkmcnt(0)
	v_add_co_u32 v2, s0, s0, v2
	s_delay_alu instid0(VALU_DEP_1)
	v_add_co_ci_u32_e64 v3, s0, s1, v3, s0
	s_and_saveexec_b32 s1, s11
	s_cbranch_execz .LBB724_8
; %bb.7:
	global_load_u8 v4, v[2:3], off
	s_waitcnt vmcnt(0)
	v_and_b32_e32 v4, 1, v4
	s_delay_alu instid0(VALU_DEP_1) | instskip(NEXT) | instid1(VALU_DEP_1)
	v_cmp_eq_u32_e64 s0, 1, v4
	v_cndmask_b32_e64 v4, v9, 0xff800000, s0
.LBB724_8:
	s_or_b32 exec_lo, exec_lo, s1
	s_mov_b32 s4, 0
	s_mov_b32 s1, 0
	s_and_saveexec_b32 s3, s10
	s_cbranch_execz .LBB724_10
; %bb.9:
	s_and_b32 s0, s12, exec_lo
	s_cselect_b32 s0, 0, s6
	s_cselect_b32 s1, 0, 0
	v_add_co_u32 v10, s0, v2, s0
	s_delay_alu instid0(VALU_DEP_1) | instskip(SKIP_3) | instid1(VALU_DEP_1)
	v_add_co_ci_u32_e64 v11, s0, s1, v3, s0
	global_load_u8 v5, v[10:11], off
	s_waitcnt vmcnt(0)
	v_and_b32_e32 v5, 1, v5
	v_cmp_eq_u32_e64 s0, 1, v5
	s_delay_alu instid0(VALU_DEP_1) | instskip(NEXT) | instid1(SALU_CYCLE_1)
	s_xor_b32 s0, s0, -1
	s_and_b32 s1, s0, exec_lo
.LBB724_10:
	s_or_b32 exec_lo, exec_lo, s3
	v_mbcnt_lo_u32_b32 v5, -1, 0
	s_mov_b32 s5, s4
	v_cndmask_b32_e64 v4, v4, v4, s1
	v_cndmask_b32_e64 v12, 0xff800000, v7, s1
	s_delay_alu instid0(VALU_DEP_3) | instskip(SKIP_2) | instid1(VALU_DEP_3)
	v_and_b32_e32 v8, 28, v5
	v_xor_b32_e32 v10, 2, v5
	v_xor_b32_e32 v11, 1, v5
	v_add_nc_u32_e32 v8, 4, v8
	s_delay_alu instid0(VALU_DEP_1) | instskip(NEXT) | instid1(VALU_DEP_1)
	v_cmp_lt_i32_e64 s0, v10, v8
	v_cndmask_b32_e64 v10, v5, v10, s0
	s_delay_alu instid0(VALU_DEP_4) | instskip(SKIP_1) | instid1(VALU_DEP_3)
	v_cmp_lt_i32_e64 s0, v11, v8
	v_mov_b32_e32 v8, 0
	v_lshlrev_b32_e32 v10, 2, v10
	s_delay_alu instid0(VALU_DEP_3)
	v_cndmask_b32_e64 v5, v5, v11, s0
	ds_bpermute_b32 v13, v10, v4
	ds_bpermute_b32 v14, v10, v12
	v_lshlrev_b32_e32 v11, 2, v5
	s_waitcnt lgkmcnt(1)
	v_cmp_lt_f32_e64 s0, v4, v13
	s_delay_alu instid0(VALU_DEP_1)
	v_cndmask_b32_e64 v15, v4, v13, s0
	s_waitcnt lgkmcnt(0)
	v_cmp_lt_f32_e64 s0, v12, v14
	v_dual_mov_b32 v4, s4 :: v_dual_mov_b32 v5, s5
	ds_bpermute_b32 v16, v11, v15
	v_cndmask_b32_e64 v13, v12, v14, s0
	v_mov_b32_e32 v12, 0
	ds_bpermute_b32 v14, v11, v13
	s_and_saveexec_b32 s1, s11
	s_cbranch_execz .LBB724_14
; %bb.11:
	global_load_u8 v4, v[2:3], off
	s_mov_b32 s5, s4
	v_mov_b32_e32 v12, 0
	s_waitcnt vmcnt(0)
	v_and_b32_e32 v4, 1, v4
	s_delay_alu instid0(VALU_DEP_1) | instskip(SKIP_1) | instid1(VALU_DEP_2)
	v_cmp_eq_u32_e64 s0, 1, v4
	v_dual_mov_b32 v4, s4 :: v_dual_mov_b32 v5, s5
	s_xor_b32 s0, s0, -1
	s_delay_alu instid0(SALU_CYCLE_1)
	s_and_saveexec_b32 s3, s0
	s_cbranch_execz .LBB724_13
; %bb.12:
	s_waitcnt lgkmcnt(1)
	v_cmp_lt_f32_e64 s0, v15, v16
	s_delay_alu instid0(VALU_DEP_1) | instskip(NEXT) | instid1(VALU_DEP_1)
	v_cndmask_b32_e64 v4, v15, v16, s0
	v_sub_f32_e32 v4, v9, v4
	s_delay_alu instid0(VALU_DEP_1) | instskip(SKIP_1) | instid1(VALU_DEP_2)
	v_mul_f32_e32 v5, 0x3fb8aa3b, v4
	v_cmp_ngt_f32_e64 s0, 0xc2ce8ed0, v4
	v_fma_f32 v9, 0x3fb8aa3b, v4, -v5
	v_rndne_f32_e32 v12, v5
	s_delay_alu instid0(VALU_DEP_2) | instskip(NEXT) | instid1(VALU_DEP_2)
	v_fmamk_f32 v9, v4, 0x32a5705f, v9
	v_sub_f32_e32 v5, v5, v12
	s_delay_alu instid0(VALU_DEP_1) | instskip(SKIP_1) | instid1(VALU_DEP_2)
	v_add_f32_e32 v5, v5, v9
	v_cvt_i32_f32_e32 v9, v12
	v_exp_f32_e32 v5, v5
	s_waitcnt_depctr 0xfff
	v_ldexp_f32 v5, v5, v9
	s_delay_alu instid0(VALU_DEP_1) | instskip(SKIP_1) | instid1(VALU_DEP_1)
	v_cndmask_b32_e64 v5, 0, v5, s0
	v_cmp_nlt_f32_e64 s0, 0x42b17218, v4
	v_cndmask_b32_e64 v4, 0x7f800000, v5, s0
	s_delay_alu instid0(VALU_DEP_1)
	v_dual_mov_b32 v5, 0 :: v_dual_mov_b32 v12, v4
.LBB724_13:
	s_or_b32 exec_lo, exec_lo, s3
.LBB724_14:
	s_delay_alu instid0(SALU_CYCLE_1)
	s_or_b32 exec_lo, exec_lo, s1
	s_and_saveexec_b32 s1, s10
	s_cbranch_execz .LBB724_18
; %bb.15:
	s_and_b32 s0, s12, exec_lo
	s_cselect_b32 s0, 0, s6
	s_cselect_b32 s3, 0, 0
	v_add_co_u32 v2, s0, v2, s0
	s_delay_alu instid0(VALU_DEP_1) | instskip(SKIP_4) | instid1(VALU_DEP_1)
	v_add_co_ci_u32_e64 v3, s0, s3, v3, s0
	v_mov_b32_e32 v8, 0
	global_load_u8 v2, v[2:3], off
	s_waitcnt vmcnt(0)
	v_and_b32_e32 v2, 1, v2
	v_cmp_eq_u32_e64 s0, 1, v2
	s_delay_alu instid0(VALU_DEP_1) | instskip(NEXT) | instid1(SALU_CYCLE_1)
	s_xor_b32 s0, s0, -1
	s_and_saveexec_b32 s3, s0
	s_cbranch_execz .LBB724_17
; %bb.16:
	s_waitcnt lgkmcnt(0)
	v_cmp_lt_f32_e64 s0, v13, v14
	s_delay_alu instid0(VALU_DEP_1) | instskip(NEXT) | instid1(VALU_DEP_1)
	v_cndmask_b32_e64 v2, v13, v14, s0
	v_sub_f32_e32 v2, v7, v2
	s_delay_alu instid0(VALU_DEP_1) | instskip(SKIP_1) | instid1(VALU_DEP_2)
	v_mul_f32_e32 v3, 0x3fb8aa3b, v2
	v_cmp_ngt_f32_e64 s0, 0xc2ce8ed0, v2
	v_fma_f32 v7, 0x3fb8aa3b, v2, -v3
	v_rndne_f32_e32 v8, v3
	s_delay_alu instid0(VALU_DEP_2) | instskip(NEXT) | instid1(VALU_DEP_2)
	v_fmamk_f32 v7, v2, 0x32a5705f, v7
	v_sub_f32_e32 v3, v3, v8
	s_delay_alu instid0(VALU_DEP_1) | instskip(SKIP_1) | instid1(VALU_DEP_2)
	v_add_f32_e32 v3, v3, v7
	v_cvt_i32_f32_e32 v7, v8
	v_exp_f32_e32 v3, v3
	s_waitcnt_depctr 0xfff
	v_ldexp_f32 v3, v3, v7
	s_delay_alu instid0(VALU_DEP_1) | instskip(SKIP_1) | instid1(VALU_DEP_1)
	v_cndmask_b32_e64 v3, 0, v3, s0
	v_cmp_nlt_f32_e64 s0, 0x42b17218, v2
	v_cndmask_b32_e64 v8, 0x7f800000, v3, s0
	s_delay_alu instid0(VALU_DEP_1)
	v_add_f32_e32 v5, v5, v8
.LBB724_17:
	s_or_b32 exec_lo, exec_lo, s3
.LBB724_18:
	s_delay_alu instid0(SALU_CYCLE_1)
	s_or_b32 exec_lo, exec_lo, s1
	ds_bpermute_b32 v2, v10, v4
	ds_bpermute_b32 v3, v10, v5
	s_waitcnt lgkmcnt(1)
	v_add_f32_e32 v4, v4, v2
	s_waitcnt lgkmcnt(0)
	v_add_f32_e32 v2, v5, v3
	ds_bpermute_b32 v5, v11, v4
	ds_bpermute_b32 v3, v11, v2
	s_and_saveexec_b32 s0, vcc_lo
	s_cbranch_execz .LBB724_30
; %bb.19:
	v_add_co_u32 v0, vcc_lo, s8, v0
	v_add_co_ci_u32_e32 v1, vcc_lo, s9, v1, vcc_lo
	s_and_saveexec_b32 s0, s2
	s_cbranch_execz .LBB724_24
; %bb.20:
	s_waitcnt lgkmcnt(1)
	v_add_f32_e32 v4, v4, v5
	s_mov_b32 s1, exec_lo
	s_delay_alu instid0(VALU_DEP_1)
	v_cmpx_neq_f32_e32 0, v4
	s_xor_b32 s1, exec_lo, s1
	s_cbranch_execz .LBB724_22
; %bb.21:
	v_div_scale_f32 v5, null, v4, v4, v12
	s_delay_alu instid0(VALU_DEP_1) | instskip(SKIP_2) | instid1(VALU_DEP_1)
	v_rcp_f32_e32 v7, v5
	s_waitcnt_depctr 0xfff
	v_fma_f32 v9, -v5, v7, 1.0
	v_fmac_f32_e32 v7, v9, v7
	v_div_scale_f32 v9, vcc_lo, v12, v4, v12
	s_delay_alu instid0(VALU_DEP_1) | instskip(NEXT) | instid1(VALU_DEP_1)
	v_mul_f32_e32 v10, v9, v7
	v_fma_f32 v11, -v5, v10, v9
	s_delay_alu instid0(VALU_DEP_1) | instskip(NEXT) | instid1(VALU_DEP_1)
	v_fmac_f32_e32 v10, v11, v7
	v_fma_f32 v5, -v5, v10, v9
	s_delay_alu instid0(VALU_DEP_1) | instskip(NEXT) | instid1(VALU_DEP_1)
	v_div_fmas_f32 v5, v5, v7, v10
	v_div_fixup_f32 v4, v5, v4, v12
	s_delay_alu instid0(VALU_DEP_1)
	v_cvt_f16_f32_e32 v4, v4
	global_store_b16 v[0:1], v4, off
.LBB724_22:
	s_and_not1_saveexec_b32 s1, s1
	s_cbranch_execz .LBB724_24
; %bb.23:
	v_mov_b32_e32 v4, 0x7e00
	global_store_b16 v[0:1], v4, off
.LBB724_24:
	s_or_b32 exec_lo, exec_lo, s0
	v_cmp_ne_u32_e32 vcc_lo, 1, v6
	s_and_b32 exec_lo, exec_lo, vcc_lo
	s_cbranch_execz .LBB724_30
; %bb.25:
	s_and_b32 exec_lo, exec_lo, s2
	s_cbranch_execz .LBB724_30
; %bb.26:
	s_mov_b32 s7, 0
	s_waitcnt lgkmcnt(0)
	v_add_f32_e32 v2, v2, v3
	s_lshl_b64 s[0:1], s[6:7], 1
	s_delay_alu instid0(SALU_CYCLE_1) | instskip(NEXT) | instid1(VALU_DEP_1)
	v_add_co_u32 v0, s0, v0, s0
	v_add_co_ci_u32_e64 v1, s0, s1, v1, s0
	s_mov_b32 s0, exec_lo
	v_cmpx_neq_f32_e32 0, v2
	s_xor_b32 s0, exec_lo, s0
	s_cbranch_execz .LBB724_28
; %bb.27:
	v_div_scale_f32 v3, null, v2, v2, v8
	s_delay_alu instid0(VALU_DEP_1) | instskip(SKIP_2) | instid1(VALU_DEP_1)
	v_rcp_f32_e32 v4, v3
	s_waitcnt_depctr 0xfff
	v_fma_f32 v5, -v3, v4, 1.0
	v_fmac_f32_e32 v4, v5, v4
	v_div_scale_f32 v5, vcc_lo, v8, v2, v8
	s_delay_alu instid0(VALU_DEP_1) | instskip(NEXT) | instid1(VALU_DEP_1)
	v_mul_f32_e32 v6, v5, v4
	v_fma_f32 v7, -v3, v6, v5
	s_delay_alu instid0(VALU_DEP_1) | instskip(NEXT) | instid1(VALU_DEP_1)
	v_fmac_f32_e32 v6, v7, v4
	v_fma_f32 v3, -v3, v6, v5
	s_delay_alu instid0(VALU_DEP_1) | instskip(NEXT) | instid1(VALU_DEP_1)
	v_div_fmas_f32 v3, v3, v4, v6
	v_div_fixup_f32 v2, v3, v2, v8
	s_delay_alu instid0(VALU_DEP_1)
	v_cvt_f16_f32_e32 v2, v2
	global_store_b16 v[0:1], v2, off
                                        ; implicit-def: $vgpr0_vgpr1
.LBB724_28:
	s_and_not1_saveexec_b32 s0, s0
	s_cbranch_execz .LBB724_30
; %bb.29:
	v_mov_b32_e32 v2, 0x7e00
	global_store_b16 v[0:1], v2, off
.LBB724_30:
	s_nop 0
	s_sendmsg sendmsg(MSG_DEALLOC_VGPRS)
	s_endpgm
	.section	.rodata,"a",@progbits
	.p2align	6, 0x0
	.amdhsa_kernel _ZN12_GLOBAL__N_120softmax_warp_forwardIN3c104HalfES2_fLi2ELb0ELb1ELi64EEEvPT0_PKT_iiiPKbib
		.amdhsa_group_segment_fixed_size 0
		.amdhsa_private_segment_fixed_size 0
		.amdhsa_kernarg_size 304
		.amdhsa_user_sgpr_count 15
		.amdhsa_user_sgpr_dispatch_ptr 0
		.amdhsa_user_sgpr_queue_ptr 0
		.amdhsa_user_sgpr_kernarg_segment_ptr 1
		.amdhsa_user_sgpr_dispatch_id 0
		.amdhsa_user_sgpr_private_segment_size 0
		.amdhsa_wavefront_size32 1
		.amdhsa_uses_dynamic_stack 0
		.amdhsa_enable_private_segment 0
		.amdhsa_system_sgpr_workgroup_id_x 1
		.amdhsa_system_sgpr_workgroup_id_y 0
		.amdhsa_system_sgpr_workgroup_id_z 0
		.amdhsa_system_sgpr_workgroup_info 0
		.amdhsa_system_vgpr_workitem_id 1
		.amdhsa_next_free_vgpr 17
		.amdhsa_next_free_sgpr 16
		.amdhsa_reserve_vcc 1
		.amdhsa_float_round_mode_32 0
		.amdhsa_float_round_mode_16_64 0
		.amdhsa_float_denorm_mode_32 3
		.amdhsa_float_denorm_mode_16_64 3
		.amdhsa_dx10_clamp 1
		.amdhsa_ieee_mode 1
		.amdhsa_fp16_overflow 0
		.amdhsa_workgroup_processor_mode 1
		.amdhsa_memory_ordered 1
		.amdhsa_forward_progress 0
		.amdhsa_shared_vgpr_count 0
		.amdhsa_exception_fp_ieee_invalid_op 0
		.amdhsa_exception_fp_denorm_src 0
		.amdhsa_exception_fp_ieee_div_zero 0
		.amdhsa_exception_fp_ieee_overflow 0
		.amdhsa_exception_fp_ieee_underflow 0
		.amdhsa_exception_fp_ieee_inexact 0
		.amdhsa_exception_int_div_zero 0
	.end_amdhsa_kernel
	.section	.text._ZN12_GLOBAL__N_120softmax_warp_forwardIN3c104HalfES2_fLi2ELb0ELb1ELi64EEEvPT0_PKT_iiiPKbib,"axG",@progbits,_ZN12_GLOBAL__N_120softmax_warp_forwardIN3c104HalfES2_fLi2ELb0ELb1ELi64EEEvPT0_PKT_iiiPKbib,comdat
.Lfunc_end724:
	.size	_ZN12_GLOBAL__N_120softmax_warp_forwardIN3c104HalfES2_fLi2ELb0ELb1ELi64EEEvPT0_PKT_iiiPKbib, .Lfunc_end724-_ZN12_GLOBAL__N_120softmax_warp_forwardIN3c104HalfES2_fLi2ELb0ELb1ELi64EEEvPT0_PKT_iiiPKbib
                                        ; -- End function
	.section	.AMDGPU.csdata,"",@progbits
; Kernel info:
; codeLenInByte = 1804
; NumSgprs: 18
; NumVgprs: 17
; ScratchSize: 0
; MemoryBound: 0
; FloatMode: 240
; IeeeMode: 1
; LDSByteSize: 0 bytes/workgroup (compile time only)
; SGPRBlocks: 2
; VGPRBlocks: 2
; NumSGPRsForWavesPerEU: 18
; NumVGPRsForWavesPerEU: 17
; Occupancy: 16
; WaveLimiterHint : 0
; COMPUTE_PGM_RSRC2:SCRATCH_EN: 0
; COMPUTE_PGM_RSRC2:USER_SGPR: 15
; COMPUTE_PGM_RSRC2:TRAP_HANDLER: 0
; COMPUTE_PGM_RSRC2:TGID_X_EN: 1
; COMPUTE_PGM_RSRC2:TGID_Y_EN: 0
; COMPUTE_PGM_RSRC2:TGID_Z_EN: 0
; COMPUTE_PGM_RSRC2:TIDIG_COMP_CNT: 1
	.section	.text._ZN12_GLOBAL__N_120softmax_warp_forwardIN3c104HalfES2_fLi2ELb0ELb1ELi32EEEvPT0_PKT_iiiPKbib,"axG",@progbits,_ZN12_GLOBAL__N_120softmax_warp_forwardIN3c104HalfES2_fLi2ELb0ELb1ELi32EEEvPT0_PKT_iiiPKbib,comdat
	.globl	_ZN12_GLOBAL__N_120softmax_warp_forwardIN3c104HalfES2_fLi2ELb0ELb1ELi32EEEvPT0_PKT_iiiPKbib ; -- Begin function _ZN12_GLOBAL__N_120softmax_warp_forwardIN3c104HalfES2_fLi2ELb0ELb1ELi32EEEvPT0_PKT_iiiPKbib
	.p2align	8
	.type	_ZN12_GLOBAL__N_120softmax_warp_forwardIN3c104HalfES2_fLi2ELb0ELb1ELi32EEEvPT0_PKT_iiiPKbib,@function
_ZN12_GLOBAL__N_120softmax_warp_forwardIN3c104HalfES2_fLi2ELb0ELb1ELi32EEEvPT0_PKT_iiiPKbib: ; @_ZN12_GLOBAL__N_120softmax_warp_forwardIN3c104HalfES2_fLi2ELb0ELb1ELi32EEEvPT0_PKT_iiiPKbib
; %bb.0:
	s_clause 0x2
	s_load_b64 s[2:3], s[0:1], 0x28
	s_load_b32 s8, s[0:1], 0x3c
	s_load_b128 s[4:7], s[0:1], 0x10
	v_bfe_u32 v1, v0, 10, 10
	v_and_b32_e32 v4, 0x3ff, v0
	s_waitcnt lgkmcnt(0)
	s_bitcmp1_b32 s3, 0
	s_cselect_b32 s12, -1, 0
	s_lshr_b32 s7, s8, 16
	s_bitcmp0_b32 s3, 0
	s_mul_i32 s15, s15, s7
	s_delay_alu instid0(SALU_CYCLE_1) | instskip(NEXT) | instid1(VALU_DEP_1)
	v_add_lshl_u32 v5, s15, v1, 1
	v_mul_lo_u32 v6, v5, s5
	s_delay_alu instid0(VALU_DEP_1) | instskip(NEXT) | instid1(VALU_DEP_1)
	v_add_nc_u32_e32 v0, v6, v4
	v_ashrrev_i32_e32 v1, 31, v0
	s_delay_alu instid0(VALU_DEP_1)
	v_dual_mov_b32 v3, v1 :: v_dual_mov_b32 v2, v0
	s_cbranch_scc1 .LBB725_2
; %bb.1:
	s_abs_i32 s3, s2
	v_sub_nc_u32_e32 v7, 0, v6
	v_cvt_f32_u32_e32 v2, s3
	s_sub_i32 s7, 0, s3
	s_delay_alu instid0(VALU_DEP_2) | instskip(NEXT) | instid1(VALU_DEP_2)
	v_max_i32_e32 v7, v6, v7
	v_rcp_iflag_f32_e32 v2, v2
	v_xor_b32_e32 v6, s2, v6
	s_delay_alu instid0(VALU_DEP_1) | instskip(SKIP_2) | instid1(VALU_DEP_1)
	v_ashrrev_i32_e32 v6, 31, v6
	s_waitcnt_depctr 0xfff
	v_mul_f32_e32 v2, 0x4f7ffffe, v2
	v_cvt_u32_f32_e32 v2, v2
	s_delay_alu instid0(VALU_DEP_1) | instskip(NEXT) | instid1(VALU_DEP_1)
	v_mul_lo_u32 v3, s7, v2
	v_mul_hi_u32 v3, v2, v3
	s_delay_alu instid0(VALU_DEP_1) | instskip(NEXT) | instid1(VALU_DEP_1)
	v_add_nc_u32_e32 v2, v2, v3
	v_mul_hi_u32 v2, v7, v2
	s_delay_alu instid0(VALU_DEP_1) | instskip(NEXT) | instid1(VALU_DEP_1)
	v_mul_lo_u32 v3, v2, s3
	v_sub_nc_u32_e32 v3, v7, v3
	v_add_nc_u32_e32 v7, 1, v2
	s_delay_alu instid0(VALU_DEP_2) | instskip(SKIP_1) | instid1(VALU_DEP_2)
	v_subrev_nc_u32_e32 v8, s3, v3
	v_cmp_le_u32_e32 vcc_lo, s3, v3
	v_dual_cndmask_b32 v3, v3, v8 :: v_dual_cndmask_b32 v2, v2, v7
	s_delay_alu instid0(VALU_DEP_1) | instskip(NEXT) | instid1(VALU_DEP_2)
	v_cmp_le_u32_e32 vcc_lo, s3, v3
	v_add_nc_u32_e32 v7, 1, v2
	s_delay_alu instid0(VALU_DEP_1) | instskip(NEXT) | instid1(VALU_DEP_1)
	v_cndmask_b32_e32 v2, v2, v7, vcc_lo
	v_xor_b32_e32 v2, v2, v6
	s_delay_alu instid0(VALU_DEP_1) | instskip(NEXT) | instid1(VALU_DEP_1)
	v_sub_nc_u32_e32 v6, v2, v6
	v_mad_u64_u32 v[2:3], null, v6, s5, v[4:5]
	s_delay_alu instid0(VALU_DEP_1)
	v_ashrrev_i32_e32 v3, 31, v2
.LBB725_2:
	s_load_b128 s[8:11], s[0:1], 0x0
	v_lshlrev_b64 v[0:1], 1, v[0:1]
	v_sub_nc_u32_e32 v6, s4, v5
	v_cmp_gt_i32_e64 s2, s6, v4
	v_mov_b32_e32 v7, 0xff800000
	v_mov_b32_e32 v9, 0xff800000
	s_delay_alu instid0(VALU_DEP_4) | instskip(SKIP_2) | instid1(VALU_DEP_1)
	v_cmp_lt_i32_e32 vcc_lo, 0, v6
	s_waitcnt lgkmcnt(0)
	v_add_co_u32 v4, s3, s10, v0
	v_add_co_ci_u32_e64 v5, s3, s11, v1, s3
	s_and_b32 s11, s2, vcc_lo
	s_delay_alu instid0(SALU_CYCLE_1)
	s_and_saveexec_b32 s3, s11
	s_cbranch_execz .LBB725_4
; %bb.3:
	global_load_u16 v8, v[4:5], off
	s_waitcnt vmcnt(0)
	v_cvt_f32_f16_e32 v9, v8
.LBB725_4:
	s_or_b32 exec_lo, exec_lo, s3
	v_cmp_lt_i32_e64 s3, 1, v6
	s_delay_alu instid0(VALU_DEP_1) | instskip(NEXT) | instid1(SALU_CYCLE_1)
	s_and_b32 s10, s2, s3
	s_and_saveexec_b32 s4, s10
	s_cbranch_execz .LBB725_6
; %bb.5:
	s_mov_b32 s7, 0
	s_delay_alu instid0(SALU_CYCLE_1) | instskip(NEXT) | instid1(SALU_CYCLE_1)
	s_lshl_b64 s[14:15], s[6:7], 1
	v_add_co_u32 v4, s3, v4, s14
	s_delay_alu instid0(VALU_DEP_1)
	v_add_co_ci_u32_e64 v5, s3, s15, v5, s3
	global_load_u16 v4, v[4:5], off
	s_waitcnt vmcnt(0)
	v_cvt_f32_f16_e32 v7, v4
.LBB725_6:
	s_or_b32 exec_lo, exec_lo, s4
	s_load_b64 s[0:1], s[0:1], 0x20
	v_mov_b32_e32 v4, 0xff800000
	s_waitcnt lgkmcnt(0)
	v_add_co_u32 v2, s0, s0, v2
	s_delay_alu instid0(VALU_DEP_1)
	v_add_co_ci_u32_e64 v3, s0, s1, v3, s0
	s_and_saveexec_b32 s1, s11
	s_cbranch_execz .LBB725_8
; %bb.7:
	global_load_u8 v4, v[2:3], off
	s_waitcnt vmcnt(0)
	v_and_b32_e32 v4, 1, v4
	s_delay_alu instid0(VALU_DEP_1) | instskip(NEXT) | instid1(VALU_DEP_1)
	v_cmp_eq_u32_e64 s0, 1, v4
	v_cndmask_b32_e64 v4, v9, 0xff800000, s0
.LBB725_8:
	s_or_b32 exec_lo, exec_lo, s1
	s_mov_b32 s4, 0
	s_mov_b32 s1, 0
	s_and_saveexec_b32 s3, s10
	s_cbranch_execz .LBB725_10
; %bb.9:
	s_and_b32 s0, s12, exec_lo
	s_cselect_b32 s0, 0, s6
	s_cselect_b32 s1, 0, 0
	v_add_co_u32 v10, s0, v2, s0
	s_delay_alu instid0(VALU_DEP_1) | instskip(SKIP_3) | instid1(VALU_DEP_1)
	v_add_co_ci_u32_e64 v11, s0, s1, v3, s0
	global_load_u8 v5, v[10:11], off
	s_waitcnt vmcnt(0)
	v_and_b32_e32 v5, 1, v5
	v_cmp_eq_u32_e64 s0, 1, v5
	s_delay_alu instid0(VALU_DEP_1) | instskip(NEXT) | instid1(SALU_CYCLE_1)
	s_xor_b32 s0, s0, -1
	s_and_b32 s1, s0, exec_lo
.LBB725_10:
	s_or_b32 exec_lo, exec_lo, s3
	v_mbcnt_lo_u32_b32 v5, -1, 0
	s_mov_b32 s5, s4
	v_cndmask_b32_e64 v4, v4, v4, s1
	v_cndmask_b32_e64 v12, 0xff800000, v7, s1
	s_delay_alu instid0(VALU_DEP_3) | instskip(SKIP_2) | instid1(VALU_DEP_3)
	v_and_b32_e32 v8, 28, v5
	v_xor_b32_e32 v10, 2, v5
	v_xor_b32_e32 v11, 1, v5
	v_add_nc_u32_e32 v8, 4, v8
	s_delay_alu instid0(VALU_DEP_1) | instskip(NEXT) | instid1(VALU_DEP_1)
	v_cmp_lt_i32_e64 s0, v10, v8
	v_cndmask_b32_e64 v10, v5, v10, s0
	s_delay_alu instid0(VALU_DEP_4) | instskip(SKIP_1) | instid1(VALU_DEP_3)
	v_cmp_lt_i32_e64 s0, v11, v8
	v_mov_b32_e32 v8, 0
	v_lshlrev_b32_e32 v10, 2, v10
	s_delay_alu instid0(VALU_DEP_3)
	v_cndmask_b32_e64 v5, v5, v11, s0
	ds_bpermute_b32 v13, v10, v4
	ds_bpermute_b32 v14, v10, v12
	v_lshlrev_b32_e32 v11, 2, v5
	s_waitcnt lgkmcnt(1)
	v_cmp_lt_f32_e64 s0, v4, v13
	s_delay_alu instid0(VALU_DEP_1)
	v_cndmask_b32_e64 v15, v4, v13, s0
	s_waitcnt lgkmcnt(0)
	v_cmp_lt_f32_e64 s0, v12, v14
	v_dual_mov_b32 v4, s4 :: v_dual_mov_b32 v5, s5
	ds_bpermute_b32 v16, v11, v15
	v_cndmask_b32_e64 v13, v12, v14, s0
	v_mov_b32_e32 v12, 0
	ds_bpermute_b32 v14, v11, v13
	s_and_saveexec_b32 s1, s11
	s_cbranch_execz .LBB725_14
; %bb.11:
	global_load_u8 v4, v[2:3], off
	s_mov_b32 s5, s4
	v_mov_b32_e32 v12, 0
	s_waitcnt vmcnt(0)
	v_and_b32_e32 v4, 1, v4
	s_delay_alu instid0(VALU_DEP_1) | instskip(SKIP_1) | instid1(VALU_DEP_2)
	v_cmp_eq_u32_e64 s0, 1, v4
	v_dual_mov_b32 v4, s4 :: v_dual_mov_b32 v5, s5
	s_xor_b32 s0, s0, -1
	s_delay_alu instid0(SALU_CYCLE_1)
	s_and_saveexec_b32 s3, s0
	s_cbranch_execz .LBB725_13
; %bb.12:
	s_waitcnt lgkmcnt(1)
	v_cmp_lt_f32_e64 s0, v15, v16
	s_delay_alu instid0(VALU_DEP_1) | instskip(NEXT) | instid1(VALU_DEP_1)
	v_cndmask_b32_e64 v4, v15, v16, s0
	v_sub_f32_e32 v4, v9, v4
	s_delay_alu instid0(VALU_DEP_1) | instskip(SKIP_1) | instid1(VALU_DEP_2)
	v_mul_f32_e32 v5, 0x3fb8aa3b, v4
	v_cmp_ngt_f32_e64 s0, 0xc2ce8ed0, v4
	v_fma_f32 v9, 0x3fb8aa3b, v4, -v5
	v_rndne_f32_e32 v12, v5
	s_delay_alu instid0(VALU_DEP_2) | instskip(NEXT) | instid1(VALU_DEP_2)
	v_fmamk_f32 v9, v4, 0x32a5705f, v9
	v_sub_f32_e32 v5, v5, v12
	s_delay_alu instid0(VALU_DEP_1) | instskip(SKIP_1) | instid1(VALU_DEP_2)
	v_add_f32_e32 v5, v5, v9
	v_cvt_i32_f32_e32 v9, v12
	v_exp_f32_e32 v5, v5
	s_waitcnt_depctr 0xfff
	v_ldexp_f32 v5, v5, v9
	s_delay_alu instid0(VALU_DEP_1) | instskip(SKIP_1) | instid1(VALU_DEP_1)
	v_cndmask_b32_e64 v5, 0, v5, s0
	v_cmp_nlt_f32_e64 s0, 0x42b17218, v4
	v_cndmask_b32_e64 v4, 0x7f800000, v5, s0
	s_delay_alu instid0(VALU_DEP_1)
	v_dual_mov_b32 v5, 0 :: v_dual_mov_b32 v12, v4
.LBB725_13:
	s_or_b32 exec_lo, exec_lo, s3
.LBB725_14:
	s_delay_alu instid0(SALU_CYCLE_1)
	s_or_b32 exec_lo, exec_lo, s1
	s_and_saveexec_b32 s1, s10
	s_cbranch_execz .LBB725_18
; %bb.15:
	s_and_b32 s0, s12, exec_lo
	s_cselect_b32 s0, 0, s6
	s_cselect_b32 s3, 0, 0
	v_add_co_u32 v2, s0, v2, s0
	s_delay_alu instid0(VALU_DEP_1) | instskip(SKIP_4) | instid1(VALU_DEP_1)
	v_add_co_ci_u32_e64 v3, s0, s3, v3, s0
	v_mov_b32_e32 v8, 0
	global_load_u8 v2, v[2:3], off
	s_waitcnt vmcnt(0)
	v_and_b32_e32 v2, 1, v2
	v_cmp_eq_u32_e64 s0, 1, v2
	s_delay_alu instid0(VALU_DEP_1) | instskip(NEXT) | instid1(SALU_CYCLE_1)
	s_xor_b32 s0, s0, -1
	s_and_saveexec_b32 s3, s0
	s_cbranch_execz .LBB725_17
; %bb.16:
	s_waitcnt lgkmcnt(0)
	v_cmp_lt_f32_e64 s0, v13, v14
	s_delay_alu instid0(VALU_DEP_1) | instskip(NEXT) | instid1(VALU_DEP_1)
	v_cndmask_b32_e64 v2, v13, v14, s0
	v_sub_f32_e32 v2, v7, v2
	s_delay_alu instid0(VALU_DEP_1) | instskip(SKIP_1) | instid1(VALU_DEP_2)
	v_mul_f32_e32 v3, 0x3fb8aa3b, v2
	v_cmp_ngt_f32_e64 s0, 0xc2ce8ed0, v2
	v_fma_f32 v7, 0x3fb8aa3b, v2, -v3
	v_rndne_f32_e32 v8, v3
	s_delay_alu instid0(VALU_DEP_2) | instskip(NEXT) | instid1(VALU_DEP_2)
	v_fmamk_f32 v7, v2, 0x32a5705f, v7
	v_sub_f32_e32 v3, v3, v8
	s_delay_alu instid0(VALU_DEP_1) | instskip(SKIP_1) | instid1(VALU_DEP_2)
	v_add_f32_e32 v3, v3, v7
	v_cvt_i32_f32_e32 v7, v8
	v_exp_f32_e32 v3, v3
	s_waitcnt_depctr 0xfff
	v_ldexp_f32 v3, v3, v7
	s_delay_alu instid0(VALU_DEP_1) | instskip(SKIP_1) | instid1(VALU_DEP_1)
	v_cndmask_b32_e64 v3, 0, v3, s0
	v_cmp_nlt_f32_e64 s0, 0x42b17218, v2
	v_cndmask_b32_e64 v8, 0x7f800000, v3, s0
	s_delay_alu instid0(VALU_DEP_1)
	v_add_f32_e32 v5, v5, v8
.LBB725_17:
	s_or_b32 exec_lo, exec_lo, s3
.LBB725_18:
	s_delay_alu instid0(SALU_CYCLE_1)
	s_or_b32 exec_lo, exec_lo, s1
	ds_bpermute_b32 v2, v10, v4
	ds_bpermute_b32 v3, v10, v5
	s_waitcnt lgkmcnt(1)
	v_add_f32_e32 v4, v4, v2
	s_waitcnt lgkmcnt(0)
	v_add_f32_e32 v2, v5, v3
	ds_bpermute_b32 v5, v11, v4
	ds_bpermute_b32 v3, v11, v2
	s_and_saveexec_b32 s0, vcc_lo
	s_cbranch_execz .LBB725_30
; %bb.19:
	v_add_co_u32 v0, vcc_lo, s8, v0
	v_add_co_ci_u32_e32 v1, vcc_lo, s9, v1, vcc_lo
	s_and_saveexec_b32 s0, s2
	s_cbranch_execz .LBB725_24
; %bb.20:
	s_waitcnt lgkmcnt(1)
	v_add_f32_e32 v4, v4, v5
	s_mov_b32 s1, exec_lo
	s_delay_alu instid0(VALU_DEP_1)
	v_cmpx_neq_f32_e32 0, v4
	s_xor_b32 s1, exec_lo, s1
	s_cbranch_execz .LBB725_22
; %bb.21:
	v_div_scale_f32 v5, null, v4, v4, v12
	s_delay_alu instid0(VALU_DEP_1) | instskip(SKIP_2) | instid1(VALU_DEP_1)
	v_rcp_f32_e32 v7, v5
	s_waitcnt_depctr 0xfff
	v_fma_f32 v9, -v5, v7, 1.0
	v_fmac_f32_e32 v7, v9, v7
	v_div_scale_f32 v9, vcc_lo, v12, v4, v12
	s_delay_alu instid0(VALU_DEP_1) | instskip(NEXT) | instid1(VALU_DEP_1)
	v_mul_f32_e32 v10, v9, v7
	v_fma_f32 v11, -v5, v10, v9
	s_delay_alu instid0(VALU_DEP_1) | instskip(NEXT) | instid1(VALU_DEP_1)
	v_fmac_f32_e32 v10, v11, v7
	v_fma_f32 v5, -v5, v10, v9
	s_delay_alu instid0(VALU_DEP_1) | instskip(NEXT) | instid1(VALU_DEP_1)
	v_div_fmas_f32 v5, v5, v7, v10
	v_div_fixup_f32 v4, v5, v4, v12
	s_delay_alu instid0(VALU_DEP_1)
	v_cvt_f16_f32_e32 v4, v4
	global_store_b16 v[0:1], v4, off
.LBB725_22:
	s_and_not1_saveexec_b32 s1, s1
	s_cbranch_execz .LBB725_24
; %bb.23:
	v_mov_b32_e32 v4, 0x7e00
	global_store_b16 v[0:1], v4, off
.LBB725_24:
	s_or_b32 exec_lo, exec_lo, s0
	v_cmp_ne_u32_e32 vcc_lo, 1, v6
	s_and_b32 exec_lo, exec_lo, vcc_lo
	s_cbranch_execz .LBB725_30
; %bb.25:
	s_and_b32 exec_lo, exec_lo, s2
	s_cbranch_execz .LBB725_30
; %bb.26:
	s_mov_b32 s7, 0
	s_waitcnt lgkmcnt(0)
	v_add_f32_e32 v2, v2, v3
	s_lshl_b64 s[0:1], s[6:7], 1
	s_delay_alu instid0(SALU_CYCLE_1) | instskip(NEXT) | instid1(VALU_DEP_1)
	v_add_co_u32 v0, s0, v0, s0
	v_add_co_ci_u32_e64 v1, s0, s1, v1, s0
	s_mov_b32 s0, exec_lo
	v_cmpx_neq_f32_e32 0, v2
	s_xor_b32 s0, exec_lo, s0
	s_cbranch_execz .LBB725_28
; %bb.27:
	v_div_scale_f32 v3, null, v2, v2, v8
	s_delay_alu instid0(VALU_DEP_1) | instskip(SKIP_2) | instid1(VALU_DEP_1)
	v_rcp_f32_e32 v4, v3
	s_waitcnt_depctr 0xfff
	v_fma_f32 v5, -v3, v4, 1.0
	v_fmac_f32_e32 v4, v5, v4
	v_div_scale_f32 v5, vcc_lo, v8, v2, v8
	s_delay_alu instid0(VALU_DEP_1) | instskip(NEXT) | instid1(VALU_DEP_1)
	v_mul_f32_e32 v6, v5, v4
	v_fma_f32 v7, -v3, v6, v5
	s_delay_alu instid0(VALU_DEP_1) | instskip(NEXT) | instid1(VALU_DEP_1)
	v_fmac_f32_e32 v6, v7, v4
	v_fma_f32 v3, -v3, v6, v5
	s_delay_alu instid0(VALU_DEP_1) | instskip(NEXT) | instid1(VALU_DEP_1)
	v_div_fmas_f32 v3, v3, v4, v6
	v_div_fixup_f32 v2, v3, v2, v8
	s_delay_alu instid0(VALU_DEP_1)
	v_cvt_f16_f32_e32 v2, v2
	global_store_b16 v[0:1], v2, off
                                        ; implicit-def: $vgpr0_vgpr1
.LBB725_28:
	s_and_not1_saveexec_b32 s0, s0
	s_cbranch_execz .LBB725_30
; %bb.29:
	v_mov_b32_e32 v2, 0x7e00
	global_store_b16 v[0:1], v2, off
.LBB725_30:
	s_nop 0
	s_sendmsg sendmsg(MSG_DEALLOC_VGPRS)
	s_endpgm
	.section	.rodata,"a",@progbits
	.p2align	6, 0x0
	.amdhsa_kernel _ZN12_GLOBAL__N_120softmax_warp_forwardIN3c104HalfES2_fLi2ELb0ELb1ELi32EEEvPT0_PKT_iiiPKbib
		.amdhsa_group_segment_fixed_size 0
		.amdhsa_private_segment_fixed_size 0
		.amdhsa_kernarg_size 304
		.amdhsa_user_sgpr_count 15
		.amdhsa_user_sgpr_dispatch_ptr 0
		.amdhsa_user_sgpr_queue_ptr 0
		.amdhsa_user_sgpr_kernarg_segment_ptr 1
		.amdhsa_user_sgpr_dispatch_id 0
		.amdhsa_user_sgpr_private_segment_size 0
		.amdhsa_wavefront_size32 1
		.amdhsa_uses_dynamic_stack 0
		.amdhsa_enable_private_segment 0
		.amdhsa_system_sgpr_workgroup_id_x 1
		.amdhsa_system_sgpr_workgroup_id_y 0
		.amdhsa_system_sgpr_workgroup_id_z 0
		.amdhsa_system_sgpr_workgroup_info 0
		.amdhsa_system_vgpr_workitem_id 1
		.amdhsa_next_free_vgpr 17
		.amdhsa_next_free_sgpr 16
		.amdhsa_reserve_vcc 1
		.amdhsa_float_round_mode_32 0
		.amdhsa_float_round_mode_16_64 0
		.amdhsa_float_denorm_mode_32 3
		.amdhsa_float_denorm_mode_16_64 3
		.amdhsa_dx10_clamp 1
		.amdhsa_ieee_mode 1
		.amdhsa_fp16_overflow 0
		.amdhsa_workgroup_processor_mode 1
		.amdhsa_memory_ordered 1
		.amdhsa_forward_progress 0
		.amdhsa_shared_vgpr_count 0
		.amdhsa_exception_fp_ieee_invalid_op 0
		.amdhsa_exception_fp_denorm_src 0
		.amdhsa_exception_fp_ieee_div_zero 0
		.amdhsa_exception_fp_ieee_overflow 0
		.amdhsa_exception_fp_ieee_underflow 0
		.amdhsa_exception_fp_ieee_inexact 0
		.amdhsa_exception_int_div_zero 0
	.end_amdhsa_kernel
	.section	.text._ZN12_GLOBAL__N_120softmax_warp_forwardIN3c104HalfES2_fLi2ELb0ELb1ELi32EEEvPT0_PKT_iiiPKbib,"axG",@progbits,_ZN12_GLOBAL__N_120softmax_warp_forwardIN3c104HalfES2_fLi2ELb0ELb1ELi32EEEvPT0_PKT_iiiPKbib,comdat
.Lfunc_end725:
	.size	_ZN12_GLOBAL__N_120softmax_warp_forwardIN3c104HalfES2_fLi2ELb0ELb1ELi32EEEvPT0_PKT_iiiPKbib, .Lfunc_end725-_ZN12_GLOBAL__N_120softmax_warp_forwardIN3c104HalfES2_fLi2ELb0ELb1ELi32EEEvPT0_PKT_iiiPKbib
                                        ; -- End function
	.section	.AMDGPU.csdata,"",@progbits
; Kernel info:
; codeLenInByte = 1804
; NumSgprs: 18
; NumVgprs: 17
; ScratchSize: 0
; MemoryBound: 0
; FloatMode: 240
; IeeeMode: 1
; LDSByteSize: 0 bytes/workgroup (compile time only)
; SGPRBlocks: 2
; VGPRBlocks: 2
; NumSGPRsForWavesPerEU: 18
; NumVGPRsForWavesPerEU: 17
; Occupancy: 16
; WaveLimiterHint : 0
; COMPUTE_PGM_RSRC2:SCRATCH_EN: 0
; COMPUTE_PGM_RSRC2:USER_SGPR: 15
; COMPUTE_PGM_RSRC2:TRAP_HANDLER: 0
; COMPUTE_PGM_RSRC2:TGID_X_EN: 1
; COMPUTE_PGM_RSRC2:TGID_Y_EN: 0
; COMPUTE_PGM_RSRC2:TGID_Z_EN: 0
; COMPUTE_PGM_RSRC2:TIDIG_COMP_CNT: 1
	.section	.text._ZN12_GLOBAL__N_120softmax_warp_forwardIN3c104HalfES2_fLi3ELb0ELb1ELi64EEEvPT0_PKT_iiiPKbib,"axG",@progbits,_ZN12_GLOBAL__N_120softmax_warp_forwardIN3c104HalfES2_fLi3ELb0ELb1ELi64EEEvPT0_PKT_iiiPKbib,comdat
	.globl	_ZN12_GLOBAL__N_120softmax_warp_forwardIN3c104HalfES2_fLi3ELb0ELb1ELi64EEEvPT0_PKT_iiiPKbib ; -- Begin function _ZN12_GLOBAL__N_120softmax_warp_forwardIN3c104HalfES2_fLi3ELb0ELb1ELi64EEEvPT0_PKT_iiiPKbib
	.p2align	8
	.type	_ZN12_GLOBAL__N_120softmax_warp_forwardIN3c104HalfES2_fLi3ELb0ELb1ELi64EEEvPT0_PKT_iiiPKbib,@function
_ZN12_GLOBAL__N_120softmax_warp_forwardIN3c104HalfES2_fLi3ELb0ELb1ELi64EEEvPT0_PKT_iiiPKbib: ; @_ZN12_GLOBAL__N_120softmax_warp_forwardIN3c104HalfES2_fLi3ELb0ELb1ELi64EEEvPT0_PKT_iiiPKbib
; %bb.0:
	s_clause 0x2
	s_load_b64 s[2:3], s[0:1], 0x28
	s_load_b32 s8, s[0:1], 0x3c
	s_load_b128 s[4:7], s[0:1], 0x10
	v_bfe_u32 v1, v0, 10, 10
	v_and_b32_e32 v4, 0x3ff, v0
	s_waitcnt lgkmcnt(0)
	s_bitcmp1_b32 s3, 0
	s_cselect_b32 s12, -1, 0
	s_lshr_b32 s7, s8, 16
	s_bitcmp0_b32 s3, 0
	s_mul_i32 s15, s15, s7
	s_delay_alu instid0(SALU_CYCLE_1) | instskip(NEXT) | instid1(VALU_DEP_1)
	v_add_lshl_u32 v5, s15, v1, 1
	v_mul_lo_u32 v6, v5, s5
	s_delay_alu instid0(VALU_DEP_1) | instskip(NEXT) | instid1(VALU_DEP_1)
	v_add_nc_u32_e32 v0, v6, v4
	v_ashrrev_i32_e32 v1, 31, v0
	s_delay_alu instid0(VALU_DEP_1)
	v_dual_mov_b32 v3, v1 :: v_dual_mov_b32 v2, v0
	s_cbranch_scc1 .LBB726_2
; %bb.1:
	s_abs_i32 s3, s2
	v_sub_nc_u32_e32 v7, 0, v6
	v_cvt_f32_u32_e32 v2, s3
	s_sub_i32 s7, 0, s3
	s_delay_alu instid0(VALU_DEP_2) | instskip(NEXT) | instid1(VALU_DEP_2)
	v_max_i32_e32 v7, v6, v7
	v_rcp_iflag_f32_e32 v2, v2
	v_xor_b32_e32 v6, s2, v6
	s_delay_alu instid0(VALU_DEP_1) | instskip(SKIP_2) | instid1(VALU_DEP_1)
	v_ashrrev_i32_e32 v6, 31, v6
	s_waitcnt_depctr 0xfff
	v_mul_f32_e32 v2, 0x4f7ffffe, v2
	v_cvt_u32_f32_e32 v2, v2
	s_delay_alu instid0(VALU_DEP_1) | instskip(NEXT) | instid1(VALU_DEP_1)
	v_mul_lo_u32 v3, s7, v2
	v_mul_hi_u32 v3, v2, v3
	s_delay_alu instid0(VALU_DEP_1) | instskip(NEXT) | instid1(VALU_DEP_1)
	v_add_nc_u32_e32 v2, v2, v3
	v_mul_hi_u32 v2, v7, v2
	s_delay_alu instid0(VALU_DEP_1) | instskip(NEXT) | instid1(VALU_DEP_1)
	v_mul_lo_u32 v3, v2, s3
	v_sub_nc_u32_e32 v3, v7, v3
	v_add_nc_u32_e32 v7, 1, v2
	s_delay_alu instid0(VALU_DEP_2) | instskip(SKIP_1) | instid1(VALU_DEP_2)
	v_subrev_nc_u32_e32 v8, s3, v3
	v_cmp_le_u32_e32 vcc_lo, s3, v3
	v_dual_cndmask_b32 v3, v3, v8 :: v_dual_cndmask_b32 v2, v2, v7
	s_delay_alu instid0(VALU_DEP_1) | instskip(NEXT) | instid1(VALU_DEP_2)
	v_cmp_le_u32_e32 vcc_lo, s3, v3
	v_add_nc_u32_e32 v7, 1, v2
	s_delay_alu instid0(VALU_DEP_1) | instskip(NEXT) | instid1(VALU_DEP_1)
	v_cndmask_b32_e32 v2, v2, v7, vcc_lo
	v_xor_b32_e32 v2, v2, v6
	s_delay_alu instid0(VALU_DEP_1) | instskip(NEXT) | instid1(VALU_DEP_1)
	v_sub_nc_u32_e32 v6, v2, v6
	v_mad_u64_u32 v[2:3], null, v6, s5, v[4:5]
	s_delay_alu instid0(VALU_DEP_1)
	v_ashrrev_i32_e32 v3, 31, v2
.LBB726_2:
	s_load_b128 s[8:11], s[0:1], 0x0
	v_lshlrev_b64 v[0:1], 1, v[0:1]
	v_sub_nc_u32_e32 v6, s4, v5
	v_cmp_gt_i32_e64 s2, s6, v4
	v_mov_b32_e32 v7, 0xff800000
	v_mov_b32_e32 v9, 0xff800000
	s_delay_alu instid0(VALU_DEP_4) | instskip(SKIP_2) | instid1(VALU_DEP_1)
	v_cmp_lt_i32_e32 vcc_lo, 0, v6
	s_waitcnt lgkmcnt(0)
	v_add_co_u32 v4, s3, s10, v0
	v_add_co_ci_u32_e64 v5, s3, s11, v1, s3
	s_and_b32 s11, s2, vcc_lo
	s_delay_alu instid0(SALU_CYCLE_1)
	s_and_saveexec_b32 s3, s11
	s_cbranch_execz .LBB726_4
; %bb.3:
	global_load_u16 v8, v[4:5], off
	s_waitcnt vmcnt(0)
	v_cvt_f32_f16_e32 v9, v8
.LBB726_4:
	s_or_b32 exec_lo, exec_lo, s3
	v_cmp_lt_i32_e64 s3, 1, v6
	s_delay_alu instid0(VALU_DEP_1) | instskip(NEXT) | instid1(SALU_CYCLE_1)
	s_and_b32 s10, s2, s3
	s_and_saveexec_b32 s4, s10
	s_cbranch_execz .LBB726_6
; %bb.5:
	s_mov_b32 s7, 0
	s_delay_alu instid0(SALU_CYCLE_1) | instskip(NEXT) | instid1(SALU_CYCLE_1)
	s_lshl_b64 s[14:15], s[6:7], 1
	v_add_co_u32 v4, s3, v4, s14
	s_delay_alu instid0(VALU_DEP_1)
	v_add_co_ci_u32_e64 v5, s3, s15, v5, s3
	global_load_u16 v4, v[4:5], off
	s_waitcnt vmcnt(0)
	v_cvt_f32_f16_e32 v7, v4
.LBB726_6:
	s_or_b32 exec_lo, exec_lo, s4
	s_load_b64 s[0:1], s[0:1], 0x20
	v_mov_b32_e32 v4, 0xff800000
	s_waitcnt lgkmcnt(0)
	v_add_co_u32 v2, s0, s0, v2
	s_delay_alu instid0(VALU_DEP_1)
	v_add_co_ci_u32_e64 v3, s0, s1, v3, s0
	s_and_saveexec_b32 s1, s11
	s_cbranch_execz .LBB726_8
; %bb.7:
	global_load_u8 v4, v[2:3], off
	s_waitcnt vmcnt(0)
	v_and_b32_e32 v4, 1, v4
	s_delay_alu instid0(VALU_DEP_1) | instskip(NEXT) | instid1(VALU_DEP_1)
	v_cmp_eq_u32_e64 s0, 1, v4
	v_cndmask_b32_e64 v4, v9, 0xff800000, s0
.LBB726_8:
	s_or_b32 exec_lo, exec_lo, s1
	s_mov_b32 s4, 0
	s_mov_b32 s1, 0
	s_and_saveexec_b32 s3, s10
	s_cbranch_execz .LBB726_10
; %bb.9:
	s_and_b32 s0, s12, exec_lo
	s_cselect_b32 s0, 0, s6
	s_cselect_b32 s1, 0, 0
	v_add_co_u32 v10, s0, v2, s0
	s_delay_alu instid0(VALU_DEP_1) | instskip(SKIP_3) | instid1(VALU_DEP_1)
	v_add_co_ci_u32_e64 v11, s0, s1, v3, s0
	global_load_u8 v5, v[10:11], off
	s_waitcnt vmcnt(0)
	v_and_b32_e32 v5, 1, v5
	v_cmp_eq_u32_e64 s0, 1, v5
	s_delay_alu instid0(VALU_DEP_1) | instskip(NEXT) | instid1(SALU_CYCLE_1)
	s_xor_b32 s0, s0, -1
	s_and_b32 s1, s0, exec_lo
.LBB726_10:
	s_or_b32 exec_lo, exec_lo, s3
	v_mbcnt_lo_u32_b32 v5, -1, 0
	s_mov_b32 s5, s4
	v_cndmask_b32_e64 v4, v4, v4, s1
	v_cndmask_b32_e64 v12, 0xff800000, v7, s1
	s_delay_alu instid0(VALU_DEP_3) | instskip(SKIP_2) | instid1(VALU_DEP_3)
	v_and_b32_e32 v8, 24, v5
	v_xor_b32_e32 v10, 4, v5
	v_xor_b32_e32 v11, 2, v5
	v_add_nc_u32_e32 v8, 8, v8
	s_delay_alu instid0(VALU_DEP_1) | instskip(NEXT) | instid1(VALU_DEP_1)
	v_cmp_lt_i32_e64 s0, v10, v8
	v_cndmask_b32_e64 v10, v5, v10, s0
	s_delay_alu instid0(VALU_DEP_4) | instskip(NEXT) | instid1(VALU_DEP_2)
	v_cmp_lt_i32_e64 s0, v11, v8
	v_lshlrev_b32_e32 v10, 2, v10
	s_delay_alu instid0(VALU_DEP_2)
	v_cndmask_b32_e64 v11, v5, v11, s0
	ds_bpermute_b32 v13, v10, v4
	ds_bpermute_b32 v14, v10, v12
	v_lshlrev_b32_e32 v11, 2, v11
	s_waitcnt lgkmcnt(1)
	v_cmp_lt_f32_e64 s0, v4, v13
	s_delay_alu instid0(VALU_DEP_1) | instskip(SKIP_2) | instid1(VALU_DEP_1)
	v_cndmask_b32_e64 v4, v4, v13, s0
	s_waitcnt lgkmcnt(0)
	v_cmp_lt_f32_e64 s0, v12, v14
	v_cndmask_b32_e64 v13, v12, v14, s0
	v_xor_b32_e32 v12, 1, v5
	s_delay_alu instid0(VALU_DEP_1) | instskip(SKIP_4) | instid1(VALU_DEP_1)
	v_cmp_lt_i32_e64 s0, v12, v8
	v_mov_b32_e32 v8, 0
	ds_bpermute_b32 v14, v11, v4
	ds_bpermute_b32 v15, v11, v13
	v_cndmask_b32_e64 v5, v5, v12, s0
	v_lshlrev_b32_e32 v12, 2, v5
	s_waitcnt lgkmcnt(1)
	v_cmp_lt_f32_e64 s0, v4, v14
	s_delay_alu instid0(VALU_DEP_1)
	v_cndmask_b32_e64 v16, v4, v14, s0
	s_waitcnt lgkmcnt(0)
	v_cmp_lt_f32_e64 s0, v13, v15
	v_dual_mov_b32 v4, s4 :: v_dual_mov_b32 v5, s5
	ds_bpermute_b32 v17, v12, v16
	v_cndmask_b32_e64 v14, v13, v15, s0
	v_mov_b32_e32 v13, 0
	ds_bpermute_b32 v15, v12, v14
	s_and_saveexec_b32 s1, s11
	s_cbranch_execz .LBB726_14
; %bb.11:
	global_load_u8 v4, v[2:3], off
	s_mov_b32 s5, s4
	s_waitcnt vmcnt(0)
	v_dual_mov_b32 v13, 0 :: v_dual_and_b32 v4, 1, v4
	s_delay_alu instid0(VALU_DEP_1) | instskip(SKIP_1) | instid1(VALU_DEP_2)
	v_cmp_eq_u32_e64 s0, 1, v4
	v_dual_mov_b32 v4, s4 :: v_dual_mov_b32 v5, s5
	s_xor_b32 s0, s0, -1
	s_delay_alu instid0(SALU_CYCLE_1)
	s_and_saveexec_b32 s3, s0
	s_cbranch_execz .LBB726_13
; %bb.12:
	s_waitcnt lgkmcnt(1)
	v_cmp_lt_f32_e64 s0, v16, v17
	s_delay_alu instid0(VALU_DEP_1) | instskip(NEXT) | instid1(VALU_DEP_1)
	v_cndmask_b32_e64 v4, v16, v17, s0
	v_sub_f32_e32 v4, v9, v4
	s_delay_alu instid0(VALU_DEP_1) | instskip(SKIP_1) | instid1(VALU_DEP_2)
	v_mul_f32_e32 v5, 0x3fb8aa3b, v4
	v_cmp_ngt_f32_e64 s0, 0xc2ce8ed0, v4
	v_fma_f32 v9, 0x3fb8aa3b, v4, -v5
	v_rndne_f32_e32 v13, v5
	s_delay_alu instid0(VALU_DEP_2) | instskip(NEXT) | instid1(VALU_DEP_2)
	v_fmamk_f32 v9, v4, 0x32a5705f, v9
	v_sub_f32_e32 v5, v5, v13
	s_delay_alu instid0(VALU_DEP_1) | instskip(SKIP_1) | instid1(VALU_DEP_2)
	v_add_f32_e32 v5, v5, v9
	v_cvt_i32_f32_e32 v9, v13
	v_exp_f32_e32 v5, v5
	s_waitcnt_depctr 0xfff
	v_ldexp_f32 v5, v5, v9
	s_delay_alu instid0(VALU_DEP_1) | instskip(SKIP_1) | instid1(VALU_DEP_1)
	v_cndmask_b32_e64 v5, 0, v5, s0
	v_cmp_nlt_f32_e64 s0, 0x42b17218, v4
	v_cndmask_b32_e64 v4, 0x7f800000, v5, s0
	v_mov_b32_e32 v5, 0
	s_delay_alu instid0(VALU_DEP_2)
	v_mov_b32_e32 v13, v4
.LBB726_13:
	s_or_b32 exec_lo, exec_lo, s3
.LBB726_14:
	s_delay_alu instid0(SALU_CYCLE_1)
	s_or_b32 exec_lo, exec_lo, s1
	s_and_saveexec_b32 s1, s10
	s_cbranch_execz .LBB726_18
; %bb.15:
	s_and_b32 s0, s12, exec_lo
	s_cselect_b32 s0, 0, s6
	s_cselect_b32 s3, 0, 0
	v_add_co_u32 v2, s0, v2, s0
	s_delay_alu instid0(VALU_DEP_1) | instskip(SKIP_4) | instid1(VALU_DEP_1)
	v_add_co_ci_u32_e64 v3, s0, s3, v3, s0
	v_mov_b32_e32 v8, 0
	global_load_u8 v2, v[2:3], off
	s_waitcnt vmcnt(0)
	v_and_b32_e32 v2, 1, v2
	v_cmp_eq_u32_e64 s0, 1, v2
	s_delay_alu instid0(VALU_DEP_1) | instskip(NEXT) | instid1(SALU_CYCLE_1)
	s_xor_b32 s0, s0, -1
	s_and_saveexec_b32 s3, s0
	s_cbranch_execz .LBB726_17
; %bb.16:
	s_waitcnt lgkmcnt(0)
	v_cmp_lt_f32_e64 s0, v14, v15
	s_delay_alu instid0(VALU_DEP_1) | instskip(NEXT) | instid1(VALU_DEP_1)
	v_cndmask_b32_e64 v2, v14, v15, s0
	v_sub_f32_e32 v2, v7, v2
	s_delay_alu instid0(VALU_DEP_1) | instskip(SKIP_1) | instid1(VALU_DEP_2)
	v_mul_f32_e32 v3, 0x3fb8aa3b, v2
	v_cmp_ngt_f32_e64 s0, 0xc2ce8ed0, v2
	v_fma_f32 v7, 0x3fb8aa3b, v2, -v3
	v_rndne_f32_e32 v8, v3
	s_delay_alu instid0(VALU_DEP_2) | instskip(NEXT) | instid1(VALU_DEP_2)
	v_fmamk_f32 v7, v2, 0x32a5705f, v7
	v_sub_f32_e32 v3, v3, v8
	s_delay_alu instid0(VALU_DEP_1) | instskip(SKIP_1) | instid1(VALU_DEP_2)
	v_add_f32_e32 v3, v3, v7
	v_cvt_i32_f32_e32 v7, v8
	v_exp_f32_e32 v3, v3
	s_waitcnt_depctr 0xfff
	v_ldexp_f32 v3, v3, v7
	s_delay_alu instid0(VALU_DEP_1) | instskip(SKIP_1) | instid1(VALU_DEP_1)
	v_cndmask_b32_e64 v3, 0, v3, s0
	v_cmp_nlt_f32_e64 s0, 0x42b17218, v2
	v_cndmask_b32_e64 v8, 0x7f800000, v3, s0
	s_delay_alu instid0(VALU_DEP_1)
	v_add_f32_e32 v5, v5, v8
.LBB726_17:
	s_or_b32 exec_lo, exec_lo, s3
.LBB726_18:
	s_delay_alu instid0(SALU_CYCLE_1)
	s_or_b32 exec_lo, exec_lo, s1
	ds_bpermute_b32 v2, v10, v4
	ds_bpermute_b32 v3, v10, v5
	s_waitcnt lgkmcnt(0)
	v_dual_add_f32 v2, v4, v2 :: v_dual_add_f32 v3, v5, v3
	ds_bpermute_b32 v4, v11, v2
	ds_bpermute_b32 v5, v11, v3
	s_waitcnt lgkmcnt(1)
	v_add_f32_e32 v4, v2, v4
	s_waitcnt lgkmcnt(0)
	v_add_f32_e32 v2, v3, v5
	ds_bpermute_b32 v5, v12, v4
	ds_bpermute_b32 v3, v12, v2
	s_and_saveexec_b32 s0, vcc_lo
	s_cbranch_execz .LBB726_30
; %bb.19:
	v_add_co_u32 v0, vcc_lo, s8, v0
	v_add_co_ci_u32_e32 v1, vcc_lo, s9, v1, vcc_lo
	s_and_saveexec_b32 s0, s2
	s_cbranch_execz .LBB726_24
; %bb.20:
	s_waitcnt lgkmcnt(1)
	v_add_f32_e32 v4, v4, v5
	s_mov_b32 s1, exec_lo
	s_delay_alu instid0(VALU_DEP_1)
	v_cmpx_neq_f32_e32 0, v4
	s_xor_b32 s1, exec_lo, s1
	s_cbranch_execz .LBB726_22
; %bb.21:
	v_div_scale_f32 v5, null, v4, v4, v13
	s_delay_alu instid0(VALU_DEP_1) | instskip(SKIP_2) | instid1(VALU_DEP_1)
	v_rcp_f32_e32 v7, v5
	s_waitcnt_depctr 0xfff
	v_fma_f32 v9, -v5, v7, 1.0
	v_fmac_f32_e32 v7, v9, v7
	v_div_scale_f32 v9, vcc_lo, v13, v4, v13
	s_delay_alu instid0(VALU_DEP_1) | instskip(NEXT) | instid1(VALU_DEP_1)
	v_mul_f32_e32 v10, v9, v7
	v_fma_f32 v11, -v5, v10, v9
	s_delay_alu instid0(VALU_DEP_1) | instskip(NEXT) | instid1(VALU_DEP_1)
	v_fmac_f32_e32 v10, v11, v7
	v_fma_f32 v5, -v5, v10, v9
	s_delay_alu instid0(VALU_DEP_1) | instskip(NEXT) | instid1(VALU_DEP_1)
	v_div_fmas_f32 v5, v5, v7, v10
	v_div_fixup_f32 v4, v5, v4, v13
	s_delay_alu instid0(VALU_DEP_1)
	v_cvt_f16_f32_e32 v4, v4
	global_store_b16 v[0:1], v4, off
.LBB726_22:
	s_and_not1_saveexec_b32 s1, s1
	s_cbranch_execz .LBB726_24
; %bb.23:
	v_mov_b32_e32 v4, 0x7e00
	global_store_b16 v[0:1], v4, off
.LBB726_24:
	s_or_b32 exec_lo, exec_lo, s0
	v_cmp_ne_u32_e32 vcc_lo, 1, v6
	s_and_b32 exec_lo, exec_lo, vcc_lo
	s_cbranch_execz .LBB726_30
; %bb.25:
	s_and_b32 exec_lo, exec_lo, s2
	s_cbranch_execz .LBB726_30
; %bb.26:
	s_mov_b32 s7, 0
	s_waitcnt lgkmcnt(0)
	v_add_f32_e32 v2, v2, v3
	s_lshl_b64 s[0:1], s[6:7], 1
	s_delay_alu instid0(SALU_CYCLE_1) | instskip(NEXT) | instid1(VALU_DEP_1)
	v_add_co_u32 v0, s0, v0, s0
	v_add_co_ci_u32_e64 v1, s0, s1, v1, s0
	s_mov_b32 s0, exec_lo
	v_cmpx_neq_f32_e32 0, v2
	s_xor_b32 s0, exec_lo, s0
	s_cbranch_execz .LBB726_28
; %bb.27:
	v_div_scale_f32 v3, null, v2, v2, v8
	s_delay_alu instid0(VALU_DEP_1) | instskip(SKIP_2) | instid1(VALU_DEP_1)
	v_rcp_f32_e32 v4, v3
	s_waitcnt_depctr 0xfff
	v_fma_f32 v5, -v3, v4, 1.0
	v_fmac_f32_e32 v4, v5, v4
	v_div_scale_f32 v5, vcc_lo, v8, v2, v8
	s_delay_alu instid0(VALU_DEP_1) | instskip(NEXT) | instid1(VALU_DEP_1)
	v_mul_f32_e32 v6, v5, v4
	v_fma_f32 v7, -v3, v6, v5
	s_delay_alu instid0(VALU_DEP_1) | instskip(NEXT) | instid1(VALU_DEP_1)
	v_fmac_f32_e32 v6, v7, v4
	v_fma_f32 v3, -v3, v6, v5
	s_delay_alu instid0(VALU_DEP_1) | instskip(NEXT) | instid1(VALU_DEP_1)
	v_div_fmas_f32 v3, v3, v4, v6
	v_div_fixup_f32 v2, v3, v2, v8
	s_delay_alu instid0(VALU_DEP_1)
	v_cvt_f16_f32_e32 v2, v2
	global_store_b16 v[0:1], v2, off
                                        ; implicit-def: $vgpr0_vgpr1
.LBB726_28:
	s_and_not1_saveexec_b32 s0, s0
	s_cbranch_execz .LBB726_30
; %bb.29:
	v_mov_b32_e32 v2, 0x7e00
	global_store_b16 v[0:1], v2, off
.LBB726_30:
	s_nop 0
	s_sendmsg sendmsg(MSG_DEALLOC_VGPRS)
	s_endpgm
	.section	.rodata,"a",@progbits
	.p2align	6, 0x0
	.amdhsa_kernel _ZN12_GLOBAL__N_120softmax_warp_forwardIN3c104HalfES2_fLi3ELb0ELb1ELi64EEEvPT0_PKT_iiiPKbib
		.amdhsa_group_segment_fixed_size 0
		.amdhsa_private_segment_fixed_size 0
		.amdhsa_kernarg_size 304
		.amdhsa_user_sgpr_count 15
		.amdhsa_user_sgpr_dispatch_ptr 0
		.amdhsa_user_sgpr_queue_ptr 0
		.amdhsa_user_sgpr_kernarg_segment_ptr 1
		.amdhsa_user_sgpr_dispatch_id 0
		.amdhsa_user_sgpr_private_segment_size 0
		.amdhsa_wavefront_size32 1
		.amdhsa_uses_dynamic_stack 0
		.amdhsa_enable_private_segment 0
		.amdhsa_system_sgpr_workgroup_id_x 1
		.amdhsa_system_sgpr_workgroup_id_y 0
		.amdhsa_system_sgpr_workgroup_id_z 0
		.amdhsa_system_sgpr_workgroup_info 0
		.amdhsa_system_vgpr_workitem_id 1
		.amdhsa_next_free_vgpr 18
		.amdhsa_next_free_sgpr 16
		.amdhsa_reserve_vcc 1
		.amdhsa_float_round_mode_32 0
		.amdhsa_float_round_mode_16_64 0
		.amdhsa_float_denorm_mode_32 3
		.amdhsa_float_denorm_mode_16_64 3
		.amdhsa_dx10_clamp 1
		.amdhsa_ieee_mode 1
		.amdhsa_fp16_overflow 0
		.amdhsa_workgroup_processor_mode 1
		.amdhsa_memory_ordered 1
		.amdhsa_forward_progress 0
		.amdhsa_shared_vgpr_count 0
		.amdhsa_exception_fp_ieee_invalid_op 0
		.amdhsa_exception_fp_denorm_src 0
		.amdhsa_exception_fp_ieee_div_zero 0
		.amdhsa_exception_fp_ieee_overflow 0
		.amdhsa_exception_fp_ieee_underflow 0
		.amdhsa_exception_fp_ieee_inexact 0
		.amdhsa_exception_int_div_zero 0
	.end_amdhsa_kernel
	.section	.text._ZN12_GLOBAL__N_120softmax_warp_forwardIN3c104HalfES2_fLi3ELb0ELb1ELi64EEEvPT0_PKT_iiiPKbib,"axG",@progbits,_ZN12_GLOBAL__N_120softmax_warp_forwardIN3c104HalfES2_fLi3ELb0ELb1ELi64EEEvPT0_PKT_iiiPKbib,comdat
.Lfunc_end726:
	.size	_ZN12_GLOBAL__N_120softmax_warp_forwardIN3c104HalfES2_fLi3ELb0ELb1ELi64EEEvPT0_PKT_iiiPKbib, .Lfunc_end726-_ZN12_GLOBAL__N_120softmax_warp_forwardIN3c104HalfES2_fLi3ELb0ELb1ELi64EEEvPT0_PKT_iiiPKbib
                                        ; -- End function
	.section	.AMDGPU.csdata,"",@progbits
; Kernel info:
; codeLenInByte = 1920
; NumSgprs: 18
; NumVgprs: 18
; ScratchSize: 0
; MemoryBound: 0
; FloatMode: 240
; IeeeMode: 1
; LDSByteSize: 0 bytes/workgroup (compile time only)
; SGPRBlocks: 2
; VGPRBlocks: 2
; NumSGPRsForWavesPerEU: 18
; NumVGPRsForWavesPerEU: 18
; Occupancy: 16
; WaveLimiterHint : 0
; COMPUTE_PGM_RSRC2:SCRATCH_EN: 0
; COMPUTE_PGM_RSRC2:USER_SGPR: 15
; COMPUTE_PGM_RSRC2:TRAP_HANDLER: 0
; COMPUTE_PGM_RSRC2:TGID_X_EN: 1
; COMPUTE_PGM_RSRC2:TGID_Y_EN: 0
; COMPUTE_PGM_RSRC2:TGID_Z_EN: 0
; COMPUTE_PGM_RSRC2:TIDIG_COMP_CNT: 1
	.section	.text._ZN12_GLOBAL__N_120softmax_warp_forwardIN3c104HalfES2_fLi3ELb0ELb1ELi32EEEvPT0_PKT_iiiPKbib,"axG",@progbits,_ZN12_GLOBAL__N_120softmax_warp_forwardIN3c104HalfES2_fLi3ELb0ELb1ELi32EEEvPT0_PKT_iiiPKbib,comdat
	.globl	_ZN12_GLOBAL__N_120softmax_warp_forwardIN3c104HalfES2_fLi3ELb0ELb1ELi32EEEvPT0_PKT_iiiPKbib ; -- Begin function _ZN12_GLOBAL__N_120softmax_warp_forwardIN3c104HalfES2_fLi3ELb0ELb1ELi32EEEvPT0_PKT_iiiPKbib
	.p2align	8
	.type	_ZN12_GLOBAL__N_120softmax_warp_forwardIN3c104HalfES2_fLi3ELb0ELb1ELi32EEEvPT0_PKT_iiiPKbib,@function
_ZN12_GLOBAL__N_120softmax_warp_forwardIN3c104HalfES2_fLi3ELb0ELb1ELi32EEEvPT0_PKT_iiiPKbib: ; @_ZN12_GLOBAL__N_120softmax_warp_forwardIN3c104HalfES2_fLi3ELb0ELb1ELi32EEEvPT0_PKT_iiiPKbib
; %bb.0:
	s_clause 0x2
	s_load_b64 s[2:3], s[0:1], 0x28
	s_load_b32 s8, s[0:1], 0x3c
	s_load_b128 s[4:7], s[0:1], 0x10
	v_bfe_u32 v1, v0, 10, 10
	v_and_b32_e32 v4, 0x3ff, v0
	s_waitcnt lgkmcnt(0)
	s_bitcmp1_b32 s3, 0
	s_cselect_b32 s12, -1, 0
	s_lshr_b32 s7, s8, 16
	s_bitcmp0_b32 s3, 0
	s_mul_i32 s15, s15, s7
	s_delay_alu instid0(SALU_CYCLE_1) | instskip(NEXT) | instid1(VALU_DEP_1)
	v_add_lshl_u32 v5, s15, v1, 1
	v_mul_lo_u32 v6, v5, s5
	s_delay_alu instid0(VALU_DEP_1) | instskip(NEXT) | instid1(VALU_DEP_1)
	v_add_nc_u32_e32 v0, v6, v4
	v_ashrrev_i32_e32 v1, 31, v0
	s_delay_alu instid0(VALU_DEP_1)
	v_dual_mov_b32 v3, v1 :: v_dual_mov_b32 v2, v0
	s_cbranch_scc1 .LBB727_2
; %bb.1:
	s_abs_i32 s3, s2
	v_sub_nc_u32_e32 v7, 0, v6
	v_cvt_f32_u32_e32 v2, s3
	s_sub_i32 s7, 0, s3
	s_delay_alu instid0(VALU_DEP_2) | instskip(NEXT) | instid1(VALU_DEP_2)
	v_max_i32_e32 v7, v6, v7
	v_rcp_iflag_f32_e32 v2, v2
	v_xor_b32_e32 v6, s2, v6
	s_delay_alu instid0(VALU_DEP_1) | instskip(SKIP_2) | instid1(VALU_DEP_1)
	v_ashrrev_i32_e32 v6, 31, v6
	s_waitcnt_depctr 0xfff
	v_mul_f32_e32 v2, 0x4f7ffffe, v2
	v_cvt_u32_f32_e32 v2, v2
	s_delay_alu instid0(VALU_DEP_1) | instskip(NEXT) | instid1(VALU_DEP_1)
	v_mul_lo_u32 v3, s7, v2
	v_mul_hi_u32 v3, v2, v3
	s_delay_alu instid0(VALU_DEP_1) | instskip(NEXT) | instid1(VALU_DEP_1)
	v_add_nc_u32_e32 v2, v2, v3
	v_mul_hi_u32 v2, v7, v2
	s_delay_alu instid0(VALU_DEP_1) | instskip(NEXT) | instid1(VALU_DEP_1)
	v_mul_lo_u32 v3, v2, s3
	v_sub_nc_u32_e32 v3, v7, v3
	v_add_nc_u32_e32 v7, 1, v2
	s_delay_alu instid0(VALU_DEP_2) | instskip(SKIP_1) | instid1(VALU_DEP_2)
	v_subrev_nc_u32_e32 v8, s3, v3
	v_cmp_le_u32_e32 vcc_lo, s3, v3
	v_dual_cndmask_b32 v3, v3, v8 :: v_dual_cndmask_b32 v2, v2, v7
	s_delay_alu instid0(VALU_DEP_1) | instskip(NEXT) | instid1(VALU_DEP_2)
	v_cmp_le_u32_e32 vcc_lo, s3, v3
	v_add_nc_u32_e32 v7, 1, v2
	s_delay_alu instid0(VALU_DEP_1) | instskip(NEXT) | instid1(VALU_DEP_1)
	v_cndmask_b32_e32 v2, v2, v7, vcc_lo
	v_xor_b32_e32 v2, v2, v6
	s_delay_alu instid0(VALU_DEP_1) | instskip(NEXT) | instid1(VALU_DEP_1)
	v_sub_nc_u32_e32 v6, v2, v6
	v_mad_u64_u32 v[2:3], null, v6, s5, v[4:5]
	s_delay_alu instid0(VALU_DEP_1)
	v_ashrrev_i32_e32 v3, 31, v2
.LBB727_2:
	s_load_b128 s[8:11], s[0:1], 0x0
	v_lshlrev_b64 v[0:1], 1, v[0:1]
	v_sub_nc_u32_e32 v6, s4, v5
	v_cmp_gt_i32_e64 s2, s6, v4
	v_mov_b32_e32 v7, 0xff800000
	v_mov_b32_e32 v9, 0xff800000
	s_delay_alu instid0(VALU_DEP_4) | instskip(SKIP_2) | instid1(VALU_DEP_1)
	v_cmp_lt_i32_e32 vcc_lo, 0, v6
	s_waitcnt lgkmcnt(0)
	v_add_co_u32 v4, s3, s10, v0
	v_add_co_ci_u32_e64 v5, s3, s11, v1, s3
	s_and_b32 s11, s2, vcc_lo
	s_delay_alu instid0(SALU_CYCLE_1)
	s_and_saveexec_b32 s3, s11
	s_cbranch_execz .LBB727_4
; %bb.3:
	global_load_u16 v8, v[4:5], off
	s_waitcnt vmcnt(0)
	v_cvt_f32_f16_e32 v9, v8
.LBB727_4:
	s_or_b32 exec_lo, exec_lo, s3
	v_cmp_lt_i32_e64 s3, 1, v6
	s_delay_alu instid0(VALU_DEP_1) | instskip(NEXT) | instid1(SALU_CYCLE_1)
	s_and_b32 s10, s2, s3
	s_and_saveexec_b32 s4, s10
	s_cbranch_execz .LBB727_6
; %bb.5:
	s_mov_b32 s7, 0
	s_delay_alu instid0(SALU_CYCLE_1) | instskip(NEXT) | instid1(SALU_CYCLE_1)
	s_lshl_b64 s[14:15], s[6:7], 1
	v_add_co_u32 v4, s3, v4, s14
	s_delay_alu instid0(VALU_DEP_1)
	v_add_co_ci_u32_e64 v5, s3, s15, v5, s3
	global_load_u16 v4, v[4:5], off
	s_waitcnt vmcnt(0)
	v_cvt_f32_f16_e32 v7, v4
.LBB727_6:
	s_or_b32 exec_lo, exec_lo, s4
	s_load_b64 s[0:1], s[0:1], 0x20
	v_mov_b32_e32 v4, 0xff800000
	s_waitcnt lgkmcnt(0)
	v_add_co_u32 v2, s0, s0, v2
	s_delay_alu instid0(VALU_DEP_1)
	v_add_co_ci_u32_e64 v3, s0, s1, v3, s0
	s_and_saveexec_b32 s1, s11
	s_cbranch_execz .LBB727_8
; %bb.7:
	global_load_u8 v4, v[2:3], off
	s_waitcnt vmcnt(0)
	v_and_b32_e32 v4, 1, v4
	s_delay_alu instid0(VALU_DEP_1) | instskip(NEXT) | instid1(VALU_DEP_1)
	v_cmp_eq_u32_e64 s0, 1, v4
	v_cndmask_b32_e64 v4, v9, 0xff800000, s0
.LBB727_8:
	s_or_b32 exec_lo, exec_lo, s1
	s_mov_b32 s4, 0
	s_mov_b32 s1, 0
	s_and_saveexec_b32 s3, s10
	s_cbranch_execz .LBB727_10
; %bb.9:
	s_and_b32 s0, s12, exec_lo
	s_cselect_b32 s0, 0, s6
	s_cselect_b32 s1, 0, 0
	v_add_co_u32 v10, s0, v2, s0
	s_delay_alu instid0(VALU_DEP_1) | instskip(SKIP_3) | instid1(VALU_DEP_1)
	v_add_co_ci_u32_e64 v11, s0, s1, v3, s0
	global_load_u8 v5, v[10:11], off
	s_waitcnt vmcnt(0)
	v_and_b32_e32 v5, 1, v5
	v_cmp_eq_u32_e64 s0, 1, v5
	s_delay_alu instid0(VALU_DEP_1) | instskip(NEXT) | instid1(SALU_CYCLE_1)
	s_xor_b32 s0, s0, -1
	s_and_b32 s1, s0, exec_lo
.LBB727_10:
	s_or_b32 exec_lo, exec_lo, s3
	v_mbcnt_lo_u32_b32 v5, -1, 0
	s_mov_b32 s5, s4
	v_cndmask_b32_e64 v4, v4, v4, s1
	v_cndmask_b32_e64 v12, 0xff800000, v7, s1
	s_delay_alu instid0(VALU_DEP_3) | instskip(SKIP_2) | instid1(VALU_DEP_3)
	v_and_b32_e32 v8, 24, v5
	v_xor_b32_e32 v10, 4, v5
	v_xor_b32_e32 v11, 2, v5
	v_add_nc_u32_e32 v8, 8, v8
	s_delay_alu instid0(VALU_DEP_1) | instskip(NEXT) | instid1(VALU_DEP_1)
	v_cmp_lt_i32_e64 s0, v10, v8
	v_cndmask_b32_e64 v10, v5, v10, s0
	s_delay_alu instid0(VALU_DEP_4) | instskip(NEXT) | instid1(VALU_DEP_2)
	v_cmp_lt_i32_e64 s0, v11, v8
	v_lshlrev_b32_e32 v10, 2, v10
	s_delay_alu instid0(VALU_DEP_2)
	v_cndmask_b32_e64 v11, v5, v11, s0
	ds_bpermute_b32 v13, v10, v4
	ds_bpermute_b32 v14, v10, v12
	v_lshlrev_b32_e32 v11, 2, v11
	s_waitcnt lgkmcnt(1)
	v_cmp_lt_f32_e64 s0, v4, v13
	s_delay_alu instid0(VALU_DEP_1) | instskip(SKIP_2) | instid1(VALU_DEP_1)
	v_cndmask_b32_e64 v4, v4, v13, s0
	s_waitcnt lgkmcnt(0)
	v_cmp_lt_f32_e64 s0, v12, v14
	v_cndmask_b32_e64 v13, v12, v14, s0
	v_xor_b32_e32 v12, 1, v5
	s_delay_alu instid0(VALU_DEP_1) | instskip(SKIP_4) | instid1(VALU_DEP_1)
	v_cmp_lt_i32_e64 s0, v12, v8
	v_mov_b32_e32 v8, 0
	ds_bpermute_b32 v14, v11, v4
	ds_bpermute_b32 v15, v11, v13
	v_cndmask_b32_e64 v5, v5, v12, s0
	v_lshlrev_b32_e32 v12, 2, v5
	s_waitcnt lgkmcnt(1)
	v_cmp_lt_f32_e64 s0, v4, v14
	s_delay_alu instid0(VALU_DEP_1)
	v_cndmask_b32_e64 v16, v4, v14, s0
	s_waitcnt lgkmcnt(0)
	v_cmp_lt_f32_e64 s0, v13, v15
	v_dual_mov_b32 v4, s4 :: v_dual_mov_b32 v5, s5
	ds_bpermute_b32 v17, v12, v16
	v_cndmask_b32_e64 v14, v13, v15, s0
	v_mov_b32_e32 v13, 0
	ds_bpermute_b32 v15, v12, v14
	s_and_saveexec_b32 s1, s11
	s_cbranch_execz .LBB727_14
; %bb.11:
	global_load_u8 v4, v[2:3], off
	s_mov_b32 s5, s4
	s_waitcnt vmcnt(0)
	v_dual_mov_b32 v13, 0 :: v_dual_and_b32 v4, 1, v4
	s_delay_alu instid0(VALU_DEP_1) | instskip(SKIP_1) | instid1(VALU_DEP_2)
	v_cmp_eq_u32_e64 s0, 1, v4
	v_dual_mov_b32 v4, s4 :: v_dual_mov_b32 v5, s5
	s_xor_b32 s0, s0, -1
	s_delay_alu instid0(SALU_CYCLE_1)
	s_and_saveexec_b32 s3, s0
	s_cbranch_execz .LBB727_13
; %bb.12:
	s_waitcnt lgkmcnt(1)
	v_cmp_lt_f32_e64 s0, v16, v17
	s_delay_alu instid0(VALU_DEP_1) | instskip(NEXT) | instid1(VALU_DEP_1)
	v_cndmask_b32_e64 v4, v16, v17, s0
	v_sub_f32_e32 v4, v9, v4
	s_delay_alu instid0(VALU_DEP_1) | instskip(SKIP_1) | instid1(VALU_DEP_2)
	v_mul_f32_e32 v5, 0x3fb8aa3b, v4
	v_cmp_ngt_f32_e64 s0, 0xc2ce8ed0, v4
	v_fma_f32 v9, 0x3fb8aa3b, v4, -v5
	v_rndne_f32_e32 v13, v5
	s_delay_alu instid0(VALU_DEP_2) | instskip(NEXT) | instid1(VALU_DEP_2)
	v_fmamk_f32 v9, v4, 0x32a5705f, v9
	v_sub_f32_e32 v5, v5, v13
	s_delay_alu instid0(VALU_DEP_1) | instskip(SKIP_1) | instid1(VALU_DEP_2)
	v_add_f32_e32 v5, v5, v9
	v_cvt_i32_f32_e32 v9, v13
	v_exp_f32_e32 v5, v5
	s_waitcnt_depctr 0xfff
	v_ldexp_f32 v5, v5, v9
	s_delay_alu instid0(VALU_DEP_1) | instskip(SKIP_1) | instid1(VALU_DEP_1)
	v_cndmask_b32_e64 v5, 0, v5, s0
	v_cmp_nlt_f32_e64 s0, 0x42b17218, v4
	v_cndmask_b32_e64 v4, 0x7f800000, v5, s0
	v_mov_b32_e32 v5, 0
	s_delay_alu instid0(VALU_DEP_2)
	v_mov_b32_e32 v13, v4
.LBB727_13:
	s_or_b32 exec_lo, exec_lo, s3
.LBB727_14:
	s_delay_alu instid0(SALU_CYCLE_1)
	s_or_b32 exec_lo, exec_lo, s1
	s_and_saveexec_b32 s1, s10
	s_cbranch_execz .LBB727_18
; %bb.15:
	s_and_b32 s0, s12, exec_lo
	s_cselect_b32 s0, 0, s6
	s_cselect_b32 s3, 0, 0
	v_add_co_u32 v2, s0, v2, s0
	s_delay_alu instid0(VALU_DEP_1) | instskip(SKIP_4) | instid1(VALU_DEP_1)
	v_add_co_ci_u32_e64 v3, s0, s3, v3, s0
	v_mov_b32_e32 v8, 0
	global_load_u8 v2, v[2:3], off
	s_waitcnt vmcnt(0)
	v_and_b32_e32 v2, 1, v2
	v_cmp_eq_u32_e64 s0, 1, v2
	s_delay_alu instid0(VALU_DEP_1) | instskip(NEXT) | instid1(SALU_CYCLE_1)
	s_xor_b32 s0, s0, -1
	s_and_saveexec_b32 s3, s0
	s_cbranch_execz .LBB727_17
; %bb.16:
	s_waitcnt lgkmcnt(0)
	v_cmp_lt_f32_e64 s0, v14, v15
	s_delay_alu instid0(VALU_DEP_1) | instskip(NEXT) | instid1(VALU_DEP_1)
	v_cndmask_b32_e64 v2, v14, v15, s0
	v_sub_f32_e32 v2, v7, v2
	s_delay_alu instid0(VALU_DEP_1) | instskip(SKIP_1) | instid1(VALU_DEP_2)
	v_mul_f32_e32 v3, 0x3fb8aa3b, v2
	v_cmp_ngt_f32_e64 s0, 0xc2ce8ed0, v2
	v_fma_f32 v7, 0x3fb8aa3b, v2, -v3
	v_rndne_f32_e32 v8, v3
	s_delay_alu instid0(VALU_DEP_2) | instskip(NEXT) | instid1(VALU_DEP_2)
	v_fmamk_f32 v7, v2, 0x32a5705f, v7
	v_sub_f32_e32 v3, v3, v8
	s_delay_alu instid0(VALU_DEP_1) | instskip(SKIP_1) | instid1(VALU_DEP_2)
	v_add_f32_e32 v3, v3, v7
	v_cvt_i32_f32_e32 v7, v8
	v_exp_f32_e32 v3, v3
	s_waitcnt_depctr 0xfff
	v_ldexp_f32 v3, v3, v7
	s_delay_alu instid0(VALU_DEP_1) | instskip(SKIP_1) | instid1(VALU_DEP_1)
	v_cndmask_b32_e64 v3, 0, v3, s0
	v_cmp_nlt_f32_e64 s0, 0x42b17218, v2
	v_cndmask_b32_e64 v8, 0x7f800000, v3, s0
	s_delay_alu instid0(VALU_DEP_1)
	v_add_f32_e32 v5, v5, v8
.LBB727_17:
	s_or_b32 exec_lo, exec_lo, s3
.LBB727_18:
	s_delay_alu instid0(SALU_CYCLE_1)
	s_or_b32 exec_lo, exec_lo, s1
	ds_bpermute_b32 v2, v10, v4
	ds_bpermute_b32 v3, v10, v5
	s_waitcnt lgkmcnt(0)
	v_dual_add_f32 v2, v4, v2 :: v_dual_add_f32 v3, v5, v3
	ds_bpermute_b32 v4, v11, v2
	ds_bpermute_b32 v5, v11, v3
	s_waitcnt lgkmcnt(1)
	v_add_f32_e32 v4, v2, v4
	s_waitcnt lgkmcnt(0)
	v_add_f32_e32 v2, v3, v5
	ds_bpermute_b32 v5, v12, v4
	ds_bpermute_b32 v3, v12, v2
	s_and_saveexec_b32 s0, vcc_lo
	s_cbranch_execz .LBB727_30
; %bb.19:
	v_add_co_u32 v0, vcc_lo, s8, v0
	v_add_co_ci_u32_e32 v1, vcc_lo, s9, v1, vcc_lo
	s_and_saveexec_b32 s0, s2
	s_cbranch_execz .LBB727_24
; %bb.20:
	s_waitcnt lgkmcnt(1)
	v_add_f32_e32 v4, v4, v5
	s_mov_b32 s1, exec_lo
	s_delay_alu instid0(VALU_DEP_1)
	v_cmpx_neq_f32_e32 0, v4
	s_xor_b32 s1, exec_lo, s1
	s_cbranch_execz .LBB727_22
; %bb.21:
	v_div_scale_f32 v5, null, v4, v4, v13
	s_delay_alu instid0(VALU_DEP_1) | instskip(SKIP_2) | instid1(VALU_DEP_1)
	v_rcp_f32_e32 v7, v5
	s_waitcnt_depctr 0xfff
	v_fma_f32 v9, -v5, v7, 1.0
	v_fmac_f32_e32 v7, v9, v7
	v_div_scale_f32 v9, vcc_lo, v13, v4, v13
	s_delay_alu instid0(VALU_DEP_1) | instskip(NEXT) | instid1(VALU_DEP_1)
	v_mul_f32_e32 v10, v9, v7
	v_fma_f32 v11, -v5, v10, v9
	s_delay_alu instid0(VALU_DEP_1) | instskip(NEXT) | instid1(VALU_DEP_1)
	v_fmac_f32_e32 v10, v11, v7
	v_fma_f32 v5, -v5, v10, v9
	s_delay_alu instid0(VALU_DEP_1) | instskip(NEXT) | instid1(VALU_DEP_1)
	v_div_fmas_f32 v5, v5, v7, v10
	v_div_fixup_f32 v4, v5, v4, v13
	s_delay_alu instid0(VALU_DEP_1)
	v_cvt_f16_f32_e32 v4, v4
	global_store_b16 v[0:1], v4, off
.LBB727_22:
	s_and_not1_saveexec_b32 s1, s1
	s_cbranch_execz .LBB727_24
; %bb.23:
	v_mov_b32_e32 v4, 0x7e00
	global_store_b16 v[0:1], v4, off
.LBB727_24:
	s_or_b32 exec_lo, exec_lo, s0
	v_cmp_ne_u32_e32 vcc_lo, 1, v6
	s_and_b32 exec_lo, exec_lo, vcc_lo
	s_cbranch_execz .LBB727_30
; %bb.25:
	s_and_b32 exec_lo, exec_lo, s2
	s_cbranch_execz .LBB727_30
; %bb.26:
	s_mov_b32 s7, 0
	s_waitcnt lgkmcnt(0)
	v_add_f32_e32 v2, v2, v3
	s_lshl_b64 s[0:1], s[6:7], 1
	s_delay_alu instid0(SALU_CYCLE_1) | instskip(NEXT) | instid1(VALU_DEP_1)
	v_add_co_u32 v0, s0, v0, s0
	v_add_co_ci_u32_e64 v1, s0, s1, v1, s0
	s_mov_b32 s0, exec_lo
	v_cmpx_neq_f32_e32 0, v2
	s_xor_b32 s0, exec_lo, s0
	s_cbranch_execz .LBB727_28
; %bb.27:
	v_div_scale_f32 v3, null, v2, v2, v8
	s_delay_alu instid0(VALU_DEP_1) | instskip(SKIP_2) | instid1(VALU_DEP_1)
	v_rcp_f32_e32 v4, v3
	s_waitcnt_depctr 0xfff
	v_fma_f32 v5, -v3, v4, 1.0
	v_fmac_f32_e32 v4, v5, v4
	v_div_scale_f32 v5, vcc_lo, v8, v2, v8
	s_delay_alu instid0(VALU_DEP_1) | instskip(NEXT) | instid1(VALU_DEP_1)
	v_mul_f32_e32 v6, v5, v4
	v_fma_f32 v7, -v3, v6, v5
	s_delay_alu instid0(VALU_DEP_1) | instskip(NEXT) | instid1(VALU_DEP_1)
	v_fmac_f32_e32 v6, v7, v4
	v_fma_f32 v3, -v3, v6, v5
	s_delay_alu instid0(VALU_DEP_1) | instskip(NEXT) | instid1(VALU_DEP_1)
	v_div_fmas_f32 v3, v3, v4, v6
	v_div_fixup_f32 v2, v3, v2, v8
	s_delay_alu instid0(VALU_DEP_1)
	v_cvt_f16_f32_e32 v2, v2
	global_store_b16 v[0:1], v2, off
                                        ; implicit-def: $vgpr0_vgpr1
.LBB727_28:
	s_and_not1_saveexec_b32 s0, s0
	s_cbranch_execz .LBB727_30
; %bb.29:
	v_mov_b32_e32 v2, 0x7e00
	global_store_b16 v[0:1], v2, off
.LBB727_30:
	s_nop 0
	s_sendmsg sendmsg(MSG_DEALLOC_VGPRS)
	s_endpgm
	.section	.rodata,"a",@progbits
	.p2align	6, 0x0
	.amdhsa_kernel _ZN12_GLOBAL__N_120softmax_warp_forwardIN3c104HalfES2_fLi3ELb0ELb1ELi32EEEvPT0_PKT_iiiPKbib
		.amdhsa_group_segment_fixed_size 0
		.amdhsa_private_segment_fixed_size 0
		.amdhsa_kernarg_size 304
		.amdhsa_user_sgpr_count 15
		.amdhsa_user_sgpr_dispatch_ptr 0
		.amdhsa_user_sgpr_queue_ptr 0
		.amdhsa_user_sgpr_kernarg_segment_ptr 1
		.amdhsa_user_sgpr_dispatch_id 0
		.amdhsa_user_sgpr_private_segment_size 0
		.amdhsa_wavefront_size32 1
		.amdhsa_uses_dynamic_stack 0
		.amdhsa_enable_private_segment 0
		.amdhsa_system_sgpr_workgroup_id_x 1
		.amdhsa_system_sgpr_workgroup_id_y 0
		.amdhsa_system_sgpr_workgroup_id_z 0
		.amdhsa_system_sgpr_workgroup_info 0
		.amdhsa_system_vgpr_workitem_id 1
		.amdhsa_next_free_vgpr 18
		.amdhsa_next_free_sgpr 16
		.amdhsa_reserve_vcc 1
		.amdhsa_float_round_mode_32 0
		.amdhsa_float_round_mode_16_64 0
		.amdhsa_float_denorm_mode_32 3
		.amdhsa_float_denorm_mode_16_64 3
		.amdhsa_dx10_clamp 1
		.amdhsa_ieee_mode 1
		.amdhsa_fp16_overflow 0
		.amdhsa_workgroup_processor_mode 1
		.amdhsa_memory_ordered 1
		.amdhsa_forward_progress 0
		.amdhsa_shared_vgpr_count 0
		.amdhsa_exception_fp_ieee_invalid_op 0
		.amdhsa_exception_fp_denorm_src 0
		.amdhsa_exception_fp_ieee_div_zero 0
		.amdhsa_exception_fp_ieee_overflow 0
		.amdhsa_exception_fp_ieee_underflow 0
		.amdhsa_exception_fp_ieee_inexact 0
		.amdhsa_exception_int_div_zero 0
	.end_amdhsa_kernel
	.section	.text._ZN12_GLOBAL__N_120softmax_warp_forwardIN3c104HalfES2_fLi3ELb0ELb1ELi32EEEvPT0_PKT_iiiPKbib,"axG",@progbits,_ZN12_GLOBAL__N_120softmax_warp_forwardIN3c104HalfES2_fLi3ELb0ELb1ELi32EEEvPT0_PKT_iiiPKbib,comdat
.Lfunc_end727:
	.size	_ZN12_GLOBAL__N_120softmax_warp_forwardIN3c104HalfES2_fLi3ELb0ELb1ELi32EEEvPT0_PKT_iiiPKbib, .Lfunc_end727-_ZN12_GLOBAL__N_120softmax_warp_forwardIN3c104HalfES2_fLi3ELb0ELb1ELi32EEEvPT0_PKT_iiiPKbib
                                        ; -- End function
	.section	.AMDGPU.csdata,"",@progbits
; Kernel info:
; codeLenInByte = 1920
; NumSgprs: 18
; NumVgprs: 18
; ScratchSize: 0
; MemoryBound: 0
; FloatMode: 240
; IeeeMode: 1
; LDSByteSize: 0 bytes/workgroup (compile time only)
; SGPRBlocks: 2
; VGPRBlocks: 2
; NumSGPRsForWavesPerEU: 18
; NumVGPRsForWavesPerEU: 18
; Occupancy: 16
; WaveLimiterHint : 0
; COMPUTE_PGM_RSRC2:SCRATCH_EN: 0
; COMPUTE_PGM_RSRC2:USER_SGPR: 15
; COMPUTE_PGM_RSRC2:TRAP_HANDLER: 0
; COMPUTE_PGM_RSRC2:TGID_X_EN: 1
; COMPUTE_PGM_RSRC2:TGID_Y_EN: 0
; COMPUTE_PGM_RSRC2:TGID_Z_EN: 0
; COMPUTE_PGM_RSRC2:TIDIG_COMP_CNT: 1
	.section	.text._ZN12_GLOBAL__N_120softmax_warp_forwardIN3c104HalfES2_fLi4ELb0ELb1ELi64EEEvPT0_PKT_iiiPKbib,"axG",@progbits,_ZN12_GLOBAL__N_120softmax_warp_forwardIN3c104HalfES2_fLi4ELb0ELb1ELi64EEEvPT0_PKT_iiiPKbib,comdat
	.globl	_ZN12_GLOBAL__N_120softmax_warp_forwardIN3c104HalfES2_fLi4ELb0ELb1ELi64EEEvPT0_PKT_iiiPKbib ; -- Begin function _ZN12_GLOBAL__N_120softmax_warp_forwardIN3c104HalfES2_fLi4ELb0ELb1ELi64EEEvPT0_PKT_iiiPKbib
	.p2align	8
	.type	_ZN12_GLOBAL__N_120softmax_warp_forwardIN3c104HalfES2_fLi4ELb0ELb1ELi64EEEvPT0_PKT_iiiPKbib,@function
_ZN12_GLOBAL__N_120softmax_warp_forwardIN3c104HalfES2_fLi4ELb0ELb1ELi64EEEvPT0_PKT_iiiPKbib: ; @_ZN12_GLOBAL__N_120softmax_warp_forwardIN3c104HalfES2_fLi4ELb0ELb1ELi64EEEvPT0_PKT_iiiPKbib
; %bb.0:
	s_clause 0x2
	s_load_b64 s[2:3], s[0:1], 0x28
	s_load_b32 s8, s[0:1], 0x3c
	s_load_b128 s[4:7], s[0:1], 0x10
	v_bfe_u32 v1, v0, 10, 10
	v_and_b32_e32 v4, 0x3ff, v0
	s_waitcnt lgkmcnt(0)
	s_bitcmp1_b32 s3, 0
	s_cselect_b32 s12, -1, 0
	s_lshr_b32 s7, s8, 16
	s_bitcmp0_b32 s3, 0
	s_mul_i32 s15, s15, s7
	s_delay_alu instid0(SALU_CYCLE_1) | instskip(NEXT) | instid1(VALU_DEP_1)
	v_add_lshl_u32 v5, s15, v1, 1
	v_mul_lo_u32 v6, v5, s5
	s_delay_alu instid0(VALU_DEP_1) | instskip(NEXT) | instid1(VALU_DEP_1)
	v_add_nc_u32_e32 v0, v6, v4
	v_ashrrev_i32_e32 v1, 31, v0
	s_delay_alu instid0(VALU_DEP_1)
	v_dual_mov_b32 v3, v1 :: v_dual_mov_b32 v2, v0
	s_cbranch_scc1 .LBB728_2
; %bb.1:
	s_abs_i32 s3, s2
	v_sub_nc_u32_e32 v7, 0, v6
	v_cvt_f32_u32_e32 v2, s3
	s_sub_i32 s7, 0, s3
	s_delay_alu instid0(VALU_DEP_2) | instskip(NEXT) | instid1(VALU_DEP_2)
	v_max_i32_e32 v7, v6, v7
	v_rcp_iflag_f32_e32 v2, v2
	v_xor_b32_e32 v6, s2, v6
	s_delay_alu instid0(VALU_DEP_1) | instskip(SKIP_2) | instid1(VALU_DEP_1)
	v_ashrrev_i32_e32 v6, 31, v6
	s_waitcnt_depctr 0xfff
	v_mul_f32_e32 v2, 0x4f7ffffe, v2
	v_cvt_u32_f32_e32 v2, v2
	s_delay_alu instid0(VALU_DEP_1) | instskip(NEXT) | instid1(VALU_DEP_1)
	v_mul_lo_u32 v3, s7, v2
	v_mul_hi_u32 v3, v2, v3
	s_delay_alu instid0(VALU_DEP_1) | instskip(NEXT) | instid1(VALU_DEP_1)
	v_add_nc_u32_e32 v2, v2, v3
	v_mul_hi_u32 v2, v7, v2
	s_delay_alu instid0(VALU_DEP_1) | instskip(NEXT) | instid1(VALU_DEP_1)
	v_mul_lo_u32 v3, v2, s3
	v_sub_nc_u32_e32 v3, v7, v3
	v_add_nc_u32_e32 v7, 1, v2
	s_delay_alu instid0(VALU_DEP_2) | instskip(SKIP_1) | instid1(VALU_DEP_2)
	v_subrev_nc_u32_e32 v8, s3, v3
	v_cmp_le_u32_e32 vcc_lo, s3, v3
	v_dual_cndmask_b32 v3, v3, v8 :: v_dual_cndmask_b32 v2, v2, v7
	s_delay_alu instid0(VALU_DEP_1) | instskip(NEXT) | instid1(VALU_DEP_2)
	v_cmp_le_u32_e32 vcc_lo, s3, v3
	v_add_nc_u32_e32 v7, 1, v2
	s_delay_alu instid0(VALU_DEP_1) | instskip(NEXT) | instid1(VALU_DEP_1)
	v_cndmask_b32_e32 v2, v2, v7, vcc_lo
	v_xor_b32_e32 v2, v2, v6
	s_delay_alu instid0(VALU_DEP_1) | instskip(NEXT) | instid1(VALU_DEP_1)
	v_sub_nc_u32_e32 v6, v2, v6
	v_mad_u64_u32 v[2:3], null, v6, s5, v[4:5]
	s_delay_alu instid0(VALU_DEP_1)
	v_ashrrev_i32_e32 v3, 31, v2
.LBB728_2:
	s_load_b128 s[8:11], s[0:1], 0x0
	v_lshlrev_b64 v[0:1], 1, v[0:1]
	v_sub_nc_u32_e32 v6, s4, v5
	v_cmp_gt_i32_e64 s2, s6, v4
	v_mov_b32_e32 v7, 0xff800000
	v_mov_b32_e32 v9, 0xff800000
	s_delay_alu instid0(VALU_DEP_4) | instskip(SKIP_2) | instid1(VALU_DEP_1)
	v_cmp_lt_i32_e32 vcc_lo, 0, v6
	s_waitcnt lgkmcnt(0)
	v_add_co_u32 v4, s3, s10, v0
	v_add_co_ci_u32_e64 v5, s3, s11, v1, s3
	s_and_b32 s11, s2, vcc_lo
	s_delay_alu instid0(SALU_CYCLE_1)
	s_and_saveexec_b32 s3, s11
	s_cbranch_execz .LBB728_4
; %bb.3:
	global_load_u16 v8, v[4:5], off
	s_waitcnt vmcnt(0)
	v_cvt_f32_f16_e32 v9, v8
.LBB728_4:
	s_or_b32 exec_lo, exec_lo, s3
	v_cmp_lt_i32_e64 s3, 1, v6
	s_delay_alu instid0(VALU_DEP_1) | instskip(NEXT) | instid1(SALU_CYCLE_1)
	s_and_b32 s10, s2, s3
	s_and_saveexec_b32 s4, s10
	s_cbranch_execz .LBB728_6
; %bb.5:
	s_mov_b32 s7, 0
	s_delay_alu instid0(SALU_CYCLE_1) | instskip(NEXT) | instid1(SALU_CYCLE_1)
	s_lshl_b64 s[14:15], s[6:7], 1
	v_add_co_u32 v4, s3, v4, s14
	s_delay_alu instid0(VALU_DEP_1)
	v_add_co_ci_u32_e64 v5, s3, s15, v5, s3
	global_load_u16 v4, v[4:5], off
	s_waitcnt vmcnt(0)
	v_cvt_f32_f16_e32 v7, v4
.LBB728_6:
	s_or_b32 exec_lo, exec_lo, s4
	s_load_b64 s[0:1], s[0:1], 0x20
	v_mov_b32_e32 v4, 0xff800000
	s_waitcnt lgkmcnt(0)
	v_add_co_u32 v2, s0, s0, v2
	s_delay_alu instid0(VALU_DEP_1)
	v_add_co_ci_u32_e64 v3, s0, s1, v3, s0
	s_and_saveexec_b32 s1, s11
	s_cbranch_execz .LBB728_8
; %bb.7:
	global_load_u8 v4, v[2:3], off
	s_waitcnt vmcnt(0)
	v_and_b32_e32 v4, 1, v4
	s_delay_alu instid0(VALU_DEP_1) | instskip(NEXT) | instid1(VALU_DEP_1)
	v_cmp_eq_u32_e64 s0, 1, v4
	v_cndmask_b32_e64 v4, v9, 0xff800000, s0
.LBB728_8:
	s_or_b32 exec_lo, exec_lo, s1
	s_mov_b32 s4, 0
	s_mov_b32 s1, 0
	s_and_saveexec_b32 s3, s10
	s_cbranch_execz .LBB728_10
; %bb.9:
	s_and_b32 s0, s12, exec_lo
	s_cselect_b32 s0, 0, s6
	s_cselect_b32 s1, 0, 0
	v_add_co_u32 v10, s0, v2, s0
	s_delay_alu instid0(VALU_DEP_1) | instskip(SKIP_3) | instid1(VALU_DEP_1)
	v_add_co_ci_u32_e64 v11, s0, s1, v3, s0
	global_load_u8 v5, v[10:11], off
	s_waitcnt vmcnt(0)
	v_and_b32_e32 v5, 1, v5
	v_cmp_eq_u32_e64 s0, 1, v5
	s_delay_alu instid0(VALU_DEP_1) | instskip(NEXT) | instid1(SALU_CYCLE_1)
	s_xor_b32 s0, s0, -1
	s_and_b32 s1, s0, exec_lo
.LBB728_10:
	s_or_b32 exec_lo, exec_lo, s3
	v_mbcnt_lo_u32_b32 v5, -1, 0
	s_mov_b32 s5, s4
	v_cndmask_b32_e64 v4, v4, v4, s1
	v_cndmask_b32_e64 v12, 0xff800000, v7, s1
	s_delay_alu instid0(VALU_DEP_3) | instskip(SKIP_2) | instid1(VALU_DEP_3)
	v_and_b32_e32 v8, 16, v5
	v_xor_b32_e32 v10, 8, v5
	v_xor_b32_e32 v11, 4, v5
	v_add_nc_u32_e32 v8, 16, v8
	s_delay_alu instid0(VALU_DEP_1) | instskip(NEXT) | instid1(VALU_DEP_1)
	v_cmp_lt_i32_e64 s0, v10, v8
	v_cndmask_b32_e64 v10, v5, v10, s0
	s_delay_alu instid0(VALU_DEP_4) | instskip(NEXT) | instid1(VALU_DEP_2)
	v_cmp_lt_i32_e64 s0, v11, v8
	v_lshlrev_b32_e32 v10, 2, v10
	s_delay_alu instid0(VALU_DEP_2)
	v_cndmask_b32_e64 v11, v5, v11, s0
	ds_bpermute_b32 v13, v10, v4
	ds_bpermute_b32 v14, v10, v12
	v_lshlrev_b32_e32 v11, 2, v11
	s_waitcnt lgkmcnt(1)
	v_cmp_lt_f32_e64 s0, v4, v13
	s_delay_alu instid0(VALU_DEP_1) | instskip(SKIP_2) | instid1(VALU_DEP_1)
	v_cndmask_b32_e64 v4, v4, v13, s0
	s_waitcnt lgkmcnt(0)
	v_cmp_lt_f32_e64 s0, v12, v14
	v_cndmask_b32_e64 v13, v12, v14, s0
	ds_bpermute_b32 v14, v11, v4
	v_xor_b32_e32 v12, 2, v5
	ds_bpermute_b32 v15, v11, v13
	v_cmp_lt_i32_e64 s0, v12, v8
	s_delay_alu instid0(VALU_DEP_1) | instskip(NEXT) | instid1(VALU_DEP_1)
	v_cndmask_b32_e64 v12, v5, v12, s0
	v_lshlrev_b32_e32 v12, 2, v12
	s_waitcnt lgkmcnt(1)
	v_cmp_lt_f32_e64 s0, v4, v14
	s_delay_alu instid0(VALU_DEP_1) | instskip(SKIP_2) | instid1(VALU_DEP_1)
	v_cndmask_b32_e64 v4, v4, v14, s0
	s_waitcnt lgkmcnt(0)
	v_cmp_lt_f32_e64 s0, v13, v15
	v_cndmask_b32_e64 v14, v13, v15, s0
	ds_bpermute_b32 v15, v12, v4
	v_xor_b32_e32 v13, 1, v5
	ds_bpermute_b32 v16, v12, v14
	v_cmp_lt_i32_e64 s0, v13, v8
	v_mov_b32_e32 v8, 0
	s_delay_alu instid0(VALU_DEP_2) | instskip(NEXT) | instid1(VALU_DEP_1)
	v_cndmask_b32_e64 v5, v5, v13, s0
	v_lshlrev_b32_e32 v13, 2, v5
	s_waitcnt lgkmcnt(1)
	v_cmp_lt_f32_e64 s0, v4, v15
	s_delay_alu instid0(VALU_DEP_1)
	v_cndmask_b32_e64 v17, v4, v15, s0
	v_mov_b32_e32 v4, s4
	s_waitcnt lgkmcnt(0)
	v_cmp_lt_f32_e64 s0, v14, v16
	v_mov_b32_e32 v5, s5
	ds_bpermute_b32 v18, v13, v17
	v_cndmask_b32_e64 v15, v14, v16, s0
	v_mov_b32_e32 v14, 0
	ds_bpermute_b32 v16, v13, v15
	s_and_saveexec_b32 s1, s11
	s_cbranch_execz .LBB728_14
; %bb.11:
	global_load_u8 v4, v[2:3], off
	s_mov_b32 s5, s4
	v_mov_b32_e32 v14, 0
	s_waitcnt vmcnt(0)
	v_and_b32_e32 v4, 1, v4
	s_delay_alu instid0(VALU_DEP_1) | instskip(SKIP_1) | instid1(VALU_DEP_2)
	v_cmp_eq_u32_e64 s0, 1, v4
	v_dual_mov_b32 v4, s4 :: v_dual_mov_b32 v5, s5
	s_xor_b32 s0, s0, -1
	s_delay_alu instid0(SALU_CYCLE_1)
	s_and_saveexec_b32 s3, s0
	s_cbranch_execz .LBB728_13
; %bb.12:
	s_waitcnt lgkmcnt(1)
	v_cmp_lt_f32_e64 s0, v17, v18
	s_delay_alu instid0(VALU_DEP_1) | instskip(NEXT) | instid1(VALU_DEP_1)
	v_cndmask_b32_e64 v4, v17, v18, s0
	v_sub_f32_e32 v4, v9, v4
	s_delay_alu instid0(VALU_DEP_1) | instskip(SKIP_1) | instid1(VALU_DEP_2)
	v_mul_f32_e32 v5, 0x3fb8aa3b, v4
	v_cmp_ngt_f32_e64 s0, 0xc2ce8ed0, v4
	v_fma_f32 v9, 0x3fb8aa3b, v4, -v5
	v_rndne_f32_e32 v14, v5
	s_delay_alu instid0(VALU_DEP_2) | instskip(NEXT) | instid1(VALU_DEP_2)
	v_fmamk_f32 v9, v4, 0x32a5705f, v9
	v_sub_f32_e32 v5, v5, v14
	s_delay_alu instid0(VALU_DEP_1) | instskip(SKIP_1) | instid1(VALU_DEP_2)
	v_add_f32_e32 v5, v5, v9
	v_cvt_i32_f32_e32 v9, v14
	v_exp_f32_e32 v5, v5
	s_waitcnt_depctr 0xfff
	v_ldexp_f32 v5, v5, v9
	s_delay_alu instid0(VALU_DEP_1) | instskip(SKIP_1) | instid1(VALU_DEP_1)
	v_cndmask_b32_e64 v5, 0, v5, s0
	v_cmp_nlt_f32_e64 s0, 0x42b17218, v4
	v_cndmask_b32_e64 v4, 0x7f800000, v5, s0
	s_delay_alu instid0(VALU_DEP_1)
	v_dual_mov_b32 v5, 0 :: v_dual_mov_b32 v14, v4
.LBB728_13:
	s_or_b32 exec_lo, exec_lo, s3
.LBB728_14:
	s_delay_alu instid0(SALU_CYCLE_1)
	s_or_b32 exec_lo, exec_lo, s1
	s_and_saveexec_b32 s1, s10
	s_cbranch_execz .LBB728_18
; %bb.15:
	s_and_b32 s0, s12, exec_lo
	s_cselect_b32 s0, 0, s6
	s_cselect_b32 s3, 0, 0
	v_add_co_u32 v2, s0, v2, s0
	s_delay_alu instid0(VALU_DEP_1) | instskip(SKIP_4) | instid1(VALU_DEP_1)
	v_add_co_ci_u32_e64 v3, s0, s3, v3, s0
	v_mov_b32_e32 v8, 0
	global_load_u8 v2, v[2:3], off
	s_waitcnt vmcnt(0)
	v_and_b32_e32 v2, 1, v2
	v_cmp_eq_u32_e64 s0, 1, v2
	s_delay_alu instid0(VALU_DEP_1) | instskip(NEXT) | instid1(SALU_CYCLE_1)
	s_xor_b32 s0, s0, -1
	s_and_saveexec_b32 s3, s0
	s_cbranch_execz .LBB728_17
; %bb.16:
	s_waitcnt lgkmcnt(0)
	v_cmp_lt_f32_e64 s0, v15, v16
	s_delay_alu instid0(VALU_DEP_1) | instskip(NEXT) | instid1(VALU_DEP_1)
	v_cndmask_b32_e64 v2, v15, v16, s0
	v_sub_f32_e32 v2, v7, v2
	s_delay_alu instid0(VALU_DEP_1) | instskip(SKIP_1) | instid1(VALU_DEP_2)
	v_mul_f32_e32 v3, 0x3fb8aa3b, v2
	v_cmp_ngt_f32_e64 s0, 0xc2ce8ed0, v2
	v_fma_f32 v7, 0x3fb8aa3b, v2, -v3
	v_rndne_f32_e32 v8, v3
	s_delay_alu instid0(VALU_DEP_2) | instskip(NEXT) | instid1(VALU_DEP_2)
	v_fmamk_f32 v7, v2, 0x32a5705f, v7
	v_sub_f32_e32 v3, v3, v8
	s_delay_alu instid0(VALU_DEP_1) | instskip(SKIP_1) | instid1(VALU_DEP_2)
	v_add_f32_e32 v3, v3, v7
	v_cvt_i32_f32_e32 v7, v8
	v_exp_f32_e32 v3, v3
	s_waitcnt_depctr 0xfff
	v_ldexp_f32 v3, v3, v7
	s_delay_alu instid0(VALU_DEP_1) | instskip(SKIP_1) | instid1(VALU_DEP_1)
	v_cndmask_b32_e64 v3, 0, v3, s0
	v_cmp_nlt_f32_e64 s0, 0x42b17218, v2
	v_cndmask_b32_e64 v8, 0x7f800000, v3, s0
	s_delay_alu instid0(VALU_DEP_1)
	v_add_f32_e32 v5, v5, v8
.LBB728_17:
	s_or_b32 exec_lo, exec_lo, s3
.LBB728_18:
	s_delay_alu instid0(SALU_CYCLE_1)
	s_or_b32 exec_lo, exec_lo, s1
	ds_bpermute_b32 v2, v10, v4
	ds_bpermute_b32 v3, v10, v5
	s_waitcnt lgkmcnt(0)
	v_dual_add_f32 v2, v4, v2 :: v_dual_add_f32 v3, v5, v3
	ds_bpermute_b32 v4, v11, v2
	ds_bpermute_b32 v5, v11, v3
	s_waitcnt lgkmcnt(0)
	v_dual_add_f32 v2, v2, v4 :: v_dual_add_f32 v3, v3, v5
	ds_bpermute_b32 v4, v12, v2
	ds_bpermute_b32 v5, v12, v3
	s_waitcnt lgkmcnt(1)
	v_add_f32_e32 v4, v2, v4
	s_waitcnt lgkmcnt(0)
	v_add_f32_e32 v2, v3, v5
	ds_bpermute_b32 v5, v13, v4
	ds_bpermute_b32 v3, v13, v2
	s_and_saveexec_b32 s0, vcc_lo
	s_cbranch_execz .LBB728_30
; %bb.19:
	v_add_co_u32 v0, vcc_lo, s8, v0
	v_add_co_ci_u32_e32 v1, vcc_lo, s9, v1, vcc_lo
	s_and_saveexec_b32 s0, s2
	s_cbranch_execz .LBB728_24
; %bb.20:
	s_waitcnt lgkmcnt(1)
	v_add_f32_e32 v4, v4, v5
	s_mov_b32 s1, exec_lo
	s_delay_alu instid0(VALU_DEP_1)
	v_cmpx_neq_f32_e32 0, v4
	s_xor_b32 s1, exec_lo, s1
	s_cbranch_execz .LBB728_22
; %bb.21:
	v_div_scale_f32 v5, null, v4, v4, v14
	s_delay_alu instid0(VALU_DEP_1) | instskip(SKIP_2) | instid1(VALU_DEP_1)
	v_rcp_f32_e32 v7, v5
	s_waitcnt_depctr 0xfff
	v_fma_f32 v9, -v5, v7, 1.0
	v_fmac_f32_e32 v7, v9, v7
	v_div_scale_f32 v9, vcc_lo, v14, v4, v14
	s_delay_alu instid0(VALU_DEP_1) | instskip(NEXT) | instid1(VALU_DEP_1)
	v_mul_f32_e32 v10, v9, v7
	v_fma_f32 v11, -v5, v10, v9
	s_delay_alu instid0(VALU_DEP_1) | instskip(NEXT) | instid1(VALU_DEP_1)
	v_fmac_f32_e32 v10, v11, v7
	v_fma_f32 v5, -v5, v10, v9
	s_delay_alu instid0(VALU_DEP_1) | instskip(NEXT) | instid1(VALU_DEP_1)
	v_div_fmas_f32 v5, v5, v7, v10
	v_div_fixup_f32 v4, v5, v4, v14
	s_delay_alu instid0(VALU_DEP_1)
	v_cvt_f16_f32_e32 v4, v4
	global_store_b16 v[0:1], v4, off
.LBB728_22:
	s_and_not1_saveexec_b32 s1, s1
	s_cbranch_execz .LBB728_24
; %bb.23:
	v_mov_b32_e32 v4, 0x7e00
	global_store_b16 v[0:1], v4, off
.LBB728_24:
	s_or_b32 exec_lo, exec_lo, s0
	v_cmp_ne_u32_e32 vcc_lo, 1, v6
	s_and_b32 exec_lo, exec_lo, vcc_lo
	s_cbranch_execz .LBB728_30
; %bb.25:
	s_and_b32 exec_lo, exec_lo, s2
	s_cbranch_execz .LBB728_30
; %bb.26:
	s_mov_b32 s7, 0
	s_waitcnt lgkmcnt(0)
	v_add_f32_e32 v2, v2, v3
	s_lshl_b64 s[0:1], s[6:7], 1
	s_delay_alu instid0(SALU_CYCLE_1) | instskip(NEXT) | instid1(VALU_DEP_1)
	v_add_co_u32 v0, s0, v0, s0
	v_add_co_ci_u32_e64 v1, s0, s1, v1, s0
	s_mov_b32 s0, exec_lo
	v_cmpx_neq_f32_e32 0, v2
	s_xor_b32 s0, exec_lo, s0
	s_cbranch_execz .LBB728_28
; %bb.27:
	v_div_scale_f32 v3, null, v2, v2, v8
	s_delay_alu instid0(VALU_DEP_1) | instskip(SKIP_2) | instid1(VALU_DEP_1)
	v_rcp_f32_e32 v4, v3
	s_waitcnt_depctr 0xfff
	v_fma_f32 v5, -v3, v4, 1.0
	v_fmac_f32_e32 v4, v5, v4
	v_div_scale_f32 v5, vcc_lo, v8, v2, v8
	s_delay_alu instid0(VALU_DEP_1) | instskip(NEXT) | instid1(VALU_DEP_1)
	v_mul_f32_e32 v6, v5, v4
	v_fma_f32 v7, -v3, v6, v5
	s_delay_alu instid0(VALU_DEP_1) | instskip(NEXT) | instid1(VALU_DEP_1)
	v_fmac_f32_e32 v6, v7, v4
	v_fma_f32 v3, -v3, v6, v5
	s_delay_alu instid0(VALU_DEP_1) | instskip(NEXT) | instid1(VALU_DEP_1)
	v_div_fmas_f32 v3, v3, v4, v6
	v_div_fixup_f32 v2, v3, v2, v8
	s_delay_alu instid0(VALU_DEP_1)
	v_cvt_f16_f32_e32 v2, v2
	global_store_b16 v[0:1], v2, off
                                        ; implicit-def: $vgpr0_vgpr1
.LBB728_28:
	s_and_not1_saveexec_b32 s0, s0
	s_cbranch_execz .LBB728_30
; %bb.29:
	v_mov_b32_e32 v2, 0x7e00
	global_store_b16 v[0:1], v2, off
.LBB728_30:
	s_nop 0
	s_sendmsg sendmsg(MSG_DEALLOC_VGPRS)
	s_endpgm
	.section	.rodata,"a",@progbits
	.p2align	6, 0x0
	.amdhsa_kernel _ZN12_GLOBAL__N_120softmax_warp_forwardIN3c104HalfES2_fLi4ELb0ELb1ELi64EEEvPT0_PKT_iiiPKbib
		.amdhsa_group_segment_fixed_size 0
		.amdhsa_private_segment_fixed_size 0
		.amdhsa_kernarg_size 304
		.amdhsa_user_sgpr_count 15
		.amdhsa_user_sgpr_dispatch_ptr 0
		.amdhsa_user_sgpr_queue_ptr 0
		.amdhsa_user_sgpr_kernarg_segment_ptr 1
		.amdhsa_user_sgpr_dispatch_id 0
		.amdhsa_user_sgpr_private_segment_size 0
		.amdhsa_wavefront_size32 1
		.amdhsa_uses_dynamic_stack 0
		.amdhsa_enable_private_segment 0
		.amdhsa_system_sgpr_workgroup_id_x 1
		.amdhsa_system_sgpr_workgroup_id_y 0
		.amdhsa_system_sgpr_workgroup_id_z 0
		.amdhsa_system_sgpr_workgroup_info 0
		.amdhsa_system_vgpr_workitem_id 1
		.amdhsa_next_free_vgpr 19
		.amdhsa_next_free_sgpr 16
		.amdhsa_reserve_vcc 1
		.amdhsa_float_round_mode_32 0
		.amdhsa_float_round_mode_16_64 0
		.amdhsa_float_denorm_mode_32 3
		.amdhsa_float_denorm_mode_16_64 3
		.amdhsa_dx10_clamp 1
		.amdhsa_ieee_mode 1
		.amdhsa_fp16_overflow 0
		.amdhsa_workgroup_processor_mode 1
		.amdhsa_memory_ordered 1
		.amdhsa_forward_progress 0
		.amdhsa_shared_vgpr_count 0
		.amdhsa_exception_fp_ieee_invalid_op 0
		.amdhsa_exception_fp_denorm_src 0
		.amdhsa_exception_fp_ieee_div_zero 0
		.amdhsa_exception_fp_ieee_overflow 0
		.amdhsa_exception_fp_ieee_underflow 0
		.amdhsa_exception_fp_ieee_inexact 0
		.amdhsa_exception_int_div_zero 0
	.end_amdhsa_kernel
	.section	.text._ZN12_GLOBAL__N_120softmax_warp_forwardIN3c104HalfES2_fLi4ELb0ELb1ELi64EEEvPT0_PKT_iiiPKbib,"axG",@progbits,_ZN12_GLOBAL__N_120softmax_warp_forwardIN3c104HalfES2_fLi4ELb0ELb1ELi64EEEvPT0_PKT_iiiPKbib,comdat
.Lfunc_end728:
	.size	_ZN12_GLOBAL__N_120softmax_warp_forwardIN3c104HalfES2_fLi4ELb0ELb1ELi64EEEvPT0_PKT_iiiPKbib, .Lfunc_end728-_ZN12_GLOBAL__N_120softmax_warp_forwardIN3c104HalfES2_fLi4ELb0ELb1ELi64EEEvPT0_PKT_iiiPKbib
                                        ; -- End function
	.section	.AMDGPU.csdata,"",@progbits
; Kernel info:
; codeLenInByte = 2036
; NumSgprs: 18
; NumVgprs: 19
; ScratchSize: 0
; MemoryBound: 0
; FloatMode: 240
; IeeeMode: 1
; LDSByteSize: 0 bytes/workgroup (compile time only)
; SGPRBlocks: 2
; VGPRBlocks: 2
; NumSGPRsForWavesPerEU: 18
; NumVGPRsForWavesPerEU: 19
; Occupancy: 16
; WaveLimiterHint : 0
; COMPUTE_PGM_RSRC2:SCRATCH_EN: 0
; COMPUTE_PGM_RSRC2:USER_SGPR: 15
; COMPUTE_PGM_RSRC2:TRAP_HANDLER: 0
; COMPUTE_PGM_RSRC2:TGID_X_EN: 1
; COMPUTE_PGM_RSRC2:TGID_Y_EN: 0
; COMPUTE_PGM_RSRC2:TGID_Z_EN: 0
; COMPUTE_PGM_RSRC2:TIDIG_COMP_CNT: 1
	.section	.text._ZN12_GLOBAL__N_120softmax_warp_forwardIN3c104HalfES2_fLi4ELb0ELb1ELi32EEEvPT0_PKT_iiiPKbib,"axG",@progbits,_ZN12_GLOBAL__N_120softmax_warp_forwardIN3c104HalfES2_fLi4ELb0ELb1ELi32EEEvPT0_PKT_iiiPKbib,comdat
	.globl	_ZN12_GLOBAL__N_120softmax_warp_forwardIN3c104HalfES2_fLi4ELb0ELb1ELi32EEEvPT0_PKT_iiiPKbib ; -- Begin function _ZN12_GLOBAL__N_120softmax_warp_forwardIN3c104HalfES2_fLi4ELb0ELb1ELi32EEEvPT0_PKT_iiiPKbib
	.p2align	8
	.type	_ZN12_GLOBAL__N_120softmax_warp_forwardIN3c104HalfES2_fLi4ELb0ELb1ELi32EEEvPT0_PKT_iiiPKbib,@function
_ZN12_GLOBAL__N_120softmax_warp_forwardIN3c104HalfES2_fLi4ELb0ELb1ELi32EEEvPT0_PKT_iiiPKbib: ; @_ZN12_GLOBAL__N_120softmax_warp_forwardIN3c104HalfES2_fLi4ELb0ELb1ELi32EEEvPT0_PKT_iiiPKbib
; %bb.0:
	s_clause 0x2
	s_load_b64 s[2:3], s[0:1], 0x28
	s_load_b32 s8, s[0:1], 0x3c
	s_load_b128 s[4:7], s[0:1], 0x10
	v_bfe_u32 v1, v0, 10, 10
	v_and_b32_e32 v4, 0x3ff, v0
	s_waitcnt lgkmcnt(0)
	s_bitcmp1_b32 s3, 0
	s_cselect_b32 s12, -1, 0
	s_lshr_b32 s7, s8, 16
	s_bitcmp0_b32 s3, 0
	s_mul_i32 s15, s15, s7
	s_delay_alu instid0(SALU_CYCLE_1) | instskip(NEXT) | instid1(VALU_DEP_1)
	v_add_lshl_u32 v5, s15, v1, 1
	v_mul_lo_u32 v6, v5, s5
	s_delay_alu instid0(VALU_DEP_1) | instskip(NEXT) | instid1(VALU_DEP_1)
	v_add_nc_u32_e32 v0, v6, v4
	v_ashrrev_i32_e32 v1, 31, v0
	s_delay_alu instid0(VALU_DEP_1)
	v_dual_mov_b32 v3, v1 :: v_dual_mov_b32 v2, v0
	s_cbranch_scc1 .LBB729_2
; %bb.1:
	s_abs_i32 s3, s2
	v_sub_nc_u32_e32 v7, 0, v6
	v_cvt_f32_u32_e32 v2, s3
	s_sub_i32 s7, 0, s3
	s_delay_alu instid0(VALU_DEP_2) | instskip(NEXT) | instid1(VALU_DEP_2)
	v_max_i32_e32 v7, v6, v7
	v_rcp_iflag_f32_e32 v2, v2
	v_xor_b32_e32 v6, s2, v6
	s_delay_alu instid0(VALU_DEP_1) | instskip(SKIP_2) | instid1(VALU_DEP_1)
	v_ashrrev_i32_e32 v6, 31, v6
	s_waitcnt_depctr 0xfff
	v_mul_f32_e32 v2, 0x4f7ffffe, v2
	v_cvt_u32_f32_e32 v2, v2
	s_delay_alu instid0(VALU_DEP_1) | instskip(NEXT) | instid1(VALU_DEP_1)
	v_mul_lo_u32 v3, s7, v2
	v_mul_hi_u32 v3, v2, v3
	s_delay_alu instid0(VALU_DEP_1) | instskip(NEXT) | instid1(VALU_DEP_1)
	v_add_nc_u32_e32 v2, v2, v3
	v_mul_hi_u32 v2, v7, v2
	s_delay_alu instid0(VALU_DEP_1) | instskip(NEXT) | instid1(VALU_DEP_1)
	v_mul_lo_u32 v3, v2, s3
	v_sub_nc_u32_e32 v3, v7, v3
	v_add_nc_u32_e32 v7, 1, v2
	s_delay_alu instid0(VALU_DEP_2) | instskip(SKIP_1) | instid1(VALU_DEP_2)
	v_subrev_nc_u32_e32 v8, s3, v3
	v_cmp_le_u32_e32 vcc_lo, s3, v3
	v_dual_cndmask_b32 v3, v3, v8 :: v_dual_cndmask_b32 v2, v2, v7
	s_delay_alu instid0(VALU_DEP_1) | instskip(NEXT) | instid1(VALU_DEP_2)
	v_cmp_le_u32_e32 vcc_lo, s3, v3
	v_add_nc_u32_e32 v7, 1, v2
	s_delay_alu instid0(VALU_DEP_1) | instskip(NEXT) | instid1(VALU_DEP_1)
	v_cndmask_b32_e32 v2, v2, v7, vcc_lo
	v_xor_b32_e32 v2, v2, v6
	s_delay_alu instid0(VALU_DEP_1) | instskip(NEXT) | instid1(VALU_DEP_1)
	v_sub_nc_u32_e32 v6, v2, v6
	v_mad_u64_u32 v[2:3], null, v6, s5, v[4:5]
	s_delay_alu instid0(VALU_DEP_1)
	v_ashrrev_i32_e32 v3, 31, v2
.LBB729_2:
	s_load_b128 s[8:11], s[0:1], 0x0
	v_lshlrev_b64 v[0:1], 1, v[0:1]
	v_sub_nc_u32_e32 v6, s4, v5
	v_cmp_gt_i32_e64 s2, s6, v4
	v_mov_b32_e32 v7, 0xff800000
	v_mov_b32_e32 v9, 0xff800000
	s_delay_alu instid0(VALU_DEP_4) | instskip(SKIP_2) | instid1(VALU_DEP_1)
	v_cmp_lt_i32_e32 vcc_lo, 0, v6
	s_waitcnt lgkmcnt(0)
	v_add_co_u32 v4, s3, s10, v0
	v_add_co_ci_u32_e64 v5, s3, s11, v1, s3
	s_and_b32 s11, s2, vcc_lo
	s_delay_alu instid0(SALU_CYCLE_1)
	s_and_saveexec_b32 s3, s11
	s_cbranch_execz .LBB729_4
; %bb.3:
	global_load_u16 v8, v[4:5], off
	s_waitcnt vmcnt(0)
	v_cvt_f32_f16_e32 v9, v8
.LBB729_4:
	s_or_b32 exec_lo, exec_lo, s3
	v_cmp_lt_i32_e64 s3, 1, v6
	s_delay_alu instid0(VALU_DEP_1) | instskip(NEXT) | instid1(SALU_CYCLE_1)
	s_and_b32 s10, s2, s3
	s_and_saveexec_b32 s4, s10
	s_cbranch_execz .LBB729_6
; %bb.5:
	s_mov_b32 s7, 0
	s_delay_alu instid0(SALU_CYCLE_1) | instskip(NEXT) | instid1(SALU_CYCLE_1)
	s_lshl_b64 s[14:15], s[6:7], 1
	v_add_co_u32 v4, s3, v4, s14
	s_delay_alu instid0(VALU_DEP_1)
	v_add_co_ci_u32_e64 v5, s3, s15, v5, s3
	global_load_u16 v4, v[4:5], off
	s_waitcnt vmcnt(0)
	v_cvt_f32_f16_e32 v7, v4
.LBB729_6:
	s_or_b32 exec_lo, exec_lo, s4
	s_load_b64 s[0:1], s[0:1], 0x20
	v_mov_b32_e32 v4, 0xff800000
	s_waitcnt lgkmcnt(0)
	v_add_co_u32 v2, s0, s0, v2
	s_delay_alu instid0(VALU_DEP_1)
	v_add_co_ci_u32_e64 v3, s0, s1, v3, s0
	s_and_saveexec_b32 s1, s11
	s_cbranch_execz .LBB729_8
; %bb.7:
	global_load_u8 v4, v[2:3], off
	s_waitcnt vmcnt(0)
	v_and_b32_e32 v4, 1, v4
	s_delay_alu instid0(VALU_DEP_1) | instskip(NEXT) | instid1(VALU_DEP_1)
	v_cmp_eq_u32_e64 s0, 1, v4
	v_cndmask_b32_e64 v4, v9, 0xff800000, s0
.LBB729_8:
	s_or_b32 exec_lo, exec_lo, s1
	s_mov_b32 s4, 0
	s_mov_b32 s1, 0
	s_and_saveexec_b32 s3, s10
	s_cbranch_execz .LBB729_10
; %bb.9:
	s_and_b32 s0, s12, exec_lo
	s_cselect_b32 s0, 0, s6
	s_cselect_b32 s1, 0, 0
	v_add_co_u32 v10, s0, v2, s0
	s_delay_alu instid0(VALU_DEP_1) | instskip(SKIP_3) | instid1(VALU_DEP_1)
	v_add_co_ci_u32_e64 v11, s0, s1, v3, s0
	global_load_u8 v5, v[10:11], off
	s_waitcnt vmcnt(0)
	v_and_b32_e32 v5, 1, v5
	v_cmp_eq_u32_e64 s0, 1, v5
	s_delay_alu instid0(VALU_DEP_1) | instskip(NEXT) | instid1(SALU_CYCLE_1)
	s_xor_b32 s0, s0, -1
	s_and_b32 s1, s0, exec_lo
.LBB729_10:
	s_or_b32 exec_lo, exec_lo, s3
	v_mbcnt_lo_u32_b32 v5, -1, 0
	s_mov_b32 s5, s4
	v_cndmask_b32_e64 v4, v4, v4, s1
	v_cndmask_b32_e64 v12, 0xff800000, v7, s1
	s_delay_alu instid0(VALU_DEP_3) | instskip(SKIP_2) | instid1(VALU_DEP_3)
	v_and_b32_e32 v8, 16, v5
	v_xor_b32_e32 v10, 8, v5
	v_xor_b32_e32 v11, 4, v5
	v_add_nc_u32_e32 v8, 16, v8
	s_delay_alu instid0(VALU_DEP_1) | instskip(NEXT) | instid1(VALU_DEP_1)
	v_cmp_lt_i32_e64 s0, v10, v8
	v_cndmask_b32_e64 v10, v5, v10, s0
	s_delay_alu instid0(VALU_DEP_4) | instskip(NEXT) | instid1(VALU_DEP_2)
	v_cmp_lt_i32_e64 s0, v11, v8
	v_lshlrev_b32_e32 v10, 2, v10
	s_delay_alu instid0(VALU_DEP_2)
	v_cndmask_b32_e64 v11, v5, v11, s0
	ds_bpermute_b32 v13, v10, v4
	ds_bpermute_b32 v14, v10, v12
	v_lshlrev_b32_e32 v11, 2, v11
	s_waitcnt lgkmcnt(1)
	v_cmp_lt_f32_e64 s0, v4, v13
	s_delay_alu instid0(VALU_DEP_1) | instskip(SKIP_2) | instid1(VALU_DEP_1)
	v_cndmask_b32_e64 v4, v4, v13, s0
	s_waitcnt lgkmcnt(0)
	v_cmp_lt_f32_e64 s0, v12, v14
	v_cndmask_b32_e64 v13, v12, v14, s0
	ds_bpermute_b32 v14, v11, v4
	v_xor_b32_e32 v12, 2, v5
	ds_bpermute_b32 v15, v11, v13
	v_cmp_lt_i32_e64 s0, v12, v8
	s_delay_alu instid0(VALU_DEP_1) | instskip(NEXT) | instid1(VALU_DEP_1)
	v_cndmask_b32_e64 v12, v5, v12, s0
	v_lshlrev_b32_e32 v12, 2, v12
	s_waitcnt lgkmcnt(1)
	v_cmp_lt_f32_e64 s0, v4, v14
	s_delay_alu instid0(VALU_DEP_1) | instskip(SKIP_2) | instid1(VALU_DEP_1)
	v_cndmask_b32_e64 v4, v4, v14, s0
	s_waitcnt lgkmcnt(0)
	v_cmp_lt_f32_e64 s0, v13, v15
	v_cndmask_b32_e64 v14, v13, v15, s0
	ds_bpermute_b32 v15, v12, v4
	v_xor_b32_e32 v13, 1, v5
	ds_bpermute_b32 v16, v12, v14
	v_cmp_lt_i32_e64 s0, v13, v8
	v_mov_b32_e32 v8, 0
	s_delay_alu instid0(VALU_DEP_2) | instskip(NEXT) | instid1(VALU_DEP_1)
	v_cndmask_b32_e64 v5, v5, v13, s0
	v_lshlrev_b32_e32 v13, 2, v5
	s_waitcnt lgkmcnt(1)
	v_cmp_lt_f32_e64 s0, v4, v15
	s_delay_alu instid0(VALU_DEP_1)
	v_cndmask_b32_e64 v17, v4, v15, s0
	v_mov_b32_e32 v4, s4
	s_waitcnt lgkmcnt(0)
	v_cmp_lt_f32_e64 s0, v14, v16
	v_mov_b32_e32 v5, s5
	ds_bpermute_b32 v18, v13, v17
	v_cndmask_b32_e64 v15, v14, v16, s0
	v_mov_b32_e32 v14, 0
	ds_bpermute_b32 v16, v13, v15
	s_and_saveexec_b32 s1, s11
	s_cbranch_execz .LBB729_14
; %bb.11:
	global_load_u8 v4, v[2:3], off
	s_mov_b32 s5, s4
	v_mov_b32_e32 v14, 0
	s_waitcnt vmcnt(0)
	v_and_b32_e32 v4, 1, v4
	s_delay_alu instid0(VALU_DEP_1) | instskip(SKIP_1) | instid1(VALU_DEP_2)
	v_cmp_eq_u32_e64 s0, 1, v4
	v_dual_mov_b32 v4, s4 :: v_dual_mov_b32 v5, s5
	s_xor_b32 s0, s0, -1
	s_delay_alu instid0(SALU_CYCLE_1)
	s_and_saveexec_b32 s3, s0
	s_cbranch_execz .LBB729_13
; %bb.12:
	s_waitcnt lgkmcnt(1)
	v_cmp_lt_f32_e64 s0, v17, v18
	s_delay_alu instid0(VALU_DEP_1) | instskip(NEXT) | instid1(VALU_DEP_1)
	v_cndmask_b32_e64 v4, v17, v18, s0
	v_sub_f32_e32 v4, v9, v4
	s_delay_alu instid0(VALU_DEP_1) | instskip(SKIP_1) | instid1(VALU_DEP_2)
	v_mul_f32_e32 v5, 0x3fb8aa3b, v4
	v_cmp_ngt_f32_e64 s0, 0xc2ce8ed0, v4
	v_fma_f32 v9, 0x3fb8aa3b, v4, -v5
	v_rndne_f32_e32 v14, v5
	s_delay_alu instid0(VALU_DEP_2) | instskip(NEXT) | instid1(VALU_DEP_2)
	v_fmamk_f32 v9, v4, 0x32a5705f, v9
	v_sub_f32_e32 v5, v5, v14
	s_delay_alu instid0(VALU_DEP_1) | instskip(SKIP_1) | instid1(VALU_DEP_2)
	v_add_f32_e32 v5, v5, v9
	v_cvt_i32_f32_e32 v9, v14
	v_exp_f32_e32 v5, v5
	s_waitcnt_depctr 0xfff
	v_ldexp_f32 v5, v5, v9
	s_delay_alu instid0(VALU_DEP_1) | instskip(SKIP_1) | instid1(VALU_DEP_1)
	v_cndmask_b32_e64 v5, 0, v5, s0
	v_cmp_nlt_f32_e64 s0, 0x42b17218, v4
	v_cndmask_b32_e64 v4, 0x7f800000, v5, s0
	s_delay_alu instid0(VALU_DEP_1)
	v_dual_mov_b32 v5, 0 :: v_dual_mov_b32 v14, v4
.LBB729_13:
	s_or_b32 exec_lo, exec_lo, s3
.LBB729_14:
	s_delay_alu instid0(SALU_CYCLE_1)
	s_or_b32 exec_lo, exec_lo, s1
	s_and_saveexec_b32 s1, s10
	s_cbranch_execz .LBB729_18
; %bb.15:
	s_and_b32 s0, s12, exec_lo
	s_cselect_b32 s0, 0, s6
	s_cselect_b32 s3, 0, 0
	v_add_co_u32 v2, s0, v2, s0
	s_delay_alu instid0(VALU_DEP_1) | instskip(SKIP_4) | instid1(VALU_DEP_1)
	v_add_co_ci_u32_e64 v3, s0, s3, v3, s0
	v_mov_b32_e32 v8, 0
	global_load_u8 v2, v[2:3], off
	s_waitcnt vmcnt(0)
	v_and_b32_e32 v2, 1, v2
	v_cmp_eq_u32_e64 s0, 1, v2
	s_delay_alu instid0(VALU_DEP_1) | instskip(NEXT) | instid1(SALU_CYCLE_1)
	s_xor_b32 s0, s0, -1
	s_and_saveexec_b32 s3, s0
	s_cbranch_execz .LBB729_17
; %bb.16:
	s_waitcnt lgkmcnt(0)
	v_cmp_lt_f32_e64 s0, v15, v16
	s_delay_alu instid0(VALU_DEP_1) | instskip(NEXT) | instid1(VALU_DEP_1)
	v_cndmask_b32_e64 v2, v15, v16, s0
	v_sub_f32_e32 v2, v7, v2
	s_delay_alu instid0(VALU_DEP_1) | instskip(SKIP_1) | instid1(VALU_DEP_2)
	v_mul_f32_e32 v3, 0x3fb8aa3b, v2
	v_cmp_ngt_f32_e64 s0, 0xc2ce8ed0, v2
	v_fma_f32 v7, 0x3fb8aa3b, v2, -v3
	v_rndne_f32_e32 v8, v3
	s_delay_alu instid0(VALU_DEP_2) | instskip(NEXT) | instid1(VALU_DEP_2)
	v_fmamk_f32 v7, v2, 0x32a5705f, v7
	v_sub_f32_e32 v3, v3, v8
	s_delay_alu instid0(VALU_DEP_1) | instskip(SKIP_1) | instid1(VALU_DEP_2)
	v_add_f32_e32 v3, v3, v7
	v_cvt_i32_f32_e32 v7, v8
	v_exp_f32_e32 v3, v3
	s_waitcnt_depctr 0xfff
	v_ldexp_f32 v3, v3, v7
	s_delay_alu instid0(VALU_DEP_1) | instskip(SKIP_1) | instid1(VALU_DEP_1)
	v_cndmask_b32_e64 v3, 0, v3, s0
	v_cmp_nlt_f32_e64 s0, 0x42b17218, v2
	v_cndmask_b32_e64 v8, 0x7f800000, v3, s0
	s_delay_alu instid0(VALU_DEP_1)
	v_add_f32_e32 v5, v5, v8
.LBB729_17:
	s_or_b32 exec_lo, exec_lo, s3
.LBB729_18:
	s_delay_alu instid0(SALU_CYCLE_1)
	s_or_b32 exec_lo, exec_lo, s1
	ds_bpermute_b32 v2, v10, v4
	ds_bpermute_b32 v3, v10, v5
	s_waitcnt lgkmcnt(0)
	v_dual_add_f32 v2, v4, v2 :: v_dual_add_f32 v3, v5, v3
	ds_bpermute_b32 v4, v11, v2
	ds_bpermute_b32 v5, v11, v3
	s_waitcnt lgkmcnt(0)
	v_dual_add_f32 v2, v2, v4 :: v_dual_add_f32 v3, v3, v5
	ds_bpermute_b32 v4, v12, v2
	ds_bpermute_b32 v5, v12, v3
	s_waitcnt lgkmcnt(1)
	v_add_f32_e32 v4, v2, v4
	s_waitcnt lgkmcnt(0)
	v_add_f32_e32 v2, v3, v5
	ds_bpermute_b32 v5, v13, v4
	ds_bpermute_b32 v3, v13, v2
	s_and_saveexec_b32 s0, vcc_lo
	s_cbranch_execz .LBB729_30
; %bb.19:
	v_add_co_u32 v0, vcc_lo, s8, v0
	v_add_co_ci_u32_e32 v1, vcc_lo, s9, v1, vcc_lo
	s_and_saveexec_b32 s0, s2
	s_cbranch_execz .LBB729_24
; %bb.20:
	s_waitcnt lgkmcnt(1)
	v_add_f32_e32 v4, v4, v5
	s_mov_b32 s1, exec_lo
	s_delay_alu instid0(VALU_DEP_1)
	v_cmpx_neq_f32_e32 0, v4
	s_xor_b32 s1, exec_lo, s1
	s_cbranch_execz .LBB729_22
; %bb.21:
	v_div_scale_f32 v5, null, v4, v4, v14
	s_delay_alu instid0(VALU_DEP_1) | instskip(SKIP_2) | instid1(VALU_DEP_1)
	v_rcp_f32_e32 v7, v5
	s_waitcnt_depctr 0xfff
	v_fma_f32 v9, -v5, v7, 1.0
	v_fmac_f32_e32 v7, v9, v7
	v_div_scale_f32 v9, vcc_lo, v14, v4, v14
	s_delay_alu instid0(VALU_DEP_1) | instskip(NEXT) | instid1(VALU_DEP_1)
	v_mul_f32_e32 v10, v9, v7
	v_fma_f32 v11, -v5, v10, v9
	s_delay_alu instid0(VALU_DEP_1) | instskip(NEXT) | instid1(VALU_DEP_1)
	v_fmac_f32_e32 v10, v11, v7
	v_fma_f32 v5, -v5, v10, v9
	s_delay_alu instid0(VALU_DEP_1) | instskip(NEXT) | instid1(VALU_DEP_1)
	v_div_fmas_f32 v5, v5, v7, v10
	v_div_fixup_f32 v4, v5, v4, v14
	s_delay_alu instid0(VALU_DEP_1)
	v_cvt_f16_f32_e32 v4, v4
	global_store_b16 v[0:1], v4, off
.LBB729_22:
	s_and_not1_saveexec_b32 s1, s1
	s_cbranch_execz .LBB729_24
; %bb.23:
	v_mov_b32_e32 v4, 0x7e00
	global_store_b16 v[0:1], v4, off
.LBB729_24:
	s_or_b32 exec_lo, exec_lo, s0
	v_cmp_ne_u32_e32 vcc_lo, 1, v6
	s_and_b32 exec_lo, exec_lo, vcc_lo
	s_cbranch_execz .LBB729_30
; %bb.25:
	s_and_b32 exec_lo, exec_lo, s2
	s_cbranch_execz .LBB729_30
; %bb.26:
	s_mov_b32 s7, 0
	s_waitcnt lgkmcnt(0)
	v_add_f32_e32 v2, v2, v3
	s_lshl_b64 s[0:1], s[6:7], 1
	s_delay_alu instid0(SALU_CYCLE_1) | instskip(NEXT) | instid1(VALU_DEP_1)
	v_add_co_u32 v0, s0, v0, s0
	v_add_co_ci_u32_e64 v1, s0, s1, v1, s0
	s_mov_b32 s0, exec_lo
	v_cmpx_neq_f32_e32 0, v2
	s_xor_b32 s0, exec_lo, s0
	s_cbranch_execz .LBB729_28
; %bb.27:
	v_div_scale_f32 v3, null, v2, v2, v8
	s_delay_alu instid0(VALU_DEP_1) | instskip(SKIP_2) | instid1(VALU_DEP_1)
	v_rcp_f32_e32 v4, v3
	s_waitcnt_depctr 0xfff
	v_fma_f32 v5, -v3, v4, 1.0
	v_fmac_f32_e32 v4, v5, v4
	v_div_scale_f32 v5, vcc_lo, v8, v2, v8
	s_delay_alu instid0(VALU_DEP_1) | instskip(NEXT) | instid1(VALU_DEP_1)
	v_mul_f32_e32 v6, v5, v4
	v_fma_f32 v7, -v3, v6, v5
	s_delay_alu instid0(VALU_DEP_1) | instskip(NEXT) | instid1(VALU_DEP_1)
	v_fmac_f32_e32 v6, v7, v4
	v_fma_f32 v3, -v3, v6, v5
	s_delay_alu instid0(VALU_DEP_1) | instskip(NEXT) | instid1(VALU_DEP_1)
	v_div_fmas_f32 v3, v3, v4, v6
	v_div_fixup_f32 v2, v3, v2, v8
	s_delay_alu instid0(VALU_DEP_1)
	v_cvt_f16_f32_e32 v2, v2
	global_store_b16 v[0:1], v2, off
                                        ; implicit-def: $vgpr0_vgpr1
.LBB729_28:
	s_and_not1_saveexec_b32 s0, s0
	s_cbranch_execz .LBB729_30
; %bb.29:
	v_mov_b32_e32 v2, 0x7e00
	global_store_b16 v[0:1], v2, off
.LBB729_30:
	s_nop 0
	s_sendmsg sendmsg(MSG_DEALLOC_VGPRS)
	s_endpgm
	.section	.rodata,"a",@progbits
	.p2align	6, 0x0
	.amdhsa_kernel _ZN12_GLOBAL__N_120softmax_warp_forwardIN3c104HalfES2_fLi4ELb0ELb1ELi32EEEvPT0_PKT_iiiPKbib
		.amdhsa_group_segment_fixed_size 0
		.amdhsa_private_segment_fixed_size 0
		.amdhsa_kernarg_size 304
		.amdhsa_user_sgpr_count 15
		.amdhsa_user_sgpr_dispatch_ptr 0
		.amdhsa_user_sgpr_queue_ptr 0
		.amdhsa_user_sgpr_kernarg_segment_ptr 1
		.amdhsa_user_sgpr_dispatch_id 0
		.amdhsa_user_sgpr_private_segment_size 0
		.amdhsa_wavefront_size32 1
		.amdhsa_uses_dynamic_stack 0
		.amdhsa_enable_private_segment 0
		.amdhsa_system_sgpr_workgroup_id_x 1
		.amdhsa_system_sgpr_workgroup_id_y 0
		.amdhsa_system_sgpr_workgroup_id_z 0
		.amdhsa_system_sgpr_workgroup_info 0
		.amdhsa_system_vgpr_workitem_id 1
		.amdhsa_next_free_vgpr 19
		.amdhsa_next_free_sgpr 16
		.amdhsa_reserve_vcc 1
		.amdhsa_float_round_mode_32 0
		.amdhsa_float_round_mode_16_64 0
		.amdhsa_float_denorm_mode_32 3
		.amdhsa_float_denorm_mode_16_64 3
		.amdhsa_dx10_clamp 1
		.amdhsa_ieee_mode 1
		.amdhsa_fp16_overflow 0
		.amdhsa_workgroup_processor_mode 1
		.amdhsa_memory_ordered 1
		.amdhsa_forward_progress 0
		.amdhsa_shared_vgpr_count 0
		.amdhsa_exception_fp_ieee_invalid_op 0
		.amdhsa_exception_fp_denorm_src 0
		.amdhsa_exception_fp_ieee_div_zero 0
		.amdhsa_exception_fp_ieee_overflow 0
		.amdhsa_exception_fp_ieee_underflow 0
		.amdhsa_exception_fp_ieee_inexact 0
		.amdhsa_exception_int_div_zero 0
	.end_amdhsa_kernel
	.section	.text._ZN12_GLOBAL__N_120softmax_warp_forwardIN3c104HalfES2_fLi4ELb0ELb1ELi32EEEvPT0_PKT_iiiPKbib,"axG",@progbits,_ZN12_GLOBAL__N_120softmax_warp_forwardIN3c104HalfES2_fLi4ELb0ELb1ELi32EEEvPT0_PKT_iiiPKbib,comdat
.Lfunc_end729:
	.size	_ZN12_GLOBAL__N_120softmax_warp_forwardIN3c104HalfES2_fLi4ELb0ELb1ELi32EEEvPT0_PKT_iiiPKbib, .Lfunc_end729-_ZN12_GLOBAL__N_120softmax_warp_forwardIN3c104HalfES2_fLi4ELb0ELb1ELi32EEEvPT0_PKT_iiiPKbib
                                        ; -- End function
	.section	.AMDGPU.csdata,"",@progbits
; Kernel info:
; codeLenInByte = 2036
; NumSgprs: 18
; NumVgprs: 19
; ScratchSize: 0
; MemoryBound: 0
; FloatMode: 240
; IeeeMode: 1
; LDSByteSize: 0 bytes/workgroup (compile time only)
; SGPRBlocks: 2
; VGPRBlocks: 2
; NumSGPRsForWavesPerEU: 18
; NumVGPRsForWavesPerEU: 19
; Occupancy: 16
; WaveLimiterHint : 0
; COMPUTE_PGM_RSRC2:SCRATCH_EN: 0
; COMPUTE_PGM_RSRC2:USER_SGPR: 15
; COMPUTE_PGM_RSRC2:TRAP_HANDLER: 0
; COMPUTE_PGM_RSRC2:TGID_X_EN: 1
; COMPUTE_PGM_RSRC2:TGID_Y_EN: 0
; COMPUTE_PGM_RSRC2:TGID_Z_EN: 0
; COMPUTE_PGM_RSRC2:TIDIG_COMP_CNT: 1
	.section	.text._ZN12_GLOBAL__N_120softmax_warp_forwardIN3c104HalfES2_fLi5ELb0ELb1ELi64EEEvPT0_PKT_iiiPKbib,"axG",@progbits,_ZN12_GLOBAL__N_120softmax_warp_forwardIN3c104HalfES2_fLi5ELb0ELb1ELi64EEEvPT0_PKT_iiiPKbib,comdat
	.globl	_ZN12_GLOBAL__N_120softmax_warp_forwardIN3c104HalfES2_fLi5ELb0ELb1ELi64EEEvPT0_PKT_iiiPKbib ; -- Begin function _ZN12_GLOBAL__N_120softmax_warp_forwardIN3c104HalfES2_fLi5ELb0ELb1ELi64EEEvPT0_PKT_iiiPKbib
	.p2align	8
	.type	_ZN12_GLOBAL__N_120softmax_warp_forwardIN3c104HalfES2_fLi5ELb0ELb1ELi64EEEvPT0_PKT_iiiPKbib,@function
_ZN12_GLOBAL__N_120softmax_warp_forwardIN3c104HalfES2_fLi5ELb0ELb1ELi64EEEvPT0_PKT_iiiPKbib: ; @_ZN12_GLOBAL__N_120softmax_warp_forwardIN3c104HalfES2_fLi5ELb0ELb1ELi64EEEvPT0_PKT_iiiPKbib
; %bb.0:
	s_clause 0x2
	s_load_b64 s[2:3], s[0:1], 0x28
	s_load_b32 s8, s[0:1], 0x3c
	s_load_b128 s[4:7], s[0:1], 0x10
	v_bfe_u32 v1, v0, 10, 10
	v_and_b32_e32 v4, 0x3ff, v0
	s_waitcnt lgkmcnt(0)
	s_bitcmp1_b32 s3, 0
	s_cselect_b32 s12, -1, 0
	s_lshr_b32 s7, s8, 16
	s_bitcmp0_b32 s3, 0
	s_mul_i32 s15, s15, s7
	s_delay_alu instid0(SALU_CYCLE_1) | instskip(NEXT) | instid1(VALU_DEP_1)
	v_add_lshl_u32 v5, s15, v1, 1
	v_mul_lo_u32 v6, v5, s5
	s_delay_alu instid0(VALU_DEP_1) | instskip(NEXT) | instid1(VALU_DEP_1)
	v_add_nc_u32_e32 v0, v6, v4
	v_ashrrev_i32_e32 v1, 31, v0
	s_delay_alu instid0(VALU_DEP_1)
	v_dual_mov_b32 v3, v1 :: v_dual_mov_b32 v2, v0
	s_cbranch_scc1 .LBB730_2
; %bb.1:
	s_abs_i32 s3, s2
	v_sub_nc_u32_e32 v7, 0, v6
	v_cvt_f32_u32_e32 v2, s3
	s_sub_i32 s7, 0, s3
	s_delay_alu instid0(VALU_DEP_2) | instskip(NEXT) | instid1(VALU_DEP_2)
	v_max_i32_e32 v7, v6, v7
	v_rcp_iflag_f32_e32 v2, v2
	v_xor_b32_e32 v6, s2, v6
	s_delay_alu instid0(VALU_DEP_1) | instskip(SKIP_2) | instid1(VALU_DEP_1)
	v_ashrrev_i32_e32 v6, 31, v6
	s_waitcnt_depctr 0xfff
	v_mul_f32_e32 v2, 0x4f7ffffe, v2
	v_cvt_u32_f32_e32 v2, v2
	s_delay_alu instid0(VALU_DEP_1) | instskip(NEXT) | instid1(VALU_DEP_1)
	v_mul_lo_u32 v3, s7, v2
	v_mul_hi_u32 v3, v2, v3
	s_delay_alu instid0(VALU_DEP_1) | instskip(NEXT) | instid1(VALU_DEP_1)
	v_add_nc_u32_e32 v2, v2, v3
	v_mul_hi_u32 v2, v7, v2
	s_delay_alu instid0(VALU_DEP_1) | instskip(NEXT) | instid1(VALU_DEP_1)
	v_mul_lo_u32 v3, v2, s3
	v_sub_nc_u32_e32 v3, v7, v3
	v_add_nc_u32_e32 v7, 1, v2
	s_delay_alu instid0(VALU_DEP_2) | instskip(SKIP_1) | instid1(VALU_DEP_2)
	v_subrev_nc_u32_e32 v8, s3, v3
	v_cmp_le_u32_e32 vcc_lo, s3, v3
	v_dual_cndmask_b32 v3, v3, v8 :: v_dual_cndmask_b32 v2, v2, v7
	s_delay_alu instid0(VALU_DEP_1) | instskip(NEXT) | instid1(VALU_DEP_2)
	v_cmp_le_u32_e32 vcc_lo, s3, v3
	v_add_nc_u32_e32 v7, 1, v2
	s_delay_alu instid0(VALU_DEP_1) | instskip(NEXT) | instid1(VALU_DEP_1)
	v_cndmask_b32_e32 v2, v2, v7, vcc_lo
	v_xor_b32_e32 v2, v2, v6
	s_delay_alu instid0(VALU_DEP_1) | instskip(NEXT) | instid1(VALU_DEP_1)
	v_sub_nc_u32_e32 v6, v2, v6
	v_mad_u64_u32 v[2:3], null, v6, s5, v[4:5]
	s_delay_alu instid0(VALU_DEP_1)
	v_ashrrev_i32_e32 v3, 31, v2
.LBB730_2:
	s_load_b128 s[8:11], s[0:1], 0x0
	v_lshlrev_b64 v[0:1], 1, v[0:1]
	v_sub_nc_u32_e32 v6, s4, v5
	v_cmp_gt_i32_e64 s2, s6, v4
	v_mov_b32_e32 v7, 0xff800000
	v_mov_b32_e32 v9, 0xff800000
	s_delay_alu instid0(VALU_DEP_4) | instskip(SKIP_2) | instid1(VALU_DEP_1)
	v_cmp_lt_i32_e32 vcc_lo, 0, v6
	s_waitcnt lgkmcnt(0)
	v_add_co_u32 v4, s3, s10, v0
	v_add_co_ci_u32_e64 v5, s3, s11, v1, s3
	s_and_b32 s11, s2, vcc_lo
	s_delay_alu instid0(SALU_CYCLE_1)
	s_and_saveexec_b32 s3, s11
	s_cbranch_execz .LBB730_4
; %bb.3:
	global_load_u16 v8, v[4:5], off
	s_waitcnt vmcnt(0)
	v_cvt_f32_f16_e32 v9, v8
.LBB730_4:
	s_or_b32 exec_lo, exec_lo, s3
	v_cmp_lt_i32_e64 s3, 1, v6
	s_delay_alu instid0(VALU_DEP_1) | instskip(NEXT) | instid1(SALU_CYCLE_1)
	s_and_b32 s10, s2, s3
	s_and_saveexec_b32 s4, s10
	s_cbranch_execz .LBB730_6
; %bb.5:
	s_mov_b32 s7, 0
	s_delay_alu instid0(SALU_CYCLE_1) | instskip(NEXT) | instid1(SALU_CYCLE_1)
	s_lshl_b64 s[14:15], s[6:7], 1
	v_add_co_u32 v4, s3, v4, s14
	s_delay_alu instid0(VALU_DEP_1)
	v_add_co_ci_u32_e64 v5, s3, s15, v5, s3
	global_load_u16 v4, v[4:5], off
	s_waitcnt vmcnt(0)
	v_cvt_f32_f16_e32 v7, v4
.LBB730_6:
	s_or_b32 exec_lo, exec_lo, s4
	s_load_b64 s[0:1], s[0:1], 0x20
	v_mov_b32_e32 v4, 0xff800000
	s_waitcnt lgkmcnt(0)
	v_add_co_u32 v2, s0, s0, v2
	s_delay_alu instid0(VALU_DEP_1)
	v_add_co_ci_u32_e64 v3, s0, s1, v3, s0
	s_and_saveexec_b32 s1, s11
	s_cbranch_execz .LBB730_8
; %bb.7:
	global_load_u8 v4, v[2:3], off
	s_waitcnt vmcnt(0)
	v_and_b32_e32 v4, 1, v4
	s_delay_alu instid0(VALU_DEP_1) | instskip(NEXT) | instid1(VALU_DEP_1)
	v_cmp_eq_u32_e64 s0, 1, v4
	v_cndmask_b32_e64 v4, v9, 0xff800000, s0
.LBB730_8:
	s_or_b32 exec_lo, exec_lo, s1
	s_mov_b32 s4, 0
	s_mov_b32 s1, 0
	s_and_saveexec_b32 s3, s10
	s_cbranch_execz .LBB730_10
; %bb.9:
	s_and_b32 s0, s12, exec_lo
	s_cselect_b32 s0, 0, s6
	s_cselect_b32 s1, 0, 0
	v_add_co_u32 v10, s0, v2, s0
	s_delay_alu instid0(VALU_DEP_1) | instskip(SKIP_3) | instid1(VALU_DEP_1)
	v_add_co_ci_u32_e64 v11, s0, s1, v3, s0
	global_load_u8 v5, v[10:11], off
	s_waitcnt vmcnt(0)
	v_and_b32_e32 v5, 1, v5
	v_cmp_eq_u32_e64 s0, 1, v5
	s_delay_alu instid0(VALU_DEP_1) | instskip(NEXT) | instid1(SALU_CYCLE_1)
	s_xor_b32 s0, s0, -1
	s_and_b32 s1, s0, exec_lo
.LBB730_10:
	s_or_b32 exec_lo, exec_lo, s3
	v_mbcnt_lo_u32_b32 v5, -1, 0
	v_cndmask_b32_e64 v4, v4, v4, s1
	s_mov_b32 s5, s4
	s_delay_alu instid0(VALU_DEP_2) | instskip(SKIP_1) | instid1(VALU_DEP_2)
	v_xor_b32_e32 v8, 16, v5
	v_xor_b32_e32 v11, 8, v5
	v_cmp_gt_i32_e64 s0, 32, v8
	s_delay_alu instid0(VALU_DEP_1) | instskip(NEXT) | instid1(VALU_DEP_3)
	v_cndmask_b32_e64 v8, v5, v8, s0
	v_cmp_gt_i32_e64 s0, 32, v11
	s_delay_alu instid0(VALU_DEP_2) | instskip(SKIP_1) | instid1(VALU_DEP_3)
	v_lshlrev_b32_e32 v10, 2, v8
	v_cndmask_b32_e64 v8, 0xff800000, v7, s1
	v_cndmask_b32_e64 v11, v5, v11, s0
	ds_bpermute_b32 v12, v10, v4
	ds_bpermute_b32 v13, v10, v8
	v_lshlrev_b32_e32 v11, 2, v11
	s_waitcnt lgkmcnt(1)
	v_cmp_lt_f32_e64 s0, v4, v12
	s_delay_alu instid0(VALU_DEP_1) | instskip(SKIP_3) | instid1(VALU_DEP_2)
	v_cndmask_b32_e64 v4, v4, v12, s0
	s_waitcnt lgkmcnt(0)
	v_cmp_lt_f32_e64 s0, v8, v13
	v_xor_b32_e32 v12, 4, v5
	v_cndmask_b32_e64 v8, v8, v13, s0
	ds_bpermute_b32 v13, v11, v4
	v_cmp_gt_i32_e64 s0, 32, v12
	ds_bpermute_b32 v14, v11, v8
	v_cndmask_b32_e64 v12, v5, v12, s0
	s_delay_alu instid0(VALU_DEP_1) | instskip(SKIP_2) | instid1(VALU_DEP_1)
	v_lshlrev_b32_e32 v12, 2, v12
	s_waitcnt lgkmcnt(1)
	v_cmp_lt_f32_e64 s0, v4, v13
	v_cndmask_b32_e64 v4, v4, v13, s0
	s_waitcnt lgkmcnt(0)
	v_cmp_lt_f32_e64 s0, v8, v14
	v_xor_b32_e32 v13, 2, v5
	s_delay_alu instid0(VALU_DEP_2) | instskip(SKIP_4) | instid1(VALU_DEP_1)
	v_cndmask_b32_e64 v8, v8, v14, s0
	ds_bpermute_b32 v14, v12, v4
	v_cmp_gt_i32_e64 s0, 32, v13
	ds_bpermute_b32 v15, v12, v8
	v_cndmask_b32_e64 v13, v5, v13, s0
	v_lshlrev_b32_e32 v13, 2, v13
	s_waitcnt lgkmcnt(1)
	v_cmp_lt_f32_e64 s0, v4, v14
	s_delay_alu instid0(VALU_DEP_1) | instskip(SKIP_3) | instid1(VALU_DEP_2)
	v_cndmask_b32_e64 v4, v4, v14, s0
	s_waitcnt lgkmcnt(0)
	v_cmp_lt_f32_e64 s0, v8, v15
	v_xor_b32_e32 v14, 1, v5
	v_cndmask_b32_e64 v8, v8, v15, s0
	ds_bpermute_b32 v15, v13, v4
	v_cmp_gt_i32_e64 s0, 32, v14
	s_delay_alu instid0(VALU_DEP_1) | instskip(NEXT) | instid1(VALU_DEP_1)
	v_cndmask_b32_e64 v5, v5, v14, s0
	v_lshlrev_b32_e32 v14, 2, v5
	s_waitcnt lgkmcnt(0)
	v_cmp_lt_f32_e64 s0, v4, v15
	s_delay_alu instid0(VALU_DEP_1)
	v_cndmask_b32_e64 v18, v4, v15, s0
	v_mov_b32_e32 v4, s4
	ds_bpermute_b32 v16, v13, v8
	v_mov_b32_e32 v5, s5
	v_mov_b32_e32 v15, 0
	ds_bpermute_b32 v19, v14, v18
	s_waitcnt lgkmcnt(1)
	v_cmp_lt_f32_e64 s0, v8, v16
	s_delay_alu instid0(VALU_DEP_1)
	v_cndmask_b32_e64 v16, v8, v16, s0
	v_mov_b32_e32 v8, 0
	ds_bpermute_b32 v17, v14, v16
	s_and_saveexec_b32 s1, s11
	s_cbranch_execz .LBB730_14
; %bb.11:
	global_load_u8 v4, v[2:3], off
	s_mov_b32 s5, s4
	s_waitcnt vmcnt(0)
	v_dual_mov_b32 v15, 0 :: v_dual_and_b32 v4, 1, v4
	s_delay_alu instid0(VALU_DEP_1) | instskip(SKIP_1) | instid1(VALU_DEP_2)
	v_cmp_eq_u32_e64 s0, 1, v4
	v_dual_mov_b32 v4, s4 :: v_dual_mov_b32 v5, s5
	s_xor_b32 s0, s0, -1
	s_delay_alu instid0(SALU_CYCLE_1)
	s_and_saveexec_b32 s3, s0
	s_cbranch_execz .LBB730_13
; %bb.12:
	s_waitcnt lgkmcnt(1)
	v_cmp_lt_f32_e64 s0, v18, v19
	s_delay_alu instid0(VALU_DEP_1) | instskip(NEXT) | instid1(VALU_DEP_1)
	v_cndmask_b32_e64 v4, v18, v19, s0
	v_sub_f32_e32 v4, v9, v4
	s_delay_alu instid0(VALU_DEP_1) | instskip(SKIP_1) | instid1(VALU_DEP_2)
	v_mul_f32_e32 v5, 0x3fb8aa3b, v4
	v_cmp_ngt_f32_e64 s0, 0xc2ce8ed0, v4
	v_fma_f32 v9, 0x3fb8aa3b, v4, -v5
	v_rndne_f32_e32 v15, v5
	s_delay_alu instid0(VALU_DEP_2) | instskip(NEXT) | instid1(VALU_DEP_2)
	v_fmamk_f32 v9, v4, 0x32a5705f, v9
	v_sub_f32_e32 v5, v5, v15
	s_delay_alu instid0(VALU_DEP_1) | instskip(SKIP_1) | instid1(VALU_DEP_2)
	v_add_f32_e32 v5, v5, v9
	v_cvt_i32_f32_e32 v9, v15
	v_exp_f32_e32 v5, v5
	s_waitcnt_depctr 0xfff
	v_ldexp_f32 v5, v5, v9
	s_delay_alu instid0(VALU_DEP_1) | instskip(SKIP_1) | instid1(VALU_DEP_1)
	v_cndmask_b32_e64 v5, 0, v5, s0
	v_cmp_nlt_f32_e64 s0, 0x42b17218, v4
	v_cndmask_b32_e64 v4, 0x7f800000, v5, s0
	v_mov_b32_e32 v5, 0
	s_delay_alu instid0(VALU_DEP_2)
	v_mov_b32_e32 v15, v4
.LBB730_13:
	s_or_b32 exec_lo, exec_lo, s3
.LBB730_14:
	s_delay_alu instid0(SALU_CYCLE_1)
	s_or_b32 exec_lo, exec_lo, s1
	s_and_saveexec_b32 s1, s10
	s_cbranch_execz .LBB730_18
; %bb.15:
	s_and_b32 s0, s12, exec_lo
	s_cselect_b32 s0, 0, s6
	s_cselect_b32 s3, 0, 0
	v_add_co_u32 v2, s0, v2, s0
	s_delay_alu instid0(VALU_DEP_1) | instskip(SKIP_4) | instid1(VALU_DEP_1)
	v_add_co_ci_u32_e64 v3, s0, s3, v3, s0
	v_mov_b32_e32 v8, 0
	global_load_u8 v2, v[2:3], off
	s_waitcnt vmcnt(0)
	v_and_b32_e32 v2, 1, v2
	v_cmp_eq_u32_e64 s0, 1, v2
	s_delay_alu instid0(VALU_DEP_1) | instskip(NEXT) | instid1(SALU_CYCLE_1)
	s_xor_b32 s0, s0, -1
	s_and_saveexec_b32 s3, s0
	s_cbranch_execz .LBB730_17
; %bb.16:
	s_waitcnt lgkmcnt(0)
	v_cmp_lt_f32_e64 s0, v16, v17
	s_delay_alu instid0(VALU_DEP_1) | instskip(NEXT) | instid1(VALU_DEP_1)
	v_cndmask_b32_e64 v2, v16, v17, s0
	v_sub_f32_e32 v2, v7, v2
	s_delay_alu instid0(VALU_DEP_1) | instskip(SKIP_1) | instid1(VALU_DEP_2)
	v_mul_f32_e32 v3, 0x3fb8aa3b, v2
	v_cmp_ngt_f32_e64 s0, 0xc2ce8ed0, v2
	v_fma_f32 v7, 0x3fb8aa3b, v2, -v3
	v_rndne_f32_e32 v8, v3
	s_delay_alu instid0(VALU_DEP_2) | instskip(NEXT) | instid1(VALU_DEP_2)
	v_fmamk_f32 v7, v2, 0x32a5705f, v7
	v_sub_f32_e32 v3, v3, v8
	s_delay_alu instid0(VALU_DEP_1) | instskip(SKIP_1) | instid1(VALU_DEP_2)
	v_add_f32_e32 v3, v3, v7
	v_cvt_i32_f32_e32 v7, v8
	v_exp_f32_e32 v3, v3
	s_waitcnt_depctr 0xfff
	v_ldexp_f32 v3, v3, v7
	s_delay_alu instid0(VALU_DEP_1) | instskip(SKIP_1) | instid1(VALU_DEP_1)
	v_cndmask_b32_e64 v3, 0, v3, s0
	v_cmp_nlt_f32_e64 s0, 0x42b17218, v2
	v_cndmask_b32_e64 v8, 0x7f800000, v3, s0
	s_delay_alu instid0(VALU_DEP_1)
	v_add_f32_e32 v5, v5, v8
.LBB730_17:
	s_or_b32 exec_lo, exec_lo, s3
.LBB730_18:
	s_delay_alu instid0(SALU_CYCLE_1)
	s_or_b32 exec_lo, exec_lo, s1
	ds_bpermute_b32 v2, v10, v4
	ds_bpermute_b32 v3, v10, v5
	s_waitcnt lgkmcnt(0)
	v_dual_add_f32 v2, v4, v2 :: v_dual_add_f32 v3, v5, v3
	ds_bpermute_b32 v4, v11, v2
	ds_bpermute_b32 v5, v11, v3
	s_waitcnt lgkmcnt(0)
	v_dual_add_f32 v2, v2, v4 :: v_dual_add_f32 v3, v3, v5
	;; [unrolled: 4-line block ×3, first 2 shown]
	ds_bpermute_b32 v4, v13, v2
	ds_bpermute_b32 v5, v13, v3
	s_waitcnt lgkmcnt(1)
	v_add_f32_e32 v4, v2, v4
	s_waitcnt lgkmcnt(0)
	v_add_f32_e32 v2, v3, v5
	ds_bpermute_b32 v5, v14, v4
	ds_bpermute_b32 v3, v14, v2
	s_and_saveexec_b32 s0, vcc_lo
	s_cbranch_execz .LBB730_30
; %bb.19:
	v_add_co_u32 v0, vcc_lo, s8, v0
	v_add_co_ci_u32_e32 v1, vcc_lo, s9, v1, vcc_lo
	s_and_saveexec_b32 s0, s2
	s_cbranch_execz .LBB730_24
; %bb.20:
	s_waitcnt lgkmcnt(1)
	v_add_f32_e32 v4, v4, v5
	s_mov_b32 s1, exec_lo
	s_delay_alu instid0(VALU_DEP_1)
	v_cmpx_neq_f32_e32 0, v4
	s_xor_b32 s1, exec_lo, s1
	s_cbranch_execz .LBB730_22
; %bb.21:
	v_div_scale_f32 v5, null, v4, v4, v15
	s_delay_alu instid0(VALU_DEP_1) | instskip(SKIP_2) | instid1(VALU_DEP_1)
	v_rcp_f32_e32 v7, v5
	s_waitcnt_depctr 0xfff
	v_fma_f32 v9, -v5, v7, 1.0
	v_fmac_f32_e32 v7, v9, v7
	v_div_scale_f32 v9, vcc_lo, v15, v4, v15
	s_delay_alu instid0(VALU_DEP_1) | instskip(NEXT) | instid1(VALU_DEP_1)
	v_mul_f32_e32 v10, v9, v7
	v_fma_f32 v11, -v5, v10, v9
	s_delay_alu instid0(VALU_DEP_1) | instskip(NEXT) | instid1(VALU_DEP_1)
	v_fmac_f32_e32 v10, v11, v7
	v_fma_f32 v5, -v5, v10, v9
	s_delay_alu instid0(VALU_DEP_1) | instskip(NEXT) | instid1(VALU_DEP_1)
	v_div_fmas_f32 v5, v5, v7, v10
	v_div_fixup_f32 v4, v5, v4, v15
	s_delay_alu instid0(VALU_DEP_1)
	v_cvt_f16_f32_e32 v4, v4
	global_store_b16 v[0:1], v4, off
.LBB730_22:
	s_and_not1_saveexec_b32 s1, s1
	s_cbranch_execz .LBB730_24
; %bb.23:
	v_mov_b32_e32 v4, 0x7e00
	global_store_b16 v[0:1], v4, off
.LBB730_24:
	s_or_b32 exec_lo, exec_lo, s0
	v_cmp_ne_u32_e32 vcc_lo, 1, v6
	s_and_b32 exec_lo, exec_lo, vcc_lo
	s_cbranch_execz .LBB730_30
; %bb.25:
	s_and_b32 exec_lo, exec_lo, s2
	s_cbranch_execz .LBB730_30
; %bb.26:
	s_mov_b32 s7, 0
	s_waitcnt lgkmcnt(0)
	v_add_f32_e32 v2, v2, v3
	s_lshl_b64 s[0:1], s[6:7], 1
	s_delay_alu instid0(SALU_CYCLE_1) | instskip(NEXT) | instid1(VALU_DEP_1)
	v_add_co_u32 v0, s0, v0, s0
	v_add_co_ci_u32_e64 v1, s0, s1, v1, s0
	s_mov_b32 s0, exec_lo
	v_cmpx_neq_f32_e32 0, v2
	s_xor_b32 s0, exec_lo, s0
	s_cbranch_execz .LBB730_28
; %bb.27:
	v_div_scale_f32 v3, null, v2, v2, v8
	s_delay_alu instid0(VALU_DEP_1) | instskip(SKIP_2) | instid1(VALU_DEP_1)
	v_rcp_f32_e32 v4, v3
	s_waitcnt_depctr 0xfff
	v_fma_f32 v5, -v3, v4, 1.0
	v_fmac_f32_e32 v4, v5, v4
	v_div_scale_f32 v5, vcc_lo, v8, v2, v8
	s_delay_alu instid0(VALU_DEP_1) | instskip(NEXT) | instid1(VALU_DEP_1)
	v_mul_f32_e32 v6, v5, v4
	v_fma_f32 v7, -v3, v6, v5
	s_delay_alu instid0(VALU_DEP_1) | instskip(NEXT) | instid1(VALU_DEP_1)
	v_fmac_f32_e32 v6, v7, v4
	v_fma_f32 v3, -v3, v6, v5
	s_delay_alu instid0(VALU_DEP_1) | instskip(NEXT) | instid1(VALU_DEP_1)
	v_div_fmas_f32 v3, v3, v4, v6
	v_div_fixup_f32 v2, v3, v2, v8
	s_delay_alu instid0(VALU_DEP_1)
	v_cvt_f16_f32_e32 v2, v2
	global_store_b16 v[0:1], v2, off
                                        ; implicit-def: $vgpr0_vgpr1
.LBB730_28:
	s_and_not1_saveexec_b32 s0, s0
	s_cbranch_execz .LBB730_30
; %bb.29:
	v_mov_b32_e32 v2, 0x7e00
	global_store_b16 v[0:1], v2, off
.LBB730_30:
	s_nop 0
	s_sendmsg sendmsg(MSG_DEALLOC_VGPRS)
	s_endpgm
	.section	.rodata,"a",@progbits
	.p2align	6, 0x0
	.amdhsa_kernel _ZN12_GLOBAL__N_120softmax_warp_forwardIN3c104HalfES2_fLi5ELb0ELb1ELi64EEEvPT0_PKT_iiiPKbib
		.amdhsa_group_segment_fixed_size 0
		.amdhsa_private_segment_fixed_size 0
		.amdhsa_kernarg_size 304
		.amdhsa_user_sgpr_count 15
		.amdhsa_user_sgpr_dispatch_ptr 0
		.amdhsa_user_sgpr_queue_ptr 0
		.amdhsa_user_sgpr_kernarg_segment_ptr 1
		.amdhsa_user_sgpr_dispatch_id 0
		.amdhsa_user_sgpr_private_segment_size 0
		.amdhsa_wavefront_size32 1
		.amdhsa_uses_dynamic_stack 0
		.amdhsa_enable_private_segment 0
		.amdhsa_system_sgpr_workgroup_id_x 1
		.amdhsa_system_sgpr_workgroup_id_y 0
		.amdhsa_system_sgpr_workgroup_id_z 0
		.amdhsa_system_sgpr_workgroup_info 0
		.amdhsa_system_vgpr_workitem_id 1
		.amdhsa_next_free_vgpr 20
		.amdhsa_next_free_sgpr 16
		.amdhsa_reserve_vcc 1
		.amdhsa_float_round_mode_32 0
		.amdhsa_float_round_mode_16_64 0
		.amdhsa_float_denorm_mode_32 3
		.amdhsa_float_denorm_mode_16_64 3
		.amdhsa_dx10_clamp 1
		.amdhsa_ieee_mode 1
		.amdhsa_fp16_overflow 0
		.amdhsa_workgroup_processor_mode 1
		.amdhsa_memory_ordered 1
		.amdhsa_forward_progress 0
		.amdhsa_shared_vgpr_count 0
		.amdhsa_exception_fp_ieee_invalid_op 0
		.amdhsa_exception_fp_denorm_src 0
		.amdhsa_exception_fp_ieee_div_zero 0
		.amdhsa_exception_fp_ieee_overflow 0
		.amdhsa_exception_fp_ieee_underflow 0
		.amdhsa_exception_fp_ieee_inexact 0
		.amdhsa_exception_int_div_zero 0
	.end_amdhsa_kernel
	.section	.text._ZN12_GLOBAL__N_120softmax_warp_forwardIN3c104HalfES2_fLi5ELb0ELb1ELi64EEEvPT0_PKT_iiiPKbib,"axG",@progbits,_ZN12_GLOBAL__N_120softmax_warp_forwardIN3c104HalfES2_fLi5ELb0ELb1ELi64EEEvPT0_PKT_iiiPKbib,comdat
.Lfunc_end730:
	.size	_ZN12_GLOBAL__N_120softmax_warp_forwardIN3c104HalfES2_fLi5ELb0ELb1ELi64EEEvPT0_PKT_iiiPKbib, .Lfunc_end730-_ZN12_GLOBAL__N_120softmax_warp_forwardIN3c104HalfES2_fLi5ELb0ELb1ELi64EEEvPT0_PKT_iiiPKbib
                                        ; -- End function
	.section	.AMDGPU.csdata,"",@progbits
; Kernel info:
; codeLenInByte = 2140
; NumSgprs: 18
; NumVgprs: 20
; ScratchSize: 0
; MemoryBound: 0
; FloatMode: 240
; IeeeMode: 1
; LDSByteSize: 0 bytes/workgroup (compile time only)
; SGPRBlocks: 2
; VGPRBlocks: 2
; NumSGPRsForWavesPerEU: 18
; NumVGPRsForWavesPerEU: 20
; Occupancy: 16
; WaveLimiterHint : 0
; COMPUTE_PGM_RSRC2:SCRATCH_EN: 0
; COMPUTE_PGM_RSRC2:USER_SGPR: 15
; COMPUTE_PGM_RSRC2:TRAP_HANDLER: 0
; COMPUTE_PGM_RSRC2:TGID_X_EN: 1
; COMPUTE_PGM_RSRC2:TGID_Y_EN: 0
; COMPUTE_PGM_RSRC2:TGID_Z_EN: 0
; COMPUTE_PGM_RSRC2:TIDIG_COMP_CNT: 1
	.section	.text._ZN12_GLOBAL__N_120softmax_warp_forwardIN3c104HalfES2_fLi5ELb0ELb1ELi32EEEvPT0_PKT_iiiPKbib,"axG",@progbits,_ZN12_GLOBAL__N_120softmax_warp_forwardIN3c104HalfES2_fLi5ELb0ELb1ELi32EEEvPT0_PKT_iiiPKbib,comdat
	.globl	_ZN12_GLOBAL__N_120softmax_warp_forwardIN3c104HalfES2_fLi5ELb0ELb1ELi32EEEvPT0_PKT_iiiPKbib ; -- Begin function _ZN12_GLOBAL__N_120softmax_warp_forwardIN3c104HalfES2_fLi5ELb0ELb1ELi32EEEvPT0_PKT_iiiPKbib
	.p2align	8
	.type	_ZN12_GLOBAL__N_120softmax_warp_forwardIN3c104HalfES2_fLi5ELb0ELb1ELi32EEEvPT0_PKT_iiiPKbib,@function
_ZN12_GLOBAL__N_120softmax_warp_forwardIN3c104HalfES2_fLi5ELb0ELb1ELi32EEEvPT0_PKT_iiiPKbib: ; @_ZN12_GLOBAL__N_120softmax_warp_forwardIN3c104HalfES2_fLi5ELb0ELb1ELi32EEEvPT0_PKT_iiiPKbib
; %bb.0:
	s_clause 0x2
	s_load_b64 s[2:3], s[0:1], 0x28
	s_load_b32 s8, s[0:1], 0x3c
	s_load_b128 s[4:7], s[0:1], 0x10
	v_bfe_u32 v1, v0, 10, 10
	v_and_b32_e32 v4, 0x3ff, v0
	s_waitcnt lgkmcnt(0)
	s_bitcmp1_b32 s3, 0
	s_cselect_b32 s12, -1, 0
	s_lshr_b32 s7, s8, 16
	s_bitcmp0_b32 s3, 0
	s_mul_i32 s15, s15, s7
	s_delay_alu instid0(SALU_CYCLE_1) | instskip(NEXT) | instid1(VALU_DEP_1)
	v_add_lshl_u32 v5, s15, v1, 1
	v_mul_lo_u32 v6, v5, s5
	s_delay_alu instid0(VALU_DEP_1) | instskip(NEXT) | instid1(VALU_DEP_1)
	v_add_nc_u32_e32 v0, v6, v4
	v_ashrrev_i32_e32 v1, 31, v0
	s_delay_alu instid0(VALU_DEP_1)
	v_dual_mov_b32 v3, v1 :: v_dual_mov_b32 v2, v0
	s_cbranch_scc1 .LBB731_2
; %bb.1:
	s_abs_i32 s3, s2
	v_sub_nc_u32_e32 v7, 0, v6
	v_cvt_f32_u32_e32 v2, s3
	s_sub_i32 s7, 0, s3
	s_delay_alu instid0(VALU_DEP_2) | instskip(NEXT) | instid1(VALU_DEP_2)
	v_max_i32_e32 v7, v6, v7
	v_rcp_iflag_f32_e32 v2, v2
	v_xor_b32_e32 v6, s2, v6
	s_delay_alu instid0(VALU_DEP_1) | instskip(SKIP_2) | instid1(VALU_DEP_1)
	v_ashrrev_i32_e32 v6, 31, v6
	s_waitcnt_depctr 0xfff
	v_mul_f32_e32 v2, 0x4f7ffffe, v2
	v_cvt_u32_f32_e32 v2, v2
	s_delay_alu instid0(VALU_DEP_1) | instskip(NEXT) | instid1(VALU_DEP_1)
	v_mul_lo_u32 v3, s7, v2
	v_mul_hi_u32 v3, v2, v3
	s_delay_alu instid0(VALU_DEP_1) | instskip(NEXT) | instid1(VALU_DEP_1)
	v_add_nc_u32_e32 v2, v2, v3
	v_mul_hi_u32 v2, v7, v2
	s_delay_alu instid0(VALU_DEP_1) | instskip(NEXT) | instid1(VALU_DEP_1)
	v_mul_lo_u32 v3, v2, s3
	v_sub_nc_u32_e32 v3, v7, v3
	v_add_nc_u32_e32 v7, 1, v2
	s_delay_alu instid0(VALU_DEP_2) | instskip(SKIP_1) | instid1(VALU_DEP_2)
	v_subrev_nc_u32_e32 v8, s3, v3
	v_cmp_le_u32_e32 vcc_lo, s3, v3
	v_dual_cndmask_b32 v3, v3, v8 :: v_dual_cndmask_b32 v2, v2, v7
	s_delay_alu instid0(VALU_DEP_1) | instskip(NEXT) | instid1(VALU_DEP_2)
	v_cmp_le_u32_e32 vcc_lo, s3, v3
	v_add_nc_u32_e32 v7, 1, v2
	s_delay_alu instid0(VALU_DEP_1) | instskip(NEXT) | instid1(VALU_DEP_1)
	v_cndmask_b32_e32 v2, v2, v7, vcc_lo
	v_xor_b32_e32 v2, v2, v6
	s_delay_alu instid0(VALU_DEP_1) | instskip(NEXT) | instid1(VALU_DEP_1)
	v_sub_nc_u32_e32 v6, v2, v6
	v_mad_u64_u32 v[2:3], null, v6, s5, v[4:5]
	s_delay_alu instid0(VALU_DEP_1)
	v_ashrrev_i32_e32 v3, 31, v2
.LBB731_2:
	s_load_b128 s[8:11], s[0:1], 0x0
	v_lshlrev_b64 v[0:1], 1, v[0:1]
	v_sub_nc_u32_e32 v6, s4, v5
	v_cmp_gt_i32_e64 s2, s6, v4
	v_mov_b32_e32 v7, 0xff800000
	v_mov_b32_e32 v9, 0xff800000
	s_delay_alu instid0(VALU_DEP_4) | instskip(SKIP_2) | instid1(VALU_DEP_1)
	v_cmp_lt_i32_e32 vcc_lo, 0, v6
	s_waitcnt lgkmcnt(0)
	v_add_co_u32 v4, s3, s10, v0
	v_add_co_ci_u32_e64 v5, s3, s11, v1, s3
	s_and_b32 s11, s2, vcc_lo
	s_delay_alu instid0(SALU_CYCLE_1)
	s_and_saveexec_b32 s3, s11
	s_cbranch_execz .LBB731_4
; %bb.3:
	global_load_u16 v8, v[4:5], off
	s_waitcnt vmcnt(0)
	v_cvt_f32_f16_e32 v9, v8
.LBB731_4:
	s_or_b32 exec_lo, exec_lo, s3
	v_cmp_lt_i32_e64 s3, 1, v6
	s_delay_alu instid0(VALU_DEP_1) | instskip(NEXT) | instid1(SALU_CYCLE_1)
	s_and_b32 s10, s2, s3
	s_and_saveexec_b32 s4, s10
	s_cbranch_execz .LBB731_6
; %bb.5:
	s_mov_b32 s7, 0
	s_delay_alu instid0(SALU_CYCLE_1) | instskip(NEXT) | instid1(SALU_CYCLE_1)
	s_lshl_b64 s[14:15], s[6:7], 1
	v_add_co_u32 v4, s3, v4, s14
	s_delay_alu instid0(VALU_DEP_1)
	v_add_co_ci_u32_e64 v5, s3, s15, v5, s3
	global_load_u16 v4, v[4:5], off
	s_waitcnt vmcnt(0)
	v_cvt_f32_f16_e32 v7, v4
.LBB731_6:
	s_or_b32 exec_lo, exec_lo, s4
	s_load_b64 s[0:1], s[0:1], 0x20
	v_mov_b32_e32 v4, 0xff800000
	s_waitcnt lgkmcnt(0)
	v_add_co_u32 v2, s0, s0, v2
	s_delay_alu instid0(VALU_DEP_1)
	v_add_co_ci_u32_e64 v3, s0, s1, v3, s0
	s_and_saveexec_b32 s1, s11
	s_cbranch_execz .LBB731_8
; %bb.7:
	global_load_u8 v4, v[2:3], off
	s_waitcnt vmcnt(0)
	v_and_b32_e32 v4, 1, v4
	s_delay_alu instid0(VALU_DEP_1) | instskip(NEXT) | instid1(VALU_DEP_1)
	v_cmp_eq_u32_e64 s0, 1, v4
	v_cndmask_b32_e64 v4, v9, 0xff800000, s0
.LBB731_8:
	s_or_b32 exec_lo, exec_lo, s1
	s_mov_b32 s4, 0
	s_mov_b32 s1, 0
	s_and_saveexec_b32 s3, s10
	s_cbranch_execz .LBB731_10
; %bb.9:
	s_and_b32 s0, s12, exec_lo
	s_cselect_b32 s0, 0, s6
	s_cselect_b32 s1, 0, 0
	v_add_co_u32 v10, s0, v2, s0
	s_delay_alu instid0(VALU_DEP_1) | instskip(SKIP_3) | instid1(VALU_DEP_1)
	v_add_co_ci_u32_e64 v11, s0, s1, v3, s0
	global_load_u8 v5, v[10:11], off
	s_waitcnt vmcnt(0)
	v_and_b32_e32 v5, 1, v5
	v_cmp_eq_u32_e64 s0, 1, v5
	s_delay_alu instid0(VALU_DEP_1) | instskip(NEXT) | instid1(SALU_CYCLE_1)
	s_xor_b32 s0, s0, -1
	s_and_b32 s1, s0, exec_lo
.LBB731_10:
	s_or_b32 exec_lo, exec_lo, s3
	v_mbcnt_lo_u32_b32 v5, -1, 0
	v_cndmask_b32_e64 v4, v4, v4, s1
	s_mov_b32 s5, s4
	s_delay_alu instid0(VALU_DEP_2) | instskip(SKIP_1) | instid1(VALU_DEP_2)
	v_xor_b32_e32 v8, 16, v5
	v_xor_b32_e32 v11, 8, v5
	v_cmp_gt_i32_e64 s0, 32, v8
	s_delay_alu instid0(VALU_DEP_1) | instskip(NEXT) | instid1(VALU_DEP_3)
	v_cndmask_b32_e64 v8, v5, v8, s0
	v_cmp_gt_i32_e64 s0, 32, v11
	s_delay_alu instid0(VALU_DEP_2) | instskip(SKIP_1) | instid1(VALU_DEP_3)
	v_lshlrev_b32_e32 v10, 2, v8
	v_cndmask_b32_e64 v8, 0xff800000, v7, s1
	v_cndmask_b32_e64 v11, v5, v11, s0
	ds_bpermute_b32 v12, v10, v4
	ds_bpermute_b32 v13, v10, v8
	v_lshlrev_b32_e32 v11, 2, v11
	s_waitcnt lgkmcnt(1)
	v_cmp_lt_f32_e64 s0, v4, v12
	s_delay_alu instid0(VALU_DEP_1) | instskip(SKIP_3) | instid1(VALU_DEP_2)
	v_cndmask_b32_e64 v4, v4, v12, s0
	s_waitcnt lgkmcnt(0)
	v_cmp_lt_f32_e64 s0, v8, v13
	v_xor_b32_e32 v12, 4, v5
	v_cndmask_b32_e64 v8, v8, v13, s0
	ds_bpermute_b32 v13, v11, v4
	v_cmp_gt_i32_e64 s0, 32, v12
	ds_bpermute_b32 v14, v11, v8
	v_cndmask_b32_e64 v12, v5, v12, s0
	s_delay_alu instid0(VALU_DEP_1) | instskip(SKIP_2) | instid1(VALU_DEP_1)
	v_lshlrev_b32_e32 v12, 2, v12
	s_waitcnt lgkmcnt(1)
	v_cmp_lt_f32_e64 s0, v4, v13
	v_cndmask_b32_e64 v4, v4, v13, s0
	s_waitcnt lgkmcnt(0)
	v_cmp_lt_f32_e64 s0, v8, v14
	v_xor_b32_e32 v13, 2, v5
	s_delay_alu instid0(VALU_DEP_2) | instskip(SKIP_4) | instid1(VALU_DEP_1)
	v_cndmask_b32_e64 v8, v8, v14, s0
	ds_bpermute_b32 v14, v12, v4
	v_cmp_gt_i32_e64 s0, 32, v13
	ds_bpermute_b32 v15, v12, v8
	v_cndmask_b32_e64 v13, v5, v13, s0
	v_lshlrev_b32_e32 v13, 2, v13
	s_waitcnt lgkmcnt(1)
	v_cmp_lt_f32_e64 s0, v4, v14
	s_delay_alu instid0(VALU_DEP_1) | instskip(SKIP_3) | instid1(VALU_DEP_2)
	v_cndmask_b32_e64 v4, v4, v14, s0
	s_waitcnt lgkmcnt(0)
	v_cmp_lt_f32_e64 s0, v8, v15
	v_xor_b32_e32 v14, 1, v5
	v_cndmask_b32_e64 v8, v8, v15, s0
	ds_bpermute_b32 v15, v13, v4
	v_cmp_gt_i32_e64 s0, 32, v14
	s_delay_alu instid0(VALU_DEP_1) | instskip(NEXT) | instid1(VALU_DEP_1)
	v_cndmask_b32_e64 v5, v5, v14, s0
	v_lshlrev_b32_e32 v14, 2, v5
	s_waitcnt lgkmcnt(0)
	v_cmp_lt_f32_e64 s0, v4, v15
	s_delay_alu instid0(VALU_DEP_1)
	v_cndmask_b32_e64 v18, v4, v15, s0
	v_mov_b32_e32 v4, s4
	ds_bpermute_b32 v16, v13, v8
	v_mov_b32_e32 v5, s5
	v_mov_b32_e32 v15, 0
	ds_bpermute_b32 v19, v14, v18
	s_waitcnt lgkmcnt(1)
	v_cmp_lt_f32_e64 s0, v8, v16
	s_delay_alu instid0(VALU_DEP_1)
	v_cndmask_b32_e64 v16, v8, v16, s0
	v_mov_b32_e32 v8, 0
	ds_bpermute_b32 v17, v14, v16
	s_and_saveexec_b32 s1, s11
	s_cbranch_execz .LBB731_14
; %bb.11:
	global_load_u8 v4, v[2:3], off
	s_mov_b32 s5, s4
	s_waitcnt vmcnt(0)
	v_dual_mov_b32 v15, 0 :: v_dual_and_b32 v4, 1, v4
	s_delay_alu instid0(VALU_DEP_1) | instskip(SKIP_1) | instid1(VALU_DEP_2)
	v_cmp_eq_u32_e64 s0, 1, v4
	v_dual_mov_b32 v4, s4 :: v_dual_mov_b32 v5, s5
	s_xor_b32 s0, s0, -1
	s_delay_alu instid0(SALU_CYCLE_1)
	s_and_saveexec_b32 s3, s0
	s_cbranch_execz .LBB731_13
; %bb.12:
	s_waitcnt lgkmcnt(1)
	v_cmp_lt_f32_e64 s0, v18, v19
	s_delay_alu instid0(VALU_DEP_1) | instskip(NEXT) | instid1(VALU_DEP_1)
	v_cndmask_b32_e64 v4, v18, v19, s0
	v_sub_f32_e32 v4, v9, v4
	s_delay_alu instid0(VALU_DEP_1) | instskip(SKIP_1) | instid1(VALU_DEP_2)
	v_mul_f32_e32 v5, 0x3fb8aa3b, v4
	v_cmp_ngt_f32_e64 s0, 0xc2ce8ed0, v4
	v_fma_f32 v9, 0x3fb8aa3b, v4, -v5
	v_rndne_f32_e32 v15, v5
	s_delay_alu instid0(VALU_DEP_2) | instskip(NEXT) | instid1(VALU_DEP_2)
	v_fmamk_f32 v9, v4, 0x32a5705f, v9
	v_sub_f32_e32 v5, v5, v15
	s_delay_alu instid0(VALU_DEP_1) | instskip(SKIP_1) | instid1(VALU_DEP_2)
	v_add_f32_e32 v5, v5, v9
	v_cvt_i32_f32_e32 v9, v15
	v_exp_f32_e32 v5, v5
	s_waitcnt_depctr 0xfff
	v_ldexp_f32 v5, v5, v9
	s_delay_alu instid0(VALU_DEP_1) | instskip(SKIP_1) | instid1(VALU_DEP_1)
	v_cndmask_b32_e64 v5, 0, v5, s0
	v_cmp_nlt_f32_e64 s0, 0x42b17218, v4
	v_cndmask_b32_e64 v4, 0x7f800000, v5, s0
	v_mov_b32_e32 v5, 0
	s_delay_alu instid0(VALU_DEP_2)
	v_mov_b32_e32 v15, v4
.LBB731_13:
	s_or_b32 exec_lo, exec_lo, s3
.LBB731_14:
	s_delay_alu instid0(SALU_CYCLE_1)
	s_or_b32 exec_lo, exec_lo, s1
	s_and_saveexec_b32 s1, s10
	s_cbranch_execz .LBB731_18
; %bb.15:
	s_and_b32 s0, s12, exec_lo
	s_cselect_b32 s0, 0, s6
	s_cselect_b32 s3, 0, 0
	v_add_co_u32 v2, s0, v2, s0
	s_delay_alu instid0(VALU_DEP_1) | instskip(SKIP_4) | instid1(VALU_DEP_1)
	v_add_co_ci_u32_e64 v3, s0, s3, v3, s0
	v_mov_b32_e32 v8, 0
	global_load_u8 v2, v[2:3], off
	s_waitcnt vmcnt(0)
	v_and_b32_e32 v2, 1, v2
	v_cmp_eq_u32_e64 s0, 1, v2
	s_delay_alu instid0(VALU_DEP_1) | instskip(NEXT) | instid1(SALU_CYCLE_1)
	s_xor_b32 s0, s0, -1
	s_and_saveexec_b32 s3, s0
	s_cbranch_execz .LBB731_17
; %bb.16:
	s_waitcnt lgkmcnt(0)
	v_cmp_lt_f32_e64 s0, v16, v17
	s_delay_alu instid0(VALU_DEP_1) | instskip(NEXT) | instid1(VALU_DEP_1)
	v_cndmask_b32_e64 v2, v16, v17, s0
	v_sub_f32_e32 v2, v7, v2
	s_delay_alu instid0(VALU_DEP_1) | instskip(SKIP_1) | instid1(VALU_DEP_2)
	v_mul_f32_e32 v3, 0x3fb8aa3b, v2
	v_cmp_ngt_f32_e64 s0, 0xc2ce8ed0, v2
	v_fma_f32 v7, 0x3fb8aa3b, v2, -v3
	v_rndne_f32_e32 v8, v3
	s_delay_alu instid0(VALU_DEP_2) | instskip(NEXT) | instid1(VALU_DEP_2)
	v_fmamk_f32 v7, v2, 0x32a5705f, v7
	v_sub_f32_e32 v3, v3, v8
	s_delay_alu instid0(VALU_DEP_1) | instskip(SKIP_1) | instid1(VALU_DEP_2)
	v_add_f32_e32 v3, v3, v7
	v_cvt_i32_f32_e32 v7, v8
	v_exp_f32_e32 v3, v3
	s_waitcnt_depctr 0xfff
	v_ldexp_f32 v3, v3, v7
	s_delay_alu instid0(VALU_DEP_1) | instskip(SKIP_1) | instid1(VALU_DEP_1)
	v_cndmask_b32_e64 v3, 0, v3, s0
	v_cmp_nlt_f32_e64 s0, 0x42b17218, v2
	v_cndmask_b32_e64 v8, 0x7f800000, v3, s0
	s_delay_alu instid0(VALU_DEP_1)
	v_add_f32_e32 v5, v5, v8
.LBB731_17:
	s_or_b32 exec_lo, exec_lo, s3
.LBB731_18:
	s_delay_alu instid0(SALU_CYCLE_1)
	s_or_b32 exec_lo, exec_lo, s1
	ds_bpermute_b32 v2, v10, v4
	ds_bpermute_b32 v3, v10, v5
	s_waitcnt lgkmcnt(0)
	v_dual_add_f32 v2, v4, v2 :: v_dual_add_f32 v3, v5, v3
	ds_bpermute_b32 v4, v11, v2
	ds_bpermute_b32 v5, v11, v3
	s_waitcnt lgkmcnt(0)
	v_dual_add_f32 v2, v2, v4 :: v_dual_add_f32 v3, v3, v5
	;; [unrolled: 4-line block ×3, first 2 shown]
	ds_bpermute_b32 v4, v13, v2
	ds_bpermute_b32 v5, v13, v3
	s_waitcnt lgkmcnt(1)
	v_add_f32_e32 v4, v2, v4
	s_waitcnt lgkmcnt(0)
	v_add_f32_e32 v2, v3, v5
	ds_bpermute_b32 v5, v14, v4
	ds_bpermute_b32 v3, v14, v2
	s_and_saveexec_b32 s0, vcc_lo
	s_cbranch_execz .LBB731_30
; %bb.19:
	v_add_co_u32 v0, vcc_lo, s8, v0
	v_add_co_ci_u32_e32 v1, vcc_lo, s9, v1, vcc_lo
	s_and_saveexec_b32 s0, s2
	s_cbranch_execz .LBB731_24
; %bb.20:
	s_waitcnt lgkmcnt(1)
	v_add_f32_e32 v4, v4, v5
	s_mov_b32 s1, exec_lo
	s_delay_alu instid0(VALU_DEP_1)
	v_cmpx_neq_f32_e32 0, v4
	s_xor_b32 s1, exec_lo, s1
	s_cbranch_execz .LBB731_22
; %bb.21:
	v_div_scale_f32 v5, null, v4, v4, v15
	s_delay_alu instid0(VALU_DEP_1) | instskip(SKIP_2) | instid1(VALU_DEP_1)
	v_rcp_f32_e32 v7, v5
	s_waitcnt_depctr 0xfff
	v_fma_f32 v9, -v5, v7, 1.0
	v_fmac_f32_e32 v7, v9, v7
	v_div_scale_f32 v9, vcc_lo, v15, v4, v15
	s_delay_alu instid0(VALU_DEP_1) | instskip(NEXT) | instid1(VALU_DEP_1)
	v_mul_f32_e32 v10, v9, v7
	v_fma_f32 v11, -v5, v10, v9
	s_delay_alu instid0(VALU_DEP_1) | instskip(NEXT) | instid1(VALU_DEP_1)
	v_fmac_f32_e32 v10, v11, v7
	v_fma_f32 v5, -v5, v10, v9
	s_delay_alu instid0(VALU_DEP_1) | instskip(NEXT) | instid1(VALU_DEP_1)
	v_div_fmas_f32 v5, v5, v7, v10
	v_div_fixup_f32 v4, v5, v4, v15
	s_delay_alu instid0(VALU_DEP_1)
	v_cvt_f16_f32_e32 v4, v4
	global_store_b16 v[0:1], v4, off
.LBB731_22:
	s_and_not1_saveexec_b32 s1, s1
	s_cbranch_execz .LBB731_24
; %bb.23:
	v_mov_b32_e32 v4, 0x7e00
	global_store_b16 v[0:1], v4, off
.LBB731_24:
	s_or_b32 exec_lo, exec_lo, s0
	v_cmp_ne_u32_e32 vcc_lo, 1, v6
	s_and_b32 exec_lo, exec_lo, vcc_lo
	s_cbranch_execz .LBB731_30
; %bb.25:
	s_and_b32 exec_lo, exec_lo, s2
	s_cbranch_execz .LBB731_30
; %bb.26:
	s_mov_b32 s7, 0
	s_waitcnt lgkmcnt(0)
	v_add_f32_e32 v2, v2, v3
	s_lshl_b64 s[0:1], s[6:7], 1
	s_delay_alu instid0(SALU_CYCLE_1) | instskip(NEXT) | instid1(VALU_DEP_1)
	v_add_co_u32 v0, s0, v0, s0
	v_add_co_ci_u32_e64 v1, s0, s1, v1, s0
	s_mov_b32 s0, exec_lo
	v_cmpx_neq_f32_e32 0, v2
	s_xor_b32 s0, exec_lo, s0
	s_cbranch_execz .LBB731_28
; %bb.27:
	v_div_scale_f32 v3, null, v2, v2, v8
	s_delay_alu instid0(VALU_DEP_1) | instskip(SKIP_2) | instid1(VALU_DEP_1)
	v_rcp_f32_e32 v4, v3
	s_waitcnt_depctr 0xfff
	v_fma_f32 v5, -v3, v4, 1.0
	v_fmac_f32_e32 v4, v5, v4
	v_div_scale_f32 v5, vcc_lo, v8, v2, v8
	s_delay_alu instid0(VALU_DEP_1) | instskip(NEXT) | instid1(VALU_DEP_1)
	v_mul_f32_e32 v6, v5, v4
	v_fma_f32 v7, -v3, v6, v5
	s_delay_alu instid0(VALU_DEP_1) | instskip(NEXT) | instid1(VALU_DEP_1)
	v_fmac_f32_e32 v6, v7, v4
	v_fma_f32 v3, -v3, v6, v5
	s_delay_alu instid0(VALU_DEP_1) | instskip(NEXT) | instid1(VALU_DEP_1)
	v_div_fmas_f32 v3, v3, v4, v6
	v_div_fixup_f32 v2, v3, v2, v8
	s_delay_alu instid0(VALU_DEP_1)
	v_cvt_f16_f32_e32 v2, v2
	global_store_b16 v[0:1], v2, off
                                        ; implicit-def: $vgpr0_vgpr1
.LBB731_28:
	s_and_not1_saveexec_b32 s0, s0
	s_cbranch_execz .LBB731_30
; %bb.29:
	v_mov_b32_e32 v2, 0x7e00
	global_store_b16 v[0:1], v2, off
.LBB731_30:
	s_nop 0
	s_sendmsg sendmsg(MSG_DEALLOC_VGPRS)
	s_endpgm
	.section	.rodata,"a",@progbits
	.p2align	6, 0x0
	.amdhsa_kernel _ZN12_GLOBAL__N_120softmax_warp_forwardIN3c104HalfES2_fLi5ELb0ELb1ELi32EEEvPT0_PKT_iiiPKbib
		.amdhsa_group_segment_fixed_size 0
		.amdhsa_private_segment_fixed_size 0
		.amdhsa_kernarg_size 304
		.amdhsa_user_sgpr_count 15
		.amdhsa_user_sgpr_dispatch_ptr 0
		.amdhsa_user_sgpr_queue_ptr 0
		.amdhsa_user_sgpr_kernarg_segment_ptr 1
		.amdhsa_user_sgpr_dispatch_id 0
		.amdhsa_user_sgpr_private_segment_size 0
		.amdhsa_wavefront_size32 1
		.amdhsa_uses_dynamic_stack 0
		.amdhsa_enable_private_segment 0
		.amdhsa_system_sgpr_workgroup_id_x 1
		.amdhsa_system_sgpr_workgroup_id_y 0
		.amdhsa_system_sgpr_workgroup_id_z 0
		.amdhsa_system_sgpr_workgroup_info 0
		.amdhsa_system_vgpr_workitem_id 1
		.amdhsa_next_free_vgpr 20
		.amdhsa_next_free_sgpr 16
		.amdhsa_reserve_vcc 1
		.amdhsa_float_round_mode_32 0
		.amdhsa_float_round_mode_16_64 0
		.amdhsa_float_denorm_mode_32 3
		.amdhsa_float_denorm_mode_16_64 3
		.amdhsa_dx10_clamp 1
		.amdhsa_ieee_mode 1
		.amdhsa_fp16_overflow 0
		.amdhsa_workgroup_processor_mode 1
		.amdhsa_memory_ordered 1
		.amdhsa_forward_progress 0
		.amdhsa_shared_vgpr_count 0
		.amdhsa_exception_fp_ieee_invalid_op 0
		.amdhsa_exception_fp_denorm_src 0
		.amdhsa_exception_fp_ieee_div_zero 0
		.amdhsa_exception_fp_ieee_overflow 0
		.amdhsa_exception_fp_ieee_underflow 0
		.amdhsa_exception_fp_ieee_inexact 0
		.amdhsa_exception_int_div_zero 0
	.end_amdhsa_kernel
	.section	.text._ZN12_GLOBAL__N_120softmax_warp_forwardIN3c104HalfES2_fLi5ELb0ELb1ELi32EEEvPT0_PKT_iiiPKbib,"axG",@progbits,_ZN12_GLOBAL__N_120softmax_warp_forwardIN3c104HalfES2_fLi5ELb0ELb1ELi32EEEvPT0_PKT_iiiPKbib,comdat
.Lfunc_end731:
	.size	_ZN12_GLOBAL__N_120softmax_warp_forwardIN3c104HalfES2_fLi5ELb0ELb1ELi32EEEvPT0_PKT_iiiPKbib, .Lfunc_end731-_ZN12_GLOBAL__N_120softmax_warp_forwardIN3c104HalfES2_fLi5ELb0ELb1ELi32EEEvPT0_PKT_iiiPKbib
                                        ; -- End function
	.section	.AMDGPU.csdata,"",@progbits
; Kernel info:
; codeLenInByte = 2140
; NumSgprs: 18
; NumVgprs: 20
; ScratchSize: 0
; MemoryBound: 0
; FloatMode: 240
; IeeeMode: 1
; LDSByteSize: 0 bytes/workgroup (compile time only)
; SGPRBlocks: 2
; VGPRBlocks: 2
; NumSGPRsForWavesPerEU: 18
; NumVGPRsForWavesPerEU: 20
; Occupancy: 16
; WaveLimiterHint : 0
; COMPUTE_PGM_RSRC2:SCRATCH_EN: 0
; COMPUTE_PGM_RSRC2:USER_SGPR: 15
; COMPUTE_PGM_RSRC2:TRAP_HANDLER: 0
; COMPUTE_PGM_RSRC2:TGID_X_EN: 1
; COMPUTE_PGM_RSRC2:TGID_Y_EN: 0
; COMPUTE_PGM_RSRC2:TGID_Z_EN: 0
; COMPUTE_PGM_RSRC2:TIDIG_COMP_CNT: 1
	.section	.text._ZN12_GLOBAL__N_120softmax_warp_forwardIN3c104HalfES2_fLi6ELb0ELb1ELi64EEEvPT0_PKT_iiiPKbib,"axG",@progbits,_ZN12_GLOBAL__N_120softmax_warp_forwardIN3c104HalfES2_fLi6ELb0ELb1ELi64EEEvPT0_PKT_iiiPKbib,comdat
	.globl	_ZN12_GLOBAL__N_120softmax_warp_forwardIN3c104HalfES2_fLi6ELb0ELb1ELi64EEEvPT0_PKT_iiiPKbib ; -- Begin function _ZN12_GLOBAL__N_120softmax_warp_forwardIN3c104HalfES2_fLi6ELb0ELb1ELi64EEEvPT0_PKT_iiiPKbib
	.p2align	8
	.type	_ZN12_GLOBAL__N_120softmax_warp_forwardIN3c104HalfES2_fLi6ELb0ELb1ELi64EEEvPT0_PKT_iiiPKbib,@function
_ZN12_GLOBAL__N_120softmax_warp_forwardIN3c104HalfES2_fLi6ELb0ELb1ELi64EEEvPT0_PKT_iiiPKbib: ; @_ZN12_GLOBAL__N_120softmax_warp_forwardIN3c104HalfES2_fLi6ELb0ELb1ELi64EEEvPT0_PKT_iiiPKbib
; %bb.0:
	s_clause 0x2
	s_load_b64 s[2:3], s[0:1], 0x28
	s_load_b32 s8, s[0:1], 0x3c
	s_load_b128 s[4:7], s[0:1], 0x10
	v_bfe_u32 v1, v0, 10, 10
	v_and_b32_e32 v4, 0x3ff, v0
	s_waitcnt lgkmcnt(0)
	s_bitcmp1_b32 s3, 0
	s_cselect_b32 s12, -1, 0
	s_lshr_b32 s7, s8, 16
	s_bitcmp0_b32 s3, 0
	s_mul_i32 s15, s15, s7
	s_delay_alu instid0(SALU_CYCLE_1) | instskip(NEXT) | instid1(VALU_DEP_1)
	v_add_lshl_u32 v5, s15, v1, 1
	v_mul_lo_u32 v6, v5, s5
	s_delay_alu instid0(VALU_DEP_1) | instskip(NEXT) | instid1(VALU_DEP_1)
	v_add_nc_u32_e32 v0, v6, v4
	v_ashrrev_i32_e32 v1, 31, v0
	s_delay_alu instid0(VALU_DEP_1)
	v_dual_mov_b32 v3, v1 :: v_dual_mov_b32 v2, v0
	s_cbranch_scc1 .LBB732_2
; %bb.1:
	s_abs_i32 s3, s2
	v_sub_nc_u32_e32 v7, 0, v6
	v_cvt_f32_u32_e32 v2, s3
	s_sub_i32 s7, 0, s3
	s_delay_alu instid0(VALU_DEP_2) | instskip(NEXT) | instid1(VALU_DEP_2)
	v_max_i32_e32 v7, v6, v7
	v_rcp_iflag_f32_e32 v2, v2
	v_xor_b32_e32 v6, s2, v6
	s_delay_alu instid0(VALU_DEP_1) | instskip(SKIP_2) | instid1(VALU_DEP_1)
	v_ashrrev_i32_e32 v6, 31, v6
	s_waitcnt_depctr 0xfff
	v_mul_f32_e32 v2, 0x4f7ffffe, v2
	v_cvt_u32_f32_e32 v2, v2
	s_delay_alu instid0(VALU_DEP_1) | instskip(NEXT) | instid1(VALU_DEP_1)
	v_mul_lo_u32 v3, s7, v2
	v_mul_hi_u32 v3, v2, v3
	s_delay_alu instid0(VALU_DEP_1) | instskip(NEXT) | instid1(VALU_DEP_1)
	v_add_nc_u32_e32 v2, v2, v3
	v_mul_hi_u32 v2, v7, v2
	s_delay_alu instid0(VALU_DEP_1) | instskip(NEXT) | instid1(VALU_DEP_1)
	v_mul_lo_u32 v3, v2, s3
	v_sub_nc_u32_e32 v3, v7, v3
	v_add_nc_u32_e32 v7, 1, v2
	s_delay_alu instid0(VALU_DEP_2) | instskip(SKIP_1) | instid1(VALU_DEP_2)
	v_subrev_nc_u32_e32 v8, s3, v3
	v_cmp_le_u32_e32 vcc_lo, s3, v3
	v_dual_cndmask_b32 v3, v3, v8 :: v_dual_cndmask_b32 v2, v2, v7
	s_delay_alu instid0(VALU_DEP_1) | instskip(NEXT) | instid1(VALU_DEP_2)
	v_cmp_le_u32_e32 vcc_lo, s3, v3
	v_add_nc_u32_e32 v7, 1, v2
	s_delay_alu instid0(VALU_DEP_1) | instskip(NEXT) | instid1(VALU_DEP_1)
	v_cndmask_b32_e32 v2, v2, v7, vcc_lo
	v_xor_b32_e32 v2, v2, v6
	s_delay_alu instid0(VALU_DEP_1) | instskip(NEXT) | instid1(VALU_DEP_1)
	v_sub_nc_u32_e32 v6, v2, v6
	v_mad_u64_u32 v[2:3], null, v6, s5, v[4:5]
	s_delay_alu instid0(VALU_DEP_1)
	v_ashrrev_i32_e32 v3, 31, v2
.LBB732_2:
	s_load_b128 s[8:11], s[0:1], 0x0
	v_lshlrev_b64 v[0:1], 1, v[0:1]
	v_sub_nc_u32_e32 v6, s4, v5
	v_cmp_gt_i32_e64 s2, s6, v4
	v_mov_b32_e32 v7, 0xff800000
	v_mov_b32_e32 v9, 0xff800000
	s_delay_alu instid0(VALU_DEP_4) | instskip(SKIP_2) | instid1(VALU_DEP_1)
	v_cmp_lt_i32_e32 vcc_lo, 0, v6
	s_waitcnt lgkmcnt(0)
	v_add_co_u32 v4, s3, s10, v0
	v_add_co_ci_u32_e64 v5, s3, s11, v1, s3
	s_and_b32 s11, s2, vcc_lo
	s_delay_alu instid0(SALU_CYCLE_1)
	s_and_saveexec_b32 s3, s11
	s_cbranch_execz .LBB732_4
; %bb.3:
	global_load_u16 v8, v[4:5], off
	s_waitcnt vmcnt(0)
	v_cvt_f32_f16_e32 v9, v8
.LBB732_4:
	s_or_b32 exec_lo, exec_lo, s3
	v_cmp_lt_i32_e64 s3, 1, v6
	s_delay_alu instid0(VALU_DEP_1) | instskip(NEXT) | instid1(SALU_CYCLE_1)
	s_and_b32 s10, s2, s3
	s_and_saveexec_b32 s4, s10
	s_cbranch_execz .LBB732_6
; %bb.5:
	s_mov_b32 s7, 0
	s_delay_alu instid0(SALU_CYCLE_1) | instskip(NEXT) | instid1(SALU_CYCLE_1)
	s_lshl_b64 s[14:15], s[6:7], 1
	v_add_co_u32 v4, s3, v4, s14
	s_delay_alu instid0(VALU_DEP_1)
	v_add_co_ci_u32_e64 v5, s3, s15, v5, s3
	global_load_u16 v4, v[4:5], off
	s_waitcnt vmcnt(0)
	v_cvt_f32_f16_e32 v7, v4
.LBB732_6:
	s_or_b32 exec_lo, exec_lo, s4
	s_load_b64 s[0:1], s[0:1], 0x20
	v_mov_b32_e32 v4, 0xff800000
	s_waitcnt lgkmcnt(0)
	v_add_co_u32 v2, s0, s0, v2
	s_delay_alu instid0(VALU_DEP_1)
	v_add_co_ci_u32_e64 v3, s0, s1, v3, s0
	s_and_saveexec_b32 s1, s11
	s_cbranch_execz .LBB732_8
; %bb.7:
	global_load_u8 v4, v[2:3], off
	s_waitcnt vmcnt(0)
	v_and_b32_e32 v4, 1, v4
	s_delay_alu instid0(VALU_DEP_1) | instskip(NEXT) | instid1(VALU_DEP_1)
	v_cmp_eq_u32_e64 s0, 1, v4
	v_cndmask_b32_e64 v4, v9, 0xff800000, s0
.LBB732_8:
	s_or_b32 exec_lo, exec_lo, s1
	s_mov_b32 s4, 0
	s_mov_b32 s1, 0
	s_and_saveexec_b32 s3, s10
	s_cbranch_execz .LBB732_10
; %bb.9:
	s_and_b32 s0, s12, exec_lo
	s_cselect_b32 s0, 0, s6
	s_cselect_b32 s1, 0, 0
	v_add_co_u32 v10, s0, v2, s0
	s_delay_alu instid0(VALU_DEP_1) | instskip(SKIP_3) | instid1(VALU_DEP_1)
	v_add_co_ci_u32_e64 v11, s0, s1, v3, s0
	global_load_u8 v5, v[10:11], off
	s_waitcnt vmcnt(0)
	v_and_b32_e32 v5, 1, v5
	v_cmp_eq_u32_e64 s0, 1, v5
	s_delay_alu instid0(VALU_DEP_1) | instskip(NEXT) | instid1(SALU_CYCLE_1)
	s_xor_b32 s0, s0, -1
	s_and_b32 s1, s0, exec_lo
.LBB732_10:
	s_or_b32 exec_lo, exec_lo, s3
	v_mbcnt_lo_u32_b32 v5, -1, 0
	v_cndmask_b32_e64 v4, v4, v4, s1
	s_mov_b32 s5, s4
	s_delay_alu instid0(VALU_DEP_2) | instskip(SKIP_1) | instid1(VALU_DEP_2)
	v_or_b32_e32 v8, 32, v5
	v_xor_b32_e32 v11, 16, v5
	v_cmp_gt_i32_e64 s0, 64, v8
	s_delay_alu instid0(VALU_DEP_1) | instskip(NEXT) | instid1(VALU_DEP_3)
	v_cndmask_b32_e64 v8, v5, v8, s0
	v_cmp_gt_i32_e64 s0, 64, v11
	s_delay_alu instid0(VALU_DEP_2) | instskip(SKIP_1) | instid1(VALU_DEP_3)
	v_lshlrev_b32_e32 v10, 2, v8
	v_cndmask_b32_e64 v8, 0xff800000, v7, s1
	v_cndmask_b32_e64 v11, v5, v11, s0
	ds_bpermute_b32 v12, v10, v4
	ds_bpermute_b32 v13, v10, v8
	v_lshlrev_b32_e32 v11, 2, v11
	s_waitcnt lgkmcnt(1)
	v_cmp_lt_f32_e64 s0, v4, v12
	s_delay_alu instid0(VALU_DEP_1) | instskip(SKIP_3) | instid1(VALU_DEP_2)
	v_cndmask_b32_e64 v4, v4, v12, s0
	s_waitcnt lgkmcnt(0)
	v_cmp_lt_f32_e64 s0, v8, v13
	v_xor_b32_e32 v12, 8, v5
	v_cndmask_b32_e64 v8, v8, v13, s0
	ds_bpermute_b32 v13, v11, v4
	v_cmp_gt_i32_e64 s0, 64, v12
	ds_bpermute_b32 v14, v11, v8
	v_cndmask_b32_e64 v12, v5, v12, s0
	s_delay_alu instid0(VALU_DEP_1) | instskip(SKIP_2) | instid1(VALU_DEP_1)
	v_lshlrev_b32_e32 v12, 2, v12
	s_waitcnt lgkmcnt(1)
	v_cmp_lt_f32_e64 s0, v4, v13
	v_cndmask_b32_e64 v4, v4, v13, s0
	s_waitcnt lgkmcnt(0)
	v_cmp_lt_f32_e64 s0, v8, v14
	v_xor_b32_e32 v13, 4, v5
	s_delay_alu instid0(VALU_DEP_2) | instskip(SKIP_4) | instid1(VALU_DEP_1)
	v_cndmask_b32_e64 v8, v8, v14, s0
	ds_bpermute_b32 v14, v12, v4
	v_cmp_gt_i32_e64 s0, 64, v13
	ds_bpermute_b32 v15, v12, v8
	v_cndmask_b32_e64 v13, v5, v13, s0
	v_lshlrev_b32_e32 v13, 2, v13
	s_waitcnt lgkmcnt(1)
	v_cmp_lt_f32_e64 s0, v4, v14
	s_delay_alu instid0(VALU_DEP_1) | instskip(SKIP_3) | instid1(VALU_DEP_2)
	v_cndmask_b32_e64 v4, v4, v14, s0
	s_waitcnt lgkmcnt(0)
	v_cmp_lt_f32_e64 s0, v8, v15
	v_xor_b32_e32 v14, 2, v5
	v_cndmask_b32_e64 v8, v8, v15, s0
	ds_bpermute_b32 v15, v13, v4
	v_cmp_gt_i32_e64 s0, 64, v14
	ds_bpermute_b32 v16, v13, v8
	v_cndmask_b32_e64 v14, v5, v14, s0
	s_delay_alu instid0(VALU_DEP_1) | instskip(SKIP_2) | instid1(VALU_DEP_1)
	v_lshlrev_b32_e32 v14, 2, v14
	s_waitcnt lgkmcnt(1)
	v_cmp_lt_f32_e64 s0, v4, v15
	v_cndmask_b32_e64 v4, v4, v15, s0
	s_waitcnt lgkmcnt(0)
	v_cmp_lt_f32_e64 s0, v8, v16
	v_xor_b32_e32 v15, 1, v5
	s_delay_alu instid0(VALU_DEP_2) | instskip(SKIP_4) | instid1(VALU_DEP_1)
	v_cndmask_b32_e64 v8, v8, v16, s0
	ds_bpermute_b32 v16, v14, v4
	v_cmp_gt_i32_e64 s0, 64, v15
	ds_bpermute_b32 v17, v14, v8
	v_cndmask_b32_e64 v5, v5, v15, s0
	v_lshlrev_b32_e32 v15, 2, v5
	s_waitcnt lgkmcnt(1)
	v_cmp_lt_f32_e64 s0, v4, v16
	s_delay_alu instid0(VALU_DEP_1)
	v_cndmask_b32_e64 v19, v4, v16, s0
	v_mov_b32_e32 v16, 0
	s_waitcnt lgkmcnt(0)
	v_cmp_lt_f32_e64 s0, v8, v17
	v_dual_mov_b32 v4, s4 :: v_dual_mov_b32 v5, s5
	ds_bpermute_b32 v20, v15, v19
	v_cndmask_b32_e64 v17, v8, v17, s0
	v_mov_b32_e32 v8, 0
	ds_bpermute_b32 v18, v15, v17
	s_and_saveexec_b32 s1, s11
	s_cbranch_execz .LBB732_14
; %bb.11:
	global_load_u8 v4, v[2:3], off
	s_mov_b32 s5, s4
	v_mov_b32_e32 v16, 0
	s_waitcnt vmcnt(0)
	v_and_b32_e32 v4, 1, v4
	s_delay_alu instid0(VALU_DEP_1) | instskip(SKIP_1) | instid1(VALU_DEP_2)
	v_cmp_eq_u32_e64 s0, 1, v4
	v_dual_mov_b32 v4, s4 :: v_dual_mov_b32 v5, s5
	s_xor_b32 s0, s0, -1
	s_delay_alu instid0(SALU_CYCLE_1)
	s_and_saveexec_b32 s3, s0
	s_cbranch_execz .LBB732_13
; %bb.12:
	s_waitcnt lgkmcnt(1)
	v_cmp_lt_f32_e64 s0, v19, v20
	s_delay_alu instid0(VALU_DEP_1) | instskip(NEXT) | instid1(VALU_DEP_1)
	v_cndmask_b32_e64 v4, v19, v20, s0
	v_sub_f32_e32 v4, v9, v4
	s_delay_alu instid0(VALU_DEP_1) | instskip(SKIP_1) | instid1(VALU_DEP_2)
	v_mul_f32_e32 v5, 0x3fb8aa3b, v4
	v_cmp_ngt_f32_e64 s0, 0xc2ce8ed0, v4
	v_fma_f32 v9, 0x3fb8aa3b, v4, -v5
	v_rndne_f32_e32 v16, v5
	s_delay_alu instid0(VALU_DEP_2) | instskip(NEXT) | instid1(VALU_DEP_2)
	v_fmamk_f32 v9, v4, 0x32a5705f, v9
	v_sub_f32_e32 v5, v5, v16
	s_delay_alu instid0(VALU_DEP_1) | instskip(SKIP_1) | instid1(VALU_DEP_2)
	v_add_f32_e32 v5, v5, v9
	v_cvt_i32_f32_e32 v9, v16
	v_exp_f32_e32 v5, v5
	s_waitcnt_depctr 0xfff
	v_ldexp_f32 v5, v5, v9
	s_delay_alu instid0(VALU_DEP_1) | instskip(SKIP_1) | instid1(VALU_DEP_1)
	v_cndmask_b32_e64 v5, 0, v5, s0
	v_cmp_nlt_f32_e64 s0, 0x42b17218, v4
	v_cndmask_b32_e64 v4, 0x7f800000, v5, s0
	s_delay_alu instid0(VALU_DEP_1)
	v_dual_mov_b32 v5, 0 :: v_dual_mov_b32 v16, v4
.LBB732_13:
	s_or_b32 exec_lo, exec_lo, s3
.LBB732_14:
	s_delay_alu instid0(SALU_CYCLE_1)
	s_or_b32 exec_lo, exec_lo, s1
	s_and_saveexec_b32 s1, s10
	s_cbranch_execz .LBB732_18
; %bb.15:
	s_and_b32 s0, s12, exec_lo
	s_cselect_b32 s0, 0, s6
	s_cselect_b32 s3, 0, 0
	v_add_co_u32 v2, s0, v2, s0
	s_delay_alu instid0(VALU_DEP_1) | instskip(SKIP_4) | instid1(VALU_DEP_1)
	v_add_co_ci_u32_e64 v3, s0, s3, v3, s0
	v_mov_b32_e32 v8, 0
	global_load_u8 v2, v[2:3], off
	s_waitcnt vmcnt(0)
	v_and_b32_e32 v2, 1, v2
	v_cmp_eq_u32_e64 s0, 1, v2
	s_delay_alu instid0(VALU_DEP_1) | instskip(NEXT) | instid1(SALU_CYCLE_1)
	s_xor_b32 s0, s0, -1
	s_and_saveexec_b32 s3, s0
	s_cbranch_execz .LBB732_17
; %bb.16:
	s_waitcnt lgkmcnt(0)
	v_cmp_lt_f32_e64 s0, v17, v18
	s_delay_alu instid0(VALU_DEP_1) | instskip(NEXT) | instid1(VALU_DEP_1)
	v_cndmask_b32_e64 v2, v17, v18, s0
	v_sub_f32_e32 v2, v7, v2
	s_delay_alu instid0(VALU_DEP_1) | instskip(SKIP_1) | instid1(VALU_DEP_2)
	v_mul_f32_e32 v3, 0x3fb8aa3b, v2
	v_cmp_ngt_f32_e64 s0, 0xc2ce8ed0, v2
	v_fma_f32 v7, 0x3fb8aa3b, v2, -v3
	v_rndne_f32_e32 v8, v3
	s_delay_alu instid0(VALU_DEP_2) | instskip(NEXT) | instid1(VALU_DEP_2)
	v_fmamk_f32 v7, v2, 0x32a5705f, v7
	v_sub_f32_e32 v3, v3, v8
	s_delay_alu instid0(VALU_DEP_1) | instskip(SKIP_1) | instid1(VALU_DEP_2)
	v_add_f32_e32 v3, v3, v7
	v_cvt_i32_f32_e32 v7, v8
	v_exp_f32_e32 v3, v3
	s_waitcnt_depctr 0xfff
	v_ldexp_f32 v3, v3, v7
	s_delay_alu instid0(VALU_DEP_1) | instskip(SKIP_1) | instid1(VALU_DEP_1)
	v_cndmask_b32_e64 v3, 0, v3, s0
	v_cmp_nlt_f32_e64 s0, 0x42b17218, v2
	v_cndmask_b32_e64 v8, 0x7f800000, v3, s0
	s_delay_alu instid0(VALU_DEP_1)
	v_add_f32_e32 v5, v5, v8
.LBB732_17:
	s_or_b32 exec_lo, exec_lo, s3
.LBB732_18:
	s_delay_alu instid0(SALU_CYCLE_1)
	s_or_b32 exec_lo, exec_lo, s1
	ds_bpermute_b32 v2, v10, v4
	ds_bpermute_b32 v3, v10, v5
	s_waitcnt lgkmcnt(0)
	v_dual_add_f32 v2, v4, v2 :: v_dual_add_f32 v3, v5, v3
	ds_bpermute_b32 v4, v11, v2
	ds_bpermute_b32 v5, v11, v3
	s_waitcnt lgkmcnt(0)
	v_dual_add_f32 v2, v2, v4 :: v_dual_add_f32 v3, v3, v5
	ds_bpermute_b32 v4, v12, v2
	ds_bpermute_b32 v5, v12, v3
	s_waitcnt lgkmcnt(0)
	v_dual_add_f32 v2, v2, v4 :: v_dual_add_f32 v3, v3, v5
	ds_bpermute_b32 v4, v13, v2
	ds_bpermute_b32 v5, v13, v3
	s_waitcnt lgkmcnt(0)
	v_dual_add_f32 v2, v2, v4 :: v_dual_add_f32 v3, v3, v5
	ds_bpermute_b32 v4, v14, v2
	ds_bpermute_b32 v5, v14, v3
	s_waitcnt lgkmcnt(1)
	v_add_f32_e32 v4, v2, v4
	s_waitcnt lgkmcnt(0)
	v_add_f32_e32 v2, v3, v5
	ds_bpermute_b32 v5, v15, v4
	ds_bpermute_b32 v3, v15, v2
	s_and_saveexec_b32 s0, vcc_lo
	s_cbranch_execz .LBB732_30
; %bb.19:
	v_add_co_u32 v0, vcc_lo, s8, v0
	v_add_co_ci_u32_e32 v1, vcc_lo, s9, v1, vcc_lo
	s_and_saveexec_b32 s0, s2
	s_cbranch_execz .LBB732_24
; %bb.20:
	s_waitcnt lgkmcnt(1)
	v_add_f32_e32 v4, v4, v5
	s_mov_b32 s1, exec_lo
	s_delay_alu instid0(VALU_DEP_1)
	v_cmpx_neq_f32_e32 0, v4
	s_xor_b32 s1, exec_lo, s1
	s_cbranch_execz .LBB732_22
; %bb.21:
	v_div_scale_f32 v5, null, v4, v4, v16
	s_delay_alu instid0(VALU_DEP_1) | instskip(SKIP_2) | instid1(VALU_DEP_1)
	v_rcp_f32_e32 v7, v5
	s_waitcnt_depctr 0xfff
	v_fma_f32 v9, -v5, v7, 1.0
	v_fmac_f32_e32 v7, v9, v7
	v_div_scale_f32 v9, vcc_lo, v16, v4, v16
	s_delay_alu instid0(VALU_DEP_1) | instskip(NEXT) | instid1(VALU_DEP_1)
	v_mul_f32_e32 v10, v9, v7
	v_fma_f32 v11, -v5, v10, v9
	s_delay_alu instid0(VALU_DEP_1) | instskip(NEXT) | instid1(VALU_DEP_1)
	v_fmac_f32_e32 v10, v11, v7
	v_fma_f32 v5, -v5, v10, v9
	s_delay_alu instid0(VALU_DEP_1) | instskip(NEXT) | instid1(VALU_DEP_1)
	v_div_fmas_f32 v5, v5, v7, v10
	v_div_fixup_f32 v4, v5, v4, v16
	s_delay_alu instid0(VALU_DEP_1)
	v_cvt_f16_f32_e32 v4, v4
	global_store_b16 v[0:1], v4, off
.LBB732_22:
	s_and_not1_saveexec_b32 s1, s1
	s_cbranch_execz .LBB732_24
; %bb.23:
	v_mov_b32_e32 v4, 0x7e00
	global_store_b16 v[0:1], v4, off
.LBB732_24:
	s_or_b32 exec_lo, exec_lo, s0
	v_cmp_ne_u32_e32 vcc_lo, 1, v6
	s_and_b32 exec_lo, exec_lo, vcc_lo
	s_cbranch_execz .LBB732_30
; %bb.25:
	s_and_b32 exec_lo, exec_lo, s2
	s_cbranch_execz .LBB732_30
; %bb.26:
	s_mov_b32 s7, 0
	s_waitcnt lgkmcnt(0)
	v_add_f32_e32 v2, v2, v3
	s_lshl_b64 s[0:1], s[6:7], 1
	s_delay_alu instid0(SALU_CYCLE_1) | instskip(NEXT) | instid1(VALU_DEP_1)
	v_add_co_u32 v0, s0, v0, s0
	v_add_co_ci_u32_e64 v1, s0, s1, v1, s0
	s_mov_b32 s0, exec_lo
	v_cmpx_neq_f32_e32 0, v2
	s_xor_b32 s0, exec_lo, s0
	s_cbranch_execz .LBB732_28
; %bb.27:
	v_div_scale_f32 v3, null, v2, v2, v8
	s_delay_alu instid0(VALU_DEP_1) | instskip(SKIP_2) | instid1(VALU_DEP_1)
	v_rcp_f32_e32 v4, v3
	s_waitcnt_depctr 0xfff
	v_fma_f32 v5, -v3, v4, 1.0
	v_fmac_f32_e32 v4, v5, v4
	v_div_scale_f32 v5, vcc_lo, v8, v2, v8
	s_delay_alu instid0(VALU_DEP_1) | instskip(NEXT) | instid1(VALU_DEP_1)
	v_mul_f32_e32 v6, v5, v4
	v_fma_f32 v7, -v3, v6, v5
	s_delay_alu instid0(VALU_DEP_1) | instskip(NEXT) | instid1(VALU_DEP_1)
	v_fmac_f32_e32 v6, v7, v4
	v_fma_f32 v3, -v3, v6, v5
	s_delay_alu instid0(VALU_DEP_1) | instskip(NEXT) | instid1(VALU_DEP_1)
	v_div_fmas_f32 v3, v3, v4, v6
	v_div_fixup_f32 v2, v3, v2, v8
	s_delay_alu instid0(VALU_DEP_1)
	v_cvt_f16_f32_e32 v2, v2
	global_store_b16 v[0:1], v2, off
                                        ; implicit-def: $vgpr0_vgpr1
.LBB732_28:
	s_and_not1_saveexec_b32 s0, s0
	s_cbranch_execz .LBB732_30
; %bb.29:
	v_mov_b32_e32 v2, 0x7e00
	global_store_b16 v[0:1], v2, off
.LBB732_30:
	s_nop 0
	s_sendmsg sendmsg(MSG_DEALLOC_VGPRS)
	s_endpgm
	.section	.rodata,"a",@progbits
	.p2align	6, 0x0
	.amdhsa_kernel _ZN12_GLOBAL__N_120softmax_warp_forwardIN3c104HalfES2_fLi6ELb0ELb1ELi64EEEvPT0_PKT_iiiPKbib
		.amdhsa_group_segment_fixed_size 0
		.amdhsa_private_segment_fixed_size 0
		.amdhsa_kernarg_size 304
		.amdhsa_user_sgpr_count 15
		.amdhsa_user_sgpr_dispatch_ptr 0
		.amdhsa_user_sgpr_queue_ptr 0
		.amdhsa_user_sgpr_kernarg_segment_ptr 1
		.amdhsa_user_sgpr_dispatch_id 0
		.amdhsa_user_sgpr_private_segment_size 0
		.amdhsa_wavefront_size32 1
		.amdhsa_uses_dynamic_stack 0
		.amdhsa_enable_private_segment 0
		.amdhsa_system_sgpr_workgroup_id_x 1
		.amdhsa_system_sgpr_workgroup_id_y 0
		.amdhsa_system_sgpr_workgroup_id_z 0
		.amdhsa_system_sgpr_workgroup_info 0
		.amdhsa_system_vgpr_workitem_id 1
		.amdhsa_next_free_vgpr 21
		.amdhsa_next_free_sgpr 16
		.amdhsa_reserve_vcc 1
		.amdhsa_float_round_mode_32 0
		.amdhsa_float_round_mode_16_64 0
		.amdhsa_float_denorm_mode_32 3
		.amdhsa_float_denorm_mode_16_64 3
		.amdhsa_dx10_clamp 1
		.amdhsa_ieee_mode 1
		.amdhsa_fp16_overflow 0
		.amdhsa_workgroup_processor_mode 1
		.amdhsa_memory_ordered 1
		.amdhsa_forward_progress 0
		.amdhsa_shared_vgpr_count 0
		.amdhsa_exception_fp_ieee_invalid_op 0
		.amdhsa_exception_fp_denorm_src 0
		.amdhsa_exception_fp_ieee_div_zero 0
		.amdhsa_exception_fp_ieee_overflow 0
		.amdhsa_exception_fp_ieee_underflow 0
		.amdhsa_exception_fp_ieee_inexact 0
		.amdhsa_exception_int_div_zero 0
	.end_amdhsa_kernel
	.section	.text._ZN12_GLOBAL__N_120softmax_warp_forwardIN3c104HalfES2_fLi6ELb0ELb1ELi64EEEvPT0_PKT_iiiPKbib,"axG",@progbits,_ZN12_GLOBAL__N_120softmax_warp_forwardIN3c104HalfES2_fLi6ELb0ELb1ELi64EEEvPT0_PKT_iiiPKbib,comdat
.Lfunc_end732:
	.size	_ZN12_GLOBAL__N_120softmax_warp_forwardIN3c104HalfES2_fLi6ELb0ELb1ELi64EEEvPT0_PKT_iiiPKbib, .Lfunc_end732-_ZN12_GLOBAL__N_120softmax_warp_forwardIN3c104HalfES2_fLi6ELb0ELb1ELi64EEEvPT0_PKT_iiiPKbib
                                        ; -- End function
	.section	.AMDGPU.csdata,"",@progbits
; Kernel info:
; codeLenInByte = 2248
; NumSgprs: 18
; NumVgprs: 21
; ScratchSize: 0
; MemoryBound: 0
; FloatMode: 240
; IeeeMode: 1
; LDSByteSize: 0 bytes/workgroup (compile time only)
; SGPRBlocks: 2
; VGPRBlocks: 2
; NumSGPRsForWavesPerEU: 18
; NumVGPRsForWavesPerEU: 21
; Occupancy: 16
; WaveLimiterHint : 0
; COMPUTE_PGM_RSRC2:SCRATCH_EN: 0
; COMPUTE_PGM_RSRC2:USER_SGPR: 15
; COMPUTE_PGM_RSRC2:TRAP_HANDLER: 0
; COMPUTE_PGM_RSRC2:TGID_X_EN: 1
; COMPUTE_PGM_RSRC2:TGID_Y_EN: 0
; COMPUTE_PGM_RSRC2:TGID_Z_EN: 0
; COMPUTE_PGM_RSRC2:TIDIG_COMP_CNT: 1
	.section	.text._ZN12_GLOBAL__N_120softmax_warp_forwardIN3c104HalfES2_fLi6ELb0ELb1ELi32EEEvPT0_PKT_iiiPKbib,"axG",@progbits,_ZN12_GLOBAL__N_120softmax_warp_forwardIN3c104HalfES2_fLi6ELb0ELb1ELi32EEEvPT0_PKT_iiiPKbib,comdat
	.globl	_ZN12_GLOBAL__N_120softmax_warp_forwardIN3c104HalfES2_fLi6ELb0ELb1ELi32EEEvPT0_PKT_iiiPKbib ; -- Begin function _ZN12_GLOBAL__N_120softmax_warp_forwardIN3c104HalfES2_fLi6ELb0ELb1ELi32EEEvPT0_PKT_iiiPKbib
	.p2align	8
	.type	_ZN12_GLOBAL__N_120softmax_warp_forwardIN3c104HalfES2_fLi6ELb0ELb1ELi32EEEvPT0_PKT_iiiPKbib,@function
_ZN12_GLOBAL__N_120softmax_warp_forwardIN3c104HalfES2_fLi6ELb0ELb1ELi32EEEvPT0_PKT_iiiPKbib: ; @_ZN12_GLOBAL__N_120softmax_warp_forwardIN3c104HalfES2_fLi6ELb0ELb1ELi32EEEvPT0_PKT_iiiPKbib
; %bb.0:
	s_clause 0x2
	s_load_b64 s[2:3], s[0:1], 0x28
	s_load_b32 s8, s[0:1], 0x3c
	s_load_b128 s[4:7], s[0:1], 0x10
	v_bfe_u32 v1, v0, 10, 10
	v_and_b32_e32 v4, 0x3ff, v0
	s_waitcnt lgkmcnt(0)
	s_bitcmp1_b32 s3, 0
	s_cselect_b32 s14, -1, 0
	s_lshr_b32 s7, s8, 16
	s_bitcmp0_b32 s3, 0
	s_mul_i32 s15, s15, s7
	s_delay_alu instid0(SALU_CYCLE_1) | instskip(NEXT) | instid1(VALU_DEP_1)
	v_add_lshl_u32 v5, s15, v1, 1
	v_mul_lo_u32 v6, v5, s5
	s_delay_alu instid0(VALU_DEP_1) | instskip(NEXT) | instid1(VALU_DEP_1)
	v_add_nc_u32_e32 v0, v6, v4
	v_ashrrev_i32_e32 v1, 31, v0
	s_delay_alu instid0(VALU_DEP_1)
	v_dual_mov_b32 v3, v1 :: v_dual_mov_b32 v2, v0
	s_cbranch_scc1 .LBB733_2
; %bb.1:
	s_abs_i32 s3, s2
	v_sub_nc_u32_e32 v7, 0, v6
	v_cvt_f32_u32_e32 v2, s3
	s_sub_i32 s7, 0, s3
	s_delay_alu instid0(VALU_DEP_2) | instskip(NEXT) | instid1(VALU_DEP_2)
	v_max_i32_e32 v7, v6, v7
	v_rcp_iflag_f32_e32 v2, v2
	v_xor_b32_e32 v6, s2, v6
	s_delay_alu instid0(VALU_DEP_1) | instskip(SKIP_2) | instid1(VALU_DEP_1)
	v_ashrrev_i32_e32 v6, 31, v6
	s_waitcnt_depctr 0xfff
	v_mul_f32_e32 v2, 0x4f7ffffe, v2
	v_cvt_u32_f32_e32 v2, v2
	s_delay_alu instid0(VALU_DEP_1) | instskip(NEXT) | instid1(VALU_DEP_1)
	v_mul_lo_u32 v3, s7, v2
	v_mul_hi_u32 v3, v2, v3
	s_delay_alu instid0(VALU_DEP_1) | instskip(NEXT) | instid1(VALU_DEP_1)
	v_add_nc_u32_e32 v2, v2, v3
	v_mul_hi_u32 v2, v7, v2
	s_delay_alu instid0(VALU_DEP_1) | instskip(NEXT) | instid1(VALU_DEP_1)
	v_mul_lo_u32 v3, v2, s3
	v_sub_nc_u32_e32 v3, v7, v3
	v_add_nc_u32_e32 v7, 1, v2
	s_delay_alu instid0(VALU_DEP_2) | instskip(SKIP_1) | instid1(VALU_DEP_2)
	v_subrev_nc_u32_e32 v8, s3, v3
	v_cmp_le_u32_e32 vcc_lo, s3, v3
	v_dual_cndmask_b32 v3, v3, v8 :: v_dual_cndmask_b32 v2, v2, v7
	s_delay_alu instid0(VALU_DEP_1) | instskip(NEXT) | instid1(VALU_DEP_2)
	v_cmp_le_u32_e32 vcc_lo, s3, v3
	v_add_nc_u32_e32 v7, 1, v2
	s_delay_alu instid0(VALU_DEP_1) | instskip(NEXT) | instid1(VALU_DEP_1)
	v_cndmask_b32_e32 v2, v2, v7, vcc_lo
	v_xor_b32_e32 v2, v2, v6
	s_delay_alu instid0(VALU_DEP_1) | instskip(NEXT) | instid1(VALU_DEP_1)
	v_sub_nc_u32_e32 v6, v2, v6
	v_mad_u64_u32 v[2:3], null, v6, s5, v[4:5]
	s_delay_alu instid0(VALU_DEP_1)
	v_ashrrev_i32_e32 v3, 31, v2
.LBB733_2:
	s_load_b128 s[8:11], s[0:1], 0x0
	v_lshlrev_b64 v[0:1], 1, v[0:1]
	v_sub_nc_u32_e32 v9, s4, v5
	v_cmp_gt_i32_e64 s3, s6, v4
	v_dual_mov_b32 v11, 0xff800000 :: v_dual_mov_b32 v6, 0xff800000
	s_delay_alu instid0(VALU_DEP_3) | instskip(NEXT) | instid1(VALU_DEP_3)
	v_cmp_lt_i32_e32 vcc_lo, 0, v9
	s_and_b32 s13, vcc_lo, s3
	s_waitcnt lgkmcnt(0)
	v_add_co_u32 v7, s2, s10, v0
	s_delay_alu instid0(VALU_DEP_1)
	v_add_co_ci_u32_e64 v8, s2, s11, v1, s2
	s_and_saveexec_b32 s2, s13
	s_cbranch_execz .LBB733_4
; %bb.3:
	global_load_u16 v5, v[7:8], off
	s_waitcnt vmcnt(0)
	v_cvt_f32_f16_e32 v6, v5
.LBB733_4:
	s_or_b32 exec_lo, exec_lo, s2
	v_add_nc_u32_e32 v4, 32, v4
	s_delay_alu instid0(VALU_DEP_1) | instskip(NEXT) | instid1(VALU_DEP_1)
	v_cmp_gt_i32_e64 s2, s6, v4
	s_and_b32 s12, vcc_lo, s2
	s_delay_alu instid0(SALU_CYCLE_1)
	s_and_saveexec_b32 s4, s12
	s_cbranch_execz .LBB733_6
; %bb.5:
	global_load_u16 v4, v[7:8], off offset:64
	s_waitcnt vmcnt(0)
	v_cvt_f32_f16_e32 v11, v4
.LBB733_6:
	s_or_b32 exec_lo, exec_lo, s4
	v_cmp_lt_i32_e64 s4, 1, v9
	v_dual_mov_b32 v10, 0xff800000 :: v_dual_mov_b32 v5, 0xff800000
	s_delay_alu instid0(VALU_DEP_2) | instskip(NEXT) | instid1(SALU_CYCLE_1)
	s_and_b32 s11, s4, s3
	s_and_saveexec_b32 s10, s11
	s_cbranch_execz .LBB733_8
; %bb.7:
	s_mov_b32 s7, 0
	s_delay_alu instid0(SALU_CYCLE_1) | instskip(NEXT) | instid1(SALU_CYCLE_1)
	s_lshl_b64 s[16:17], s[6:7], 1
	v_add_co_u32 v4, s5, v7, s16
	s_delay_alu instid0(VALU_DEP_1)
	v_add_co_ci_u32_e64 v5, s5, s17, v8, s5
	global_load_u16 v4, v[4:5], off
	s_waitcnt vmcnt(0)
	v_cvt_f32_f16_e32 v5, v4
.LBB733_8:
	s_or_b32 exec_lo, exec_lo, s10
	s_and_b32 s10, s4, s2
	s_delay_alu instid0(SALU_CYCLE_1)
	s_and_saveexec_b32 s5, s10
	s_cbranch_execz .LBB733_10
; %bb.9:
	s_mov_b32 s7, 0
	s_delay_alu instid0(SALU_CYCLE_1) | instskip(NEXT) | instid1(SALU_CYCLE_1)
	s_lshl_b64 s[16:17], s[6:7], 1
	v_add_co_u32 v7, s4, v7, s16
	s_delay_alu instid0(VALU_DEP_1)
	v_add_co_ci_u32_e64 v8, s4, s17, v8, s4
	global_load_u16 v4, v[7:8], off offset:64
	s_waitcnt vmcnt(0)
	v_cvt_f32_f16_e32 v10, v4
.LBB733_10:
	s_or_b32 exec_lo, exec_lo, s5
	s_load_b64 s[0:1], s[0:1], 0x20
	v_mov_b32_e32 v8, v7
	v_mov_b32_e32 v7, v6
	s_waitcnt lgkmcnt(0)
	v_add_co_u32 v2, s0, s0, v2
	s_delay_alu instid0(VALU_DEP_1)
	v_add_co_ci_u32_e64 v3, s0, s1, v3, s0
	s_mov_b32 s1, 0
	s_and_saveexec_b32 s4, s13
	s_cbranch_execz .LBB733_12
; %bb.11:
	global_load_u8 v4, v[2:3], off
	v_mov_b32_e32 v8, v7
	s_waitcnt vmcnt(0)
	v_dual_mov_b32 v7, v6 :: v_dual_and_b32 v4, 1, v4
	s_delay_alu instid0(VALU_DEP_1) | instskip(NEXT) | instid1(VALU_DEP_1)
	v_cmp_eq_u32_e64 s0, 1, v4
	s_xor_b32 s0, s0, -1
	s_delay_alu instid0(SALU_CYCLE_1)
	s_and_b32 s1, s0, exec_lo
.LBB733_12:
	s_or_b32 exec_lo, exec_lo, s4
	s_and_saveexec_b32 s4, s12
	s_cbranch_execz .LBB733_16
; %bb.13:
	global_load_u8 v4, v[2:3], off offset:32
	s_waitcnt vmcnt(0)
	v_and_b32_e32 v4, 1, v4
	s_delay_alu instid0(VALU_DEP_1) | instskip(NEXT) | instid1(VALU_DEP_1)
	v_cmp_eq_u32_e64 s0, 1, v4
	s_xor_b32 s7, s0, -1
	s_mov_b32 s0, s1
	s_and_saveexec_b32 s5, s7
; %bb.14:
	v_cmp_gt_f32_e64 s0, v7, v11
	s_delay_alu instid0(VALU_DEP_1) | instskip(NEXT) | instid1(SALU_CYCLE_1)
	s_and_b32 s0, s1, s0
	v_cndmask_b32_e64 v7, v11, v7, s0
	s_or_b32 s0, s1, exec_lo
; %bb.15:
	s_or_b32 exec_lo, exec_lo, s5
	s_delay_alu instid0(SALU_CYCLE_1) | instskip(SKIP_1) | instid1(SALU_CYCLE_1)
	s_and_not1_b32 s1, s1, exec_lo
	s_and_b32 s0, s0, exec_lo
	s_or_b32 s1, s1, s0
.LBB733_16:
	s_or_b32 exec_lo, exec_lo, s4
	v_cndmask_b32_e64 v4, 0xff800000, v7, s1
	v_mov_b32_e32 v8, v5
	s_and_b32 s0, s14, exec_lo
	s_mov_b32 s4, 0
	s_cselect_b32 s1, 0, s6
	v_mov_b32_e32 v7, v4
	s_and_saveexec_b32 s5, s11
	s_cbranch_execz .LBB733_18
; %bb.17:
	s_ashr_i32 s4, s1, 31
	v_add_co_u32 v7, s0, v2, s1
	s_delay_alu instid0(VALU_DEP_1) | instskip(SKIP_3) | instid1(VALU_DEP_1)
	v_add_co_ci_u32_e64 v8, s0, s4, v3, s0
	global_load_u8 v7, v[7:8], off
	s_waitcnt vmcnt(0)
	v_and_b32_e32 v7, 1, v7
	v_cmp_eq_u32_e64 s0, 1, v7
	v_dual_mov_b32 v8, v5 :: v_dual_mov_b32 v7, v4
	s_delay_alu instid0(VALU_DEP_2) | instskip(NEXT) | instid1(SALU_CYCLE_1)
	s_xor_b32 s0, s0, -1
	s_and_b32 s4, s0, exec_lo
.LBB733_18:
	s_or_b32 exec_lo, exec_lo, s5
	s_and_saveexec_b32 s5, s10
	s_cbranch_execz .LBB733_22
; %bb.19:
	s_ashr_i32 s7, s1, 31
	v_add_co_u32 v12, s0, v2, s1
	s_delay_alu instid0(VALU_DEP_1) | instskip(SKIP_3) | instid1(VALU_DEP_1)
	v_add_co_ci_u32_e64 v13, s0, s7, v3, s0
	global_load_u8 v4, v[12:13], off offset:32
	s_waitcnt vmcnt(0)
	v_and_b32_e32 v4, 1, v4
	v_cmp_eq_u32_e64 s0, 1, v4
	s_delay_alu instid0(VALU_DEP_1)
	s_xor_b32 s14, s0, -1
	s_mov_b32 s0, s4
	s_and_saveexec_b32 s7, s14
; %bb.20:
	v_cmp_gt_f32_e64 s0, v8, v10
	s_delay_alu instid0(VALU_DEP_1) | instskip(NEXT) | instid1(SALU_CYCLE_1)
	s_and_b32 s0, s4, s0
	v_cndmask_b32_e64 v8, v10, v8, s0
	s_or_b32 s0, s4, exec_lo
; %bb.21:
	s_or_b32 exec_lo, exec_lo, s7
	s_delay_alu instid0(SALU_CYCLE_1) | instskip(SKIP_1) | instid1(SALU_CYCLE_1)
	s_and_not1_b32 s4, s4, exec_lo
	s_and_b32 s0, s0, exec_lo
	s_or_b32 s4, s4, s0
.LBB733_22:
	s_or_b32 exec_lo, exec_lo, s5
	v_mbcnt_lo_u32_b32 v4, -1, 0
	v_cndmask_b32_e64 v7, v7, v7, s4
	v_cndmask_b32_e64 v8, 0xff800000, v8, s4
	s_mov_b32 s4, 0
	s_delay_alu instid0(SALU_CYCLE_1) | instskip(SKIP_2) | instid1(VALU_DEP_2)
	s_mov_b32 s5, s4
	v_xor_b32_e32 v12, 16, v4
	v_xor_b32_e32 v13, 8, v4
	v_cmp_gt_i32_e64 s0, 32, v12
	s_delay_alu instid0(VALU_DEP_1) | instskip(NEXT) | instid1(VALU_DEP_3)
	v_cndmask_b32_e64 v12, v4, v12, s0
	v_cmp_gt_i32_e64 s0, 32, v13
	s_delay_alu instid0(VALU_DEP_2) | instskip(NEXT) | instid1(VALU_DEP_2)
	v_lshlrev_b32_e32 v12, 2, v12
	v_cndmask_b32_e64 v13, v4, v13, s0
	ds_bpermute_b32 v14, v12, v7
	ds_bpermute_b32 v15, v12, v8
	v_lshlrev_b32_e32 v13, 2, v13
	s_waitcnt lgkmcnt(1)
	v_cmp_lt_f32_e64 s0, v7, v14
	s_delay_alu instid0(VALU_DEP_1)
	v_cndmask_b32_e64 v7, v7, v14, s0
	s_waitcnt lgkmcnt(0)
	v_cmp_lt_f32_e64 s0, v8, v15
	v_xor_b32_e32 v14, 4, v4
	ds_bpermute_b32 v16, v13, v7
	v_cndmask_b32_e64 v8, v8, v15, s0
	v_cmp_gt_i32_e64 s0, 32, v14
	ds_bpermute_b32 v15, v13, v8
	v_cndmask_b32_e64 v14, v4, v14, s0
	s_delay_alu instid0(VALU_DEP_1) | instskip(SKIP_2) | instid1(VALU_DEP_1)
	v_lshlrev_b32_e32 v14, 2, v14
	s_waitcnt lgkmcnt(1)
	v_cmp_lt_f32_e64 s0, v7, v16
	v_cndmask_b32_e64 v7, v7, v16, s0
	s_waitcnt lgkmcnt(0)
	v_cmp_lt_f32_e64 s0, v8, v15
	ds_bpermute_b32 v16, v14, v7
	v_cndmask_b32_e64 v8, v8, v15, s0
	v_xor_b32_e32 v15, 2, v4
	ds_bpermute_b32 v17, v14, v8
	v_cmp_gt_i32_e64 s0, 32, v15
	s_delay_alu instid0(VALU_DEP_1) | instskip(NEXT) | instid1(VALU_DEP_1)
	v_cndmask_b32_e64 v15, v4, v15, s0
	v_lshlrev_b32_e32 v15, 2, v15
	s_waitcnt lgkmcnt(1)
	v_cmp_lt_f32_e64 s0, v7, v16
	s_delay_alu instid0(VALU_DEP_1)
	v_cndmask_b32_e64 v7, v7, v16, s0
	s_waitcnt lgkmcnt(0)
	v_cmp_lt_f32_e64 s0, v8, v17
	v_xor_b32_e32 v16, 1, v4
	ds_bpermute_b32 v18, v15, v7
	v_cndmask_b32_e64 v8, v8, v17, s0
	v_cmp_gt_i32_e64 s0, 32, v16
	ds_bpermute_b32 v17, v15, v8
	v_cndmask_b32_e64 v4, v4, v16, s0
	s_delay_alu instid0(VALU_DEP_1) | instskip(SKIP_3) | instid1(VALU_DEP_1)
	v_lshlrev_b32_e32 v16, 2, v4
	v_mov_b32_e32 v4, 0
	s_waitcnt lgkmcnt(1)
	v_cmp_lt_f32_e64 s0, v7, v18
	v_cndmask_b32_e64 v20, v7, v18, s0
	s_waitcnt lgkmcnt(0)
	v_cmp_lt_f32_e64 s0, v8, v17
	ds_bpermute_b32 v21, v16, v20
	v_cndmask_b32_e64 v18, v8, v17, s0
	v_dual_mov_b32 v8, s5 :: v_dual_mov_b32 v7, s4
	v_mov_b32_e32 v17, 0
	ds_bpermute_b32 v19, v16, v18
	s_waitcnt lgkmcnt(1)
	v_cmp_lt_f32_e64 s0, v20, v21
	s_delay_alu instid0(VALU_DEP_1)
	v_cndmask_b32_e64 v20, v20, v21, s0
	s_and_saveexec_b32 s7, s13
	s_cbranch_execz .LBB733_26
; %bb.23:
	global_load_u8 v7, v[2:3], off
	v_mov_b32_e32 v17, 0
	s_waitcnt vmcnt(0)
	v_and_b32_e32 v7, 1, v7
	s_delay_alu instid0(VALU_DEP_1) | instskip(SKIP_1) | instid1(VALU_DEP_2)
	v_cmp_eq_u32_e64 s0, 1, v7
	v_dual_mov_b32 v8, s5 :: v_dual_mov_b32 v7, s4
	s_xor_b32 s0, s0, -1
	s_delay_alu instid0(SALU_CYCLE_1)
	s_and_saveexec_b32 s4, s0
	s_cbranch_execz .LBB733_25
; %bb.24:
	v_sub_f32_e32 v6, v6, v20
	s_delay_alu instid0(VALU_DEP_1) | instskip(NEXT) | instid1(VALU_DEP_1)
	v_mul_f32_e32 v7, 0x3fb8aa3b, v6
	v_fma_f32 v8, 0x3fb8aa3b, v6, -v7
	v_rndne_f32_e32 v17, v7
	s_delay_alu instid0(VALU_DEP_1) | instskip(SKIP_1) | instid1(VALU_DEP_2)
	v_dual_sub_f32 v7, v7, v17 :: v_dual_fmamk_f32 v8, v6, 0x32a5705f, v8
	v_cmp_ngt_f32_e64 s0, 0xc2ce8ed0, v6
	v_add_f32_e32 v7, v7, v8
	v_cvt_i32_f32_e32 v8, v17
	s_delay_alu instid0(VALU_DEP_2) | instskip(SKIP_3) | instid1(VALU_DEP_2)
	v_exp_f32_e32 v7, v7
	s_waitcnt_depctr 0xfff
	v_ldexp_f32 v7, v7, v8
	v_mov_b32_e32 v8, 0
	v_cndmask_b32_e64 v7, 0, v7, s0
	v_cmp_nlt_f32_e64 s0, 0x42b17218, v6
	s_delay_alu instid0(VALU_DEP_1) | instskip(NEXT) | instid1(VALU_DEP_1)
	v_cndmask_b32_e64 v7, 0x7f800000, v7, s0
	v_mov_b32_e32 v17, v7
.LBB733_25:
	s_or_b32 exec_lo, exec_lo, s4
.LBB733_26:
	s_delay_alu instid0(SALU_CYCLE_1)
	s_or_b32 exec_lo, exec_lo, s7
	v_mov_b32_e32 v6, 0
	s_and_saveexec_b32 s4, s12
	s_cbranch_execz .LBB733_30
; %bb.27:
	global_load_u8 v6, v[2:3], off offset:32
	s_waitcnt vmcnt(0)
	v_and_b32_e32 v6, 1, v6
	s_delay_alu instid0(VALU_DEP_1) | instskip(SKIP_1) | instid1(VALU_DEP_2)
	v_cmp_eq_u32_e64 s0, 1, v6
	v_mov_b32_e32 v6, 0
	s_xor_b32 s0, s0, -1
	s_delay_alu instid0(SALU_CYCLE_1)
	s_and_saveexec_b32 s5, s0
	s_cbranch_execz .LBB733_29
; %bb.28:
	v_sub_f32_e32 v6, v11, v20
	s_delay_alu instid0(VALU_DEP_1) | instskip(SKIP_1) | instid1(VALU_DEP_2)
	v_mul_f32_e32 v11, 0x3fb8aa3b, v6
	v_cmp_ngt_f32_e64 s0, 0xc2ce8ed0, v6
	v_fma_f32 v20, 0x3fb8aa3b, v6, -v11
	v_rndne_f32_e32 v21, v11
	s_delay_alu instid0(VALU_DEP_1) | instskip(NEXT) | instid1(VALU_DEP_1)
	v_dual_fmamk_f32 v20, v6, 0x32a5705f, v20 :: v_dual_sub_f32 v11, v11, v21
	v_add_f32_e32 v11, v11, v20
	v_cvt_i32_f32_e32 v20, v21
	s_delay_alu instid0(VALU_DEP_2) | instskip(SKIP_2) | instid1(VALU_DEP_1)
	v_exp_f32_e32 v11, v11
	s_waitcnt_depctr 0xfff
	v_ldexp_f32 v11, v11, v20
	v_cndmask_b32_e64 v11, 0, v11, s0
	v_cmp_nlt_f32_e64 s0, 0x42b17218, v6
	s_delay_alu instid0(VALU_DEP_1) | instskip(NEXT) | instid1(VALU_DEP_1)
	v_cndmask_b32_e64 v6, 0x7f800000, v11, s0
	v_add_f32_e32 v7, v7, v6
.LBB733_29:
	s_or_b32 exec_lo, exec_lo, s5
.LBB733_30:
	s_delay_alu instid0(SALU_CYCLE_1) | instskip(SKIP_2) | instid1(VALU_DEP_1)
	s_or_b32 exec_lo, exec_lo, s4
	s_waitcnt lgkmcnt(0)
	v_cmp_lt_f32_e64 s0, v18, v19
	v_cndmask_b32_e64 v11, v18, v19, s0
	s_and_saveexec_b32 s4, s11
	s_cbranch_execz .LBB733_34
; %bb.31:
	s_ashr_i32 s5, s1, 31
	v_add_co_u32 v18, s0, v2, s1
	s_delay_alu instid0(VALU_DEP_1) | instskip(SKIP_3) | instid1(VALU_DEP_1)
	v_add_co_ci_u32_e64 v19, s0, s5, v3, s0
	global_load_u8 v4, v[18:19], off
	s_waitcnt vmcnt(0)
	v_and_b32_e32 v4, 1, v4
	v_cmp_eq_u32_e64 s0, 1, v4
	v_mov_b32_e32 v4, 0
	s_delay_alu instid0(VALU_DEP_2) | instskip(NEXT) | instid1(SALU_CYCLE_1)
	s_xor_b32 s0, s0, -1
	s_and_saveexec_b32 s5, s0
	s_cbranch_execz .LBB733_33
; %bb.32:
	v_sub_f32_e32 v4, v5, v11
	s_delay_alu instid0(VALU_DEP_1) | instskip(SKIP_1) | instid1(VALU_DEP_2)
	v_mul_f32_e32 v5, 0x3fb8aa3b, v4
	v_cmp_ngt_f32_e64 s0, 0xc2ce8ed0, v4
	v_fma_f32 v18, 0x3fb8aa3b, v4, -v5
	v_rndne_f32_e32 v19, v5
	s_delay_alu instid0(VALU_DEP_1) | instskip(NEXT) | instid1(VALU_DEP_1)
	v_dual_fmamk_f32 v18, v4, 0x32a5705f, v18 :: v_dual_sub_f32 v5, v5, v19
	v_add_f32_e32 v5, v5, v18
	v_cvt_i32_f32_e32 v18, v19
	s_delay_alu instid0(VALU_DEP_2) | instskip(SKIP_2) | instid1(VALU_DEP_1)
	v_exp_f32_e32 v5, v5
	s_waitcnt_depctr 0xfff
	v_ldexp_f32 v5, v5, v18
	v_cndmask_b32_e64 v5, 0, v5, s0
	v_cmp_nlt_f32_e64 s0, 0x42b17218, v4
	s_delay_alu instid0(VALU_DEP_1) | instskip(NEXT) | instid1(VALU_DEP_1)
	v_cndmask_b32_e64 v4, 0x7f800000, v5, s0
	v_add_f32_e32 v8, v8, v4
.LBB733_33:
	s_or_b32 exec_lo, exec_lo, s5
.LBB733_34:
	s_delay_alu instid0(SALU_CYCLE_1)
	s_or_b32 exec_lo, exec_lo, s4
	v_mov_b32_e32 v5, 0
	s_and_saveexec_b32 s4, s10
	s_cbranch_execz .LBB733_38
; %bb.35:
	s_ashr_i32 s5, s1, 31
	v_add_co_u32 v2, s0, v2, s1
	s_delay_alu instid0(VALU_DEP_1) | instskip(SKIP_4) | instid1(VALU_DEP_1)
	v_add_co_ci_u32_e64 v3, s0, s5, v3, s0
	v_mov_b32_e32 v5, 0
	global_load_u8 v2, v[2:3], off offset:32
	s_waitcnt vmcnt(0)
	v_and_b32_e32 v2, 1, v2
	v_cmp_eq_u32_e64 s0, 1, v2
	s_delay_alu instid0(VALU_DEP_1) | instskip(NEXT) | instid1(SALU_CYCLE_1)
	s_xor_b32 s0, s0, -1
	s_and_saveexec_b32 s1, s0
	s_cbranch_execz .LBB733_37
; %bb.36:
	v_sub_f32_e32 v2, v10, v11
	s_delay_alu instid0(VALU_DEP_1) | instskip(NEXT) | instid1(VALU_DEP_1)
	v_mul_f32_e32 v3, 0x3fb8aa3b, v2
	v_fma_f32 v5, 0x3fb8aa3b, v2, -v3
	v_rndne_f32_e32 v10, v3
	s_delay_alu instid0(VALU_DEP_1) | instskip(NEXT) | instid1(VALU_DEP_3)
	v_sub_f32_e32 v3, v3, v10
	v_fmamk_f32 v5, v2, 0x32a5705f, v5
	v_cmp_ngt_f32_e64 s0, 0xc2ce8ed0, v2
	s_delay_alu instid0(VALU_DEP_2) | instskip(SKIP_1) | instid1(VALU_DEP_2)
	v_add_f32_e32 v3, v3, v5
	v_cvt_i32_f32_e32 v5, v10
	v_exp_f32_e32 v3, v3
	s_waitcnt_depctr 0xfff
	v_ldexp_f32 v3, v3, v5
	s_delay_alu instid0(VALU_DEP_1) | instskip(SKIP_1) | instid1(VALU_DEP_1)
	v_cndmask_b32_e64 v3, 0, v3, s0
	v_cmp_nlt_f32_e64 s0, 0x42b17218, v2
	v_cndmask_b32_e64 v5, 0x7f800000, v3, s0
	s_delay_alu instid0(VALU_DEP_1)
	v_add_f32_e32 v8, v8, v5
.LBB733_37:
	s_or_b32 exec_lo, exec_lo, s1
.LBB733_38:
	s_delay_alu instid0(SALU_CYCLE_1)
	s_or_b32 exec_lo, exec_lo, s4
	ds_bpermute_b32 v2, v12, v7
	ds_bpermute_b32 v3, v12, v8
	s_waitcnt lgkmcnt(0)
	v_dual_add_f32 v2, v7, v2 :: v_dual_add_f32 v3, v8, v3
	ds_bpermute_b32 v7, v13, v2
	ds_bpermute_b32 v8, v13, v3
	s_waitcnt lgkmcnt(0)
	v_dual_add_f32 v2, v2, v7 :: v_dual_add_f32 v3, v3, v8
	;; [unrolled: 4-line block ×4, first 2 shown]
	ds_bpermute_b32 v8, v16, v7
	ds_bpermute_b32 v3, v16, v2
	s_and_saveexec_b32 s0, vcc_lo
	s_delay_alu instid0(SALU_CYCLE_1)
	s_xor_b32 s0, exec_lo, s0
	s_cbranch_execz .LBB733_52
; %bb.39:
	v_add_co_u32 v0, vcc_lo, s8, v0
	v_add_co_ci_u32_e32 v1, vcc_lo, s9, v1, vcc_lo
	s_and_saveexec_b32 s1, s3
	s_cbranch_execz .LBB733_47
; %bb.40:
	s_waitcnt lgkmcnt(1)
	v_dual_add_f32 v7, v7, v8 :: v_dual_mov_b32 v8, 0x7e00
	s_delay_alu instid0(VALU_DEP_1) | instskip(NEXT) | instid1(VALU_DEP_1)
	v_cmp_neq_f32_e64 s0, 0, v7
	s_and_saveexec_b32 s4, s0
	s_cbranch_execz .LBB733_42
; %bb.41:
	v_div_scale_f32 v8, null, v7, v7, v17
	s_delay_alu instid0(VALU_DEP_1) | instskip(SKIP_2) | instid1(VALU_DEP_1)
	v_rcp_f32_e32 v10, v8
	s_waitcnt_depctr 0xfff
	v_fma_f32 v11, -v8, v10, 1.0
	v_fmac_f32_e32 v10, v11, v10
	v_div_scale_f32 v11, vcc_lo, v17, v7, v17
	s_delay_alu instid0(VALU_DEP_1) | instskip(NEXT) | instid1(VALU_DEP_1)
	v_mul_f32_e32 v12, v11, v10
	v_fma_f32 v13, -v8, v12, v11
	s_delay_alu instid0(VALU_DEP_1) | instskip(NEXT) | instid1(VALU_DEP_1)
	v_fmac_f32_e32 v12, v13, v10
	v_fma_f32 v8, -v8, v12, v11
	s_delay_alu instid0(VALU_DEP_1) | instskip(NEXT) | instid1(VALU_DEP_1)
	v_div_fmas_f32 v8, v8, v10, v12
	v_div_fixup_f32 v8, v8, v7, v17
	s_delay_alu instid0(VALU_DEP_1)
	v_cvt_f16_f32_e32 v8, v8
.LBB733_42:
	s_or_b32 exec_lo, exec_lo, s4
	global_store_b16 v[0:1], v8, off
	s_and_b32 exec_lo, exec_lo, s2
	s_cbranch_execz .LBB733_47
; %bb.43:
	s_and_saveexec_b32 s4, s0
	s_delay_alu instid0(SALU_CYCLE_1)
	s_xor_b32 s0, exec_lo, s4
	s_cbranch_execz .LBB733_45
; %bb.44:
	v_div_scale_f32 v8, null, v7, v7, v6
	s_delay_alu instid0(VALU_DEP_1) | instskip(SKIP_2) | instid1(VALU_DEP_1)
	v_rcp_f32_e32 v10, v8
	s_waitcnt_depctr 0xfff
	v_fma_f32 v11, -v8, v10, 1.0
	v_fmac_f32_e32 v10, v11, v10
	v_div_scale_f32 v11, vcc_lo, v6, v7, v6
	s_delay_alu instid0(VALU_DEP_1) | instskip(NEXT) | instid1(VALU_DEP_1)
	v_mul_f32_e32 v12, v11, v10
	v_fma_f32 v13, -v8, v12, v11
	s_delay_alu instid0(VALU_DEP_1) | instskip(NEXT) | instid1(VALU_DEP_1)
	v_fmac_f32_e32 v12, v13, v10
	v_fma_f32 v8, -v8, v12, v11
	s_delay_alu instid0(VALU_DEP_1) | instskip(NEXT) | instid1(VALU_DEP_1)
	v_div_fmas_f32 v8, v8, v10, v12
	v_div_fixup_f32 v6, v8, v7, v6
	s_delay_alu instid0(VALU_DEP_1)
	v_cvt_f16_f32_e32 v6, v6
	global_store_b16 v[0:1], v6, off offset:64
.LBB733_45:
	s_and_not1_saveexec_b32 s0, s0
	s_cbranch_execz .LBB733_47
; %bb.46:
	v_mov_b32_e32 v6, 0x7e00
	global_store_b16 v[0:1], v6, off offset:64
.LBB733_47:
	s_or_b32 exec_lo, exec_lo, s1
	s_delay_alu instid0(SALU_CYCLE_1)
	s_mov_b32 s0, exec_lo
	v_cmpx_ne_u32_e32 1, v9
	s_cbranch_execz .LBB733_52
; %bb.48:
	s_and_b32 exec_lo, exec_lo, s3
	s_cbranch_execz .LBB733_52
; %bb.49:
	s_mov_b32 s7, 0
	s_waitcnt lgkmcnt(0)
	v_add_f32_e32 v6, v2, v3
	s_lshl_b64 s[4:5], s[6:7], 1
	s_delay_alu instid0(SALU_CYCLE_1) | instskip(NEXT) | instid1(VALU_DEP_2)
	v_add_co_u32 v2, vcc_lo, v0, s4
	v_cmp_neq_f32_e64 s0, 0, v6
	v_add_co_ci_u32_e32 v3, vcc_lo, s5, v1, vcc_lo
	s_delay_alu instid0(VALU_DEP_2) | instskip(NEXT) | instid1(SALU_CYCLE_1)
	s_and_saveexec_b32 s1, s0
	s_xor_b32 s1, exec_lo, s1
	s_cbranch_execnz .LBB733_53
; %bb.50:
	s_and_not1_saveexec_b32 s1, s1
	s_cbranch_execnz .LBB733_54
.LBB733_51:
	s_or_b32 exec_lo, exec_lo, s1
	s_delay_alu instid0(SALU_CYCLE_1)
	s_and_b32 exec_lo, exec_lo, s2
	s_cbranch_execnz .LBB733_55
.LBB733_52:
	s_nop 0
	s_sendmsg sendmsg(MSG_DEALLOC_VGPRS)
	s_endpgm
.LBB733_53:
	v_div_scale_f32 v7, null, v6, v6, v4
	s_delay_alu instid0(VALU_DEP_1) | instskip(SKIP_2) | instid1(VALU_DEP_1)
	v_rcp_f32_e32 v8, v7
	s_waitcnt_depctr 0xfff
	v_fma_f32 v9, -v7, v8, 1.0
	v_fmac_f32_e32 v8, v9, v8
	v_div_scale_f32 v9, vcc_lo, v4, v6, v4
	s_delay_alu instid0(VALU_DEP_1) | instskip(NEXT) | instid1(VALU_DEP_1)
	v_mul_f32_e32 v10, v9, v8
	v_fma_f32 v11, -v7, v10, v9
	s_delay_alu instid0(VALU_DEP_1) | instskip(NEXT) | instid1(VALU_DEP_1)
	v_fmac_f32_e32 v10, v11, v8
	v_fma_f32 v7, -v7, v10, v9
	s_delay_alu instid0(VALU_DEP_1) | instskip(NEXT) | instid1(VALU_DEP_1)
	v_div_fmas_f32 v7, v7, v8, v10
	v_div_fixup_f32 v4, v7, v6, v4
	s_delay_alu instid0(VALU_DEP_1)
	v_cvt_f16_f32_e32 v4, v4
	global_store_b16 v[2:3], v4, off
                                        ; implicit-def: $vgpr2_vgpr3
	s_and_not1_saveexec_b32 s1, s1
	s_cbranch_execz .LBB733_51
.LBB733_54:
	v_mov_b32_e32 v4, 0x7e00
	global_store_b16 v[2:3], v4, off
	s_or_b32 exec_lo, exec_lo, s1
	s_delay_alu instid0(SALU_CYCLE_1)
	s_and_b32 exec_lo, exec_lo, s2
	s_cbranch_execz .LBB733_52
.LBB733_55:
	s_ashr_i32 s7, s6, 31
	s_delay_alu instid0(SALU_CYCLE_1) | instskip(NEXT) | instid1(SALU_CYCLE_1)
	s_lshl_b64 s[2:3], s[6:7], 1
	v_add_co_u32 v0, vcc_lo, v0, s2
	v_add_co_ci_u32_e32 v1, vcc_lo, s3, v1, vcc_lo
	s_and_saveexec_b32 s1, s0
	s_delay_alu instid0(SALU_CYCLE_1)
	s_xor_b32 s0, exec_lo, s1
	s_cbranch_execz .LBB733_57
; %bb.56:
	v_div_scale_f32 v2, null, v6, v6, v5
	s_delay_alu instid0(VALU_DEP_1) | instskip(SKIP_2) | instid1(VALU_DEP_1)
	v_rcp_f32_e32 v3, v2
	s_waitcnt_depctr 0xfff
	v_fma_f32 v4, -v2, v3, 1.0
	v_fmac_f32_e32 v3, v4, v3
	v_div_scale_f32 v4, vcc_lo, v5, v6, v5
	s_delay_alu instid0(VALU_DEP_1) | instskip(NEXT) | instid1(VALU_DEP_1)
	v_mul_f32_e32 v7, v4, v3
	v_fma_f32 v8, -v2, v7, v4
	s_delay_alu instid0(VALU_DEP_1) | instskip(NEXT) | instid1(VALU_DEP_1)
	v_fmac_f32_e32 v7, v8, v3
	v_fma_f32 v2, -v2, v7, v4
	s_delay_alu instid0(VALU_DEP_1) | instskip(NEXT) | instid1(VALU_DEP_1)
	v_div_fmas_f32 v2, v2, v3, v7
	v_div_fixup_f32 v2, v2, v6, v5
	s_delay_alu instid0(VALU_DEP_1)
	v_cvt_f16_f32_e32 v2, v2
	global_store_b16 v[0:1], v2, off offset:64
                                        ; implicit-def: $vgpr0_vgpr1
.LBB733_57:
	s_and_not1_saveexec_b32 s0, s0
	s_cbranch_execz .LBB733_52
; %bb.58:
	v_mov_b32_e32 v2, 0x7e00
	global_store_b16 v[0:1], v2, off offset:64
	s_nop 0
	s_sendmsg sendmsg(MSG_DEALLOC_VGPRS)
	s_endpgm
	.section	.rodata,"a",@progbits
	.p2align	6, 0x0
	.amdhsa_kernel _ZN12_GLOBAL__N_120softmax_warp_forwardIN3c104HalfES2_fLi6ELb0ELb1ELi32EEEvPT0_PKT_iiiPKbib
		.amdhsa_group_segment_fixed_size 0
		.amdhsa_private_segment_fixed_size 0
		.amdhsa_kernarg_size 304
		.amdhsa_user_sgpr_count 15
		.amdhsa_user_sgpr_dispatch_ptr 0
		.amdhsa_user_sgpr_queue_ptr 0
		.amdhsa_user_sgpr_kernarg_segment_ptr 1
		.amdhsa_user_sgpr_dispatch_id 0
		.amdhsa_user_sgpr_private_segment_size 0
		.amdhsa_wavefront_size32 1
		.amdhsa_uses_dynamic_stack 0
		.amdhsa_enable_private_segment 0
		.amdhsa_system_sgpr_workgroup_id_x 1
		.amdhsa_system_sgpr_workgroup_id_y 0
		.amdhsa_system_sgpr_workgroup_id_z 0
		.amdhsa_system_sgpr_workgroup_info 0
		.amdhsa_system_vgpr_workitem_id 1
		.amdhsa_next_free_vgpr 22
		.amdhsa_next_free_sgpr 18
		.amdhsa_reserve_vcc 1
		.amdhsa_float_round_mode_32 0
		.amdhsa_float_round_mode_16_64 0
		.amdhsa_float_denorm_mode_32 3
		.amdhsa_float_denorm_mode_16_64 3
		.amdhsa_dx10_clamp 1
		.amdhsa_ieee_mode 1
		.amdhsa_fp16_overflow 0
		.amdhsa_workgroup_processor_mode 1
		.amdhsa_memory_ordered 1
		.amdhsa_forward_progress 0
		.amdhsa_shared_vgpr_count 0
		.amdhsa_exception_fp_ieee_invalid_op 0
		.amdhsa_exception_fp_denorm_src 0
		.amdhsa_exception_fp_ieee_div_zero 0
		.amdhsa_exception_fp_ieee_overflow 0
		.amdhsa_exception_fp_ieee_underflow 0
		.amdhsa_exception_fp_ieee_inexact 0
		.amdhsa_exception_int_div_zero 0
	.end_amdhsa_kernel
	.section	.text._ZN12_GLOBAL__N_120softmax_warp_forwardIN3c104HalfES2_fLi6ELb0ELb1ELi32EEEvPT0_PKT_iiiPKbib,"axG",@progbits,_ZN12_GLOBAL__N_120softmax_warp_forwardIN3c104HalfES2_fLi6ELb0ELb1ELi32EEEvPT0_PKT_iiiPKbib,comdat
.Lfunc_end733:
	.size	_ZN12_GLOBAL__N_120softmax_warp_forwardIN3c104HalfES2_fLi6ELb0ELb1ELi32EEEvPT0_PKT_iiiPKbib, .Lfunc_end733-_ZN12_GLOBAL__N_120softmax_warp_forwardIN3c104HalfES2_fLi6ELb0ELb1ELi32EEEvPT0_PKT_iiiPKbib
                                        ; -- End function
	.section	.AMDGPU.csdata,"",@progbits
; Kernel info:
; codeLenInByte = 3304
; NumSgprs: 20
; NumVgprs: 22
; ScratchSize: 0
; MemoryBound: 0
; FloatMode: 240
; IeeeMode: 1
; LDSByteSize: 0 bytes/workgroup (compile time only)
; SGPRBlocks: 2
; VGPRBlocks: 2
; NumSGPRsForWavesPerEU: 20
; NumVGPRsForWavesPerEU: 22
; Occupancy: 16
; WaveLimiterHint : 0
; COMPUTE_PGM_RSRC2:SCRATCH_EN: 0
; COMPUTE_PGM_RSRC2:USER_SGPR: 15
; COMPUTE_PGM_RSRC2:TRAP_HANDLER: 0
; COMPUTE_PGM_RSRC2:TGID_X_EN: 1
; COMPUTE_PGM_RSRC2:TGID_Y_EN: 0
; COMPUTE_PGM_RSRC2:TGID_Z_EN: 0
; COMPUTE_PGM_RSRC2:TIDIG_COMP_CNT: 1
	.section	.text._ZN12_GLOBAL__N_120softmax_warp_forwardIN3c104HalfES2_fLi7ELb0ELb1ELi64EEEvPT0_PKT_iiiPKbib,"axG",@progbits,_ZN12_GLOBAL__N_120softmax_warp_forwardIN3c104HalfES2_fLi7ELb0ELb1ELi64EEEvPT0_PKT_iiiPKbib,comdat
	.globl	_ZN12_GLOBAL__N_120softmax_warp_forwardIN3c104HalfES2_fLi7ELb0ELb1ELi64EEEvPT0_PKT_iiiPKbib ; -- Begin function _ZN12_GLOBAL__N_120softmax_warp_forwardIN3c104HalfES2_fLi7ELb0ELb1ELi64EEEvPT0_PKT_iiiPKbib
	.p2align	8
	.type	_ZN12_GLOBAL__N_120softmax_warp_forwardIN3c104HalfES2_fLi7ELb0ELb1ELi64EEEvPT0_PKT_iiiPKbib,@function
_ZN12_GLOBAL__N_120softmax_warp_forwardIN3c104HalfES2_fLi7ELb0ELb1ELi64EEEvPT0_PKT_iiiPKbib: ; @_ZN12_GLOBAL__N_120softmax_warp_forwardIN3c104HalfES2_fLi7ELb0ELb1ELi64EEEvPT0_PKT_iiiPKbib
; %bb.0:
	s_clause 0x2
	s_load_b64 s[2:3], s[0:1], 0x28
	s_load_b32 s8, s[0:1], 0x3c
	s_load_b128 s[4:7], s[0:1], 0x10
	v_bfe_u32 v1, v0, 10, 10
	v_and_b32_e32 v4, 0x3ff, v0
	s_waitcnt lgkmcnt(0)
	s_bitcmp1_b32 s3, 0
	s_cselect_b32 s14, -1, 0
	s_lshr_b32 s7, s8, 16
	s_bitcmp0_b32 s3, 0
	s_mul_i32 s15, s15, s7
	s_delay_alu instid0(SALU_CYCLE_1) | instskip(NEXT) | instid1(VALU_DEP_1)
	v_add_lshl_u32 v5, s15, v1, 1
	v_mul_lo_u32 v6, v5, s5
	s_delay_alu instid0(VALU_DEP_1) | instskip(NEXT) | instid1(VALU_DEP_1)
	v_add_nc_u32_e32 v0, v6, v4
	v_ashrrev_i32_e32 v1, 31, v0
	s_delay_alu instid0(VALU_DEP_1)
	v_dual_mov_b32 v3, v1 :: v_dual_mov_b32 v2, v0
	s_cbranch_scc1 .LBB734_2
; %bb.1:
	s_abs_i32 s3, s2
	v_sub_nc_u32_e32 v7, 0, v6
	v_cvt_f32_u32_e32 v2, s3
	s_sub_i32 s7, 0, s3
	s_delay_alu instid0(VALU_DEP_2) | instskip(NEXT) | instid1(VALU_DEP_2)
	v_max_i32_e32 v7, v6, v7
	v_rcp_iflag_f32_e32 v2, v2
	v_xor_b32_e32 v6, s2, v6
	s_delay_alu instid0(VALU_DEP_1) | instskip(SKIP_2) | instid1(VALU_DEP_1)
	v_ashrrev_i32_e32 v6, 31, v6
	s_waitcnt_depctr 0xfff
	v_mul_f32_e32 v2, 0x4f7ffffe, v2
	v_cvt_u32_f32_e32 v2, v2
	s_delay_alu instid0(VALU_DEP_1) | instskip(NEXT) | instid1(VALU_DEP_1)
	v_mul_lo_u32 v3, s7, v2
	v_mul_hi_u32 v3, v2, v3
	s_delay_alu instid0(VALU_DEP_1) | instskip(NEXT) | instid1(VALU_DEP_1)
	v_add_nc_u32_e32 v2, v2, v3
	v_mul_hi_u32 v2, v7, v2
	s_delay_alu instid0(VALU_DEP_1) | instskip(NEXT) | instid1(VALU_DEP_1)
	v_mul_lo_u32 v3, v2, s3
	v_sub_nc_u32_e32 v3, v7, v3
	v_add_nc_u32_e32 v7, 1, v2
	s_delay_alu instid0(VALU_DEP_2) | instskip(SKIP_1) | instid1(VALU_DEP_2)
	v_subrev_nc_u32_e32 v8, s3, v3
	v_cmp_le_u32_e32 vcc_lo, s3, v3
	v_dual_cndmask_b32 v3, v3, v8 :: v_dual_cndmask_b32 v2, v2, v7
	s_delay_alu instid0(VALU_DEP_1) | instskip(NEXT) | instid1(VALU_DEP_2)
	v_cmp_le_u32_e32 vcc_lo, s3, v3
	v_add_nc_u32_e32 v7, 1, v2
	s_delay_alu instid0(VALU_DEP_1) | instskip(NEXT) | instid1(VALU_DEP_1)
	v_cndmask_b32_e32 v2, v2, v7, vcc_lo
	v_xor_b32_e32 v2, v2, v6
	s_delay_alu instid0(VALU_DEP_1) | instskip(NEXT) | instid1(VALU_DEP_1)
	v_sub_nc_u32_e32 v6, v2, v6
	v_mad_u64_u32 v[2:3], null, v6, s5, v[4:5]
	s_delay_alu instid0(VALU_DEP_1)
	v_ashrrev_i32_e32 v3, 31, v2
.LBB734_2:
	s_load_b128 s[8:11], s[0:1], 0x0
	v_lshlrev_b64 v[0:1], 1, v[0:1]
	v_sub_nc_u32_e32 v9, s4, v5
	v_cmp_gt_i32_e64 s3, s6, v4
	v_dual_mov_b32 v11, 0xff800000 :: v_dual_mov_b32 v6, 0xff800000
	s_delay_alu instid0(VALU_DEP_3) | instskip(NEXT) | instid1(VALU_DEP_3)
	v_cmp_lt_i32_e32 vcc_lo, 0, v9
	s_and_b32 s13, vcc_lo, s3
	s_waitcnt lgkmcnt(0)
	v_add_co_u32 v7, s2, s10, v0
	s_delay_alu instid0(VALU_DEP_1)
	v_add_co_ci_u32_e64 v8, s2, s11, v1, s2
	s_and_saveexec_b32 s2, s13
	s_cbranch_execz .LBB734_4
; %bb.3:
	global_load_u16 v5, v[7:8], off
	s_waitcnt vmcnt(0)
	v_cvt_f32_f16_e32 v6, v5
.LBB734_4:
	s_or_b32 exec_lo, exec_lo, s2
	v_add_nc_u32_e32 v4, 64, v4
	s_delay_alu instid0(VALU_DEP_1) | instskip(NEXT) | instid1(VALU_DEP_1)
	v_cmp_gt_i32_e64 s2, s6, v4
	s_and_b32 s12, vcc_lo, s2
	s_delay_alu instid0(SALU_CYCLE_1)
	s_and_saveexec_b32 s4, s12
	s_cbranch_execz .LBB734_6
; %bb.5:
	global_load_u16 v4, v[7:8], off offset:128
	s_waitcnt vmcnt(0)
	v_cvt_f32_f16_e32 v11, v4
.LBB734_6:
	s_or_b32 exec_lo, exec_lo, s4
	v_cmp_lt_i32_e64 s4, 1, v9
	v_dual_mov_b32 v10, 0xff800000 :: v_dual_mov_b32 v5, 0xff800000
	s_delay_alu instid0(VALU_DEP_2) | instskip(NEXT) | instid1(SALU_CYCLE_1)
	s_and_b32 s11, s4, s3
	s_and_saveexec_b32 s10, s11
	s_cbranch_execz .LBB734_8
; %bb.7:
	s_mov_b32 s7, 0
	s_delay_alu instid0(SALU_CYCLE_1) | instskip(NEXT) | instid1(SALU_CYCLE_1)
	s_lshl_b64 s[16:17], s[6:7], 1
	v_add_co_u32 v4, s5, v7, s16
	s_delay_alu instid0(VALU_DEP_1)
	v_add_co_ci_u32_e64 v5, s5, s17, v8, s5
	global_load_u16 v4, v[4:5], off
	s_waitcnt vmcnt(0)
	v_cvt_f32_f16_e32 v5, v4
.LBB734_8:
	s_or_b32 exec_lo, exec_lo, s10
	s_and_b32 s10, s4, s2
	s_delay_alu instid0(SALU_CYCLE_1)
	s_and_saveexec_b32 s5, s10
	s_cbranch_execz .LBB734_10
; %bb.9:
	s_mov_b32 s7, 0
	s_delay_alu instid0(SALU_CYCLE_1) | instskip(NEXT) | instid1(SALU_CYCLE_1)
	s_lshl_b64 s[16:17], s[6:7], 1
	v_add_co_u32 v7, s4, v7, s16
	s_delay_alu instid0(VALU_DEP_1)
	v_add_co_ci_u32_e64 v8, s4, s17, v8, s4
	global_load_u16 v4, v[7:8], off offset:128
	s_waitcnt vmcnt(0)
	v_cvt_f32_f16_e32 v10, v4
.LBB734_10:
	s_or_b32 exec_lo, exec_lo, s5
	s_load_b64 s[0:1], s[0:1], 0x20
	v_mov_b32_e32 v8, v7
	v_mov_b32_e32 v7, v6
	s_waitcnt lgkmcnt(0)
	v_add_co_u32 v2, s0, s0, v2
	s_delay_alu instid0(VALU_DEP_1)
	v_add_co_ci_u32_e64 v3, s0, s1, v3, s0
	s_mov_b32 s1, 0
	s_and_saveexec_b32 s4, s13
	s_cbranch_execz .LBB734_12
; %bb.11:
	global_load_u8 v4, v[2:3], off
	v_mov_b32_e32 v8, v7
	s_waitcnt vmcnt(0)
	v_dual_mov_b32 v7, v6 :: v_dual_and_b32 v4, 1, v4
	s_delay_alu instid0(VALU_DEP_1) | instskip(NEXT) | instid1(VALU_DEP_1)
	v_cmp_eq_u32_e64 s0, 1, v4
	s_xor_b32 s0, s0, -1
	s_delay_alu instid0(SALU_CYCLE_1)
	s_and_b32 s1, s0, exec_lo
.LBB734_12:
	s_or_b32 exec_lo, exec_lo, s4
	s_and_saveexec_b32 s4, s12
	s_cbranch_execz .LBB734_16
; %bb.13:
	global_load_u8 v4, v[2:3], off offset:64
	s_waitcnt vmcnt(0)
	v_and_b32_e32 v4, 1, v4
	s_delay_alu instid0(VALU_DEP_1) | instskip(NEXT) | instid1(VALU_DEP_1)
	v_cmp_eq_u32_e64 s0, 1, v4
	s_xor_b32 s7, s0, -1
	s_mov_b32 s0, s1
	s_and_saveexec_b32 s5, s7
; %bb.14:
	v_cmp_gt_f32_e64 s0, v7, v11
	s_delay_alu instid0(VALU_DEP_1) | instskip(NEXT) | instid1(SALU_CYCLE_1)
	s_and_b32 s0, s1, s0
	v_cndmask_b32_e64 v7, v11, v7, s0
	s_or_b32 s0, s1, exec_lo
; %bb.15:
	s_or_b32 exec_lo, exec_lo, s5
	s_delay_alu instid0(SALU_CYCLE_1) | instskip(SKIP_1) | instid1(SALU_CYCLE_1)
	s_and_not1_b32 s1, s1, exec_lo
	s_and_b32 s0, s0, exec_lo
	s_or_b32 s1, s1, s0
.LBB734_16:
	s_or_b32 exec_lo, exec_lo, s4
	v_cndmask_b32_e64 v4, 0xff800000, v7, s1
	v_mov_b32_e32 v8, v5
	s_and_b32 s0, s14, exec_lo
	s_mov_b32 s4, 0
	s_cselect_b32 s1, 0, s6
	v_mov_b32_e32 v7, v4
	s_and_saveexec_b32 s5, s11
	s_cbranch_execz .LBB734_18
; %bb.17:
	s_ashr_i32 s4, s1, 31
	v_add_co_u32 v7, s0, v2, s1
	s_delay_alu instid0(VALU_DEP_1) | instskip(SKIP_3) | instid1(VALU_DEP_1)
	v_add_co_ci_u32_e64 v8, s0, s4, v3, s0
	global_load_u8 v7, v[7:8], off
	s_waitcnt vmcnt(0)
	v_and_b32_e32 v7, 1, v7
	v_cmp_eq_u32_e64 s0, 1, v7
	v_dual_mov_b32 v8, v5 :: v_dual_mov_b32 v7, v4
	s_delay_alu instid0(VALU_DEP_2) | instskip(NEXT) | instid1(SALU_CYCLE_1)
	s_xor_b32 s0, s0, -1
	s_and_b32 s4, s0, exec_lo
.LBB734_18:
	s_or_b32 exec_lo, exec_lo, s5
	s_and_saveexec_b32 s5, s10
	s_cbranch_execz .LBB734_22
; %bb.19:
	s_ashr_i32 s7, s1, 31
	v_add_co_u32 v12, s0, v2, s1
	s_delay_alu instid0(VALU_DEP_1) | instskip(SKIP_3) | instid1(VALU_DEP_1)
	v_add_co_ci_u32_e64 v13, s0, s7, v3, s0
	global_load_u8 v4, v[12:13], off offset:64
	s_waitcnt vmcnt(0)
	v_and_b32_e32 v4, 1, v4
	v_cmp_eq_u32_e64 s0, 1, v4
	s_delay_alu instid0(VALU_DEP_1)
	s_xor_b32 s14, s0, -1
	s_mov_b32 s0, s4
	s_and_saveexec_b32 s7, s14
; %bb.20:
	v_cmp_gt_f32_e64 s0, v8, v10
	s_delay_alu instid0(VALU_DEP_1) | instskip(NEXT) | instid1(SALU_CYCLE_1)
	s_and_b32 s0, s4, s0
	v_cndmask_b32_e64 v8, v10, v8, s0
	s_or_b32 s0, s4, exec_lo
; %bb.21:
	s_or_b32 exec_lo, exec_lo, s7
	s_delay_alu instid0(SALU_CYCLE_1) | instskip(SKIP_1) | instid1(SALU_CYCLE_1)
	s_and_not1_b32 s4, s4, exec_lo
	s_and_b32 s0, s0, exec_lo
	s_or_b32 s4, s4, s0
.LBB734_22:
	s_or_b32 exec_lo, exec_lo, s5
	v_mbcnt_lo_u32_b32 v4, -1, 0
	v_cndmask_b32_e64 v7, v7, v7, s4
	v_cndmask_b32_e64 v8, 0xff800000, v8, s4
	s_mov_b32 s4, 0
	s_delay_alu instid0(SALU_CYCLE_1) | instskip(SKIP_2) | instid1(VALU_DEP_2)
	s_mov_b32 s5, s4
	v_or_b32_e32 v12, 32, v4
	v_xor_b32_e32 v13, 16, v4
	v_cmp_gt_i32_e64 s0, 64, v12
	s_delay_alu instid0(VALU_DEP_1) | instskip(NEXT) | instid1(VALU_DEP_3)
	v_cndmask_b32_e64 v12, v4, v12, s0
	v_cmp_gt_i32_e64 s0, 64, v13
	s_delay_alu instid0(VALU_DEP_2) | instskip(NEXT) | instid1(VALU_DEP_2)
	v_lshlrev_b32_e32 v12, 2, v12
	v_cndmask_b32_e64 v13, v4, v13, s0
	ds_bpermute_b32 v14, v12, v7
	ds_bpermute_b32 v15, v12, v8
	v_lshlrev_b32_e32 v13, 2, v13
	s_waitcnt lgkmcnt(1)
	v_cmp_lt_f32_e64 s0, v7, v14
	s_delay_alu instid0(VALU_DEP_1)
	v_cndmask_b32_e64 v7, v7, v14, s0
	s_waitcnt lgkmcnt(0)
	v_cmp_lt_f32_e64 s0, v8, v15
	v_xor_b32_e32 v14, 8, v4
	ds_bpermute_b32 v16, v13, v7
	v_cndmask_b32_e64 v8, v8, v15, s0
	v_cmp_gt_i32_e64 s0, 64, v14
	ds_bpermute_b32 v15, v13, v8
	v_cndmask_b32_e64 v14, v4, v14, s0
	s_delay_alu instid0(VALU_DEP_1) | instskip(SKIP_2) | instid1(VALU_DEP_1)
	v_lshlrev_b32_e32 v14, 2, v14
	s_waitcnt lgkmcnt(1)
	v_cmp_lt_f32_e64 s0, v7, v16
	v_cndmask_b32_e64 v7, v7, v16, s0
	s_waitcnt lgkmcnt(0)
	v_cmp_lt_f32_e64 s0, v8, v15
	ds_bpermute_b32 v16, v14, v7
	v_cndmask_b32_e64 v8, v8, v15, s0
	v_xor_b32_e32 v15, 4, v4
	ds_bpermute_b32 v17, v14, v8
	v_cmp_gt_i32_e64 s0, 64, v15
	s_delay_alu instid0(VALU_DEP_1) | instskip(NEXT) | instid1(VALU_DEP_1)
	v_cndmask_b32_e64 v15, v4, v15, s0
	v_lshlrev_b32_e32 v15, 2, v15
	s_waitcnt lgkmcnt(1)
	v_cmp_lt_f32_e64 s0, v7, v16
	s_delay_alu instid0(VALU_DEP_1)
	v_cndmask_b32_e64 v7, v7, v16, s0
	s_waitcnt lgkmcnt(0)
	v_cmp_lt_f32_e64 s0, v8, v17
	v_xor_b32_e32 v16, 2, v4
	ds_bpermute_b32 v18, v15, v7
	v_cndmask_b32_e64 v8, v8, v17, s0
	v_cmp_gt_i32_e64 s0, 64, v16
	ds_bpermute_b32 v17, v15, v8
	v_cndmask_b32_e64 v16, v4, v16, s0
	s_delay_alu instid0(VALU_DEP_1) | instskip(SKIP_2) | instid1(VALU_DEP_1)
	v_lshlrev_b32_e32 v16, 2, v16
	s_waitcnt lgkmcnt(1)
	v_cmp_lt_f32_e64 s0, v7, v18
	v_cndmask_b32_e64 v7, v7, v18, s0
	s_waitcnt lgkmcnt(0)
	v_cmp_lt_f32_e64 s0, v8, v17
	ds_bpermute_b32 v18, v16, v7
	v_cndmask_b32_e64 v8, v8, v17, s0
	v_xor_b32_e32 v17, 1, v4
	ds_bpermute_b32 v19, v16, v8
	v_cmp_gt_i32_e64 s0, 64, v17
	s_delay_alu instid0(VALU_DEP_1) | instskip(NEXT) | instid1(VALU_DEP_1)
	v_cndmask_b32_e64 v4, v4, v17, s0
	v_dual_mov_b32 v4, 0 :: v_dual_lshlrev_b32 v17, 2, v4
	s_waitcnt lgkmcnt(1)
	v_cmp_lt_f32_e64 s0, v7, v18
	s_delay_alu instid0(VALU_DEP_1)
	v_cndmask_b32_e64 v18, v7, v18, s0
	s_waitcnt lgkmcnt(0)
	v_cmp_lt_f32_e64 s0, v8, v19
	ds_bpermute_b32 v21, v17, v18
	v_cndmask_b32_e64 v19, v8, v19, s0
	v_dual_mov_b32 v8, s5 :: v_dual_mov_b32 v7, s4
	s_waitcnt lgkmcnt(0)
	v_cmp_lt_f32_e64 s0, v18, v21
	s_delay_alu instid0(VALU_DEP_1)
	v_cndmask_b32_e64 v21, v18, v21, s0
	v_mov_b32_e32 v18, 0
	ds_bpermute_b32 v20, v17, v19
	s_and_saveexec_b32 s7, s13
	s_cbranch_execz .LBB734_26
; %bb.23:
	global_load_u8 v7, v[2:3], off
	s_waitcnt vmcnt(0)
	v_dual_mov_b32 v18, 0 :: v_dual_and_b32 v7, 1, v7
	s_delay_alu instid0(VALU_DEP_1) | instskip(SKIP_1) | instid1(VALU_DEP_2)
	v_cmp_eq_u32_e64 s0, 1, v7
	v_dual_mov_b32 v8, s5 :: v_dual_mov_b32 v7, s4
	s_xor_b32 s0, s0, -1
	s_delay_alu instid0(SALU_CYCLE_1)
	s_and_saveexec_b32 s4, s0
	s_cbranch_execz .LBB734_25
; %bb.24:
	v_sub_f32_e32 v6, v6, v21
	s_delay_alu instid0(VALU_DEP_1) | instskip(NEXT) | instid1(VALU_DEP_1)
	v_mul_f32_e32 v7, 0x3fb8aa3b, v6
	v_fma_f32 v8, 0x3fb8aa3b, v6, -v7
	v_rndne_f32_e32 v18, v7
	s_delay_alu instid0(VALU_DEP_1) | instskip(SKIP_1) | instid1(VALU_DEP_2)
	v_dual_sub_f32 v7, v7, v18 :: v_dual_fmamk_f32 v8, v6, 0x32a5705f, v8
	v_cmp_ngt_f32_e64 s0, 0xc2ce8ed0, v6
	v_add_f32_e32 v7, v7, v8
	v_cvt_i32_f32_e32 v8, v18
	s_delay_alu instid0(VALU_DEP_2) | instskip(SKIP_3) | instid1(VALU_DEP_2)
	v_exp_f32_e32 v7, v7
	s_waitcnt_depctr 0xfff
	v_ldexp_f32 v7, v7, v8
	v_mov_b32_e32 v8, 0
	v_cndmask_b32_e64 v7, 0, v7, s0
	v_cmp_nlt_f32_e64 s0, 0x42b17218, v6
	s_delay_alu instid0(VALU_DEP_1) | instskip(NEXT) | instid1(VALU_DEP_1)
	v_cndmask_b32_e64 v7, 0x7f800000, v7, s0
	v_mov_b32_e32 v18, v7
.LBB734_25:
	s_or_b32 exec_lo, exec_lo, s4
.LBB734_26:
	s_delay_alu instid0(SALU_CYCLE_1)
	s_or_b32 exec_lo, exec_lo, s7
	v_mov_b32_e32 v6, 0
	s_and_saveexec_b32 s4, s12
	s_cbranch_execz .LBB734_30
; %bb.27:
	global_load_u8 v6, v[2:3], off offset:64
	s_waitcnt vmcnt(0)
	v_and_b32_e32 v6, 1, v6
	s_delay_alu instid0(VALU_DEP_1) | instskip(SKIP_1) | instid1(VALU_DEP_2)
	v_cmp_eq_u32_e64 s0, 1, v6
	v_mov_b32_e32 v6, 0
	s_xor_b32 s0, s0, -1
	s_delay_alu instid0(SALU_CYCLE_1)
	s_and_saveexec_b32 s5, s0
	s_cbranch_execz .LBB734_29
; %bb.28:
	v_sub_f32_e32 v6, v11, v21
	s_delay_alu instid0(VALU_DEP_1) | instskip(SKIP_1) | instid1(VALU_DEP_2)
	v_mul_f32_e32 v11, 0x3fb8aa3b, v6
	v_cmp_ngt_f32_e64 s0, 0xc2ce8ed0, v6
	v_fma_f32 v21, 0x3fb8aa3b, v6, -v11
	v_rndne_f32_e32 v22, v11
	s_delay_alu instid0(VALU_DEP_2) | instskip(NEXT) | instid1(VALU_DEP_2)
	v_fmamk_f32 v21, v6, 0x32a5705f, v21
	v_sub_f32_e32 v11, v11, v22
	s_delay_alu instid0(VALU_DEP_1) | instskip(SKIP_1) | instid1(VALU_DEP_2)
	v_add_f32_e32 v11, v11, v21
	v_cvt_i32_f32_e32 v21, v22
	v_exp_f32_e32 v11, v11
	s_waitcnt_depctr 0xfff
	v_ldexp_f32 v11, v11, v21
	s_delay_alu instid0(VALU_DEP_1) | instskip(SKIP_1) | instid1(VALU_DEP_1)
	v_cndmask_b32_e64 v11, 0, v11, s0
	v_cmp_nlt_f32_e64 s0, 0x42b17218, v6
	v_cndmask_b32_e64 v6, 0x7f800000, v11, s0
	s_delay_alu instid0(VALU_DEP_1)
	v_add_f32_e32 v7, v7, v6
.LBB734_29:
	s_or_b32 exec_lo, exec_lo, s5
.LBB734_30:
	s_delay_alu instid0(SALU_CYCLE_1) | instskip(SKIP_2) | instid1(VALU_DEP_1)
	s_or_b32 exec_lo, exec_lo, s4
	s_waitcnt lgkmcnt(0)
	v_cmp_lt_f32_e64 s0, v19, v20
	v_cndmask_b32_e64 v11, v19, v20, s0
	s_and_saveexec_b32 s4, s11
	s_cbranch_execz .LBB734_34
; %bb.31:
	s_ashr_i32 s5, s1, 31
	v_add_co_u32 v19, s0, v2, s1
	s_delay_alu instid0(VALU_DEP_1) | instskip(SKIP_3) | instid1(VALU_DEP_1)
	v_add_co_ci_u32_e64 v20, s0, s5, v3, s0
	global_load_u8 v4, v[19:20], off
	s_waitcnt vmcnt(0)
	v_and_b32_e32 v4, 1, v4
	v_cmp_eq_u32_e64 s0, 1, v4
	v_mov_b32_e32 v4, 0
	s_delay_alu instid0(VALU_DEP_2) | instskip(NEXT) | instid1(SALU_CYCLE_1)
	s_xor_b32 s0, s0, -1
	s_and_saveexec_b32 s5, s0
	s_cbranch_execz .LBB734_33
; %bb.32:
	v_sub_f32_e32 v4, v5, v11
	s_delay_alu instid0(VALU_DEP_1) | instskip(SKIP_1) | instid1(VALU_DEP_2)
	v_mul_f32_e32 v5, 0x3fb8aa3b, v4
	v_cmp_ngt_f32_e64 s0, 0xc2ce8ed0, v4
	v_fma_f32 v19, 0x3fb8aa3b, v4, -v5
	v_rndne_f32_e32 v20, v5
	s_delay_alu instid0(VALU_DEP_2) | instskip(NEXT) | instid1(VALU_DEP_2)
	v_fmamk_f32 v19, v4, 0x32a5705f, v19
	v_sub_f32_e32 v5, v5, v20
	s_delay_alu instid0(VALU_DEP_1) | instskip(SKIP_1) | instid1(VALU_DEP_2)
	v_add_f32_e32 v5, v5, v19
	v_cvt_i32_f32_e32 v19, v20
	v_exp_f32_e32 v5, v5
	s_waitcnt_depctr 0xfff
	v_ldexp_f32 v5, v5, v19
	s_delay_alu instid0(VALU_DEP_1) | instskip(SKIP_1) | instid1(VALU_DEP_1)
	v_cndmask_b32_e64 v5, 0, v5, s0
	v_cmp_nlt_f32_e64 s0, 0x42b17218, v4
	v_cndmask_b32_e64 v4, 0x7f800000, v5, s0
	s_delay_alu instid0(VALU_DEP_1)
	v_add_f32_e32 v8, v8, v4
.LBB734_33:
	s_or_b32 exec_lo, exec_lo, s5
.LBB734_34:
	s_delay_alu instid0(SALU_CYCLE_1)
	s_or_b32 exec_lo, exec_lo, s4
	v_mov_b32_e32 v5, 0
	s_and_saveexec_b32 s4, s10
	s_cbranch_execz .LBB734_38
; %bb.35:
	s_ashr_i32 s5, s1, 31
	v_add_co_u32 v2, s0, v2, s1
	s_delay_alu instid0(VALU_DEP_1) | instskip(SKIP_4) | instid1(VALU_DEP_1)
	v_add_co_ci_u32_e64 v3, s0, s5, v3, s0
	v_mov_b32_e32 v5, 0
	global_load_u8 v2, v[2:3], off offset:64
	s_waitcnt vmcnt(0)
	v_and_b32_e32 v2, 1, v2
	v_cmp_eq_u32_e64 s0, 1, v2
	s_delay_alu instid0(VALU_DEP_1) | instskip(NEXT) | instid1(SALU_CYCLE_1)
	s_xor_b32 s0, s0, -1
	s_and_saveexec_b32 s1, s0
	s_cbranch_execz .LBB734_37
; %bb.36:
	v_sub_f32_e32 v2, v10, v11
	s_delay_alu instid0(VALU_DEP_1) | instskip(NEXT) | instid1(VALU_DEP_1)
	v_mul_f32_e32 v3, 0x3fb8aa3b, v2
	v_fma_f32 v5, 0x3fb8aa3b, v2, -v3
	v_rndne_f32_e32 v10, v3
	s_delay_alu instid0(VALU_DEP_1) | instskip(NEXT) | instid1(VALU_DEP_3)
	v_sub_f32_e32 v3, v3, v10
	v_fmamk_f32 v5, v2, 0x32a5705f, v5
	v_cmp_ngt_f32_e64 s0, 0xc2ce8ed0, v2
	s_delay_alu instid0(VALU_DEP_2) | instskip(SKIP_1) | instid1(VALU_DEP_2)
	v_add_f32_e32 v3, v3, v5
	v_cvt_i32_f32_e32 v5, v10
	v_exp_f32_e32 v3, v3
	s_waitcnt_depctr 0xfff
	v_ldexp_f32 v3, v3, v5
	s_delay_alu instid0(VALU_DEP_1) | instskip(SKIP_1) | instid1(VALU_DEP_1)
	v_cndmask_b32_e64 v3, 0, v3, s0
	v_cmp_nlt_f32_e64 s0, 0x42b17218, v2
	v_cndmask_b32_e64 v5, 0x7f800000, v3, s0
	s_delay_alu instid0(VALU_DEP_1)
	v_add_f32_e32 v8, v8, v5
.LBB734_37:
	s_or_b32 exec_lo, exec_lo, s1
.LBB734_38:
	s_delay_alu instid0(SALU_CYCLE_1)
	s_or_b32 exec_lo, exec_lo, s4
	ds_bpermute_b32 v2, v12, v7
	ds_bpermute_b32 v3, v12, v8
	s_waitcnt lgkmcnt(0)
	v_dual_add_f32 v2, v7, v2 :: v_dual_add_f32 v3, v8, v3
	ds_bpermute_b32 v7, v13, v2
	ds_bpermute_b32 v8, v13, v3
	s_waitcnt lgkmcnt(0)
	v_dual_add_f32 v2, v2, v7 :: v_dual_add_f32 v3, v3, v8
	ds_bpermute_b32 v7, v14, v2
	ds_bpermute_b32 v8, v14, v3
	s_waitcnt lgkmcnt(0)
	v_dual_add_f32 v2, v2, v7 :: v_dual_add_f32 v3, v3, v8
	ds_bpermute_b32 v7, v15, v2
	ds_bpermute_b32 v8, v15, v3
	s_waitcnt lgkmcnt(0)
	v_dual_add_f32 v2, v2, v7 :: v_dual_add_f32 v3, v3, v8
	ds_bpermute_b32 v7, v16, v2
	ds_bpermute_b32 v8, v16, v3
	s_waitcnt lgkmcnt(0)
	v_dual_add_f32 v7, v2, v7 :: v_dual_add_f32 v2, v3, v8
	ds_bpermute_b32 v8, v17, v7
	ds_bpermute_b32 v3, v17, v2
	s_and_saveexec_b32 s0, vcc_lo
	s_delay_alu instid0(SALU_CYCLE_1)
	s_xor_b32 s0, exec_lo, s0
	s_cbranch_execz .LBB734_52
; %bb.39:
	v_add_co_u32 v0, vcc_lo, s8, v0
	v_add_co_ci_u32_e32 v1, vcc_lo, s9, v1, vcc_lo
	s_and_saveexec_b32 s1, s3
	s_cbranch_execz .LBB734_47
; %bb.40:
	s_waitcnt lgkmcnt(1)
	v_dual_add_f32 v7, v7, v8 :: v_dual_mov_b32 v8, 0x7e00
	s_delay_alu instid0(VALU_DEP_1) | instskip(NEXT) | instid1(VALU_DEP_1)
	v_cmp_neq_f32_e64 s0, 0, v7
	s_and_saveexec_b32 s4, s0
	s_cbranch_execz .LBB734_42
; %bb.41:
	v_div_scale_f32 v8, null, v7, v7, v18
	s_delay_alu instid0(VALU_DEP_1) | instskip(SKIP_2) | instid1(VALU_DEP_1)
	v_rcp_f32_e32 v10, v8
	s_waitcnt_depctr 0xfff
	v_fma_f32 v11, -v8, v10, 1.0
	v_fmac_f32_e32 v10, v11, v10
	v_div_scale_f32 v11, vcc_lo, v18, v7, v18
	s_delay_alu instid0(VALU_DEP_1) | instskip(NEXT) | instid1(VALU_DEP_1)
	v_mul_f32_e32 v12, v11, v10
	v_fma_f32 v13, -v8, v12, v11
	s_delay_alu instid0(VALU_DEP_1) | instskip(NEXT) | instid1(VALU_DEP_1)
	v_fmac_f32_e32 v12, v13, v10
	v_fma_f32 v8, -v8, v12, v11
	s_delay_alu instid0(VALU_DEP_1) | instskip(NEXT) | instid1(VALU_DEP_1)
	v_div_fmas_f32 v8, v8, v10, v12
	v_div_fixup_f32 v8, v8, v7, v18
	s_delay_alu instid0(VALU_DEP_1)
	v_cvt_f16_f32_e32 v8, v8
.LBB734_42:
	s_or_b32 exec_lo, exec_lo, s4
	global_store_b16 v[0:1], v8, off
	s_and_b32 exec_lo, exec_lo, s2
	s_cbranch_execz .LBB734_47
; %bb.43:
	s_and_saveexec_b32 s4, s0
	s_delay_alu instid0(SALU_CYCLE_1)
	s_xor_b32 s0, exec_lo, s4
	s_cbranch_execz .LBB734_45
; %bb.44:
	v_div_scale_f32 v8, null, v7, v7, v6
	s_delay_alu instid0(VALU_DEP_1) | instskip(SKIP_2) | instid1(VALU_DEP_1)
	v_rcp_f32_e32 v10, v8
	s_waitcnt_depctr 0xfff
	v_fma_f32 v11, -v8, v10, 1.0
	v_fmac_f32_e32 v10, v11, v10
	v_div_scale_f32 v11, vcc_lo, v6, v7, v6
	s_delay_alu instid0(VALU_DEP_1) | instskip(NEXT) | instid1(VALU_DEP_1)
	v_mul_f32_e32 v12, v11, v10
	v_fma_f32 v13, -v8, v12, v11
	s_delay_alu instid0(VALU_DEP_1) | instskip(NEXT) | instid1(VALU_DEP_1)
	v_fmac_f32_e32 v12, v13, v10
	v_fma_f32 v8, -v8, v12, v11
	s_delay_alu instid0(VALU_DEP_1) | instskip(NEXT) | instid1(VALU_DEP_1)
	v_div_fmas_f32 v8, v8, v10, v12
	v_div_fixup_f32 v6, v8, v7, v6
	s_delay_alu instid0(VALU_DEP_1)
	v_cvt_f16_f32_e32 v6, v6
	global_store_b16 v[0:1], v6, off offset:128
.LBB734_45:
	s_and_not1_saveexec_b32 s0, s0
	s_cbranch_execz .LBB734_47
; %bb.46:
	v_mov_b32_e32 v6, 0x7e00
	global_store_b16 v[0:1], v6, off offset:128
.LBB734_47:
	s_or_b32 exec_lo, exec_lo, s1
	s_delay_alu instid0(SALU_CYCLE_1)
	s_mov_b32 s0, exec_lo
	v_cmpx_ne_u32_e32 1, v9
	s_cbranch_execz .LBB734_52
; %bb.48:
	s_and_b32 exec_lo, exec_lo, s3
	s_cbranch_execz .LBB734_52
; %bb.49:
	s_mov_b32 s7, 0
	s_waitcnt lgkmcnt(0)
	v_add_f32_e32 v6, v2, v3
	s_lshl_b64 s[4:5], s[6:7], 1
	s_delay_alu instid0(SALU_CYCLE_1) | instskip(NEXT) | instid1(VALU_DEP_2)
	v_add_co_u32 v2, vcc_lo, v0, s4
	v_cmp_neq_f32_e64 s0, 0, v6
	v_add_co_ci_u32_e32 v3, vcc_lo, s5, v1, vcc_lo
	s_delay_alu instid0(VALU_DEP_2) | instskip(NEXT) | instid1(SALU_CYCLE_1)
	s_and_saveexec_b32 s1, s0
	s_xor_b32 s1, exec_lo, s1
	s_cbranch_execnz .LBB734_53
; %bb.50:
	s_and_not1_saveexec_b32 s1, s1
	s_cbranch_execnz .LBB734_54
.LBB734_51:
	s_or_b32 exec_lo, exec_lo, s1
	s_delay_alu instid0(SALU_CYCLE_1)
	s_and_b32 exec_lo, exec_lo, s2
	s_cbranch_execnz .LBB734_55
.LBB734_52:
	s_nop 0
	s_sendmsg sendmsg(MSG_DEALLOC_VGPRS)
	s_endpgm
.LBB734_53:
	v_div_scale_f32 v7, null, v6, v6, v4
	s_delay_alu instid0(VALU_DEP_1) | instskip(SKIP_2) | instid1(VALU_DEP_1)
	v_rcp_f32_e32 v8, v7
	s_waitcnt_depctr 0xfff
	v_fma_f32 v9, -v7, v8, 1.0
	v_fmac_f32_e32 v8, v9, v8
	v_div_scale_f32 v9, vcc_lo, v4, v6, v4
	s_delay_alu instid0(VALU_DEP_1) | instskip(NEXT) | instid1(VALU_DEP_1)
	v_mul_f32_e32 v10, v9, v8
	v_fma_f32 v11, -v7, v10, v9
	s_delay_alu instid0(VALU_DEP_1) | instskip(NEXT) | instid1(VALU_DEP_1)
	v_fmac_f32_e32 v10, v11, v8
	v_fma_f32 v7, -v7, v10, v9
	s_delay_alu instid0(VALU_DEP_1) | instskip(NEXT) | instid1(VALU_DEP_1)
	v_div_fmas_f32 v7, v7, v8, v10
	v_div_fixup_f32 v4, v7, v6, v4
	s_delay_alu instid0(VALU_DEP_1)
	v_cvt_f16_f32_e32 v4, v4
	global_store_b16 v[2:3], v4, off
                                        ; implicit-def: $vgpr2_vgpr3
	s_and_not1_saveexec_b32 s1, s1
	s_cbranch_execz .LBB734_51
.LBB734_54:
	v_mov_b32_e32 v4, 0x7e00
	global_store_b16 v[2:3], v4, off
	s_or_b32 exec_lo, exec_lo, s1
	s_delay_alu instid0(SALU_CYCLE_1)
	s_and_b32 exec_lo, exec_lo, s2
	s_cbranch_execz .LBB734_52
.LBB734_55:
	s_ashr_i32 s7, s6, 31
	s_delay_alu instid0(SALU_CYCLE_1) | instskip(NEXT) | instid1(SALU_CYCLE_1)
	s_lshl_b64 s[2:3], s[6:7], 1
	v_add_co_u32 v0, vcc_lo, v0, s2
	v_add_co_ci_u32_e32 v1, vcc_lo, s3, v1, vcc_lo
	s_and_saveexec_b32 s1, s0
	s_delay_alu instid0(SALU_CYCLE_1)
	s_xor_b32 s0, exec_lo, s1
	s_cbranch_execz .LBB734_57
; %bb.56:
	v_div_scale_f32 v2, null, v6, v6, v5
	s_delay_alu instid0(VALU_DEP_1) | instskip(SKIP_2) | instid1(VALU_DEP_1)
	v_rcp_f32_e32 v3, v2
	s_waitcnt_depctr 0xfff
	v_fma_f32 v4, -v2, v3, 1.0
	v_fmac_f32_e32 v3, v4, v3
	v_div_scale_f32 v4, vcc_lo, v5, v6, v5
	s_delay_alu instid0(VALU_DEP_1) | instskip(NEXT) | instid1(VALU_DEP_1)
	v_mul_f32_e32 v7, v4, v3
	v_fma_f32 v8, -v2, v7, v4
	s_delay_alu instid0(VALU_DEP_1) | instskip(NEXT) | instid1(VALU_DEP_1)
	v_fmac_f32_e32 v7, v8, v3
	v_fma_f32 v2, -v2, v7, v4
	s_delay_alu instid0(VALU_DEP_1) | instskip(NEXT) | instid1(VALU_DEP_1)
	v_div_fmas_f32 v2, v2, v3, v7
	v_div_fixup_f32 v2, v2, v6, v5
	s_delay_alu instid0(VALU_DEP_1)
	v_cvt_f16_f32_e32 v2, v2
	global_store_b16 v[0:1], v2, off offset:128
                                        ; implicit-def: $vgpr0_vgpr1
.LBB734_57:
	s_and_not1_saveexec_b32 s0, s0
	s_cbranch_execz .LBB734_52
; %bb.58:
	v_mov_b32_e32 v2, 0x7e00
	global_store_b16 v[0:1], v2, off offset:128
	s_nop 0
	s_sendmsg sendmsg(MSG_DEALLOC_VGPRS)
	s_endpgm
	.section	.rodata,"a",@progbits
	.p2align	6, 0x0
	.amdhsa_kernel _ZN12_GLOBAL__N_120softmax_warp_forwardIN3c104HalfES2_fLi7ELb0ELb1ELi64EEEvPT0_PKT_iiiPKbib
		.amdhsa_group_segment_fixed_size 0
		.amdhsa_private_segment_fixed_size 0
		.amdhsa_kernarg_size 304
		.amdhsa_user_sgpr_count 15
		.amdhsa_user_sgpr_dispatch_ptr 0
		.amdhsa_user_sgpr_queue_ptr 0
		.amdhsa_user_sgpr_kernarg_segment_ptr 1
		.amdhsa_user_sgpr_dispatch_id 0
		.amdhsa_user_sgpr_private_segment_size 0
		.amdhsa_wavefront_size32 1
		.amdhsa_uses_dynamic_stack 0
		.amdhsa_enable_private_segment 0
		.amdhsa_system_sgpr_workgroup_id_x 1
		.amdhsa_system_sgpr_workgroup_id_y 0
		.amdhsa_system_sgpr_workgroup_id_z 0
		.amdhsa_system_sgpr_workgroup_info 0
		.amdhsa_system_vgpr_workitem_id 1
		.amdhsa_next_free_vgpr 23
		.amdhsa_next_free_sgpr 18
		.amdhsa_reserve_vcc 1
		.amdhsa_float_round_mode_32 0
		.amdhsa_float_round_mode_16_64 0
		.amdhsa_float_denorm_mode_32 3
		.amdhsa_float_denorm_mode_16_64 3
		.amdhsa_dx10_clamp 1
		.amdhsa_ieee_mode 1
		.amdhsa_fp16_overflow 0
		.amdhsa_workgroup_processor_mode 1
		.amdhsa_memory_ordered 1
		.amdhsa_forward_progress 0
		.amdhsa_shared_vgpr_count 0
		.amdhsa_exception_fp_ieee_invalid_op 0
		.amdhsa_exception_fp_denorm_src 0
		.amdhsa_exception_fp_ieee_div_zero 0
		.amdhsa_exception_fp_ieee_overflow 0
		.amdhsa_exception_fp_ieee_underflow 0
		.amdhsa_exception_fp_ieee_inexact 0
		.amdhsa_exception_int_div_zero 0
	.end_amdhsa_kernel
	.section	.text._ZN12_GLOBAL__N_120softmax_warp_forwardIN3c104HalfES2_fLi7ELb0ELb1ELi64EEEvPT0_PKT_iiiPKbib,"axG",@progbits,_ZN12_GLOBAL__N_120softmax_warp_forwardIN3c104HalfES2_fLi7ELb0ELb1ELi64EEEvPT0_PKT_iiiPKbib,comdat
.Lfunc_end734:
	.size	_ZN12_GLOBAL__N_120softmax_warp_forwardIN3c104HalfES2_fLi7ELb0ELb1ELi64EEEvPT0_PKT_iiiPKbib, .Lfunc_end734-_ZN12_GLOBAL__N_120softmax_warp_forwardIN3c104HalfES2_fLi7ELb0ELb1ELi64EEEvPT0_PKT_iiiPKbib
                                        ; -- End function
	.section	.AMDGPU.csdata,"",@progbits
; Kernel info:
; codeLenInByte = 3428
; NumSgprs: 20
; NumVgprs: 23
; ScratchSize: 0
; MemoryBound: 0
; FloatMode: 240
; IeeeMode: 1
; LDSByteSize: 0 bytes/workgroup (compile time only)
; SGPRBlocks: 2
; VGPRBlocks: 2
; NumSGPRsForWavesPerEU: 20
; NumVGPRsForWavesPerEU: 23
; Occupancy: 16
; WaveLimiterHint : 0
; COMPUTE_PGM_RSRC2:SCRATCH_EN: 0
; COMPUTE_PGM_RSRC2:USER_SGPR: 15
; COMPUTE_PGM_RSRC2:TRAP_HANDLER: 0
; COMPUTE_PGM_RSRC2:TGID_X_EN: 1
; COMPUTE_PGM_RSRC2:TGID_Y_EN: 0
; COMPUTE_PGM_RSRC2:TGID_Z_EN: 0
; COMPUTE_PGM_RSRC2:TIDIG_COMP_CNT: 1
	.section	.text._ZN12_GLOBAL__N_120softmax_warp_forwardIN3c104HalfES2_fLi7ELb0ELb1ELi32EEEvPT0_PKT_iiiPKbib,"axG",@progbits,_ZN12_GLOBAL__N_120softmax_warp_forwardIN3c104HalfES2_fLi7ELb0ELb1ELi32EEEvPT0_PKT_iiiPKbib,comdat
	.globl	_ZN12_GLOBAL__N_120softmax_warp_forwardIN3c104HalfES2_fLi7ELb0ELb1ELi32EEEvPT0_PKT_iiiPKbib ; -- Begin function _ZN12_GLOBAL__N_120softmax_warp_forwardIN3c104HalfES2_fLi7ELb0ELb1ELi32EEEvPT0_PKT_iiiPKbib
	.p2align	8
	.type	_ZN12_GLOBAL__N_120softmax_warp_forwardIN3c104HalfES2_fLi7ELb0ELb1ELi32EEEvPT0_PKT_iiiPKbib,@function
_ZN12_GLOBAL__N_120softmax_warp_forwardIN3c104HalfES2_fLi7ELb0ELb1ELi32EEEvPT0_PKT_iiiPKbib: ; @_ZN12_GLOBAL__N_120softmax_warp_forwardIN3c104HalfES2_fLi7ELb0ELb1ELi32EEEvPT0_PKT_iiiPKbib
; %bb.0:
	s_clause 0x2
	s_load_b64 s[2:3], s[0:1], 0x28
	s_load_b32 s4, s[0:1], 0x3c
	s_load_b128 s[8:11], s[0:1], 0x10
	v_bfe_u32 v1, v0, 10, 10
	v_and_b32_e32 v4, 0x3ff, v0
	s_waitcnt lgkmcnt(0)
	s_bitcmp1_b32 s3, 0
	s_cselect_b32 s20, -1, 0
	s_lshr_b32 s4, s4, 16
	s_bitcmp0_b32 s3, 0
	s_mul_i32 s15, s15, s4
	s_delay_alu instid0(SALU_CYCLE_1) | instskip(NEXT) | instid1(VALU_DEP_1)
	v_add_lshl_u32 v5, s15, v1, 1
	v_mul_lo_u32 v6, v5, s9
	s_delay_alu instid0(VALU_DEP_1) | instskip(NEXT) | instid1(VALU_DEP_1)
	v_add_nc_u32_e32 v0, v6, v4
	v_ashrrev_i32_e32 v1, 31, v0
	s_delay_alu instid0(VALU_DEP_1)
	v_dual_mov_b32 v3, v1 :: v_dual_mov_b32 v2, v0
	s_cbranch_scc1 .LBB735_2
; %bb.1:
	s_abs_i32 s3, s2
	v_sub_nc_u32_e32 v7, 0, v6
	v_cvt_f32_u32_e32 v2, s3
	s_sub_i32 s4, 0, s3
	s_delay_alu instid0(VALU_DEP_2) | instskip(NEXT) | instid1(VALU_DEP_2)
	v_max_i32_e32 v7, v6, v7
	v_rcp_iflag_f32_e32 v2, v2
	v_xor_b32_e32 v6, s2, v6
	s_delay_alu instid0(VALU_DEP_1) | instskip(SKIP_2) | instid1(VALU_DEP_1)
	v_ashrrev_i32_e32 v6, 31, v6
	s_waitcnt_depctr 0xfff
	v_mul_f32_e32 v2, 0x4f7ffffe, v2
	v_cvt_u32_f32_e32 v2, v2
	s_delay_alu instid0(VALU_DEP_1) | instskip(NEXT) | instid1(VALU_DEP_1)
	v_mul_lo_u32 v3, s4, v2
	v_mul_hi_u32 v3, v2, v3
	s_delay_alu instid0(VALU_DEP_1) | instskip(NEXT) | instid1(VALU_DEP_1)
	v_add_nc_u32_e32 v2, v2, v3
	v_mul_hi_u32 v2, v7, v2
	s_delay_alu instid0(VALU_DEP_1) | instskip(NEXT) | instid1(VALU_DEP_1)
	v_mul_lo_u32 v3, v2, s3
	v_sub_nc_u32_e32 v3, v7, v3
	v_add_nc_u32_e32 v7, 1, v2
	s_delay_alu instid0(VALU_DEP_2) | instskip(SKIP_1) | instid1(VALU_DEP_2)
	v_subrev_nc_u32_e32 v8, s3, v3
	v_cmp_le_u32_e32 vcc_lo, s3, v3
	v_dual_cndmask_b32 v3, v3, v8 :: v_dual_cndmask_b32 v2, v2, v7
	s_delay_alu instid0(VALU_DEP_1) | instskip(NEXT) | instid1(VALU_DEP_2)
	v_cmp_le_u32_e32 vcc_lo, s3, v3
	v_add_nc_u32_e32 v7, 1, v2
	s_delay_alu instid0(VALU_DEP_1) | instskip(NEXT) | instid1(VALU_DEP_1)
	v_cndmask_b32_e32 v2, v2, v7, vcc_lo
	v_xor_b32_e32 v2, v2, v6
	s_delay_alu instid0(VALU_DEP_1) | instskip(NEXT) | instid1(VALU_DEP_1)
	v_sub_nc_u32_e32 v6, v2, v6
	v_mad_u64_u32 v[2:3], null, v6, s9, v[4:5]
	s_delay_alu instid0(VALU_DEP_1)
	v_ashrrev_i32_e32 v3, 31, v2
.LBB735_2:
	s_load_b128 s[12:15], s[0:1], 0x0
	v_lshlrev_b64 v[0:1], 1, v[0:1]
	v_sub_nc_u32_e32 v9, s8, v5
	v_cmp_gt_i32_e64 s5, s10, v4
	v_dual_mov_b32 v15, 0xff800000 :: v_dual_mov_b32 v6, 0xff800000
	s_delay_alu instid0(VALU_DEP_3) | instskip(NEXT) | instid1(VALU_DEP_3)
	v_cmp_lt_i32_e32 vcc_lo, 0, v9
	s_and_b32 s19, vcc_lo, s5
	s_waitcnt lgkmcnt(0)
	v_add_co_u32 v7, s2, s14, v0
	s_delay_alu instid0(VALU_DEP_1)
	v_add_co_ci_u32_e64 v8, s2, s15, v1, s2
	s_and_saveexec_b32 s2, s19
	s_cbranch_execz .LBB735_4
; %bb.3:
	global_load_u16 v5, v[7:8], off
	s_waitcnt vmcnt(0)
	v_cvt_f32_f16_e32 v6, v5
.LBB735_4:
	s_or_b32 exec_lo, exec_lo, s2
	v_add_nc_u32_e32 v5, 32, v4
	s_delay_alu instid0(VALU_DEP_1) | instskip(NEXT) | instid1(VALU_DEP_1)
	v_cmp_gt_i32_e64 s4, s10, v5
	s_and_b32 s18, vcc_lo, s4
	s_delay_alu instid0(SALU_CYCLE_1)
	s_and_saveexec_b32 s2, s18
	s_cbranch_execz .LBB735_6
; %bb.5:
	global_load_u16 v5, v[7:8], off offset:64
	s_waitcnt vmcnt(0)
	v_cvt_f32_f16_e32 v15, v5
.LBB735_6:
	s_or_b32 exec_lo, exec_lo, s2
	v_dual_mov_b32 v14, 0xff800000 :: v_dual_add_nc_u32 v5, 64, v4
	v_mov_b32_e32 v13, 0xff800000
	s_delay_alu instid0(VALU_DEP_2) | instskip(NEXT) | instid1(VALU_DEP_1)
	v_cmp_gt_i32_e64 s3, s10, v5
	s_and_b32 s17, vcc_lo, s3
	s_delay_alu instid0(SALU_CYCLE_1)
	s_and_saveexec_b32 s2, s17
	s_cbranch_execz .LBB735_8
; %bb.7:
	global_load_u16 v5, v[7:8], off offset:128
	s_waitcnt vmcnt(0)
	v_cvt_f32_f16_e32 v14, v5
.LBB735_8:
	s_or_b32 exec_lo, exec_lo, s2
	v_add_nc_u32_e32 v4, 0x60, v4
	s_delay_alu instid0(VALU_DEP_1) | instskip(NEXT) | instid1(VALU_DEP_1)
	v_cmp_gt_i32_e64 s2, s10, v4
	s_and_b32 s16, vcc_lo, s2
	s_delay_alu instid0(SALU_CYCLE_1)
	s_and_saveexec_b32 s6, s16
	s_cbranch_execz .LBB735_10
; %bb.9:
	global_load_u16 v4, v[7:8], off offset:192
	s_waitcnt vmcnt(0)
	v_cvt_f32_f16_e32 v13, v4
.LBB735_10:
	s_or_b32 exec_lo, exec_lo, s6
	v_cmp_lt_i32_e64 s6, 1, v9
	v_dual_mov_b32 v12, 0xff800000 :: v_dual_mov_b32 v5, 0xff800000
	s_delay_alu instid0(VALU_DEP_2) | instskip(NEXT) | instid1(SALU_CYCLE_1)
	s_and_b32 s15, s6, s5
	s_and_saveexec_b32 s8, s15
	s_cbranch_execz .LBB735_12
; %bb.11:
	s_mov_b32 s11, 0
	s_delay_alu instid0(SALU_CYCLE_1) | instskip(NEXT) | instid1(SALU_CYCLE_1)
	s_lshl_b64 s[22:23], s[10:11], 1
	v_add_co_u32 v4, s7, v7, s22
	s_delay_alu instid0(VALU_DEP_1)
	v_add_co_ci_u32_e64 v5, s7, s23, v8, s7
	global_load_u16 v4, v[4:5], off
	s_waitcnt vmcnt(0)
	v_cvt_f32_f16_e32 v5, v4
.LBB735_12:
	s_or_b32 exec_lo, exec_lo, s8
	s_and_b32 s14, s6, s4
	s_delay_alu instid0(SALU_CYCLE_1)
	s_and_saveexec_b32 s8, s14
	s_cbranch_execz .LBB735_14
; %bb.13:
	s_mov_b32 s11, 0
	s_delay_alu instid0(SALU_CYCLE_1) | instskip(NEXT) | instid1(SALU_CYCLE_1)
	s_lshl_b64 s[22:23], s[10:11], 1
	v_add_co_u32 v10, s7, v7, s22
	s_delay_alu instid0(VALU_DEP_1)
	v_add_co_ci_u32_e64 v11, s7, s23, v8, s7
	global_load_u16 v4, v[10:11], off offset:64
	s_waitcnt vmcnt(0)
	v_cvt_f32_f16_e32 v12, v4
.LBB735_14:
	s_or_b32 exec_lo, exec_lo, s8
	v_dual_mov_b32 v10, 0xff800000 :: v_dual_mov_b32 v11, 0xff800000
	s_and_b32 s9, s6, s3
	s_delay_alu instid0(SALU_CYCLE_1)
	s_and_saveexec_b32 s8, s9
	s_cbranch_execz .LBB735_16
; %bb.15:
	s_mov_b32 s11, 0
	s_delay_alu instid0(SALU_CYCLE_1) | instskip(NEXT) | instid1(SALU_CYCLE_1)
	s_lshl_b64 s[22:23], s[10:11], 1
	v_add_co_u32 v16, s7, v7, s22
	s_delay_alu instid0(VALU_DEP_1)
	v_add_co_ci_u32_e64 v17, s7, s23, v8, s7
	global_load_u16 v4, v[16:17], off offset:128
	s_waitcnt vmcnt(0)
	v_cvt_f32_f16_e32 v11, v4
.LBB735_16:
	s_or_b32 exec_lo, exec_lo, s8
	s_and_b32 s8, s6, s2
	s_delay_alu instid0(SALU_CYCLE_1)
	s_and_saveexec_b32 s7, s8
	s_cbranch_execz .LBB735_18
; %bb.17:
	s_mov_b32 s11, 0
	s_delay_alu instid0(SALU_CYCLE_1) | instskip(NEXT) | instid1(SALU_CYCLE_1)
	s_lshl_b64 s[22:23], s[10:11], 1
	v_add_co_u32 v7, s6, v7, s22
	s_delay_alu instid0(VALU_DEP_1)
	v_add_co_ci_u32_e64 v8, s6, s23, v8, s6
	global_load_u16 v4, v[7:8], off offset:192
	s_waitcnt vmcnt(0)
	v_cvt_f32_f16_e32 v10, v4
.LBB735_18:
	s_or_b32 exec_lo, exec_lo, s7
	s_load_b64 s[0:1], s[0:1], 0x20
	v_mov_b32_e32 v8, v7
	v_mov_b32_e32 v7, v6
	s_waitcnt lgkmcnt(0)
	v_add_co_u32 v2, s0, s0, v2
	s_delay_alu instid0(VALU_DEP_1)
	v_add_co_ci_u32_e64 v3, s0, s1, v3, s0
	s_mov_b32 s1, 0
	s_and_saveexec_b32 s6, s19
	s_cbranch_execnz .LBB735_22
; %bb.19:
	s_or_b32 exec_lo, exec_lo, s6
	s_and_saveexec_b32 s6, s18
	s_cbranch_execnz .LBB735_23
.LBB735_20:
	s_or_b32 exec_lo, exec_lo, s6
	s_and_saveexec_b32 s6, s17
	s_cbranch_execnz .LBB735_26
.LBB735_21:
	s_or_b32 exec_lo, exec_lo, s6
	s_and_saveexec_b32 s6, s16
	s_cbranch_execnz .LBB735_29
	s_branch .LBB735_32
.LBB735_22:
	global_load_u8 v4, v[2:3], off
	v_mov_b32_e32 v8, v7
	s_waitcnt vmcnt(0)
	v_dual_mov_b32 v7, v6 :: v_dual_and_b32 v4, 1, v4
	s_delay_alu instid0(VALU_DEP_1) | instskip(NEXT) | instid1(VALU_DEP_1)
	v_cmp_eq_u32_e64 s0, 1, v4
	s_xor_b32 s0, s0, -1
	s_delay_alu instid0(SALU_CYCLE_1)
	s_and_b32 s1, s0, exec_lo
	s_or_b32 exec_lo, exec_lo, s6
	s_and_saveexec_b32 s6, s18
	s_cbranch_execz .LBB735_20
.LBB735_23:
	global_load_u8 v4, v[2:3], off offset:32
	s_waitcnt vmcnt(0)
	v_and_b32_e32 v4, 1, v4
	s_delay_alu instid0(VALU_DEP_1) | instskip(NEXT) | instid1(VALU_DEP_1)
	v_cmp_eq_u32_e64 s0, 1, v4
	s_xor_b32 s11, s0, -1
	s_mov_b32 s0, s1
	s_and_saveexec_b32 s7, s11
; %bb.24:
	v_cmp_gt_f32_e64 s0, v7, v15
	s_delay_alu instid0(VALU_DEP_1) | instskip(NEXT) | instid1(SALU_CYCLE_1)
	s_and_b32 s0, s1, s0
	v_cndmask_b32_e64 v7, v15, v7, s0
	s_or_b32 s0, s1, exec_lo
; %bb.25:
	s_or_b32 exec_lo, exec_lo, s7
	s_delay_alu instid0(SALU_CYCLE_1) | instskip(SKIP_1) | instid1(SALU_CYCLE_1)
	s_and_not1_b32 s1, s1, exec_lo
	s_and_b32 s0, s0, exec_lo
	s_or_b32 s1, s1, s0
	s_or_b32 exec_lo, exec_lo, s6
	s_and_saveexec_b32 s6, s17
	s_cbranch_execz .LBB735_21
.LBB735_26:
	global_load_u8 v4, v[2:3], off offset:64
	s_waitcnt vmcnt(0)
	v_and_b32_e32 v4, 1, v4
	s_delay_alu instid0(VALU_DEP_1) | instskip(NEXT) | instid1(VALU_DEP_1)
	v_cmp_eq_u32_e64 s0, 1, v4
	s_xor_b32 s11, s0, -1
	s_mov_b32 s0, s1
	s_and_saveexec_b32 s7, s11
; %bb.27:
	v_cmp_gt_f32_e64 s0, v7, v14
	s_delay_alu instid0(VALU_DEP_1) | instskip(NEXT) | instid1(SALU_CYCLE_1)
	s_and_b32 s0, s1, s0
	v_cndmask_b32_e64 v7, v14, v7, s0
	s_or_b32 s0, s1, exec_lo
; %bb.28:
	s_or_b32 exec_lo, exec_lo, s7
	s_delay_alu instid0(SALU_CYCLE_1) | instskip(SKIP_1) | instid1(SALU_CYCLE_1)
	s_and_not1_b32 s1, s1, exec_lo
	s_and_b32 s0, s0, exec_lo
	s_or_b32 s1, s1, s0
	s_or_b32 exec_lo, exec_lo, s6
	s_and_saveexec_b32 s6, s16
	s_cbranch_execz .LBB735_32
.LBB735_29:
	global_load_u8 v4, v[2:3], off offset:96
	s_waitcnt vmcnt(0)
	v_and_b32_e32 v4, 1, v4
	s_delay_alu instid0(VALU_DEP_1) | instskip(NEXT) | instid1(VALU_DEP_1)
	v_cmp_eq_u32_e64 s0, 1, v4
	s_xor_b32 s11, s0, -1
	s_mov_b32 s0, s1
	s_and_saveexec_b32 s7, s11
; %bb.30:
	v_cmp_gt_f32_e64 s0, v7, v13
	s_delay_alu instid0(VALU_DEP_1) | instskip(NEXT) | instid1(SALU_CYCLE_1)
	s_and_b32 s0, s1, s0
	v_cndmask_b32_e64 v7, v13, v7, s0
	s_or_b32 s0, s1, exec_lo
; %bb.31:
	s_or_b32 exec_lo, exec_lo, s7
	s_delay_alu instid0(SALU_CYCLE_1) | instskip(SKIP_1) | instid1(SALU_CYCLE_1)
	s_and_not1_b32 s1, s1, exec_lo
	s_and_b32 s0, s0, exec_lo
	s_or_b32 s1, s1, s0
.LBB735_32:
	s_or_b32 exec_lo, exec_lo, s6
	v_cndmask_b32_e64 v4, 0xff800000, v7, s1
	v_mov_b32_e32 v8, v5
	s_and_b32 s0, s20, exec_lo
	s_mov_b32 s6, 0
	s_cselect_b32 s1, 0, s10
	v_mov_b32_e32 v7, v4
	s_and_saveexec_b32 s7, s15
	s_cbranch_execnz .LBB735_36
; %bb.33:
	s_or_b32 exec_lo, exec_lo, s7
	s_and_saveexec_b32 s7, s14
	s_cbranch_execnz .LBB735_37
.LBB735_34:
	s_or_b32 exec_lo, exec_lo, s7
	s_and_saveexec_b32 s7, s9
	s_cbranch_execnz .LBB735_40
.LBB735_35:
	s_or_b32 exec_lo, exec_lo, s7
	s_and_saveexec_b32 s7, s8
	s_cbranch_execnz .LBB735_43
	s_branch .LBB735_46
.LBB735_36:
	s_ashr_i32 s6, s1, 31
	v_add_co_u32 v7, s0, v2, s1
	s_delay_alu instid0(VALU_DEP_1) | instskip(SKIP_3) | instid1(VALU_DEP_1)
	v_add_co_ci_u32_e64 v8, s0, s6, v3, s0
	global_load_u8 v7, v[7:8], off
	s_waitcnt vmcnt(0)
	v_and_b32_e32 v7, 1, v7
	v_cmp_eq_u32_e64 s0, 1, v7
	v_dual_mov_b32 v8, v5 :: v_dual_mov_b32 v7, v4
	s_delay_alu instid0(VALU_DEP_2) | instskip(NEXT) | instid1(SALU_CYCLE_1)
	s_xor_b32 s0, s0, -1
	s_and_b32 s6, s0, exec_lo
	s_or_b32 exec_lo, exec_lo, s7
	s_and_saveexec_b32 s7, s14
	s_cbranch_execz .LBB735_34
.LBB735_37:
	s_ashr_i32 s11, s1, 31
	v_add_co_u32 v16, s0, v2, s1
	s_delay_alu instid0(VALU_DEP_1) | instskip(SKIP_3) | instid1(VALU_DEP_1)
	v_add_co_ci_u32_e64 v17, s0, s11, v3, s0
	global_load_u8 v4, v[16:17], off offset:32
	s_waitcnt vmcnt(0)
	v_and_b32_e32 v4, 1, v4
	v_cmp_eq_u32_e64 s0, 1, v4
	s_delay_alu instid0(VALU_DEP_1)
	s_xor_b32 s20, s0, -1
	s_mov_b32 s0, s6
	s_and_saveexec_b32 s11, s20
; %bb.38:
	v_cmp_gt_f32_e64 s0, v8, v12
	s_delay_alu instid0(VALU_DEP_1) | instskip(NEXT) | instid1(SALU_CYCLE_1)
	s_and_b32 s0, s6, s0
	v_cndmask_b32_e64 v8, v12, v8, s0
	s_or_b32 s0, s6, exec_lo
; %bb.39:
	s_or_b32 exec_lo, exec_lo, s11
	s_delay_alu instid0(SALU_CYCLE_1) | instskip(SKIP_1) | instid1(SALU_CYCLE_1)
	s_and_not1_b32 s6, s6, exec_lo
	s_and_b32 s0, s0, exec_lo
	s_or_b32 s6, s6, s0
	s_or_b32 exec_lo, exec_lo, s7
	s_and_saveexec_b32 s7, s9
	s_cbranch_execz .LBB735_35
.LBB735_40:
	s_ashr_i32 s11, s1, 31
	v_add_co_u32 v16, s0, v2, s1
	s_delay_alu instid0(VALU_DEP_1) | instskip(SKIP_3) | instid1(VALU_DEP_1)
	v_add_co_ci_u32_e64 v17, s0, s11, v3, s0
	global_load_u8 v4, v[16:17], off offset:64
	s_waitcnt vmcnt(0)
	v_and_b32_e32 v4, 1, v4
	v_cmp_eq_u32_e64 s0, 1, v4
	s_delay_alu instid0(VALU_DEP_1)
	s_xor_b32 s20, s0, -1
	s_mov_b32 s0, s6
	s_and_saveexec_b32 s11, s20
; %bb.41:
	v_cmp_gt_f32_e64 s0, v8, v11
	s_delay_alu instid0(VALU_DEP_1) | instskip(NEXT) | instid1(SALU_CYCLE_1)
	s_and_b32 s0, s6, s0
	v_cndmask_b32_e64 v8, v11, v8, s0
	s_or_b32 s0, s6, exec_lo
; %bb.42:
	s_or_b32 exec_lo, exec_lo, s11
	s_delay_alu instid0(SALU_CYCLE_1) | instskip(SKIP_1) | instid1(SALU_CYCLE_1)
	s_and_not1_b32 s6, s6, exec_lo
	s_and_b32 s0, s0, exec_lo
	s_or_b32 s6, s6, s0
	s_or_b32 exec_lo, exec_lo, s7
	s_and_saveexec_b32 s7, s8
	s_cbranch_execz .LBB735_46
.LBB735_43:
	s_ashr_i32 s11, s1, 31
	v_add_co_u32 v16, s0, v2, s1
	s_delay_alu instid0(VALU_DEP_1) | instskip(SKIP_3) | instid1(VALU_DEP_1)
	v_add_co_ci_u32_e64 v17, s0, s11, v3, s0
	global_load_u8 v4, v[16:17], off offset:96
	s_waitcnt vmcnt(0)
	v_and_b32_e32 v4, 1, v4
	v_cmp_eq_u32_e64 s0, 1, v4
	s_delay_alu instid0(VALU_DEP_1)
	s_xor_b32 s20, s0, -1
	s_mov_b32 s0, s6
	s_and_saveexec_b32 s11, s20
; %bb.44:
	v_cmp_gt_f32_e64 s0, v8, v10
	s_delay_alu instid0(VALU_DEP_1) | instskip(NEXT) | instid1(SALU_CYCLE_1)
	s_and_b32 s0, s6, s0
	v_cndmask_b32_e64 v8, v10, v8, s0
	s_or_b32 s0, s6, exec_lo
; %bb.45:
	s_or_b32 exec_lo, exec_lo, s11
	s_delay_alu instid0(SALU_CYCLE_1) | instskip(SKIP_1) | instid1(SALU_CYCLE_1)
	s_and_not1_b32 s6, s6, exec_lo
	s_and_b32 s0, s0, exec_lo
	s_or_b32 s6, s6, s0
.LBB735_46:
	s_or_b32 exec_lo, exec_lo, s7
	v_mbcnt_lo_u32_b32 v4, -1, 0
	v_cndmask_b32_e64 v7, v7, v7, s6
	v_cndmask_b32_e64 v8, 0xff800000, v8, s6
	s_mov_b32 s6, 0
	s_delay_alu instid0(SALU_CYCLE_1) | instskip(SKIP_2) | instid1(VALU_DEP_2)
	s_mov_b32 s7, s6
	v_xor_b32_e32 v16, 16, v4
	v_xor_b32_e32 v17, 8, v4
	v_cmp_gt_i32_e64 s0, 32, v16
	s_delay_alu instid0(VALU_DEP_1) | instskip(NEXT) | instid1(VALU_DEP_3)
	v_cndmask_b32_e64 v16, v4, v16, s0
	v_cmp_gt_i32_e64 s0, 32, v17
	s_delay_alu instid0(VALU_DEP_2) | instskip(NEXT) | instid1(VALU_DEP_2)
	v_lshlrev_b32_e32 v16, 2, v16
	v_cndmask_b32_e64 v17, v4, v17, s0
	ds_bpermute_b32 v18, v16, v7
	ds_bpermute_b32 v19, v16, v8
	v_lshlrev_b32_e32 v17, 2, v17
	s_waitcnt lgkmcnt(1)
	v_cmp_lt_f32_e64 s0, v7, v18
	s_delay_alu instid0(VALU_DEP_1)
	v_cndmask_b32_e64 v7, v7, v18, s0
	s_waitcnt lgkmcnt(0)
	v_cmp_lt_f32_e64 s0, v8, v19
	v_xor_b32_e32 v18, 4, v4
	ds_bpermute_b32 v20, v17, v7
	v_cndmask_b32_e64 v8, v8, v19, s0
	v_cmp_gt_i32_e64 s0, 32, v18
	ds_bpermute_b32 v19, v17, v8
	v_cndmask_b32_e64 v18, v4, v18, s0
	s_delay_alu instid0(VALU_DEP_1) | instskip(SKIP_2) | instid1(VALU_DEP_1)
	v_lshlrev_b32_e32 v18, 2, v18
	s_waitcnt lgkmcnt(1)
	v_cmp_lt_f32_e64 s0, v7, v20
	v_cndmask_b32_e64 v7, v7, v20, s0
	s_waitcnt lgkmcnt(0)
	v_cmp_lt_f32_e64 s0, v8, v19
	ds_bpermute_b32 v20, v18, v7
	v_cndmask_b32_e64 v8, v8, v19, s0
	v_xor_b32_e32 v19, 2, v4
	ds_bpermute_b32 v21, v18, v8
	v_cmp_gt_i32_e64 s0, 32, v19
	s_delay_alu instid0(VALU_DEP_1) | instskip(NEXT) | instid1(VALU_DEP_1)
	v_cndmask_b32_e64 v19, v4, v19, s0
	v_lshlrev_b32_e32 v19, 2, v19
	s_waitcnt lgkmcnt(1)
	v_cmp_lt_f32_e64 s0, v7, v20
	s_delay_alu instid0(VALU_DEP_1)
	v_cndmask_b32_e64 v7, v7, v20, s0
	s_waitcnt lgkmcnt(0)
	v_cmp_lt_f32_e64 s0, v8, v21
	v_xor_b32_e32 v20, 1, v4
	ds_bpermute_b32 v22, v19, v7
	v_cndmask_b32_e64 v8, v8, v21, s0
	v_cmp_gt_i32_e64 s0, 32, v20
	ds_bpermute_b32 v21, v19, v8
	v_cndmask_b32_e64 v4, v4, v20, s0
	s_delay_alu instid0(VALU_DEP_1) | instskip(SKIP_3) | instid1(VALU_DEP_1)
	v_lshlrev_b32_e32 v20, 2, v4
	v_mov_b32_e32 v4, 0
	s_waitcnt lgkmcnt(1)
	v_cmp_lt_f32_e64 s0, v7, v22
	v_cndmask_b32_e64 v22, v7, v22, s0
	s_waitcnt lgkmcnt(0)
	v_cmp_lt_f32_e64 s0, v8, v21
	ds_bpermute_b32 v25, v20, v22
	v_cndmask_b32_e64 v23, v8, v21, s0
	v_dual_mov_b32 v8, s7 :: v_dual_mov_b32 v7, s6
	v_mov_b32_e32 v21, 0
	ds_bpermute_b32 v24, v20, v23
	s_waitcnt lgkmcnt(1)
	v_cmp_lt_f32_e64 s0, v22, v25
	s_delay_alu instid0(VALU_DEP_1)
	v_cndmask_b32_e64 v25, v22, v25, s0
	s_and_saveexec_b32 s11, s19
	s_cbranch_execnz .LBB735_49
; %bb.47:
	s_or_b32 exec_lo, exec_lo, s11
	v_mov_b32_e32 v22, 0
	s_and_saveexec_b32 s6, s18
	s_cbranch_execnz .LBB735_52
.LBB735_48:
	s_or_b32 exec_lo, exec_lo, s6
	s_and_saveexec_b32 s6, s17
	s_cbranch_execnz .LBB735_55
	s_branch .LBB735_58
.LBB735_49:
	global_load_u8 v7, v[2:3], off
	v_mov_b32_e32 v21, 0
	s_waitcnt vmcnt(0)
	v_and_b32_e32 v7, 1, v7
	s_delay_alu instid0(VALU_DEP_1) | instskip(SKIP_1) | instid1(VALU_DEP_2)
	v_cmp_eq_u32_e64 s0, 1, v7
	v_dual_mov_b32 v8, s7 :: v_dual_mov_b32 v7, s6
	s_xor_b32 s0, s0, -1
	s_delay_alu instid0(SALU_CYCLE_1)
	s_and_saveexec_b32 s6, s0
	s_cbranch_execz .LBB735_51
; %bb.50:
	v_sub_f32_e32 v6, v6, v25
	s_delay_alu instid0(VALU_DEP_1) | instskip(NEXT) | instid1(VALU_DEP_1)
	v_mul_f32_e32 v7, 0x3fb8aa3b, v6
	v_fma_f32 v8, 0x3fb8aa3b, v6, -v7
	v_rndne_f32_e32 v21, v7
	s_delay_alu instid0(VALU_DEP_1) | instskip(NEXT) | instid1(VALU_DEP_1)
	v_dual_fmamk_f32 v8, v6, 0x32a5705f, v8 :: v_dual_sub_f32 v7, v7, v21
	v_add_f32_e32 v7, v7, v8
	v_cvt_i32_f32_e32 v8, v21
	v_cmp_ngt_f32_e64 s0, 0xc2ce8ed0, v6
	s_delay_alu instid0(VALU_DEP_3) | instskip(SKIP_3) | instid1(VALU_DEP_2)
	v_exp_f32_e32 v7, v7
	s_waitcnt_depctr 0xfff
	v_ldexp_f32 v7, v7, v8
	v_mov_b32_e32 v8, 0
	v_cndmask_b32_e64 v7, 0, v7, s0
	v_cmp_nlt_f32_e64 s0, 0x42b17218, v6
	s_delay_alu instid0(VALU_DEP_1) | instskip(NEXT) | instid1(VALU_DEP_1)
	v_cndmask_b32_e64 v7, 0x7f800000, v7, s0
	v_mov_b32_e32 v21, v7
.LBB735_51:
	s_or_b32 exec_lo, exec_lo, s6
	s_delay_alu instid0(SALU_CYCLE_1)
	s_or_b32 exec_lo, exec_lo, s11
	v_mov_b32_e32 v22, 0
	s_and_saveexec_b32 s6, s18
	s_cbranch_execz .LBB735_48
.LBB735_52:
	global_load_u8 v6, v[2:3], off offset:32
	v_mov_b32_e32 v22, 0
	s_waitcnt vmcnt(0)
	v_and_b32_e32 v6, 1, v6
	s_delay_alu instid0(VALU_DEP_1) | instskip(NEXT) | instid1(VALU_DEP_1)
	v_cmp_eq_u32_e64 s0, 1, v6
	s_xor_b32 s0, s0, -1
	s_delay_alu instid0(SALU_CYCLE_1)
	s_and_saveexec_b32 s7, s0
	s_cbranch_execz .LBB735_54
; %bb.53:
	v_sub_f32_e32 v6, v15, v25
	s_delay_alu instid0(VALU_DEP_1) | instskip(SKIP_1) | instid1(VALU_DEP_2)
	v_mul_f32_e32 v15, 0x3fb8aa3b, v6
	v_cmp_ngt_f32_e64 s0, 0xc2ce8ed0, v6
	v_fma_f32 v22, 0x3fb8aa3b, v6, -v15
	v_rndne_f32_e32 v26, v15
	s_delay_alu instid0(VALU_DEP_1) | instskip(NEXT) | instid1(VALU_DEP_1)
	v_dual_fmamk_f32 v22, v6, 0x32a5705f, v22 :: v_dual_sub_f32 v15, v15, v26
	v_add_f32_e32 v15, v15, v22
	v_cvt_i32_f32_e32 v22, v26
	s_delay_alu instid0(VALU_DEP_2) | instskip(SKIP_2) | instid1(VALU_DEP_1)
	v_exp_f32_e32 v15, v15
	s_waitcnt_depctr 0xfff
	v_ldexp_f32 v15, v15, v22
	v_cndmask_b32_e64 v15, 0, v15, s0
	v_cmp_nlt_f32_e64 s0, 0x42b17218, v6
	s_delay_alu instid0(VALU_DEP_1) | instskip(NEXT) | instid1(VALU_DEP_1)
	v_cndmask_b32_e64 v22, 0x7f800000, v15, s0
	v_add_f32_e32 v7, v7, v22
.LBB735_54:
	s_or_b32 exec_lo, exec_lo, s7
	s_delay_alu instid0(SALU_CYCLE_1)
	s_or_b32 exec_lo, exec_lo, s6
	s_and_saveexec_b32 s6, s17
	s_cbranch_execz .LBB735_58
.LBB735_55:
	global_load_u8 v4, v[2:3], off offset:64
	s_waitcnt vmcnt(0)
	v_and_b32_e32 v4, 1, v4
	s_delay_alu instid0(VALU_DEP_1) | instskip(SKIP_1) | instid1(VALU_DEP_2)
	v_cmp_eq_u32_e64 s0, 1, v4
	v_mov_b32_e32 v4, 0
	s_xor_b32 s0, s0, -1
	s_delay_alu instid0(SALU_CYCLE_1)
	s_and_saveexec_b32 s7, s0
	s_cbranch_execz .LBB735_57
; %bb.56:
	v_sub_f32_e32 v4, v14, v25
	s_delay_alu instid0(VALU_DEP_1) | instskip(SKIP_1) | instid1(VALU_DEP_2)
	v_mul_f32_e32 v6, 0x3fb8aa3b, v4
	v_cmp_ngt_f32_e64 s0, 0xc2ce8ed0, v4
	v_fma_f32 v14, 0x3fb8aa3b, v4, -v6
	v_rndne_f32_e32 v15, v6
	s_delay_alu instid0(VALU_DEP_2) | instskip(NEXT) | instid1(VALU_DEP_2)
	v_fmamk_f32 v14, v4, 0x32a5705f, v14
	v_sub_f32_e32 v6, v6, v15
	s_delay_alu instid0(VALU_DEP_1) | instskip(SKIP_1) | instid1(VALU_DEP_2)
	v_add_f32_e32 v6, v6, v14
	v_cvt_i32_f32_e32 v14, v15
	v_exp_f32_e32 v6, v6
	s_waitcnt_depctr 0xfff
	v_ldexp_f32 v6, v6, v14
	s_delay_alu instid0(VALU_DEP_1) | instskip(SKIP_1) | instid1(VALU_DEP_1)
	v_cndmask_b32_e64 v6, 0, v6, s0
	v_cmp_nlt_f32_e64 s0, 0x42b17218, v4
	v_cndmask_b32_e64 v4, 0x7f800000, v6, s0
	s_delay_alu instid0(VALU_DEP_1)
	v_add_f32_e32 v7, v7, v4
.LBB735_57:
	s_or_b32 exec_lo, exec_lo, s7
.LBB735_58:
	s_delay_alu instid0(SALU_CYCLE_1)
	s_or_b32 exec_lo, exec_lo, s6
	v_mov_b32_e32 v6, 0
	v_mov_b32_e32 v14, 0
	s_and_saveexec_b32 s6, s16
	s_cbranch_execz .LBB735_62
; %bb.59:
	global_load_u8 v14, v[2:3], off offset:96
	s_waitcnt vmcnt(0)
	v_and_b32_e32 v14, 1, v14
	s_delay_alu instid0(VALU_DEP_1) | instskip(SKIP_1) | instid1(VALU_DEP_2)
	v_cmp_eq_u32_e64 s0, 1, v14
	v_mov_b32_e32 v14, 0
	s_xor_b32 s0, s0, -1
	s_delay_alu instid0(SALU_CYCLE_1)
	s_and_saveexec_b32 s7, s0
	s_cbranch_execz .LBB735_61
; %bb.60:
	v_sub_f32_e32 v13, v13, v25
	s_delay_alu instid0(VALU_DEP_1) | instskip(NEXT) | instid1(VALU_DEP_1)
	v_mul_f32_e32 v14, 0x3fb8aa3b, v13
	v_fma_f32 v15, 0x3fb8aa3b, v13, -v14
	v_rndne_f32_e32 v25, v14
	s_delay_alu instid0(VALU_DEP_1) | instskip(NEXT) | instid1(VALU_DEP_1)
	v_dual_fmamk_f32 v15, v13, 0x32a5705f, v15 :: v_dual_sub_f32 v14, v14, v25
	v_add_f32_e32 v14, v14, v15
	v_cvt_i32_f32_e32 v15, v25
	v_cmp_ngt_f32_e64 s0, 0xc2ce8ed0, v13
	s_delay_alu instid0(VALU_DEP_3) | instskip(SKIP_2) | instid1(VALU_DEP_1)
	v_exp_f32_e32 v14, v14
	s_waitcnt_depctr 0xfff
	v_ldexp_f32 v14, v14, v15
	v_cndmask_b32_e64 v14, 0, v14, s0
	v_cmp_nlt_f32_e64 s0, 0x42b17218, v13
	s_delay_alu instid0(VALU_DEP_1) | instskip(NEXT) | instid1(VALU_DEP_1)
	v_cndmask_b32_e64 v14, 0x7f800000, v14, s0
	v_add_f32_e32 v7, v7, v14
.LBB735_61:
	s_or_b32 exec_lo, exec_lo, s7
.LBB735_62:
	s_delay_alu instid0(SALU_CYCLE_1) | instskip(SKIP_2) | instid1(VALU_DEP_1)
	s_or_b32 exec_lo, exec_lo, s6
	s_waitcnt lgkmcnt(0)
	v_cmp_lt_f32_e64 s0, v23, v24
	v_cndmask_b32_e64 v15, v23, v24, s0
	s_and_saveexec_b32 s6, s15
	s_cbranch_execz .LBB735_66
; %bb.63:
	s_ashr_i32 s7, s1, 31
	v_add_co_u32 v23, s0, v2, s1
	s_delay_alu instid0(VALU_DEP_1) | instskip(SKIP_3) | instid1(VALU_DEP_1)
	v_add_co_ci_u32_e64 v24, s0, s7, v3, s0
	global_load_u8 v6, v[23:24], off
	s_waitcnt vmcnt(0)
	v_and_b32_e32 v6, 1, v6
	v_cmp_eq_u32_e64 s0, 1, v6
	v_mov_b32_e32 v6, 0
	s_delay_alu instid0(VALU_DEP_2) | instskip(NEXT) | instid1(SALU_CYCLE_1)
	s_xor_b32 s0, s0, -1
	s_and_saveexec_b32 s7, s0
	s_cbranch_execz .LBB735_65
; %bb.64:
	v_sub_f32_e32 v5, v5, v15
	s_delay_alu instid0(VALU_DEP_1) | instskip(NEXT) | instid1(VALU_DEP_1)
	v_mul_f32_e32 v6, 0x3fb8aa3b, v5
	v_fma_f32 v13, 0x3fb8aa3b, v5, -v6
	v_rndne_f32_e32 v23, v6
	s_delay_alu instid0(VALU_DEP_1) | instskip(NEXT) | instid1(VALU_DEP_1)
	v_dual_fmamk_f32 v13, v5, 0x32a5705f, v13 :: v_dual_sub_f32 v6, v6, v23
	v_add_f32_e32 v6, v6, v13
	v_cvt_i32_f32_e32 v13, v23
	v_cmp_ngt_f32_e64 s0, 0xc2ce8ed0, v5
	s_delay_alu instid0(VALU_DEP_3) | instskip(SKIP_2) | instid1(VALU_DEP_1)
	v_exp_f32_e32 v6, v6
	s_waitcnt_depctr 0xfff
	v_ldexp_f32 v6, v6, v13
	v_cndmask_b32_e64 v6, 0, v6, s0
	v_cmp_nlt_f32_e64 s0, 0x42b17218, v5
	s_delay_alu instid0(VALU_DEP_1) | instskip(NEXT) | instid1(VALU_DEP_1)
	v_cndmask_b32_e64 v6, 0x7f800000, v6, s0
	v_add_f32_e32 v8, v8, v6
.LBB735_65:
	s_or_b32 exec_lo, exec_lo, s7
.LBB735_66:
	s_delay_alu instid0(SALU_CYCLE_1)
	s_or_b32 exec_lo, exec_lo, s6
	v_mov_b32_e32 v5, 0
	v_mov_b32_e32 v13, 0
	s_and_saveexec_b32 s6, s14
	s_cbranch_execnz .LBB735_69
; %bb.67:
	s_or_b32 exec_lo, exec_lo, s6
	s_and_saveexec_b32 s6, s9
	s_cbranch_execnz .LBB735_72
.LBB735_68:
	s_or_b32 exec_lo, exec_lo, s6
	v_mov_b32_e32 v11, 0
	s_and_saveexec_b32 s6, s8
	s_cbranch_execnz .LBB735_75
	s_branch .LBB735_78
.LBB735_69:
	s_ashr_i32 s7, s1, 31
	v_add_co_u32 v23, s0, v2, s1
	s_delay_alu instid0(VALU_DEP_1) | instskip(SKIP_3) | instid1(VALU_DEP_1)
	v_add_co_ci_u32_e64 v24, s0, s7, v3, s0
	global_load_u8 v13, v[23:24], off offset:32
	s_waitcnt vmcnt(0)
	v_and_b32_e32 v13, 1, v13
	v_cmp_eq_u32_e64 s0, 1, v13
	v_mov_b32_e32 v13, 0
	s_delay_alu instid0(VALU_DEP_2) | instskip(NEXT) | instid1(SALU_CYCLE_1)
	s_xor_b32 s0, s0, -1
	s_and_saveexec_b32 s7, s0
	s_cbranch_execz .LBB735_71
; %bb.70:
	v_sub_f32_e32 v12, v12, v15
	s_delay_alu instid0(VALU_DEP_1) | instskip(NEXT) | instid1(VALU_DEP_1)
	v_mul_f32_e32 v13, 0x3fb8aa3b, v12
	v_fma_f32 v23, 0x3fb8aa3b, v12, -v13
	v_rndne_f32_e32 v24, v13
	s_delay_alu instid0(VALU_DEP_1) | instskip(NEXT) | instid1(VALU_DEP_3)
	v_sub_f32_e32 v13, v13, v24
	v_fmamk_f32 v23, v12, 0x32a5705f, v23
	v_cmp_ngt_f32_e64 s0, 0xc2ce8ed0, v12
	s_delay_alu instid0(VALU_DEP_2) | instskip(SKIP_1) | instid1(VALU_DEP_2)
	v_add_f32_e32 v13, v13, v23
	v_cvt_i32_f32_e32 v23, v24
	v_exp_f32_e32 v13, v13
	s_waitcnt_depctr 0xfff
	v_ldexp_f32 v13, v13, v23
	s_delay_alu instid0(VALU_DEP_1) | instskip(SKIP_1) | instid1(VALU_DEP_1)
	v_cndmask_b32_e64 v13, 0, v13, s0
	v_cmp_nlt_f32_e64 s0, 0x42b17218, v12
	v_cndmask_b32_e64 v13, 0x7f800000, v13, s0
	s_delay_alu instid0(VALU_DEP_1)
	v_add_f32_e32 v8, v8, v13
.LBB735_71:
	s_or_b32 exec_lo, exec_lo, s7
	s_delay_alu instid0(SALU_CYCLE_1)
	s_or_b32 exec_lo, exec_lo, s6
	s_and_saveexec_b32 s6, s9
	s_cbranch_execz .LBB735_68
.LBB735_72:
	s_ashr_i32 s7, s1, 31
	v_add_co_u32 v23, s0, v2, s1
	s_delay_alu instid0(VALU_DEP_1) | instskip(SKIP_3) | instid1(VALU_DEP_1)
	v_add_co_ci_u32_e64 v24, s0, s7, v3, s0
	global_load_u8 v5, v[23:24], off offset:64
	s_waitcnt vmcnt(0)
	v_and_b32_e32 v5, 1, v5
	v_cmp_eq_u32_e64 s0, 1, v5
	v_mov_b32_e32 v5, 0
	s_delay_alu instid0(VALU_DEP_2) | instskip(NEXT) | instid1(SALU_CYCLE_1)
	s_xor_b32 s0, s0, -1
	s_and_saveexec_b32 s7, s0
	s_cbranch_execz .LBB735_74
; %bb.73:
	v_sub_f32_e32 v5, v11, v15
	s_delay_alu instid0(VALU_DEP_1) | instskip(SKIP_1) | instid1(VALU_DEP_2)
	v_mul_f32_e32 v11, 0x3fb8aa3b, v5
	v_cmp_ngt_f32_e64 s0, 0xc2ce8ed0, v5
	v_fma_f32 v12, 0x3fb8aa3b, v5, -v11
	v_rndne_f32_e32 v23, v11
	s_delay_alu instid0(VALU_DEP_1) | instskip(NEXT) | instid1(VALU_DEP_1)
	v_dual_fmamk_f32 v12, v5, 0x32a5705f, v12 :: v_dual_sub_f32 v11, v11, v23
	v_add_f32_e32 v11, v11, v12
	v_cvt_i32_f32_e32 v12, v23
	s_delay_alu instid0(VALU_DEP_2) | instskip(SKIP_2) | instid1(VALU_DEP_1)
	v_exp_f32_e32 v11, v11
	s_waitcnt_depctr 0xfff
	v_ldexp_f32 v11, v11, v12
	v_cndmask_b32_e64 v11, 0, v11, s0
	v_cmp_nlt_f32_e64 s0, 0x42b17218, v5
	s_delay_alu instid0(VALU_DEP_1) | instskip(NEXT) | instid1(VALU_DEP_1)
	v_cndmask_b32_e64 v5, 0x7f800000, v11, s0
	v_add_f32_e32 v8, v8, v5
.LBB735_74:
	s_or_b32 exec_lo, exec_lo, s7
	s_delay_alu instid0(SALU_CYCLE_1)
	s_or_b32 exec_lo, exec_lo, s6
	v_mov_b32_e32 v11, 0
	s_and_saveexec_b32 s6, s8
	s_cbranch_execz .LBB735_78
.LBB735_75:
	s_ashr_i32 s7, s1, 31
	v_add_co_u32 v2, s0, v2, s1
	s_delay_alu instid0(VALU_DEP_1) | instskip(SKIP_4) | instid1(VALU_DEP_1)
	v_add_co_ci_u32_e64 v3, s0, s7, v3, s0
	v_mov_b32_e32 v11, 0
	global_load_u8 v2, v[2:3], off offset:96
	s_waitcnt vmcnt(0)
	v_and_b32_e32 v2, 1, v2
	v_cmp_eq_u32_e64 s0, 1, v2
	s_delay_alu instid0(VALU_DEP_1) | instskip(NEXT) | instid1(SALU_CYCLE_1)
	s_xor_b32 s0, s0, -1
	s_and_saveexec_b32 s1, s0
	s_cbranch_execz .LBB735_77
; %bb.76:
	v_sub_f32_e32 v2, v10, v15
	s_delay_alu instid0(VALU_DEP_1) | instskip(NEXT) | instid1(VALU_DEP_1)
	v_mul_f32_e32 v3, 0x3fb8aa3b, v2
	v_fma_f32 v10, 0x3fb8aa3b, v2, -v3
	v_rndne_f32_e32 v11, v3
	s_delay_alu instid0(VALU_DEP_1) | instskip(NEXT) | instid1(VALU_DEP_1)
	v_dual_fmamk_f32 v10, v2, 0x32a5705f, v10 :: v_dual_sub_f32 v3, v3, v11
	v_add_f32_e32 v3, v3, v10
	v_cvt_i32_f32_e32 v10, v11
	v_cmp_ngt_f32_e64 s0, 0xc2ce8ed0, v2
	s_delay_alu instid0(VALU_DEP_3) | instskip(SKIP_2) | instid1(VALU_DEP_1)
	v_exp_f32_e32 v3, v3
	s_waitcnt_depctr 0xfff
	v_ldexp_f32 v3, v3, v10
	v_cndmask_b32_e64 v3, 0, v3, s0
	v_cmp_nlt_f32_e64 s0, 0x42b17218, v2
	s_delay_alu instid0(VALU_DEP_1) | instskip(NEXT) | instid1(VALU_DEP_1)
	v_cndmask_b32_e64 v11, 0x7f800000, v3, s0
	v_add_f32_e32 v8, v8, v11
.LBB735_77:
	s_or_b32 exec_lo, exec_lo, s1
.LBB735_78:
	s_delay_alu instid0(SALU_CYCLE_1)
	s_or_b32 exec_lo, exec_lo, s6
	ds_bpermute_b32 v2, v16, v7
	ds_bpermute_b32 v3, v16, v8
	s_waitcnt lgkmcnt(0)
	v_dual_add_f32 v2, v7, v2 :: v_dual_add_f32 v3, v8, v3
	ds_bpermute_b32 v7, v17, v2
	ds_bpermute_b32 v8, v17, v3
	s_waitcnt lgkmcnt(0)
	v_dual_add_f32 v2, v2, v7 :: v_dual_add_f32 v3, v3, v8
	;; [unrolled: 4-line block ×4, first 2 shown]
	ds_bpermute_b32 v8, v20, v7
	ds_bpermute_b32 v3, v20, v2
	s_and_saveexec_b32 s0, vcc_lo
	s_delay_alu instid0(SALU_CYCLE_1)
	s_xor_b32 s0, exec_lo, s0
	s_cbranch_execz .LBB735_102
; %bb.79:
	v_add_co_u32 v0, vcc_lo, s12, v0
	v_add_co_ci_u32_e32 v1, vcc_lo, s13, v1, vcc_lo
	s_and_saveexec_b32 s1, s5
	s_cbranch_execz .LBB735_97
; %bb.80:
	s_waitcnt lgkmcnt(1)
	v_dual_add_f32 v7, v7, v8 :: v_dual_mov_b32 v8, 0x7e00
	s_delay_alu instid0(VALU_DEP_1) | instskip(NEXT) | instid1(VALU_DEP_1)
	v_cmp_neq_f32_e64 s0, 0, v7
	s_and_saveexec_b32 s6, s0
	s_cbranch_execz .LBB735_82
; %bb.81:
	v_div_scale_f32 v8, null, v7, v7, v21
	s_delay_alu instid0(VALU_DEP_1) | instskip(SKIP_2) | instid1(VALU_DEP_1)
	v_rcp_f32_e32 v10, v8
	s_waitcnt_depctr 0xfff
	v_fma_f32 v12, -v8, v10, 1.0
	v_fmac_f32_e32 v10, v12, v10
	v_div_scale_f32 v12, vcc_lo, v21, v7, v21
	s_delay_alu instid0(VALU_DEP_1) | instskip(NEXT) | instid1(VALU_DEP_1)
	v_mul_f32_e32 v15, v12, v10
	v_fma_f32 v16, -v8, v15, v12
	s_delay_alu instid0(VALU_DEP_1) | instskip(NEXT) | instid1(VALU_DEP_1)
	v_fmac_f32_e32 v15, v16, v10
	v_fma_f32 v8, -v8, v15, v12
	s_delay_alu instid0(VALU_DEP_1) | instskip(NEXT) | instid1(VALU_DEP_1)
	v_div_fmas_f32 v8, v8, v10, v15
	v_div_fixup_f32 v8, v8, v7, v21
	s_delay_alu instid0(VALU_DEP_1)
	v_cvt_f16_f32_e32 v8, v8
.LBB735_82:
	s_or_b32 exec_lo, exec_lo, s6
	global_store_b16 v[0:1], v8, off
	s_and_b32 exec_lo, exec_lo, s4
	s_cbranch_execz .LBB735_97
; %bb.83:
	s_and_saveexec_b32 s6, s0
	s_delay_alu instid0(SALU_CYCLE_1)
	s_xor_b32 s6, exec_lo, s6
	s_cbranch_execnz .LBB735_86
; %bb.84:
	s_and_not1_saveexec_b32 s6, s6
	s_cbranch_execnz .LBB735_87
.LBB735_85:
	s_or_b32 exec_lo, exec_lo, s6
	s_delay_alu instid0(SALU_CYCLE_1)
	s_and_b32 exec_lo, exec_lo, s3
	s_cbranch_execnz .LBB735_88
	s_branch .LBB735_97
.LBB735_86:
	v_div_scale_f32 v8, null, v7, v7, v22
	s_delay_alu instid0(VALU_DEP_1) | instskip(SKIP_2) | instid1(VALU_DEP_1)
	v_rcp_f32_e32 v10, v8
	s_waitcnt_depctr 0xfff
	v_fma_f32 v12, -v8, v10, 1.0
	v_fmac_f32_e32 v10, v12, v10
	v_div_scale_f32 v12, vcc_lo, v22, v7, v22
	s_delay_alu instid0(VALU_DEP_1) | instskip(NEXT) | instid1(VALU_DEP_1)
	v_mul_f32_e32 v15, v12, v10
	v_fma_f32 v16, -v8, v15, v12
	s_delay_alu instid0(VALU_DEP_1) | instskip(NEXT) | instid1(VALU_DEP_1)
	v_fmac_f32_e32 v15, v16, v10
	v_fma_f32 v8, -v8, v15, v12
	s_delay_alu instid0(VALU_DEP_1) | instskip(NEXT) | instid1(VALU_DEP_1)
	v_div_fmas_f32 v8, v8, v10, v15
	v_div_fixup_f32 v8, v8, v7, v22
	s_delay_alu instid0(VALU_DEP_1)
	v_cvt_f16_f32_e32 v8, v8
	global_store_b16 v[0:1], v8, off offset:64
	s_and_not1_saveexec_b32 s6, s6
	s_cbranch_execz .LBB735_85
.LBB735_87:
	v_mov_b32_e32 v8, 0x7e00
	global_store_b16 v[0:1], v8, off offset:64
	s_or_b32 exec_lo, exec_lo, s6
	s_delay_alu instid0(SALU_CYCLE_1)
	s_and_b32 exec_lo, exec_lo, s3
	s_cbranch_execz .LBB735_97
.LBB735_88:
	s_and_saveexec_b32 s6, s0
	s_delay_alu instid0(SALU_CYCLE_1)
	s_xor_b32 s6, exec_lo, s6
	s_cbranch_execnz .LBB735_91
; %bb.89:
	s_and_not1_saveexec_b32 s6, s6
	s_cbranch_execnz .LBB735_92
.LBB735_90:
	s_or_b32 exec_lo, exec_lo, s6
	s_delay_alu instid0(SALU_CYCLE_1)
	s_and_b32 exec_lo, exec_lo, s2
	s_cbranch_execnz .LBB735_93
	s_branch .LBB735_97
.LBB735_91:
	v_div_scale_f32 v8, null, v7, v7, v4
	s_delay_alu instid0(VALU_DEP_1) | instskip(SKIP_2) | instid1(VALU_DEP_1)
	v_rcp_f32_e32 v10, v8
	s_waitcnt_depctr 0xfff
	v_fma_f32 v12, -v8, v10, 1.0
	v_fmac_f32_e32 v10, v12, v10
	v_div_scale_f32 v12, vcc_lo, v4, v7, v4
	s_delay_alu instid0(VALU_DEP_1) | instskip(NEXT) | instid1(VALU_DEP_1)
	v_mul_f32_e32 v15, v12, v10
	v_fma_f32 v16, -v8, v15, v12
	s_delay_alu instid0(VALU_DEP_1) | instskip(NEXT) | instid1(VALU_DEP_1)
	v_fmac_f32_e32 v15, v16, v10
	v_fma_f32 v8, -v8, v15, v12
	s_delay_alu instid0(VALU_DEP_1) | instskip(NEXT) | instid1(VALU_DEP_1)
	v_div_fmas_f32 v8, v8, v10, v15
	v_div_fixup_f32 v4, v8, v7, v4
	s_delay_alu instid0(VALU_DEP_1)
	v_cvt_f16_f32_e32 v4, v4
	global_store_b16 v[0:1], v4, off offset:128
	s_and_not1_saveexec_b32 s6, s6
	s_cbranch_execz .LBB735_90
.LBB735_92:
	v_mov_b32_e32 v4, 0x7e00
	global_store_b16 v[0:1], v4, off offset:128
	s_or_b32 exec_lo, exec_lo, s6
	s_delay_alu instid0(SALU_CYCLE_1)
	s_and_b32 exec_lo, exec_lo, s2
	s_cbranch_execz .LBB735_97
.LBB735_93:
	s_and_saveexec_b32 s6, s0
	s_delay_alu instid0(SALU_CYCLE_1)
	s_xor_b32 s0, exec_lo, s6
	s_cbranch_execz .LBB735_95
; %bb.94:
	v_div_scale_f32 v4, null, v7, v7, v14
	s_delay_alu instid0(VALU_DEP_1) | instskip(SKIP_2) | instid1(VALU_DEP_1)
	v_rcp_f32_e32 v8, v4
	s_waitcnt_depctr 0xfff
	v_fma_f32 v10, -v4, v8, 1.0
	v_fmac_f32_e32 v8, v10, v8
	v_div_scale_f32 v10, vcc_lo, v14, v7, v14
	s_delay_alu instid0(VALU_DEP_1) | instskip(NEXT) | instid1(VALU_DEP_1)
	v_mul_f32_e32 v12, v10, v8
	v_fma_f32 v15, -v4, v12, v10
	s_delay_alu instid0(VALU_DEP_1) | instskip(NEXT) | instid1(VALU_DEP_1)
	v_fmac_f32_e32 v12, v15, v8
	v_fma_f32 v4, -v4, v12, v10
	s_delay_alu instid0(VALU_DEP_1) | instskip(NEXT) | instid1(VALU_DEP_1)
	v_div_fmas_f32 v4, v4, v8, v12
	v_div_fixup_f32 v4, v4, v7, v14
	s_delay_alu instid0(VALU_DEP_1)
	v_cvt_f16_f32_e32 v4, v4
	global_store_b16 v[0:1], v4, off offset:192
.LBB735_95:
	s_and_not1_saveexec_b32 s0, s0
	s_cbranch_execz .LBB735_97
; %bb.96:
	v_mov_b32_e32 v4, 0x7e00
	global_store_b16 v[0:1], v4, off offset:192
.LBB735_97:
	s_or_b32 exec_lo, exec_lo, s1
	s_delay_alu instid0(SALU_CYCLE_1)
	s_mov_b32 s0, exec_lo
	v_cmpx_ne_u32_e32 1, v9
	s_cbranch_execz .LBB735_102
; %bb.98:
	s_and_b32 exec_lo, exec_lo, s5
	s_cbranch_execz .LBB735_102
; %bb.99:
	s_ashr_i32 s11, s10, 31
	s_waitcnt lgkmcnt(0)
	v_add_f32_e32 v2, v2, v3
	s_lshl_b64 s[6:7], s[10:11], 1
	s_delay_alu instid0(SALU_CYCLE_1) | instskip(NEXT) | instid1(VALU_DEP_2)
	v_add_co_u32 v0, vcc_lo, v0, s6
	v_cmp_neq_f32_e64 s0, 0, v2
	v_add_co_ci_u32_e32 v1, vcc_lo, s7, v1, vcc_lo
	s_delay_alu instid0(VALU_DEP_2) | instskip(NEXT) | instid1(SALU_CYCLE_1)
	s_and_saveexec_b32 s1, s0
	s_xor_b32 s1, exec_lo, s1
	s_cbranch_execnz .LBB735_103
; %bb.100:
	s_and_not1_saveexec_b32 s1, s1
	s_cbranch_execnz .LBB735_104
.LBB735_101:
	s_or_b32 exec_lo, exec_lo, s1
	s_delay_alu instid0(SALU_CYCLE_1)
	s_and_b32 exec_lo, exec_lo, s4
	s_cbranch_execnz .LBB735_105
.LBB735_102:
	s_nop 0
	s_sendmsg sendmsg(MSG_DEALLOC_VGPRS)
	s_endpgm
.LBB735_103:
	v_div_scale_f32 v3, null, v2, v2, v6
	s_delay_alu instid0(VALU_DEP_1) | instskip(SKIP_2) | instid1(VALU_DEP_1)
	v_rcp_f32_e32 v4, v3
	s_waitcnt_depctr 0xfff
	v_fma_f32 v7, -v3, v4, 1.0
	v_fmac_f32_e32 v4, v7, v4
	v_div_scale_f32 v7, vcc_lo, v6, v2, v6
	s_delay_alu instid0(VALU_DEP_1) | instskip(NEXT) | instid1(VALU_DEP_1)
	v_mul_f32_e32 v8, v7, v4
	v_fma_f32 v9, -v3, v8, v7
	s_delay_alu instid0(VALU_DEP_1) | instskip(NEXT) | instid1(VALU_DEP_1)
	v_fmac_f32_e32 v8, v9, v4
	v_fma_f32 v3, -v3, v8, v7
	s_delay_alu instid0(VALU_DEP_1) | instskip(NEXT) | instid1(VALU_DEP_1)
	v_div_fmas_f32 v3, v3, v4, v8
	v_div_fixup_f32 v3, v3, v2, v6
	s_delay_alu instid0(VALU_DEP_1)
	v_cvt_f16_f32_e32 v3, v3
	global_store_b16 v[0:1], v3, off
	s_and_not1_saveexec_b32 s1, s1
	s_cbranch_execz .LBB735_101
.LBB735_104:
	v_mov_b32_e32 v3, 0x7e00
	global_store_b16 v[0:1], v3, off
	s_or_b32 exec_lo, exec_lo, s1
	s_delay_alu instid0(SALU_CYCLE_1)
	s_and_b32 exec_lo, exec_lo, s4
	s_cbranch_execz .LBB735_102
.LBB735_105:
	s_and_saveexec_b32 s1, s0
	s_delay_alu instid0(SALU_CYCLE_1)
	s_xor_b32 s1, exec_lo, s1
	s_cbranch_execnz .LBB735_108
; %bb.106:
	s_and_not1_saveexec_b32 s1, s1
	s_cbranch_execnz .LBB735_109
.LBB735_107:
	s_or_b32 exec_lo, exec_lo, s1
	s_delay_alu instid0(SALU_CYCLE_1)
	s_and_b32 exec_lo, exec_lo, s3
	s_cbranch_execz .LBB735_102
	s_branch .LBB735_110
.LBB735_108:
	v_div_scale_f32 v3, null, v2, v2, v13
	s_delay_alu instid0(VALU_DEP_1) | instskip(SKIP_2) | instid1(VALU_DEP_1)
	v_rcp_f32_e32 v4, v3
	s_waitcnt_depctr 0xfff
	v_fma_f32 v6, -v3, v4, 1.0
	v_fmac_f32_e32 v4, v6, v4
	v_div_scale_f32 v6, vcc_lo, v13, v2, v13
	s_delay_alu instid0(VALU_DEP_1) | instskip(NEXT) | instid1(VALU_DEP_1)
	v_mul_f32_e32 v7, v6, v4
	v_fma_f32 v8, -v3, v7, v6
	s_delay_alu instid0(VALU_DEP_1) | instskip(NEXT) | instid1(VALU_DEP_1)
	v_fmac_f32_e32 v7, v8, v4
	v_fma_f32 v3, -v3, v7, v6
	s_delay_alu instid0(VALU_DEP_1) | instskip(NEXT) | instid1(VALU_DEP_1)
	v_div_fmas_f32 v3, v3, v4, v7
	v_div_fixup_f32 v3, v3, v2, v13
	s_delay_alu instid0(VALU_DEP_1)
	v_cvt_f16_f32_e32 v3, v3
	global_store_b16 v[0:1], v3, off offset:64
	s_and_not1_saveexec_b32 s1, s1
	s_cbranch_execz .LBB735_107
.LBB735_109:
	v_mov_b32_e32 v3, 0x7e00
	global_store_b16 v[0:1], v3, off offset:64
	s_or_b32 exec_lo, exec_lo, s1
	s_delay_alu instid0(SALU_CYCLE_1)
	s_and_b32 exec_lo, exec_lo, s3
	s_cbranch_execz .LBB735_102
.LBB735_110:
	s_and_saveexec_b32 s1, s0
	s_delay_alu instid0(SALU_CYCLE_1)
	s_xor_b32 s1, exec_lo, s1
	s_cbranch_execnz .LBB735_113
; %bb.111:
	s_and_not1_saveexec_b32 s1, s1
	s_cbranch_execnz .LBB735_114
.LBB735_112:
	s_or_b32 exec_lo, exec_lo, s1
	s_delay_alu instid0(SALU_CYCLE_1)
	s_and_b32 exec_lo, exec_lo, s2
	s_cbranch_execz .LBB735_102
	s_branch .LBB735_115
.LBB735_113:
	v_div_scale_f32 v3, null, v2, v2, v5
	s_delay_alu instid0(VALU_DEP_1) | instskip(SKIP_2) | instid1(VALU_DEP_1)
	v_rcp_f32_e32 v4, v3
	s_waitcnt_depctr 0xfff
	v_fma_f32 v6, -v3, v4, 1.0
	v_fmac_f32_e32 v4, v6, v4
	v_div_scale_f32 v6, vcc_lo, v5, v2, v5
	s_delay_alu instid0(VALU_DEP_1) | instskip(NEXT) | instid1(VALU_DEP_1)
	v_mul_f32_e32 v7, v6, v4
	v_fma_f32 v8, -v3, v7, v6
	s_delay_alu instid0(VALU_DEP_1) | instskip(NEXT) | instid1(VALU_DEP_1)
	v_fmac_f32_e32 v7, v8, v4
	v_fma_f32 v3, -v3, v7, v6
	s_delay_alu instid0(VALU_DEP_1) | instskip(NEXT) | instid1(VALU_DEP_1)
	v_div_fmas_f32 v3, v3, v4, v7
	v_div_fixup_f32 v3, v3, v2, v5
	s_delay_alu instid0(VALU_DEP_1)
	v_cvt_f16_f32_e32 v3, v3
	global_store_b16 v[0:1], v3, off offset:128
	s_and_not1_saveexec_b32 s1, s1
	s_cbranch_execz .LBB735_112
.LBB735_114:
	v_mov_b32_e32 v3, 0x7e00
	global_store_b16 v[0:1], v3, off offset:128
	s_or_b32 exec_lo, exec_lo, s1
	s_delay_alu instid0(SALU_CYCLE_1)
	s_and_b32 exec_lo, exec_lo, s2
	s_cbranch_execz .LBB735_102
.LBB735_115:
	s_and_saveexec_b32 s1, s0
	s_delay_alu instid0(SALU_CYCLE_1)
	s_xor_b32 s0, exec_lo, s1
	s_cbranch_execz .LBB735_117
; %bb.116:
	v_div_scale_f32 v3, null, v2, v2, v11
	s_delay_alu instid0(VALU_DEP_1) | instskip(SKIP_2) | instid1(VALU_DEP_1)
	v_rcp_f32_e32 v4, v3
	s_waitcnt_depctr 0xfff
	v_fma_f32 v5, -v3, v4, 1.0
	v_fmac_f32_e32 v4, v5, v4
	v_div_scale_f32 v5, vcc_lo, v11, v2, v11
	s_delay_alu instid0(VALU_DEP_1) | instskip(NEXT) | instid1(VALU_DEP_1)
	v_mul_f32_e32 v6, v5, v4
	v_fma_f32 v7, -v3, v6, v5
	s_delay_alu instid0(VALU_DEP_1) | instskip(NEXT) | instid1(VALU_DEP_1)
	v_fmac_f32_e32 v6, v7, v4
	v_fma_f32 v3, -v3, v6, v5
	s_delay_alu instid0(VALU_DEP_1) | instskip(NEXT) | instid1(VALU_DEP_1)
	v_div_fmas_f32 v3, v3, v4, v6
	v_div_fixup_f32 v2, v3, v2, v11
	s_delay_alu instid0(VALU_DEP_1)
	v_cvt_f16_f32_e32 v2, v2
	global_store_b16 v[0:1], v2, off offset:192
                                        ; implicit-def: $vgpr0_vgpr1
.LBB735_117:
	s_and_not1_saveexec_b32 s0, s0
	s_cbranch_execz .LBB735_102
; %bb.118:
	v_mov_b32_e32 v2, 0x7e00
	global_store_b16 v[0:1], v2, off offset:192
	s_nop 0
	s_sendmsg sendmsg(MSG_DEALLOC_VGPRS)
	s_endpgm
	.section	.rodata,"a",@progbits
	.p2align	6, 0x0
	.amdhsa_kernel _ZN12_GLOBAL__N_120softmax_warp_forwardIN3c104HalfES2_fLi7ELb0ELb1ELi32EEEvPT0_PKT_iiiPKbib
		.amdhsa_group_segment_fixed_size 0
		.amdhsa_private_segment_fixed_size 0
		.amdhsa_kernarg_size 304
		.amdhsa_user_sgpr_count 15
		.amdhsa_user_sgpr_dispatch_ptr 0
		.amdhsa_user_sgpr_queue_ptr 0
		.amdhsa_user_sgpr_kernarg_segment_ptr 1
		.amdhsa_user_sgpr_dispatch_id 0
		.amdhsa_user_sgpr_private_segment_size 0
		.amdhsa_wavefront_size32 1
		.amdhsa_uses_dynamic_stack 0
		.amdhsa_enable_private_segment 0
		.amdhsa_system_sgpr_workgroup_id_x 1
		.amdhsa_system_sgpr_workgroup_id_y 0
		.amdhsa_system_sgpr_workgroup_id_z 0
		.amdhsa_system_sgpr_workgroup_info 0
		.amdhsa_system_vgpr_workitem_id 1
		.amdhsa_next_free_vgpr 27
		.amdhsa_next_free_sgpr 24
		.amdhsa_reserve_vcc 1
		.amdhsa_float_round_mode_32 0
		.amdhsa_float_round_mode_16_64 0
		.amdhsa_float_denorm_mode_32 3
		.amdhsa_float_denorm_mode_16_64 3
		.amdhsa_dx10_clamp 1
		.amdhsa_ieee_mode 1
		.amdhsa_fp16_overflow 0
		.amdhsa_workgroup_processor_mode 1
		.amdhsa_memory_ordered 1
		.amdhsa_forward_progress 0
		.amdhsa_shared_vgpr_count 0
		.amdhsa_exception_fp_ieee_invalid_op 0
		.amdhsa_exception_fp_denorm_src 0
		.amdhsa_exception_fp_ieee_div_zero 0
		.amdhsa_exception_fp_ieee_overflow 0
		.amdhsa_exception_fp_ieee_underflow 0
		.amdhsa_exception_fp_ieee_inexact 0
		.amdhsa_exception_int_div_zero 0
	.end_amdhsa_kernel
	.section	.text._ZN12_GLOBAL__N_120softmax_warp_forwardIN3c104HalfES2_fLi7ELb0ELb1ELi32EEEvPT0_PKT_iiiPKbib,"axG",@progbits,_ZN12_GLOBAL__N_120softmax_warp_forwardIN3c104HalfES2_fLi7ELb0ELb1ELi32EEEvPT0_PKT_iiiPKbib,comdat
.Lfunc_end735:
	.size	_ZN12_GLOBAL__N_120softmax_warp_forwardIN3c104HalfES2_fLi7ELb0ELb1ELi32EEEvPT0_PKT_iiiPKbib, .Lfunc_end735-_ZN12_GLOBAL__N_120softmax_warp_forwardIN3c104HalfES2_fLi7ELb0ELb1ELi32EEEvPT0_PKT_iiiPKbib
                                        ; -- End function
	.section	.AMDGPU.csdata,"",@progbits
; Kernel info:
; codeLenInByte = 5756
; NumSgprs: 26
; NumVgprs: 27
; ScratchSize: 0
; MemoryBound: 0
; FloatMode: 240
; IeeeMode: 1
; LDSByteSize: 0 bytes/workgroup (compile time only)
; SGPRBlocks: 3
; VGPRBlocks: 3
; NumSGPRsForWavesPerEU: 26
; NumVGPRsForWavesPerEU: 27
; Occupancy: 16
; WaveLimiterHint : 0
; COMPUTE_PGM_RSRC2:SCRATCH_EN: 0
; COMPUTE_PGM_RSRC2:USER_SGPR: 15
; COMPUTE_PGM_RSRC2:TRAP_HANDLER: 0
; COMPUTE_PGM_RSRC2:TGID_X_EN: 1
; COMPUTE_PGM_RSRC2:TGID_Y_EN: 0
; COMPUTE_PGM_RSRC2:TGID_Z_EN: 0
; COMPUTE_PGM_RSRC2:TIDIG_COMP_CNT: 1
	.section	.text._ZN12_GLOBAL__N_120softmax_warp_forwardIN3c104HalfES2_fLi8ELb0ELb1ELi64EEEvPT0_PKT_iiiPKbib,"axG",@progbits,_ZN12_GLOBAL__N_120softmax_warp_forwardIN3c104HalfES2_fLi8ELb0ELb1ELi64EEEvPT0_PKT_iiiPKbib,comdat
	.globl	_ZN12_GLOBAL__N_120softmax_warp_forwardIN3c104HalfES2_fLi8ELb0ELb1ELi64EEEvPT0_PKT_iiiPKbib ; -- Begin function _ZN12_GLOBAL__N_120softmax_warp_forwardIN3c104HalfES2_fLi8ELb0ELb1ELi64EEEvPT0_PKT_iiiPKbib
	.p2align	8
	.type	_ZN12_GLOBAL__N_120softmax_warp_forwardIN3c104HalfES2_fLi8ELb0ELb1ELi64EEEvPT0_PKT_iiiPKbib,@function
_ZN12_GLOBAL__N_120softmax_warp_forwardIN3c104HalfES2_fLi8ELb0ELb1ELi64EEEvPT0_PKT_iiiPKbib: ; @_ZN12_GLOBAL__N_120softmax_warp_forwardIN3c104HalfES2_fLi8ELb0ELb1ELi64EEEvPT0_PKT_iiiPKbib
; %bb.0:
	s_clause 0x1
	s_load_b32 s2, s[0:1], 0x3c
	s_load_b128 s[4:7], s[0:1], 0x10
	v_bfe_u32 v3, v0, 10, 10
	s_waitcnt lgkmcnt(0)
	s_lshr_b32 s2, s2, 16
	s_delay_alu instid0(VALU_DEP_1) | instid1(SALU_CYCLE_1)
	v_mad_u64_u32 v[1:2], null, s15, s2, v[3:4]
	s_load_b64 s[2:3], s[0:1], 0x28
	v_and_b32_e32 v2, 0x3ff, v0
	s_delay_alu instid0(VALU_DEP_2) | instskip(NEXT) | instid1(VALU_DEP_1)
	v_mul_lo_u32 v7, v1, s5
	v_add_nc_u32_e32 v5, v7, v2
	s_delay_alu instid0(VALU_DEP_1) | instskip(SKIP_3) | instid1(VALU_DEP_2)
	v_ashrrev_i32_e32 v6, 31, v5
	v_mov_b32_e32 v3, v5
	s_waitcnt lgkmcnt(0)
	s_bitcmp0_b32 s3, 0
	v_mov_b32_e32 v4, v6
	s_cbranch_scc1 .LBB736_2
; %bb.1:
	s_abs_i32 s3, s2
	v_sub_nc_u32_e32 v4, 0, v7
	v_cvt_f32_u32_e32 v0, s3
	s_sub_i32 s7, 0, s3
	s_delay_alu instid0(VALU_DEP_2) | instskip(NEXT) | instid1(VALU_DEP_2)
	v_max_i32_e32 v4, v7, v4
	v_rcp_iflag_f32_e32 v0, v0
	s_waitcnt_depctr 0xfff
	v_mul_f32_e32 v0, 0x4f7ffffe, v0
	s_delay_alu instid0(VALU_DEP_1) | instskip(NEXT) | instid1(VALU_DEP_1)
	v_cvt_u32_f32_e32 v0, v0
	v_mul_lo_u32 v3, s7, v0
	s_delay_alu instid0(VALU_DEP_1) | instskip(NEXT) | instid1(VALU_DEP_1)
	v_mul_hi_u32 v3, v0, v3
	v_add_nc_u32_e32 v0, v0, v3
	s_delay_alu instid0(VALU_DEP_1) | instskip(NEXT) | instid1(VALU_DEP_1)
	v_mul_hi_u32 v0, v4, v0
	v_mul_lo_u32 v3, v0, s3
	s_delay_alu instid0(VALU_DEP_1) | instskip(SKIP_1) | instid1(VALU_DEP_2)
	v_sub_nc_u32_e32 v3, v4, v3
	v_add_nc_u32_e32 v4, 1, v0
	v_subrev_nc_u32_e32 v8, s3, v3
	v_cmp_le_u32_e32 vcc_lo, s3, v3
	s_delay_alu instid0(VALU_DEP_2) | instskip(NEXT) | instid1(VALU_DEP_4)
	v_cndmask_b32_e32 v3, v3, v8, vcc_lo
	v_cndmask_b32_e32 v0, v0, v4, vcc_lo
	v_xor_b32_e32 v4, s2, v7
	s_delay_alu instid0(VALU_DEP_3) | instskip(NEXT) | instid1(VALU_DEP_3)
	v_cmp_le_u32_e32 vcc_lo, s3, v3
	v_add_nc_u32_e32 v7, 1, v0
	s_delay_alu instid0(VALU_DEP_3) | instskip(NEXT) | instid1(VALU_DEP_2)
	v_ashrrev_i32_e32 v4, 31, v4
	v_cndmask_b32_e32 v0, v0, v7, vcc_lo
	s_delay_alu instid0(VALU_DEP_1) | instskip(NEXT) | instid1(VALU_DEP_1)
	v_xor_b32_e32 v0, v0, v4
	v_sub_nc_u32_e32 v0, v0, v4
	s_delay_alu instid0(VALU_DEP_1) | instskip(NEXT) | instid1(VALU_DEP_1)
	v_mad_u64_u32 v[3:4], null, v0, s5, v[2:3]
	v_ashrrev_i32_e32 v4, 31, v3
.LBB736_2:
	s_load_b128 s[8:11], s[0:1], 0x0
	v_sub_nc_u32_e32 v7, s4, v1
	v_lshlrev_b64 v[0:1], 1, v[5:6]
	v_cmp_gt_i32_e32 vcc_lo, s6, v2
	v_dual_mov_b32 v10, 0xff800000 :: v_dual_mov_b32 v11, 0xff800000
	s_delay_alu instid0(VALU_DEP_4) | instskip(SKIP_1) | instid1(VALU_DEP_4)
	v_cmp_lt_i32_e64 s5, 0, v7
	s_waitcnt lgkmcnt(0)
	v_add_co_u32 v5, s2, s10, v0
	s_delay_alu instid0(VALU_DEP_1) | instskip(NEXT) | instid1(VALU_DEP_3)
	v_add_co_ci_u32_e64 v6, s2, s11, v1, s2
	s_and_b32 s11, s5, vcc_lo
	s_delay_alu instid0(SALU_CYCLE_1)
	s_and_saveexec_b32 s2, s11
	s_cbranch_execz .LBB736_4
; %bb.3:
	global_load_u16 v8, v[5:6], off
	s_waitcnt vmcnt(0)
	v_cvt_f32_f16_e32 v11, v8
.LBB736_4:
	s_or_b32 exec_lo, exec_lo, s2
	v_add_nc_u32_e32 v8, 64, v2
	s_delay_alu instid0(VALU_DEP_1) | instskip(NEXT) | instid1(VALU_DEP_1)
	v_cmp_gt_i32_e64 s4, s6, v8
	s_and_b32 s10, s5, s4
	s_delay_alu instid0(SALU_CYCLE_1)
	s_and_saveexec_b32 s2, s10
	s_cbranch_execz .LBB736_6
; %bb.5:
	global_load_u16 v8, v[5:6], off offset:128
	s_waitcnt vmcnt(0)
	v_cvt_f32_f16_e32 v10, v8
.LBB736_6:
	s_or_b32 exec_lo, exec_lo, s2
	v_add_nc_u32_e32 v8, 0x80, v2
	v_mov_b32_e32 v9, 0xff800000
	s_delay_alu instid0(VALU_DEP_2) | instskip(SKIP_1) | instid1(VALU_DEP_2)
	v_cmp_gt_i32_e64 s3, s6, v8
	v_mov_b32_e32 v8, 0xff800000
	s_and_b32 s7, s5, s3
	s_delay_alu instid0(SALU_CYCLE_1)
	s_and_saveexec_b32 s2, s7
	s_cbranch_execz .LBB736_8
; %bb.7:
	global_load_u16 v9, v[5:6], off offset:256
	s_waitcnt vmcnt(0)
	v_cvt_f32_f16_e32 v9, v9
.LBB736_8:
	s_or_b32 exec_lo, exec_lo, s2
	v_add_nc_u32_e32 v2, 0xc0, v2
	s_delay_alu instid0(VALU_DEP_1) | instskip(NEXT) | instid1(VALU_DEP_1)
	v_cmp_gt_i32_e64 s2, s6, v2
	s_and_b32 s5, s5, s2
	s_delay_alu instid0(SALU_CYCLE_1)
	s_and_saveexec_b32 s6, s5
	s_cbranch_execz .LBB736_10
; %bb.9:
	global_load_u16 v2, v[5:6], off offset:384
	s_waitcnt vmcnt(0)
	v_cvt_f32_f16_e32 v8, v2
.LBB736_10:
	s_or_b32 exec_lo, exec_lo, s6
	s_load_b64 s[0:1], s[0:1], 0x20
	s_waitcnt lgkmcnt(0)
	v_add_co_u32 v2, s0, s0, v3
	s_delay_alu instid0(VALU_DEP_1)
	v_add_co_ci_u32_e64 v3, s0, s1, v4, s0
	s_mov_b32 s1, 0
	s_and_saveexec_b32 s6, s11
	s_cbranch_execnz .LBB736_14
; %bb.11:
	s_or_b32 exec_lo, exec_lo, s6
	v_mov_b32_e32 v4, v11
	s_and_saveexec_b32 s6, s10
	s_cbranch_execnz .LBB736_15
.LBB736_12:
	s_or_b32 exec_lo, exec_lo, s6
	s_and_saveexec_b32 s6, s7
	s_cbranch_execnz .LBB736_18
.LBB736_13:
	s_or_b32 exec_lo, exec_lo, s6
	s_and_saveexec_b32 s6, s5
	s_cbranch_execnz .LBB736_21
	s_branch .LBB736_24
.LBB736_14:
	global_load_u8 v4, v[2:3], off
	s_waitcnt vmcnt(0)
	v_and_b32_e32 v4, 1, v4
	s_delay_alu instid0(VALU_DEP_1) | instskip(NEXT) | instid1(VALU_DEP_1)
	v_cmp_eq_u32_e64 s0, 1, v4
	s_xor_b32 s0, s0, -1
	s_delay_alu instid0(SALU_CYCLE_1)
	s_and_b32 s1, s0, exec_lo
	s_or_b32 exec_lo, exec_lo, s6
	v_mov_b32_e32 v4, v11
	s_and_saveexec_b32 s6, s10
	s_cbranch_execz .LBB736_12
.LBB736_15:
	global_load_u8 v4, v[2:3], off offset:64
	s_waitcnt vmcnt(0)
	v_and_b32_e32 v4, 1, v4
	s_delay_alu instid0(VALU_DEP_1) | instskip(SKIP_1) | instid1(VALU_DEP_2)
	v_cmp_eq_u32_e64 s0, 1, v4
	v_mov_b32_e32 v4, v11
	s_xor_b32 s13, s0, -1
	s_mov_b32 s0, s1
	s_and_saveexec_b32 s12, s13
; %bb.16:
	v_cmp_gt_f32_e64 s0, v11, v10
	s_delay_alu instid0(VALU_DEP_1) | instskip(NEXT) | instid1(SALU_CYCLE_1)
	s_and_b32 s0, s1, s0
	v_cndmask_b32_e64 v4, v10, v11, s0
	s_or_b32 s0, s1, exec_lo
; %bb.17:
	s_or_b32 exec_lo, exec_lo, s12
	s_delay_alu instid0(SALU_CYCLE_1) | instskip(SKIP_1) | instid1(SALU_CYCLE_1)
	s_and_not1_b32 s1, s1, exec_lo
	s_and_b32 s0, s0, exec_lo
	s_or_b32 s1, s1, s0
	s_or_b32 exec_lo, exec_lo, s6
	s_and_saveexec_b32 s6, s7
	s_cbranch_execz .LBB736_13
.LBB736_18:
	global_load_u8 v5, v[2:3], off offset:128
	s_waitcnt vmcnt(0)
	v_and_b32_e32 v5, 1, v5
	s_delay_alu instid0(VALU_DEP_1) | instskip(NEXT) | instid1(VALU_DEP_1)
	v_cmp_eq_u32_e64 s0, 1, v5
	s_xor_b32 s13, s0, -1
	s_mov_b32 s0, s1
	s_and_saveexec_b32 s12, s13
; %bb.19:
	v_cmp_gt_f32_e64 s0, v4, v9
	s_delay_alu instid0(VALU_DEP_1) | instskip(NEXT) | instid1(SALU_CYCLE_1)
	s_and_b32 s0, s1, s0
	v_cndmask_b32_e64 v4, v9, v4, s0
	s_or_b32 s0, s1, exec_lo
; %bb.20:
	s_or_b32 exec_lo, exec_lo, s12
	s_delay_alu instid0(SALU_CYCLE_1) | instskip(SKIP_1) | instid1(SALU_CYCLE_1)
	s_and_not1_b32 s1, s1, exec_lo
	s_and_b32 s0, s0, exec_lo
	s_or_b32 s1, s1, s0
	s_or_b32 exec_lo, exec_lo, s6
	s_and_saveexec_b32 s6, s5
	s_cbranch_execz .LBB736_24
.LBB736_21:
	global_load_u8 v5, v[2:3], off offset:192
	s_waitcnt vmcnt(0)
	v_and_b32_e32 v5, 1, v5
	s_delay_alu instid0(VALU_DEP_1) | instskip(NEXT) | instid1(VALU_DEP_1)
	v_cmp_eq_u32_e64 s0, 1, v5
	s_xor_b32 s13, s0, -1
	s_mov_b32 s0, s1
	s_and_saveexec_b32 s12, s13
; %bb.22:
	v_cmp_gt_f32_e64 s0, v4, v8
	s_delay_alu instid0(VALU_DEP_1) | instskip(NEXT) | instid1(SALU_CYCLE_1)
	s_and_b32 s0, s1, s0
	v_cndmask_b32_e64 v4, v8, v4, s0
	s_or_b32 s0, s1, exec_lo
; %bb.23:
	s_or_b32 exec_lo, exec_lo, s12
	s_delay_alu instid0(SALU_CYCLE_1) | instskip(SKIP_1) | instid1(SALU_CYCLE_1)
	s_and_not1_b32 s1, s1, exec_lo
	s_and_b32 s0, s0, exec_lo
	s_or_b32 s1, s1, s0
.LBB736_24:
	s_or_b32 exec_lo, exec_lo, s6
	v_mbcnt_lo_u32_b32 v14, -1, 0
	v_cndmask_b32_e64 v4, 0xff800000, v4, s1
	s_delay_alu instid0(VALU_DEP_2) | instskip(SKIP_1) | instid1(VALU_DEP_2)
	v_or_b32_e32 v5, 32, v14
	v_xor_b32_e32 v6, 16, v14
	v_cmp_gt_i32_e64 s0, 64, v5
	s_delay_alu instid0(VALU_DEP_1) | instskip(NEXT) | instid1(VALU_DEP_3)
	v_cndmask_b32_e64 v5, v14, v5, s0
	v_cmp_gt_i32_e64 s0, 64, v6
	s_delay_alu instid0(VALU_DEP_2) | instskip(NEXT) | instid1(VALU_DEP_2)
	v_lshlrev_b32_e32 v5, 2, v5
	v_cndmask_b32_e64 v6, v14, v6, s0
	ds_bpermute_b32 v12, v5, v4
	v_lshlrev_b32_e32 v6, 2, v6
	s_waitcnt lgkmcnt(0)
	v_cmp_lt_f32_e64 s0, v4, v12
	s_delay_alu instid0(VALU_DEP_1) | instskip(SKIP_3) | instid1(VALU_DEP_1)
	v_cndmask_b32_e64 v4, v4, v12, s0
	v_xor_b32_e32 v12, 8, v14
	ds_bpermute_b32 v13, v6, v4
	v_cmp_gt_i32_e64 s0, 64, v12
	v_cndmask_b32_e64 v12, v14, v12, s0
	s_delay_alu instid0(VALU_DEP_1) | instskip(SKIP_2) | instid1(VALU_DEP_1)
	v_lshlrev_b32_e32 v12, 2, v12
	s_waitcnt lgkmcnt(0)
	v_cmp_lt_f32_e64 s0, v4, v13
	v_cndmask_b32_e64 v4, v4, v13, s0
	v_xor_b32_e32 v13, 4, v14
	ds_bpermute_b32 v15, v12, v4
	v_cmp_gt_i32_e64 s0, 64, v13
	s_delay_alu instid0(VALU_DEP_1) | instskip(NEXT) | instid1(VALU_DEP_1)
	v_cndmask_b32_e64 v13, v14, v13, s0
	v_lshlrev_b32_e32 v13, 2, v13
	s_waitcnt lgkmcnt(0)
	v_cmp_lt_f32_e64 s0, v4, v15
	s_delay_alu instid0(VALU_DEP_1) | instskip(SKIP_3) | instid1(VALU_DEP_1)
	v_cndmask_b32_e64 v4, v4, v15, s0
	v_xor_b32_e32 v15, 2, v14
	ds_bpermute_b32 v16, v13, v4
	v_cmp_gt_i32_e64 s0, 64, v15
	v_cndmask_b32_e64 v15, v14, v15, s0
	s_delay_alu instid0(VALU_DEP_1) | instskip(SKIP_2) | instid1(VALU_DEP_1)
	v_lshlrev_b32_e32 v15, 2, v15
	s_waitcnt lgkmcnt(0)
	v_cmp_lt_f32_e64 s0, v4, v16
	v_cndmask_b32_e64 v4, v4, v16, s0
	v_xor_b32_e32 v16, 1, v14
	ds_bpermute_b32 v17, v15, v4
	v_cmp_gt_i32_e64 s0, 64, v16
	s_delay_alu instid0(VALU_DEP_1) | instskip(NEXT) | instid1(VALU_DEP_1)
	v_cndmask_b32_e64 v14, v14, v16, s0
	v_lshlrev_b32_e32 v16, 2, v14
	s_waitcnt lgkmcnt(0)
	v_cmp_lt_f32_e64 s0, v4, v17
	s_delay_alu instid0(VALU_DEP_1) | instskip(SKIP_4) | instid1(VALU_DEP_1)
	v_cndmask_b32_e64 v14, v4, v17, s0
	v_mov_b32_e32 v4, 0
	ds_bpermute_b32 v17, v16, v14
	s_waitcnt lgkmcnt(0)
	v_cmp_lt_f32_e64 s0, v14, v17
	v_cndmask_b32_e64 v17, v14, v17, s0
	v_mov_b32_e32 v14, 0
	s_and_saveexec_b32 s1, s11
	s_cbranch_execz .LBB736_28
; %bb.25:
	global_load_u8 v14, v[2:3], off
	s_waitcnt vmcnt(0)
	v_and_b32_e32 v14, 1, v14
	s_delay_alu instid0(VALU_DEP_1) | instskip(SKIP_1) | instid1(VALU_DEP_2)
	v_cmp_eq_u32_e64 s0, 1, v14
	v_mov_b32_e32 v14, 0
	s_xor_b32 s0, s0, -1
	s_delay_alu instid0(SALU_CYCLE_1)
	s_and_saveexec_b32 s6, s0
	s_cbranch_execz .LBB736_27
; %bb.26:
	v_sub_f32_e32 v11, v11, v17
	s_delay_alu instid0(VALU_DEP_1) | instskip(NEXT) | instid1(VALU_DEP_1)
	v_mul_f32_e32 v14, 0x3fb8aa3b, v11
	v_fma_f32 v18, 0x3fb8aa3b, v11, -v14
	v_rndne_f32_e32 v19, v14
	s_delay_alu instid0(VALU_DEP_1) | instskip(NEXT) | instid1(VALU_DEP_3)
	v_sub_f32_e32 v14, v14, v19
	v_fmamk_f32 v18, v11, 0x32a5705f, v18
	v_cmp_ngt_f32_e64 s0, 0xc2ce8ed0, v11
	s_delay_alu instid0(VALU_DEP_2) | instskip(SKIP_1) | instid1(VALU_DEP_2)
	v_add_f32_e32 v14, v14, v18
	v_cvt_i32_f32_e32 v18, v19
	v_exp_f32_e32 v14, v14
	s_waitcnt_depctr 0xfff
	v_ldexp_f32 v14, v14, v18
	s_delay_alu instid0(VALU_DEP_1) | instskip(SKIP_1) | instid1(VALU_DEP_1)
	v_cndmask_b32_e64 v14, 0, v14, s0
	v_cmp_nlt_f32_e64 s0, 0x42b17218, v11
	v_cndmask_b32_e64 v14, 0x7f800000, v14, s0
.LBB736_27:
	s_or_b32 exec_lo, exec_lo, s6
.LBB736_28:
	s_delay_alu instid0(SALU_CYCLE_1) | instskip(NEXT) | instid1(VALU_DEP_1)
	s_or_b32 exec_lo, exec_lo, s1
	v_mov_b32_e32 v18, v14
	s_and_saveexec_b32 s1, s10
	s_cbranch_execz .LBB736_32
; %bb.29:
	global_load_u8 v4, v[2:3], off offset:64
	v_mov_b32_e32 v18, v14
	s_waitcnt vmcnt(0)
	v_and_b32_e32 v4, 1, v4
	s_delay_alu instid0(VALU_DEP_1) | instskip(SKIP_1) | instid1(VALU_DEP_2)
	v_cmp_eq_u32_e64 s0, 1, v4
	v_mov_b32_e32 v4, 0
	s_xor_b32 s0, s0, -1
	s_delay_alu instid0(SALU_CYCLE_1)
	s_and_saveexec_b32 s6, s0
	s_cbranch_execz .LBB736_31
; %bb.30:
	v_sub_f32_e32 v4, v10, v17
	s_delay_alu instid0(VALU_DEP_1) | instskip(SKIP_1) | instid1(VALU_DEP_2)
	v_mul_f32_e32 v10, 0x3fb8aa3b, v4
	v_cmp_ngt_f32_e64 s0, 0xc2ce8ed0, v4
	v_fma_f32 v11, 0x3fb8aa3b, v4, -v10
	v_rndne_f32_e32 v18, v10
	s_delay_alu instid0(VALU_DEP_1) | instskip(NEXT) | instid1(VALU_DEP_1)
	v_dual_fmamk_f32 v11, v4, 0x32a5705f, v11 :: v_dual_sub_f32 v10, v10, v18
	v_add_f32_e32 v10, v10, v11
	v_cvt_i32_f32_e32 v11, v18
	s_delay_alu instid0(VALU_DEP_2) | instskip(SKIP_2) | instid1(VALU_DEP_1)
	v_exp_f32_e32 v10, v10
	s_waitcnt_depctr 0xfff
	v_ldexp_f32 v10, v10, v11
	v_cndmask_b32_e64 v10, 0, v10, s0
	v_cmp_nlt_f32_e64 s0, 0x42b17218, v4
	s_delay_alu instid0(VALU_DEP_1) | instskip(NEXT) | instid1(VALU_DEP_1)
	v_cndmask_b32_e64 v4, 0x7f800000, v10, s0
	v_add_f32_e32 v18, v14, v4
.LBB736_31:
	s_or_b32 exec_lo, exec_lo, s6
.LBB736_32:
	s_delay_alu instid0(SALU_CYCLE_1)
	s_or_b32 exec_lo, exec_lo, s1
	v_dual_mov_b32 v10, 0 :: v_dual_mov_b32 v11, 0
	s_and_saveexec_b32 s1, s7
	s_cbranch_execz .LBB736_36
; %bb.33:
	global_load_u8 v11, v[2:3], off offset:128
	s_waitcnt vmcnt(0)
	v_and_b32_e32 v11, 1, v11
	s_delay_alu instid0(VALU_DEP_1) | instskip(SKIP_1) | instid1(VALU_DEP_2)
	v_cmp_eq_u32_e64 s0, 1, v11
	v_mov_b32_e32 v11, 0
	s_xor_b32 s0, s0, -1
	s_delay_alu instid0(SALU_CYCLE_1)
	s_and_saveexec_b32 s6, s0
	s_cbranch_execz .LBB736_35
; %bb.34:
	v_sub_f32_e32 v9, v9, v17
	s_delay_alu instid0(VALU_DEP_1) | instskip(SKIP_1) | instid1(VALU_DEP_2)
	v_mul_f32_e32 v11, 0x3fb8aa3b, v9
	v_cmp_ngt_f32_e64 s0, 0xc2ce8ed0, v9
	v_fma_f32 v19, 0x3fb8aa3b, v9, -v11
	v_rndne_f32_e32 v20, v11
	s_delay_alu instid0(VALU_DEP_2) | instskip(NEXT) | instid1(VALU_DEP_2)
	v_fmamk_f32 v19, v9, 0x32a5705f, v19
	v_sub_f32_e32 v11, v11, v20
	s_delay_alu instid0(VALU_DEP_1) | instskip(SKIP_1) | instid1(VALU_DEP_2)
	v_add_f32_e32 v11, v11, v19
	v_cvt_i32_f32_e32 v19, v20
	v_exp_f32_e32 v11, v11
	s_waitcnt_depctr 0xfff
	v_ldexp_f32 v11, v11, v19
	s_delay_alu instid0(VALU_DEP_1) | instskip(SKIP_1) | instid1(VALU_DEP_1)
	v_cndmask_b32_e64 v11, 0, v11, s0
	v_cmp_nlt_f32_e64 s0, 0x42b17218, v9
	v_cndmask_b32_e64 v11, 0x7f800000, v11, s0
	s_delay_alu instid0(VALU_DEP_1)
	v_add_f32_e32 v18, v18, v11
.LBB736_35:
	s_or_b32 exec_lo, exec_lo, s6
.LBB736_36:
	s_delay_alu instid0(SALU_CYCLE_1)
	s_or_b32 exec_lo, exec_lo, s1
	s_and_saveexec_b32 s1, s5
	s_cbranch_execz .LBB736_40
; %bb.37:
	global_load_u8 v2, v[2:3], off offset:192
	v_mov_b32_e32 v10, 0
	s_waitcnt vmcnt(0)
	v_and_b32_e32 v2, 1, v2
	s_delay_alu instid0(VALU_DEP_1) | instskip(NEXT) | instid1(VALU_DEP_1)
	v_cmp_eq_u32_e64 s0, 1, v2
	s_xor_b32 s0, s0, -1
	s_delay_alu instid0(SALU_CYCLE_1)
	s_and_saveexec_b32 s5, s0
	s_cbranch_execz .LBB736_39
; %bb.38:
	v_sub_f32_e32 v2, v8, v17
	s_delay_alu instid0(VALU_DEP_1) | instskip(NEXT) | instid1(VALU_DEP_1)
	v_mul_f32_e32 v3, 0x3fb8aa3b, v2
	v_fma_f32 v8, 0x3fb8aa3b, v2, -v3
	v_rndne_f32_e32 v9, v3
	s_delay_alu instid0(VALU_DEP_1) | instskip(NEXT) | instid1(VALU_DEP_1)
	v_dual_fmamk_f32 v8, v2, 0x32a5705f, v8 :: v_dual_sub_f32 v3, v3, v9
	v_add_f32_e32 v3, v3, v8
	v_cvt_i32_f32_e32 v8, v9
	v_cmp_ngt_f32_e64 s0, 0xc2ce8ed0, v2
	s_delay_alu instid0(VALU_DEP_3) | instskip(SKIP_2) | instid1(VALU_DEP_1)
	v_exp_f32_e32 v3, v3
	s_waitcnt_depctr 0xfff
	v_ldexp_f32 v3, v3, v8
	v_cndmask_b32_e64 v3, 0, v3, s0
	v_cmp_nlt_f32_e64 s0, 0x42b17218, v2
	s_delay_alu instid0(VALU_DEP_1) | instskip(NEXT) | instid1(VALU_DEP_1)
	v_cndmask_b32_e64 v10, 0x7f800000, v3, s0
	v_add_f32_e32 v18, v18, v10
.LBB736_39:
	s_or_b32 exec_lo, exec_lo, s5
.LBB736_40:
	s_delay_alu instid0(SALU_CYCLE_1)
	s_or_b32 exec_lo, exec_lo, s1
	ds_bpermute_b32 v2, v5, v18
	s_mov_b32 s1, exec_lo
	s_waitcnt lgkmcnt(0)
	v_add_f32_e32 v2, v18, v2
	ds_bpermute_b32 v3, v6, v2
	s_waitcnt lgkmcnt(0)
	v_add_f32_e32 v2, v2, v3
	ds_bpermute_b32 v3, v12, v2
	;; [unrolled: 3-line block ×5, first 2 shown]
	v_cmpx_lt_i32_e32 0, v7
	s_cbranch_execz .LBB736_54
; %bb.41:
	s_and_b32 exec_lo, exec_lo, vcc_lo
	s_cbranch_execz .LBB736_54
; %bb.42:
	s_waitcnt lgkmcnt(0)
	v_dual_add_f32 v2, v2, v3 :: v_dual_mov_b32 v3, 0x7e00
	s_delay_alu instid0(VALU_DEP_1) | instskip(NEXT) | instid1(VALU_DEP_1)
	v_cmp_neq_f32_e64 s0, 0, v2
	s_and_saveexec_b32 s1, s0
	s_cbranch_execz .LBB736_44
; %bb.43:
	v_div_scale_f32 v3, null, v2, v2, v14
	s_delay_alu instid0(VALU_DEP_1) | instskip(SKIP_2) | instid1(VALU_DEP_1)
	v_rcp_f32_e32 v5, v3
	s_waitcnt_depctr 0xfff
	v_fma_f32 v6, -v3, v5, 1.0
	v_fmac_f32_e32 v5, v6, v5
	v_div_scale_f32 v6, vcc_lo, v14, v2, v14
	s_delay_alu instid0(VALU_DEP_1) | instskip(NEXT) | instid1(VALU_DEP_1)
	v_mul_f32_e32 v7, v6, v5
	v_fma_f32 v8, -v3, v7, v6
	s_delay_alu instid0(VALU_DEP_1) | instskip(NEXT) | instid1(VALU_DEP_1)
	v_fmac_f32_e32 v7, v8, v5
	v_fma_f32 v3, -v3, v7, v6
	s_delay_alu instid0(VALU_DEP_1) | instskip(NEXT) | instid1(VALU_DEP_1)
	v_div_fmas_f32 v3, v3, v5, v7
	v_div_fixup_f32 v3, v3, v2, v14
	s_delay_alu instid0(VALU_DEP_1)
	v_cvt_f16_f32_e32 v3, v3
.LBB736_44:
	s_or_b32 exec_lo, exec_lo, s1
	v_add_co_u32 v0, vcc_lo, s8, v0
	v_add_co_ci_u32_e32 v1, vcc_lo, s9, v1, vcc_lo
	global_store_b16 v[0:1], v3, off
	s_and_b32 exec_lo, exec_lo, s4
	s_cbranch_execz .LBB736_54
; %bb.45:
	v_mov_b32_e32 v3, 0x7e00
	s_and_saveexec_b32 s1, s0
	s_cbranch_execz .LBB736_47
; %bb.46:
	v_div_scale_f32 v3, null, v2, v2, v4
	s_delay_alu instid0(VALU_DEP_1) | instskip(SKIP_2) | instid1(VALU_DEP_1)
	v_rcp_f32_e32 v5, v3
	s_waitcnt_depctr 0xfff
	v_fma_f32 v6, -v3, v5, 1.0
	v_fmac_f32_e32 v5, v6, v5
	v_div_scale_f32 v6, vcc_lo, v4, v2, v4
	s_delay_alu instid0(VALU_DEP_1) | instskip(NEXT) | instid1(VALU_DEP_1)
	v_mul_f32_e32 v7, v6, v5
	v_fma_f32 v8, -v3, v7, v6
	s_delay_alu instid0(VALU_DEP_1) | instskip(NEXT) | instid1(VALU_DEP_1)
	v_fmac_f32_e32 v7, v8, v5
	v_fma_f32 v3, -v3, v7, v6
	s_delay_alu instid0(VALU_DEP_1) | instskip(NEXT) | instid1(VALU_DEP_1)
	v_div_fmas_f32 v3, v3, v5, v7
	v_div_fixup_f32 v3, v3, v2, v4
	s_delay_alu instid0(VALU_DEP_1)
	v_cvt_f16_f32_e32 v3, v3
.LBB736_47:
	s_or_b32 exec_lo, exec_lo, s1
	global_store_b16 v[0:1], v3, off offset:128
	s_and_b32 exec_lo, exec_lo, s3
	s_cbranch_execz .LBB736_54
; %bb.48:
	v_mov_b32_e32 v3, 0x7e00
	s_and_saveexec_b32 s1, s0
	s_cbranch_execz .LBB736_50
; %bb.49:
	v_div_scale_f32 v3, null, v2, v2, v11
	s_delay_alu instid0(VALU_DEP_1) | instskip(SKIP_2) | instid1(VALU_DEP_1)
	v_rcp_f32_e32 v4, v3
	s_waitcnt_depctr 0xfff
	v_fma_f32 v5, -v3, v4, 1.0
	v_fmac_f32_e32 v4, v5, v4
	v_div_scale_f32 v5, vcc_lo, v11, v2, v11
	s_delay_alu instid0(VALU_DEP_1) | instskip(NEXT) | instid1(VALU_DEP_1)
	v_mul_f32_e32 v6, v5, v4
	v_fma_f32 v7, -v3, v6, v5
	s_delay_alu instid0(VALU_DEP_1) | instskip(NEXT) | instid1(VALU_DEP_1)
	v_fmac_f32_e32 v6, v7, v4
	v_fma_f32 v3, -v3, v6, v5
	s_delay_alu instid0(VALU_DEP_1) | instskip(NEXT) | instid1(VALU_DEP_1)
	v_div_fmas_f32 v3, v3, v4, v6
	v_div_fixup_f32 v3, v3, v2, v11
	s_delay_alu instid0(VALU_DEP_1)
	v_cvt_f16_f32_e32 v3, v3
.LBB736_50:
	s_or_b32 exec_lo, exec_lo, s1
	global_store_b16 v[0:1], v3, off offset:256
	;; [unrolled: 28-line block ×3, first 2 shown]
.LBB736_54:
	s_nop 0
	s_sendmsg sendmsg(MSG_DEALLOC_VGPRS)
	s_endpgm
	.section	.rodata,"a",@progbits
	.p2align	6, 0x0
	.amdhsa_kernel _ZN12_GLOBAL__N_120softmax_warp_forwardIN3c104HalfES2_fLi8ELb0ELb1ELi64EEEvPT0_PKT_iiiPKbib
		.amdhsa_group_segment_fixed_size 0
		.amdhsa_private_segment_fixed_size 0
		.amdhsa_kernarg_size 304
		.amdhsa_user_sgpr_count 15
		.amdhsa_user_sgpr_dispatch_ptr 0
		.amdhsa_user_sgpr_queue_ptr 0
		.amdhsa_user_sgpr_kernarg_segment_ptr 1
		.amdhsa_user_sgpr_dispatch_id 0
		.amdhsa_user_sgpr_private_segment_size 0
		.amdhsa_wavefront_size32 1
		.amdhsa_uses_dynamic_stack 0
		.amdhsa_enable_private_segment 0
		.amdhsa_system_sgpr_workgroup_id_x 1
		.amdhsa_system_sgpr_workgroup_id_y 0
		.amdhsa_system_sgpr_workgroup_id_z 0
		.amdhsa_system_sgpr_workgroup_info 0
		.amdhsa_system_vgpr_workitem_id 1
		.amdhsa_next_free_vgpr 21
		.amdhsa_next_free_sgpr 16
		.amdhsa_reserve_vcc 1
		.amdhsa_float_round_mode_32 0
		.amdhsa_float_round_mode_16_64 0
		.amdhsa_float_denorm_mode_32 3
		.amdhsa_float_denorm_mode_16_64 3
		.amdhsa_dx10_clamp 1
		.amdhsa_ieee_mode 1
		.amdhsa_fp16_overflow 0
		.amdhsa_workgroup_processor_mode 1
		.amdhsa_memory_ordered 1
		.amdhsa_forward_progress 0
		.amdhsa_shared_vgpr_count 0
		.amdhsa_exception_fp_ieee_invalid_op 0
		.amdhsa_exception_fp_denorm_src 0
		.amdhsa_exception_fp_ieee_div_zero 0
		.amdhsa_exception_fp_ieee_overflow 0
		.amdhsa_exception_fp_ieee_underflow 0
		.amdhsa_exception_fp_ieee_inexact 0
		.amdhsa_exception_int_div_zero 0
	.end_amdhsa_kernel
	.section	.text._ZN12_GLOBAL__N_120softmax_warp_forwardIN3c104HalfES2_fLi8ELb0ELb1ELi64EEEvPT0_PKT_iiiPKbib,"axG",@progbits,_ZN12_GLOBAL__N_120softmax_warp_forwardIN3c104HalfES2_fLi8ELb0ELb1ELi64EEEvPT0_PKT_iiiPKbib,comdat
.Lfunc_end736:
	.size	_ZN12_GLOBAL__N_120softmax_warp_forwardIN3c104HalfES2_fLi8ELb0ELb1ELi64EEEvPT0_PKT_iiiPKbib, .Lfunc_end736-_ZN12_GLOBAL__N_120softmax_warp_forwardIN3c104HalfES2_fLi8ELb0ELb1ELi64EEEvPT0_PKT_iiiPKbib
                                        ; -- End function
	.section	.AMDGPU.csdata,"",@progbits
; Kernel info:
; codeLenInByte = 2884
; NumSgprs: 18
; NumVgprs: 21
; ScratchSize: 0
; MemoryBound: 0
; FloatMode: 240
; IeeeMode: 1
; LDSByteSize: 0 bytes/workgroup (compile time only)
; SGPRBlocks: 2
; VGPRBlocks: 2
; NumSGPRsForWavesPerEU: 18
; NumVGPRsForWavesPerEU: 21
; Occupancy: 16
; WaveLimiterHint : 0
; COMPUTE_PGM_RSRC2:SCRATCH_EN: 0
; COMPUTE_PGM_RSRC2:USER_SGPR: 15
; COMPUTE_PGM_RSRC2:TRAP_HANDLER: 0
; COMPUTE_PGM_RSRC2:TGID_X_EN: 1
; COMPUTE_PGM_RSRC2:TGID_Y_EN: 0
; COMPUTE_PGM_RSRC2:TGID_Z_EN: 0
; COMPUTE_PGM_RSRC2:TIDIG_COMP_CNT: 1
	.section	.text._ZN12_GLOBAL__N_120softmax_warp_forwardIN3c104HalfES2_fLi8ELb0ELb1ELi32EEEvPT0_PKT_iiiPKbib,"axG",@progbits,_ZN12_GLOBAL__N_120softmax_warp_forwardIN3c104HalfES2_fLi8ELb0ELb1ELi32EEEvPT0_PKT_iiiPKbib,comdat
	.globl	_ZN12_GLOBAL__N_120softmax_warp_forwardIN3c104HalfES2_fLi8ELb0ELb1ELi32EEEvPT0_PKT_iiiPKbib ; -- Begin function _ZN12_GLOBAL__N_120softmax_warp_forwardIN3c104HalfES2_fLi8ELb0ELb1ELi32EEEvPT0_PKT_iiiPKbib
	.p2align	8
	.type	_ZN12_GLOBAL__N_120softmax_warp_forwardIN3c104HalfES2_fLi8ELb0ELb1ELi32EEEvPT0_PKT_iiiPKbib,@function
_ZN12_GLOBAL__N_120softmax_warp_forwardIN3c104HalfES2_fLi8ELb0ELb1ELi32EEEvPT0_PKT_iiiPKbib: ; @_ZN12_GLOBAL__N_120softmax_warp_forwardIN3c104HalfES2_fLi8ELb0ELb1ELi32EEEvPT0_PKT_iiiPKbib
; %bb.0:
	s_clause 0x1
	s_load_b32 s2, s[0:1], 0x3c
	s_load_b128 s[8:11], s[0:1], 0x10
	v_bfe_u32 v3, v0, 10, 10
	s_waitcnt lgkmcnt(0)
	s_lshr_b32 s2, s2, 16
	s_delay_alu instid0(VALU_DEP_1) | instid1(SALU_CYCLE_1)
	v_mad_u64_u32 v[1:2], null, s15, s2, v[3:4]
	s_load_b64 s[2:3], s[0:1], 0x28
	v_and_b32_e32 v2, 0x3ff, v0
	s_delay_alu instid0(VALU_DEP_2) | instskip(NEXT) | instid1(VALU_DEP_1)
	v_mul_lo_u32 v7, v1, s9
	v_add_nc_u32_e32 v5, v7, v2
	s_delay_alu instid0(VALU_DEP_1) | instskip(SKIP_3) | instid1(VALU_DEP_2)
	v_ashrrev_i32_e32 v6, 31, v5
	v_mov_b32_e32 v3, v5
	s_waitcnt lgkmcnt(0)
	s_bitcmp0_b32 s3, 0
	v_mov_b32_e32 v4, v6
	s_cbranch_scc1 .LBB737_2
; %bb.1:
	s_abs_i32 s3, s2
	v_sub_nc_u32_e32 v4, 0, v7
	v_cvt_f32_u32_e32 v0, s3
	s_sub_i32 s4, 0, s3
	s_delay_alu instid0(VALU_DEP_2) | instskip(NEXT) | instid1(VALU_DEP_2)
	v_max_i32_e32 v4, v7, v4
	v_rcp_iflag_f32_e32 v0, v0
	s_waitcnt_depctr 0xfff
	v_mul_f32_e32 v0, 0x4f7ffffe, v0
	s_delay_alu instid0(VALU_DEP_1) | instskip(NEXT) | instid1(VALU_DEP_1)
	v_cvt_u32_f32_e32 v0, v0
	v_mul_lo_u32 v3, s4, v0
	s_delay_alu instid0(VALU_DEP_1) | instskip(NEXT) | instid1(VALU_DEP_1)
	v_mul_hi_u32 v3, v0, v3
	v_add_nc_u32_e32 v0, v0, v3
	s_delay_alu instid0(VALU_DEP_1) | instskip(NEXT) | instid1(VALU_DEP_1)
	v_mul_hi_u32 v0, v4, v0
	v_mul_lo_u32 v3, v0, s3
	s_delay_alu instid0(VALU_DEP_1) | instskip(SKIP_1) | instid1(VALU_DEP_2)
	v_sub_nc_u32_e32 v3, v4, v3
	v_add_nc_u32_e32 v4, 1, v0
	v_subrev_nc_u32_e32 v8, s3, v3
	v_cmp_le_u32_e32 vcc_lo, s3, v3
	s_delay_alu instid0(VALU_DEP_2) | instskip(NEXT) | instid1(VALU_DEP_4)
	v_cndmask_b32_e32 v3, v3, v8, vcc_lo
	v_cndmask_b32_e32 v0, v0, v4, vcc_lo
	v_xor_b32_e32 v4, s2, v7
	s_delay_alu instid0(VALU_DEP_3) | instskip(NEXT) | instid1(VALU_DEP_3)
	v_cmp_le_u32_e32 vcc_lo, s3, v3
	v_add_nc_u32_e32 v7, 1, v0
	s_delay_alu instid0(VALU_DEP_3) | instskip(NEXT) | instid1(VALU_DEP_2)
	v_ashrrev_i32_e32 v4, 31, v4
	v_cndmask_b32_e32 v0, v0, v7, vcc_lo
	s_delay_alu instid0(VALU_DEP_1) | instskip(NEXT) | instid1(VALU_DEP_1)
	v_xor_b32_e32 v0, v0, v4
	v_sub_nc_u32_e32 v0, v0, v4
	s_delay_alu instid0(VALU_DEP_1) | instskip(NEXT) | instid1(VALU_DEP_1)
	v_mad_u64_u32 v[3:4], null, v0, s9, v[2:3]
	v_ashrrev_i32_e32 v4, 31, v3
.LBB737_2:
	s_load_b128 s[12:15], s[0:1], 0x0
	v_sub_nc_u32_e32 v7, s8, v1
	v_lshlrev_b64 v[0:1], 1, v[5:6]
	v_cmp_gt_i32_e32 vcc_lo, s10, v2
	v_dual_mov_b32 v14, 0xff800000 :: v_dual_mov_b32 v15, 0xff800000
	s_delay_alu instid0(VALU_DEP_4) | instskip(NEXT) | instid1(VALU_DEP_1)
	v_cmp_lt_i32_e64 s9, 0, v7
	s_and_b32 s19, s9, vcc_lo
	s_waitcnt lgkmcnt(0)
	v_add_co_u32 v5, s2, s14, v0
	s_delay_alu instid0(VALU_DEP_1)
	v_add_co_ci_u32_e64 v6, s2, s15, v1, s2
	s_and_saveexec_b32 s2, s19
	s_cbranch_execz .LBB737_4
; %bb.3:
	global_load_u16 v8, v[5:6], off
	s_waitcnt vmcnt(0)
	v_cvt_f32_f16_e32 v15, v8
.LBB737_4:
	s_or_b32 exec_lo, exec_lo, s2
	v_add_nc_u32_e32 v8, 32, v2
	s_delay_alu instid0(VALU_DEP_1) | instskip(NEXT) | instid1(VALU_DEP_1)
	v_cmp_gt_i32_e64 s8, s10, v8
	s_and_b32 s18, s9, s8
	s_delay_alu instid0(SALU_CYCLE_1)
	s_and_saveexec_b32 s2, s18
	s_cbranch_execz .LBB737_6
; %bb.5:
	global_load_u16 v8, v[5:6], off offset:64
	s_waitcnt vmcnt(0)
	v_cvt_f32_f16_e32 v14, v8
.LBB737_6:
	s_or_b32 exec_lo, exec_lo, s2
	v_dual_mov_b32 v13, 0xff800000 :: v_dual_add_nc_u32 v8, 64, v2
	v_mov_b32_e32 v12, 0xff800000
	s_delay_alu instid0(VALU_DEP_2) | instskip(NEXT) | instid1(VALU_DEP_1)
	v_cmp_gt_i32_e64 s7, s10, v8
	s_and_b32 s17, s9, s7
	s_delay_alu instid0(SALU_CYCLE_1)
	s_and_saveexec_b32 s2, s17
	s_cbranch_execz .LBB737_8
; %bb.7:
	global_load_u16 v8, v[5:6], off offset:128
	s_waitcnt vmcnt(0)
	v_cvt_f32_f16_e32 v13, v8
.LBB737_8:
	s_or_b32 exec_lo, exec_lo, s2
	v_add_nc_u32_e32 v8, 0x60, v2
	s_delay_alu instid0(VALU_DEP_1) | instskip(NEXT) | instid1(VALU_DEP_1)
	v_cmp_gt_i32_e64 s6, s10, v8
	s_and_b32 s16, s9, s6
	s_delay_alu instid0(SALU_CYCLE_1)
	s_and_saveexec_b32 s2, s16
	s_cbranch_execz .LBB737_10
; %bb.9:
	global_load_u16 v8, v[5:6], off offset:192
	s_waitcnt vmcnt(0)
	v_cvt_f32_f16_e32 v12, v8
.LBB737_10:
	s_or_b32 exec_lo, exec_lo, s2
	v_add_nc_u32_e32 v8, 0x80, v2
	v_dual_mov_b32 v10, 0xff800000 :: v_dual_mov_b32 v11, 0xff800000
	s_delay_alu instid0(VALU_DEP_2) | instskip(NEXT) | instid1(VALU_DEP_1)
	v_cmp_gt_i32_e64 s5, s10, v8
	s_and_b32 s15, s9, s5
	s_delay_alu instid0(SALU_CYCLE_1)
	s_and_saveexec_b32 s2, s15
	s_cbranch_execz .LBB737_12
; %bb.11:
	global_load_u16 v8, v[5:6], off offset:256
	s_waitcnt vmcnt(0)
	v_cvt_f32_f16_e32 v11, v8
.LBB737_12:
	s_or_b32 exec_lo, exec_lo, s2
	v_add_nc_u32_e32 v8, 0xa0, v2
	s_delay_alu instid0(VALU_DEP_1) | instskip(NEXT) | instid1(VALU_DEP_1)
	v_cmp_gt_i32_e64 s4, s10, v8
	s_and_b32 s14, s9, s4
	s_delay_alu instid0(SALU_CYCLE_1)
	s_and_saveexec_b32 s2, s14
	s_cbranch_execz .LBB737_14
; %bb.13:
	global_load_u16 v8, v[5:6], off offset:320
	s_waitcnt vmcnt(0)
	v_cvt_f32_f16_e32 v10, v8
.LBB737_14:
	s_or_b32 exec_lo, exec_lo, s2
	v_add_nc_u32_e32 v8, 0xc0, v2
	v_mov_b32_e32 v9, 0xff800000
	s_delay_alu instid0(VALU_DEP_2) | instskip(SKIP_1) | instid1(VALU_DEP_2)
	v_cmp_gt_i32_e64 s3, s10, v8
	v_mov_b32_e32 v8, 0xff800000
	s_and_b32 s11, s9, s3
	s_delay_alu instid0(SALU_CYCLE_1)
	s_and_saveexec_b32 s2, s11
	s_cbranch_execz .LBB737_16
; %bb.15:
	global_load_u16 v9, v[5:6], off offset:384
	s_waitcnt vmcnt(0)
	v_cvt_f32_f16_e32 v9, v9
.LBB737_16:
	s_or_b32 exec_lo, exec_lo, s2
	v_add_nc_u32_e32 v2, 0xe0, v2
	s_delay_alu instid0(VALU_DEP_1) | instskip(NEXT) | instid1(VALU_DEP_1)
	v_cmp_gt_i32_e64 s2, s10, v2
	s_and_b32 s9, s9, s2
	s_delay_alu instid0(SALU_CYCLE_1)
	s_and_saveexec_b32 s10, s9
	s_cbranch_execz .LBB737_18
; %bb.17:
	global_load_u16 v2, v[5:6], off offset:448
	s_waitcnt vmcnt(0)
	v_cvt_f32_f16_e32 v8, v2
.LBB737_18:
	s_or_b32 exec_lo, exec_lo, s10
	s_load_b64 s[0:1], s[0:1], 0x20
	s_waitcnt lgkmcnt(0)
	v_add_co_u32 v2, s0, s0, v3
	s_delay_alu instid0(VALU_DEP_1)
	v_add_co_ci_u32_e64 v3, s0, s1, v4, s0
	s_mov_b32 s1, 0
	s_and_saveexec_b32 s10, s19
	s_cbranch_execnz .LBB737_26
; %bb.19:
	s_or_b32 exec_lo, exec_lo, s10
	v_mov_b32_e32 v4, v15
	s_and_saveexec_b32 s10, s18
	s_cbranch_execnz .LBB737_27
.LBB737_20:
	s_or_b32 exec_lo, exec_lo, s10
	s_and_saveexec_b32 s10, s17
	s_cbranch_execnz .LBB737_30
.LBB737_21:
	s_or_b32 exec_lo, exec_lo, s10
	s_and_saveexec_b32 s10, s16
	s_cbranch_execnz .LBB737_33
.LBB737_22:
	s_or_b32 exec_lo, exec_lo, s10
	s_and_saveexec_b32 s10, s15
	s_cbranch_execnz .LBB737_36
.LBB737_23:
	s_or_b32 exec_lo, exec_lo, s10
	s_and_saveexec_b32 s10, s14
	s_cbranch_execnz .LBB737_39
.LBB737_24:
	s_or_b32 exec_lo, exec_lo, s10
	s_and_saveexec_b32 s10, s11
	s_cbranch_execnz .LBB737_42
.LBB737_25:
	s_or_b32 exec_lo, exec_lo, s10
	s_and_saveexec_b32 s10, s9
	s_cbranch_execnz .LBB737_45
	s_branch .LBB737_48
.LBB737_26:
	global_load_u8 v4, v[2:3], off
	s_waitcnt vmcnt(0)
	v_and_b32_e32 v4, 1, v4
	s_delay_alu instid0(VALU_DEP_1) | instskip(NEXT) | instid1(VALU_DEP_1)
	v_cmp_eq_u32_e64 s0, 1, v4
	s_xor_b32 s0, s0, -1
	s_delay_alu instid0(SALU_CYCLE_1)
	s_and_b32 s1, s0, exec_lo
	s_or_b32 exec_lo, exec_lo, s10
	v_mov_b32_e32 v4, v15
	s_and_saveexec_b32 s10, s18
	s_cbranch_execz .LBB737_20
.LBB737_27:
	global_load_u8 v4, v[2:3], off offset:32
	s_waitcnt vmcnt(0)
	v_and_b32_e32 v4, 1, v4
	s_delay_alu instid0(VALU_DEP_1) | instskip(SKIP_1) | instid1(VALU_DEP_2)
	v_cmp_eq_u32_e64 s0, 1, v4
	v_mov_b32_e32 v4, v15
	s_xor_b32 s21, s0, -1
	s_mov_b32 s0, s1
	s_and_saveexec_b32 s20, s21
; %bb.28:
	v_cmp_gt_f32_e64 s0, v15, v14
	s_delay_alu instid0(VALU_DEP_1) | instskip(NEXT) | instid1(SALU_CYCLE_1)
	s_and_b32 s0, s1, s0
	v_cndmask_b32_e64 v4, v14, v15, s0
	s_or_b32 s0, s1, exec_lo
; %bb.29:
	s_or_b32 exec_lo, exec_lo, s20
	s_delay_alu instid0(SALU_CYCLE_1) | instskip(SKIP_1) | instid1(SALU_CYCLE_1)
	s_and_not1_b32 s1, s1, exec_lo
	s_and_b32 s0, s0, exec_lo
	s_or_b32 s1, s1, s0
	s_or_b32 exec_lo, exec_lo, s10
	s_and_saveexec_b32 s10, s17
	s_cbranch_execz .LBB737_21
.LBB737_30:
	global_load_u8 v5, v[2:3], off offset:64
	s_waitcnt vmcnt(0)
	v_and_b32_e32 v5, 1, v5
	s_delay_alu instid0(VALU_DEP_1) | instskip(NEXT) | instid1(VALU_DEP_1)
	v_cmp_eq_u32_e64 s0, 1, v5
	s_xor_b32 s21, s0, -1
	s_mov_b32 s0, s1
	s_and_saveexec_b32 s20, s21
; %bb.31:
	v_cmp_gt_f32_e64 s0, v4, v13
	s_delay_alu instid0(VALU_DEP_1) | instskip(NEXT) | instid1(SALU_CYCLE_1)
	s_and_b32 s0, s1, s0
	v_cndmask_b32_e64 v4, v13, v4, s0
	s_or_b32 s0, s1, exec_lo
; %bb.32:
	s_or_b32 exec_lo, exec_lo, s20
	s_delay_alu instid0(SALU_CYCLE_1) | instskip(SKIP_1) | instid1(SALU_CYCLE_1)
	s_and_not1_b32 s1, s1, exec_lo
	s_and_b32 s0, s0, exec_lo
	s_or_b32 s1, s1, s0
	s_or_b32 exec_lo, exec_lo, s10
	s_and_saveexec_b32 s10, s16
	s_cbranch_execz .LBB737_22
.LBB737_33:
	global_load_u8 v5, v[2:3], off offset:96
	s_waitcnt vmcnt(0)
	v_and_b32_e32 v5, 1, v5
	s_delay_alu instid0(VALU_DEP_1) | instskip(NEXT) | instid1(VALU_DEP_1)
	v_cmp_eq_u32_e64 s0, 1, v5
	s_xor_b32 s21, s0, -1
	s_mov_b32 s0, s1
	s_and_saveexec_b32 s20, s21
; %bb.34:
	v_cmp_gt_f32_e64 s0, v4, v12
	s_delay_alu instid0(VALU_DEP_1) | instskip(NEXT) | instid1(SALU_CYCLE_1)
	s_and_b32 s0, s1, s0
	v_cndmask_b32_e64 v4, v12, v4, s0
	s_or_b32 s0, s1, exec_lo
; %bb.35:
	s_or_b32 exec_lo, exec_lo, s20
	s_delay_alu instid0(SALU_CYCLE_1) | instskip(SKIP_1) | instid1(SALU_CYCLE_1)
	s_and_not1_b32 s1, s1, exec_lo
	s_and_b32 s0, s0, exec_lo
	s_or_b32 s1, s1, s0
	s_or_b32 exec_lo, exec_lo, s10
	s_and_saveexec_b32 s10, s15
	s_cbranch_execz .LBB737_23
.LBB737_36:
	global_load_u8 v5, v[2:3], off offset:128
	s_waitcnt vmcnt(0)
	v_and_b32_e32 v5, 1, v5
	s_delay_alu instid0(VALU_DEP_1) | instskip(NEXT) | instid1(VALU_DEP_1)
	v_cmp_eq_u32_e64 s0, 1, v5
	s_xor_b32 s21, s0, -1
	s_mov_b32 s0, s1
	s_and_saveexec_b32 s20, s21
; %bb.37:
	v_cmp_gt_f32_e64 s0, v4, v11
	s_delay_alu instid0(VALU_DEP_1) | instskip(NEXT) | instid1(SALU_CYCLE_1)
	s_and_b32 s0, s1, s0
	v_cndmask_b32_e64 v4, v11, v4, s0
	s_or_b32 s0, s1, exec_lo
; %bb.38:
	s_or_b32 exec_lo, exec_lo, s20
	s_delay_alu instid0(SALU_CYCLE_1) | instskip(SKIP_1) | instid1(SALU_CYCLE_1)
	s_and_not1_b32 s1, s1, exec_lo
	s_and_b32 s0, s0, exec_lo
	s_or_b32 s1, s1, s0
	s_or_b32 exec_lo, exec_lo, s10
	s_and_saveexec_b32 s10, s14
	s_cbranch_execz .LBB737_24
.LBB737_39:
	global_load_u8 v5, v[2:3], off offset:160
	s_waitcnt vmcnt(0)
	v_and_b32_e32 v5, 1, v5
	s_delay_alu instid0(VALU_DEP_1) | instskip(NEXT) | instid1(VALU_DEP_1)
	v_cmp_eq_u32_e64 s0, 1, v5
	s_xor_b32 s21, s0, -1
	s_mov_b32 s0, s1
	s_and_saveexec_b32 s20, s21
; %bb.40:
	v_cmp_gt_f32_e64 s0, v4, v10
	s_delay_alu instid0(VALU_DEP_1) | instskip(NEXT) | instid1(SALU_CYCLE_1)
	s_and_b32 s0, s1, s0
	v_cndmask_b32_e64 v4, v10, v4, s0
	s_or_b32 s0, s1, exec_lo
; %bb.41:
	s_or_b32 exec_lo, exec_lo, s20
	s_delay_alu instid0(SALU_CYCLE_1) | instskip(SKIP_1) | instid1(SALU_CYCLE_1)
	s_and_not1_b32 s1, s1, exec_lo
	s_and_b32 s0, s0, exec_lo
	s_or_b32 s1, s1, s0
	s_or_b32 exec_lo, exec_lo, s10
	s_and_saveexec_b32 s10, s11
	s_cbranch_execz .LBB737_25
.LBB737_42:
	global_load_u8 v5, v[2:3], off offset:192
	s_waitcnt vmcnt(0)
	v_and_b32_e32 v5, 1, v5
	s_delay_alu instid0(VALU_DEP_1) | instskip(NEXT) | instid1(VALU_DEP_1)
	v_cmp_eq_u32_e64 s0, 1, v5
	s_xor_b32 s21, s0, -1
	s_mov_b32 s0, s1
	s_and_saveexec_b32 s20, s21
; %bb.43:
	v_cmp_gt_f32_e64 s0, v4, v9
	s_delay_alu instid0(VALU_DEP_1) | instskip(NEXT) | instid1(SALU_CYCLE_1)
	s_and_b32 s0, s1, s0
	v_cndmask_b32_e64 v4, v9, v4, s0
	s_or_b32 s0, s1, exec_lo
; %bb.44:
	s_or_b32 exec_lo, exec_lo, s20
	s_delay_alu instid0(SALU_CYCLE_1) | instskip(SKIP_1) | instid1(SALU_CYCLE_1)
	s_and_not1_b32 s1, s1, exec_lo
	s_and_b32 s0, s0, exec_lo
	s_or_b32 s1, s1, s0
	s_or_b32 exec_lo, exec_lo, s10
	s_and_saveexec_b32 s10, s9
	s_cbranch_execz .LBB737_48
.LBB737_45:
	global_load_u8 v5, v[2:3], off offset:224
	s_waitcnt vmcnt(0)
	v_and_b32_e32 v5, 1, v5
	s_delay_alu instid0(VALU_DEP_1) | instskip(NEXT) | instid1(VALU_DEP_1)
	v_cmp_eq_u32_e64 s0, 1, v5
	s_xor_b32 s21, s0, -1
	s_mov_b32 s0, s1
	s_and_saveexec_b32 s20, s21
; %bb.46:
	v_cmp_gt_f32_e64 s0, v4, v8
	s_delay_alu instid0(VALU_DEP_1) | instskip(NEXT) | instid1(SALU_CYCLE_1)
	s_and_b32 s0, s1, s0
	v_cndmask_b32_e64 v4, v8, v4, s0
	s_or_b32 s0, s1, exec_lo
; %bb.47:
	s_or_b32 exec_lo, exec_lo, s20
	s_delay_alu instid0(SALU_CYCLE_1) | instskip(SKIP_1) | instid1(SALU_CYCLE_1)
	s_and_not1_b32 s1, s1, exec_lo
	s_and_b32 s0, s0, exec_lo
	s_or_b32 s1, s1, s0
.LBB737_48:
	s_or_b32 exec_lo, exec_lo, s10
	v_mbcnt_lo_u32_b32 v6, -1, 0
	v_cndmask_b32_e64 v4, 0xff800000, v4, s1
	s_delay_alu instid0(VALU_DEP_2) | instskip(SKIP_3) | instid1(VALU_DEP_4)
	v_xor_b32_e32 v5, 16, v6
	v_xor_b32_e32 v16, 8, v6
	;; [unrolled: 1-line block ×4, first 2 shown]
	v_cmp_gt_i32_e64 s0, 32, v5
	s_delay_alu instid0(VALU_DEP_1) | instskip(SKIP_1) | instid1(VALU_DEP_2)
	v_cndmask_b32_e64 v5, v6, v5, s0
	v_cmp_gt_i32_e64 s0, 32, v16
	v_lshlrev_b32_e32 v5, 2, v5
	s_delay_alu instid0(VALU_DEP_2) | instskip(SKIP_4) | instid1(VALU_DEP_1)
	v_cndmask_b32_e64 v16, v6, v16, s0
	ds_bpermute_b32 v17, v5, v4
	v_lshlrev_b32_e32 v16, 2, v16
	s_waitcnt lgkmcnt(0)
	v_cmp_lt_f32_e64 s0, v4, v17
	v_cndmask_b32_e64 v4, v4, v17, s0
	v_xor_b32_e32 v17, 4, v6
	ds_bpermute_b32 v18, v16, v4
	v_cmp_gt_i32_e64 s0, 32, v17
	s_delay_alu instid0(VALU_DEP_1) | instskip(NEXT) | instid1(VALU_DEP_1)
	v_cndmask_b32_e64 v17, v6, v17, s0
	v_lshlrev_b32_e32 v17, 2, v17
	s_waitcnt lgkmcnt(0)
	v_cmp_lt_f32_e64 s0, v4, v18
	s_delay_alu instid0(VALU_DEP_1) | instskip(SKIP_3) | instid1(VALU_DEP_1)
	v_cndmask_b32_e64 v4, v4, v18, s0
	v_cmp_gt_i32_e64 s0, 32, v19
	ds_bpermute_b32 v18, v17, v4
	v_cndmask_b32_e64 v19, v6, v19, s0
	v_lshlrev_b32_e32 v19, 2, v19
	s_waitcnt lgkmcnt(0)
	v_cmp_lt_f32_e64 s0, v4, v18
	s_delay_alu instid0(VALU_DEP_1) | instskip(SKIP_3) | instid1(VALU_DEP_1)
	v_cndmask_b32_e64 v4, v4, v18, s0
	v_cmp_gt_i32_e64 s0, 32, v20
	ds_bpermute_b32 v18, v19, v4
	v_cndmask_b32_e64 v6, v6, v20, s0
	v_lshlrev_b32_e32 v20, 2, v6
	s_waitcnt lgkmcnt(0)
	v_cmp_lt_f32_e64 s0, v4, v18
	s_delay_alu instid0(VALU_DEP_1) | instskip(SKIP_4) | instid1(VALU_DEP_1)
	v_cndmask_b32_e64 v6, v4, v18, s0
	v_mov_b32_e32 v4, 0
	ds_bpermute_b32 v18, v20, v6
	s_waitcnt lgkmcnt(0)
	v_cmp_lt_f32_e64 s0, v6, v18
	v_cndmask_b32_e64 v21, v6, v18, s0
	v_mov_b32_e32 v18, 0
	s_and_saveexec_b32 s1, s19
	s_cbranch_execz .LBB737_52
; %bb.49:
	global_load_u8 v6, v[2:3], off
	v_mov_b32_e32 v18, 0
	s_waitcnt vmcnt(0)
	v_and_b32_e32 v6, 1, v6
	s_delay_alu instid0(VALU_DEP_1) | instskip(NEXT) | instid1(VALU_DEP_1)
	v_cmp_eq_u32_e64 s0, 1, v6
	s_xor_b32 s0, s0, -1
	s_delay_alu instid0(SALU_CYCLE_1)
	s_and_saveexec_b32 s10, s0
	s_cbranch_execz .LBB737_51
; %bb.50:
	v_sub_f32_e32 v6, v15, v21
	s_delay_alu instid0(VALU_DEP_1) | instskip(SKIP_1) | instid1(VALU_DEP_2)
	v_mul_f32_e32 v15, 0x3fb8aa3b, v6
	v_cmp_ngt_f32_e64 s0, 0xc2ce8ed0, v6
	v_fma_f32 v18, 0x3fb8aa3b, v6, -v15
	v_rndne_f32_e32 v22, v15
	s_delay_alu instid0(VALU_DEP_1) | instskip(NEXT) | instid1(VALU_DEP_1)
	v_dual_fmamk_f32 v18, v6, 0x32a5705f, v18 :: v_dual_sub_f32 v15, v15, v22
	v_add_f32_e32 v15, v15, v18
	v_cvt_i32_f32_e32 v18, v22
	s_delay_alu instid0(VALU_DEP_2) | instskip(SKIP_2) | instid1(VALU_DEP_1)
	v_exp_f32_e32 v15, v15
	s_waitcnt_depctr 0xfff
	v_ldexp_f32 v15, v15, v18
	v_cndmask_b32_e64 v15, 0, v15, s0
	v_cmp_nlt_f32_e64 s0, 0x42b17218, v6
	s_delay_alu instid0(VALU_DEP_1)
	v_cndmask_b32_e64 v18, 0x7f800000, v15, s0
.LBB737_51:
	s_or_b32 exec_lo, exec_lo, s10
.LBB737_52:
	s_delay_alu instid0(SALU_CYCLE_1) | instskip(NEXT) | instid1(VALU_DEP_1)
	s_or_b32 exec_lo, exec_lo, s1
	v_mov_b32_e32 v15, v18
	s_and_saveexec_b32 s1, s18
	s_cbranch_execz .LBB737_56
; %bb.53:
	global_load_u8 v4, v[2:3], off offset:32
	s_waitcnt vmcnt(0)
	v_dual_mov_b32 v15, v18 :: v_dual_and_b32 v4, 1, v4
	s_delay_alu instid0(VALU_DEP_1) | instskip(SKIP_1) | instid1(VALU_DEP_2)
	v_cmp_eq_u32_e64 s0, 1, v4
	v_mov_b32_e32 v4, 0
	s_xor_b32 s0, s0, -1
	s_delay_alu instid0(SALU_CYCLE_1)
	s_and_saveexec_b32 s10, s0
	s_cbranch_execz .LBB737_55
; %bb.54:
	v_sub_f32_e32 v4, v14, v21
	s_delay_alu instid0(VALU_DEP_1) | instskip(SKIP_1) | instid1(VALU_DEP_2)
	v_mul_f32_e32 v6, 0x3fb8aa3b, v4
	v_cmp_ngt_f32_e64 s0, 0xc2ce8ed0, v4
	v_fma_f32 v14, 0x3fb8aa3b, v4, -v6
	v_rndne_f32_e32 v15, v6
	s_delay_alu instid0(VALU_DEP_2) | instskip(NEXT) | instid1(VALU_DEP_2)
	v_fmamk_f32 v14, v4, 0x32a5705f, v14
	v_sub_f32_e32 v6, v6, v15
	s_delay_alu instid0(VALU_DEP_1) | instskip(SKIP_1) | instid1(VALU_DEP_2)
	v_add_f32_e32 v6, v6, v14
	v_cvt_i32_f32_e32 v14, v15
	v_exp_f32_e32 v6, v6
	s_waitcnt_depctr 0xfff
	v_ldexp_f32 v6, v6, v14
	s_delay_alu instid0(VALU_DEP_1) | instskip(SKIP_1) | instid1(VALU_DEP_1)
	v_cndmask_b32_e64 v6, 0, v6, s0
	v_cmp_nlt_f32_e64 s0, 0x42b17218, v4
	v_cndmask_b32_e64 v4, 0x7f800000, v6, s0
	s_delay_alu instid0(VALU_DEP_1)
	v_add_f32_e32 v15, v18, v4
.LBB737_55:
	s_or_b32 exec_lo, exec_lo, s10
.LBB737_56:
	s_delay_alu instid0(SALU_CYCLE_1)
	s_or_b32 exec_lo, exec_lo, s1
	v_mov_b32_e32 v6, 0
	v_mov_b32_e32 v14, 0
	s_and_saveexec_b32 s1, s17
	s_cbranch_execz .LBB737_60
; %bb.57:
	global_load_u8 v14, v[2:3], off offset:64
	s_waitcnt vmcnt(0)
	v_and_b32_e32 v14, 1, v14
	s_delay_alu instid0(VALU_DEP_1) | instskip(SKIP_1) | instid1(VALU_DEP_2)
	v_cmp_eq_u32_e64 s0, 1, v14
	v_mov_b32_e32 v14, 0
	s_xor_b32 s0, s0, -1
	s_delay_alu instid0(SALU_CYCLE_1)
	s_and_saveexec_b32 s10, s0
	s_cbranch_execz .LBB737_59
; %bb.58:
	v_sub_f32_e32 v13, v13, v21
	s_delay_alu instid0(VALU_DEP_1) | instskip(NEXT) | instid1(VALU_DEP_1)
	v_mul_f32_e32 v14, 0x3fb8aa3b, v13
	v_fma_f32 v22, 0x3fb8aa3b, v13, -v14
	v_rndne_f32_e32 v23, v14
	s_delay_alu instid0(VALU_DEP_1) | instskip(NEXT) | instid1(VALU_DEP_3)
	v_sub_f32_e32 v14, v14, v23
	v_fmamk_f32 v22, v13, 0x32a5705f, v22
	v_cmp_ngt_f32_e64 s0, 0xc2ce8ed0, v13
	s_delay_alu instid0(VALU_DEP_2) | instskip(SKIP_1) | instid1(VALU_DEP_2)
	v_add_f32_e32 v14, v14, v22
	v_cvt_i32_f32_e32 v22, v23
	v_exp_f32_e32 v14, v14
	s_waitcnt_depctr 0xfff
	v_ldexp_f32 v14, v14, v22
	s_delay_alu instid0(VALU_DEP_1) | instskip(SKIP_1) | instid1(VALU_DEP_1)
	v_cndmask_b32_e64 v14, 0, v14, s0
	v_cmp_nlt_f32_e64 s0, 0x42b17218, v13
	v_cndmask_b32_e64 v14, 0x7f800000, v14, s0
	s_delay_alu instid0(VALU_DEP_1)
	v_add_f32_e32 v15, v15, v14
.LBB737_59:
	s_or_b32 exec_lo, exec_lo, s10
.LBB737_60:
	s_delay_alu instid0(SALU_CYCLE_1)
	s_or_b32 exec_lo, exec_lo, s1
	s_and_saveexec_b32 s1, s16
	s_cbranch_execz .LBB737_64
; %bb.61:
	global_load_u8 v6, v[2:3], off offset:96
	s_waitcnt vmcnt(0)
	v_and_b32_e32 v6, 1, v6
	s_delay_alu instid0(VALU_DEP_1) | instskip(SKIP_1) | instid1(VALU_DEP_2)
	v_cmp_eq_u32_e64 s0, 1, v6
	v_mov_b32_e32 v6, 0
	s_xor_b32 s0, s0, -1
	s_delay_alu instid0(SALU_CYCLE_1)
	s_and_saveexec_b32 s10, s0
	s_cbranch_execz .LBB737_63
; %bb.62:
	v_sub_f32_e32 v6, v12, v21
	s_delay_alu instid0(VALU_DEP_1) | instskip(SKIP_1) | instid1(VALU_DEP_2)
	v_mul_f32_e32 v12, 0x3fb8aa3b, v6
	v_cmp_ngt_f32_e64 s0, 0xc2ce8ed0, v6
	v_fma_f32 v13, 0x3fb8aa3b, v6, -v12
	v_rndne_f32_e32 v22, v12
	s_delay_alu instid0(VALU_DEP_1) | instskip(NEXT) | instid1(VALU_DEP_1)
	v_dual_fmamk_f32 v13, v6, 0x32a5705f, v13 :: v_dual_sub_f32 v12, v12, v22
	v_add_f32_e32 v12, v12, v13
	v_cvt_i32_f32_e32 v13, v22
	s_delay_alu instid0(VALU_DEP_2) | instskip(SKIP_2) | instid1(VALU_DEP_1)
	v_exp_f32_e32 v12, v12
	s_waitcnt_depctr 0xfff
	v_ldexp_f32 v12, v12, v13
	v_cndmask_b32_e64 v12, 0, v12, s0
	v_cmp_nlt_f32_e64 s0, 0x42b17218, v6
	s_delay_alu instid0(VALU_DEP_1) | instskip(NEXT) | instid1(VALU_DEP_1)
	v_cndmask_b32_e64 v6, 0x7f800000, v12, s0
	v_add_f32_e32 v15, v15, v6
.LBB737_63:
	s_or_b32 exec_lo, exec_lo, s10
.LBB737_64:
	s_delay_alu instid0(SALU_CYCLE_1)
	s_or_b32 exec_lo, exec_lo, s1
	v_dual_mov_b32 v12, 0 :: v_dual_mov_b32 v13, 0
	s_and_saveexec_b32 s1, s15
	s_cbranch_execz .LBB737_68
; %bb.65:
	global_load_u8 v13, v[2:3], off offset:128
	s_waitcnt vmcnt(0)
	v_and_b32_e32 v13, 1, v13
	s_delay_alu instid0(VALU_DEP_1) | instskip(SKIP_1) | instid1(VALU_DEP_2)
	v_cmp_eq_u32_e64 s0, 1, v13
	v_mov_b32_e32 v13, 0
	s_xor_b32 s0, s0, -1
	s_delay_alu instid0(SALU_CYCLE_1)
	s_and_saveexec_b32 s10, s0
	s_cbranch_execz .LBB737_67
; %bb.66:
	v_sub_f32_e32 v11, v11, v21
	s_delay_alu instid0(VALU_DEP_1) | instskip(SKIP_1) | instid1(VALU_DEP_2)
	v_mul_f32_e32 v13, 0x3fb8aa3b, v11
	v_cmp_ngt_f32_e64 s0, 0xc2ce8ed0, v11
	v_fma_f32 v22, 0x3fb8aa3b, v11, -v13
	v_rndne_f32_e32 v23, v13
	s_delay_alu instid0(VALU_DEP_1) | instskip(NEXT) | instid1(VALU_DEP_1)
	v_dual_fmamk_f32 v22, v11, 0x32a5705f, v22 :: v_dual_sub_f32 v13, v13, v23
	v_add_f32_e32 v13, v13, v22
	v_cvt_i32_f32_e32 v22, v23
	s_delay_alu instid0(VALU_DEP_2) | instskip(SKIP_2) | instid1(VALU_DEP_1)
	v_exp_f32_e32 v13, v13
	s_waitcnt_depctr 0xfff
	v_ldexp_f32 v13, v13, v22
	v_cndmask_b32_e64 v13, 0, v13, s0
	v_cmp_nlt_f32_e64 s0, 0x42b17218, v11
	s_delay_alu instid0(VALU_DEP_1) | instskip(NEXT) | instid1(VALU_DEP_1)
	v_cndmask_b32_e64 v13, 0x7f800000, v13, s0
	v_add_f32_e32 v15, v15, v13
.LBB737_67:
	s_or_b32 exec_lo, exec_lo, s10
.LBB737_68:
	s_delay_alu instid0(SALU_CYCLE_1)
	s_or_b32 exec_lo, exec_lo, s1
	s_and_saveexec_b32 s1, s14
	s_cbranch_execz .LBB737_72
; %bb.69:
	global_load_u8 v11, v[2:3], off offset:160
	s_waitcnt vmcnt(0)
	v_dual_mov_b32 v12, 0 :: v_dual_and_b32 v11, 1, v11
	s_delay_alu instid0(VALU_DEP_1) | instskip(NEXT) | instid1(VALU_DEP_1)
	v_cmp_eq_u32_e64 s0, 1, v11
	s_xor_b32 s0, s0, -1
	s_delay_alu instid0(SALU_CYCLE_1)
	s_and_saveexec_b32 s10, s0
	s_cbranch_execz .LBB737_71
; %bb.70:
	v_sub_f32_e32 v10, v10, v21
	s_delay_alu instid0(VALU_DEP_1) | instskip(NEXT) | instid1(VALU_DEP_1)
	v_mul_f32_e32 v11, 0x3fb8aa3b, v10
	v_fma_f32 v12, 0x3fb8aa3b, v10, -v11
	v_rndne_f32_e32 v22, v11
	s_delay_alu instid0(VALU_DEP_1) | instskip(SKIP_1) | instid1(VALU_DEP_2)
	v_dual_sub_f32 v11, v11, v22 :: v_dual_fmamk_f32 v12, v10, 0x32a5705f, v12
	v_cmp_ngt_f32_e64 s0, 0xc2ce8ed0, v10
	v_add_f32_e32 v11, v11, v12
	v_cvt_i32_f32_e32 v12, v22
	s_delay_alu instid0(VALU_DEP_2) | instskip(SKIP_2) | instid1(VALU_DEP_1)
	v_exp_f32_e32 v11, v11
	s_waitcnt_depctr 0xfff
	v_ldexp_f32 v11, v11, v12
	v_cndmask_b32_e64 v11, 0, v11, s0
	v_cmp_nlt_f32_e64 s0, 0x42b17218, v10
	s_delay_alu instid0(VALU_DEP_1) | instskip(NEXT) | instid1(VALU_DEP_1)
	v_cndmask_b32_e64 v12, 0x7f800000, v11, s0
	v_add_f32_e32 v15, v15, v12
.LBB737_71:
	s_or_b32 exec_lo, exec_lo, s10
.LBB737_72:
	s_delay_alu instid0(SALU_CYCLE_1)
	s_or_b32 exec_lo, exec_lo, s1
	v_dual_mov_b32 v10, 0 :: v_dual_mov_b32 v11, 0
	s_and_saveexec_b32 s1, s11
	s_cbranch_execz .LBB737_76
; %bb.73:
	global_load_u8 v11, v[2:3], off offset:192
	s_waitcnt vmcnt(0)
	v_and_b32_e32 v11, 1, v11
	s_delay_alu instid0(VALU_DEP_1) | instskip(SKIP_1) | instid1(VALU_DEP_2)
	v_cmp_eq_u32_e64 s0, 1, v11
	v_mov_b32_e32 v11, 0
	s_xor_b32 s0, s0, -1
	s_delay_alu instid0(SALU_CYCLE_1)
	s_and_saveexec_b32 s10, s0
	s_cbranch_execz .LBB737_75
; %bb.74:
	v_sub_f32_e32 v9, v9, v21
	s_delay_alu instid0(VALU_DEP_1) | instskip(SKIP_1) | instid1(VALU_DEP_2)
	v_mul_f32_e32 v11, 0x3fb8aa3b, v9
	v_cmp_ngt_f32_e64 s0, 0xc2ce8ed0, v9
	v_fma_f32 v22, 0x3fb8aa3b, v9, -v11
	v_rndne_f32_e32 v23, v11
	s_delay_alu instid0(VALU_DEP_1) | instskip(NEXT) | instid1(VALU_DEP_1)
	v_dual_fmamk_f32 v22, v9, 0x32a5705f, v22 :: v_dual_sub_f32 v11, v11, v23
	v_add_f32_e32 v11, v11, v22
	v_cvt_i32_f32_e32 v22, v23
	s_delay_alu instid0(VALU_DEP_2) | instskip(SKIP_2) | instid1(VALU_DEP_1)
	v_exp_f32_e32 v11, v11
	s_waitcnt_depctr 0xfff
	v_ldexp_f32 v11, v11, v22
	v_cndmask_b32_e64 v11, 0, v11, s0
	v_cmp_nlt_f32_e64 s0, 0x42b17218, v9
	s_delay_alu instid0(VALU_DEP_1) | instskip(NEXT) | instid1(VALU_DEP_1)
	v_cndmask_b32_e64 v11, 0x7f800000, v11, s0
	v_add_f32_e32 v15, v15, v11
.LBB737_75:
	s_or_b32 exec_lo, exec_lo, s10
.LBB737_76:
	s_delay_alu instid0(SALU_CYCLE_1)
	s_or_b32 exec_lo, exec_lo, s1
	s_and_saveexec_b32 s1, s9
	s_cbranch_execz .LBB737_80
; %bb.77:
	global_load_u8 v2, v[2:3], off offset:224
	v_mov_b32_e32 v10, 0
	s_waitcnt vmcnt(0)
	v_and_b32_e32 v2, 1, v2
	s_delay_alu instid0(VALU_DEP_1) | instskip(NEXT) | instid1(VALU_DEP_1)
	v_cmp_eq_u32_e64 s0, 1, v2
	s_xor_b32 s0, s0, -1
	s_delay_alu instid0(SALU_CYCLE_1)
	s_and_saveexec_b32 s9, s0
	s_cbranch_execz .LBB737_79
; %bb.78:
	v_sub_f32_e32 v2, v8, v21
	s_delay_alu instid0(VALU_DEP_1) | instskip(NEXT) | instid1(VALU_DEP_1)
	v_mul_f32_e32 v3, 0x3fb8aa3b, v2
	v_fma_f32 v8, 0x3fb8aa3b, v2, -v3
	v_rndne_f32_e32 v9, v3
	s_delay_alu instid0(VALU_DEP_1) | instskip(NEXT) | instid1(VALU_DEP_1)
	v_dual_fmamk_f32 v8, v2, 0x32a5705f, v8 :: v_dual_sub_f32 v3, v3, v9
	v_add_f32_e32 v3, v3, v8
	v_cvt_i32_f32_e32 v8, v9
	v_cmp_ngt_f32_e64 s0, 0xc2ce8ed0, v2
	s_delay_alu instid0(VALU_DEP_3) | instskip(SKIP_2) | instid1(VALU_DEP_1)
	v_exp_f32_e32 v3, v3
	s_waitcnt_depctr 0xfff
	v_ldexp_f32 v3, v3, v8
	v_cndmask_b32_e64 v3, 0, v3, s0
	v_cmp_nlt_f32_e64 s0, 0x42b17218, v2
	s_delay_alu instid0(VALU_DEP_1) | instskip(NEXT) | instid1(VALU_DEP_1)
	v_cndmask_b32_e64 v10, 0x7f800000, v3, s0
	v_add_f32_e32 v15, v15, v10
.LBB737_79:
	s_or_b32 exec_lo, exec_lo, s9
.LBB737_80:
	s_delay_alu instid0(SALU_CYCLE_1)
	s_or_b32 exec_lo, exec_lo, s1
	ds_bpermute_b32 v2, v5, v15
	s_mov_b32 s1, exec_lo
	s_waitcnt lgkmcnt(0)
	v_add_f32_e32 v2, v15, v2
	ds_bpermute_b32 v3, v16, v2
	s_waitcnt lgkmcnt(0)
	v_add_f32_e32 v2, v2, v3
	ds_bpermute_b32 v3, v17, v2
	;; [unrolled: 3-line block ×4, first 2 shown]
	v_cmpx_lt_i32_e32 0, v7
	s_cbranch_execz .LBB737_106
; %bb.81:
	s_and_b32 exec_lo, exec_lo, vcc_lo
	s_cbranch_execz .LBB737_106
; %bb.82:
	s_waitcnt lgkmcnt(0)
	v_dual_add_f32 v2, v2, v3 :: v_dual_mov_b32 v3, 0x7e00
	s_delay_alu instid0(VALU_DEP_1) | instskip(NEXT) | instid1(VALU_DEP_1)
	v_cmp_neq_f32_e64 s0, 0, v2
	s_and_saveexec_b32 s1, s0
	s_cbranch_execz .LBB737_84
; %bb.83:
	v_div_scale_f32 v3, null, v2, v2, v18
	s_delay_alu instid0(VALU_DEP_1) | instskip(SKIP_2) | instid1(VALU_DEP_1)
	v_rcp_f32_e32 v5, v3
	s_waitcnt_depctr 0xfff
	v_fma_f32 v7, -v3, v5, 1.0
	v_fmac_f32_e32 v5, v7, v5
	v_div_scale_f32 v7, vcc_lo, v18, v2, v18
	s_delay_alu instid0(VALU_DEP_1) | instskip(NEXT) | instid1(VALU_DEP_1)
	v_mul_f32_e32 v8, v7, v5
	v_fma_f32 v9, -v3, v8, v7
	s_delay_alu instid0(VALU_DEP_1) | instskip(NEXT) | instid1(VALU_DEP_1)
	v_fmac_f32_e32 v8, v9, v5
	v_fma_f32 v3, -v3, v8, v7
	s_delay_alu instid0(VALU_DEP_1) | instskip(NEXT) | instid1(VALU_DEP_1)
	v_div_fmas_f32 v3, v3, v5, v8
	v_div_fixup_f32 v3, v3, v2, v18
	s_delay_alu instid0(VALU_DEP_1)
	v_cvt_f16_f32_e32 v3, v3
.LBB737_84:
	s_or_b32 exec_lo, exec_lo, s1
	v_add_co_u32 v0, vcc_lo, s12, v0
	v_add_co_ci_u32_e32 v1, vcc_lo, s13, v1, vcc_lo
	global_store_b16 v[0:1], v3, off
	s_and_b32 exec_lo, exec_lo, s8
	s_cbranch_execz .LBB737_106
; %bb.85:
	v_mov_b32_e32 v3, 0x7e00
	s_and_saveexec_b32 s1, s0
	s_cbranch_execz .LBB737_87
; %bb.86:
	v_div_scale_f32 v3, null, v2, v2, v4
	s_delay_alu instid0(VALU_DEP_1) | instskip(SKIP_2) | instid1(VALU_DEP_1)
	v_rcp_f32_e32 v5, v3
	s_waitcnt_depctr 0xfff
	v_fma_f32 v7, -v3, v5, 1.0
	v_fmac_f32_e32 v5, v7, v5
	v_div_scale_f32 v7, vcc_lo, v4, v2, v4
	s_delay_alu instid0(VALU_DEP_1) | instskip(NEXT) | instid1(VALU_DEP_1)
	v_mul_f32_e32 v8, v7, v5
	v_fma_f32 v9, -v3, v8, v7
	s_delay_alu instid0(VALU_DEP_1) | instskip(NEXT) | instid1(VALU_DEP_1)
	v_fmac_f32_e32 v8, v9, v5
	v_fma_f32 v3, -v3, v8, v7
	s_delay_alu instid0(VALU_DEP_1) | instskip(NEXT) | instid1(VALU_DEP_1)
	v_div_fmas_f32 v3, v3, v5, v8
	v_div_fixup_f32 v3, v3, v2, v4
	s_delay_alu instid0(VALU_DEP_1)
	v_cvt_f16_f32_e32 v3, v3
.LBB737_87:
	s_or_b32 exec_lo, exec_lo, s1
	global_store_b16 v[0:1], v3, off offset:64
	s_and_b32 exec_lo, exec_lo, s7
	s_cbranch_execz .LBB737_106
; %bb.88:
	v_mov_b32_e32 v3, 0x7e00
	s_and_saveexec_b32 s1, s0
	s_cbranch_execz .LBB737_90
; %bb.89:
	v_div_scale_f32 v3, null, v2, v2, v14
	s_delay_alu instid0(VALU_DEP_1) | instskip(SKIP_2) | instid1(VALU_DEP_1)
	v_rcp_f32_e32 v4, v3
	s_waitcnt_depctr 0xfff
	v_fma_f32 v5, -v3, v4, 1.0
	v_fmac_f32_e32 v4, v5, v4
	v_div_scale_f32 v5, vcc_lo, v14, v2, v14
	s_delay_alu instid0(VALU_DEP_1) | instskip(NEXT) | instid1(VALU_DEP_1)
	v_mul_f32_e32 v7, v5, v4
	v_fma_f32 v8, -v3, v7, v5
	s_delay_alu instid0(VALU_DEP_1) | instskip(NEXT) | instid1(VALU_DEP_1)
	v_fmac_f32_e32 v7, v8, v4
	v_fma_f32 v3, -v3, v7, v5
	s_delay_alu instid0(VALU_DEP_1) | instskip(NEXT) | instid1(VALU_DEP_1)
	v_div_fmas_f32 v3, v3, v4, v7
	v_div_fixup_f32 v3, v3, v2, v14
	s_delay_alu instid0(VALU_DEP_1)
	v_cvt_f16_f32_e32 v3, v3
.LBB737_90:
	s_or_b32 exec_lo, exec_lo, s1
	global_store_b16 v[0:1], v3, off offset:128
	s_and_b32 exec_lo, exec_lo, s6
	s_cbranch_execz .LBB737_106
; %bb.91:
	v_mov_b32_e32 v3, 0x7e00
	s_and_saveexec_b32 s1, s0
	s_cbranch_execz .LBB737_93
; %bb.92:
	v_div_scale_f32 v3, null, v2, v2, v6
	s_delay_alu instid0(VALU_DEP_1) | instskip(SKIP_2) | instid1(VALU_DEP_1)
	v_rcp_f32_e32 v4, v3
	s_waitcnt_depctr 0xfff
	v_fma_f32 v5, -v3, v4, 1.0
	v_fmac_f32_e32 v4, v5, v4
	v_div_scale_f32 v5, vcc_lo, v6, v2, v6
	s_delay_alu instid0(VALU_DEP_1) | instskip(NEXT) | instid1(VALU_DEP_1)
	v_mul_f32_e32 v7, v5, v4
	v_fma_f32 v8, -v3, v7, v5
	s_delay_alu instid0(VALU_DEP_1) | instskip(NEXT) | instid1(VALU_DEP_1)
	v_fmac_f32_e32 v7, v8, v4
	v_fma_f32 v3, -v3, v7, v5
	s_delay_alu instid0(VALU_DEP_1) | instskip(NEXT) | instid1(VALU_DEP_1)
	v_div_fmas_f32 v3, v3, v4, v7
	v_div_fixup_f32 v3, v3, v2, v6
	s_delay_alu instid0(VALU_DEP_1)
	v_cvt_f16_f32_e32 v3, v3
.LBB737_93:
	s_or_b32 exec_lo, exec_lo, s1
	global_store_b16 v[0:1], v3, off offset:192
	s_and_b32 exec_lo, exec_lo, s5
	s_cbranch_execz .LBB737_106
; %bb.94:
	v_mov_b32_e32 v3, 0x7e00
	s_and_saveexec_b32 s1, s0
	s_cbranch_execz .LBB737_96
; %bb.95:
	v_div_scale_f32 v3, null, v2, v2, v13
	s_delay_alu instid0(VALU_DEP_1) | instskip(SKIP_2) | instid1(VALU_DEP_1)
	v_rcp_f32_e32 v4, v3
	s_waitcnt_depctr 0xfff
	v_fma_f32 v5, -v3, v4, 1.0
	v_fmac_f32_e32 v4, v5, v4
	v_div_scale_f32 v5, vcc_lo, v13, v2, v13
	s_delay_alu instid0(VALU_DEP_1) | instskip(NEXT) | instid1(VALU_DEP_1)
	v_mul_f32_e32 v6, v5, v4
	v_fma_f32 v7, -v3, v6, v5
	s_delay_alu instid0(VALU_DEP_1) | instskip(NEXT) | instid1(VALU_DEP_1)
	v_fmac_f32_e32 v6, v7, v4
	v_fma_f32 v3, -v3, v6, v5
	s_delay_alu instid0(VALU_DEP_1) | instskip(NEXT) | instid1(VALU_DEP_1)
	v_div_fmas_f32 v3, v3, v4, v6
	v_div_fixup_f32 v3, v3, v2, v13
	s_delay_alu instid0(VALU_DEP_1)
	v_cvt_f16_f32_e32 v3, v3
.LBB737_96:
	s_or_b32 exec_lo, exec_lo, s1
	global_store_b16 v[0:1], v3, off offset:256
	s_and_b32 exec_lo, exec_lo, s4
	s_cbranch_execz .LBB737_106
; %bb.97:
	v_mov_b32_e32 v3, 0x7e00
	s_and_saveexec_b32 s1, s0
	s_cbranch_execz .LBB737_99
; %bb.98:
	v_div_scale_f32 v3, null, v2, v2, v12
	s_delay_alu instid0(VALU_DEP_1) | instskip(SKIP_2) | instid1(VALU_DEP_1)
	v_rcp_f32_e32 v4, v3
	s_waitcnt_depctr 0xfff
	v_fma_f32 v5, -v3, v4, 1.0
	v_fmac_f32_e32 v4, v5, v4
	v_div_scale_f32 v5, vcc_lo, v12, v2, v12
	s_delay_alu instid0(VALU_DEP_1) | instskip(NEXT) | instid1(VALU_DEP_1)
	v_mul_f32_e32 v6, v5, v4
	v_fma_f32 v7, -v3, v6, v5
	s_delay_alu instid0(VALU_DEP_1) | instskip(NEXT) | instid1(VALU_DEP_1)
	v_fmac_f32_e32 v6, v7, v4
	v_fma_f32 v3, -v3, v6, v5
	s_delay_alu instid0(VALU_DEP_1) | instskip(NEXT) | instid1(VALU_DEP_1)
	v_div_fmas_f32 v3, v3, v4, v6
	v_div_fixup_f32 v3, v3, v2, v12
	s_delay_alu instid0(VALU_DEP_1)
	v_cvt_f16_f32_e32 v3, v3
.LBB737_99:
	s_or_b32 exec_lo, exec_lo, s1
	global_store_b16 v[0:1], v3, off offset:320
	s_and_b32 exec_lo, exec_lo, s3
	s_cbranch_execz .LBB737_106
; %bb.100:
	v_mov_b32_e32 v3, 0x7e00
	s_and_saveexec_b32 s1, s0
	s_cbranch_execz .LBB737_102
; %bb.101:
	v_div_scale_f32 v3, null, v2, v2, v11
	s_delay_alu instid0(VALU_DEP_1) | instskip(SKIP_2) | instid1(VALU_DEP_1)
	v_rcp_f32_e32 v4, v3
	s_waitcnt_depctr 0xfff
	v_fma_f32 v5, -v3, v4, 1.0
	v_fmac_f32_e32 v4, v5, v4
	v_div_scale_f32 v5, vcc_lo, v11, v2, v11
	s_delay_alu instid0(VALU_DEP_1) | instskip(NEXT) | instid1(VALU_DEP_1)
	v_mul_f32_e32 v6, v5, v4
	v_fma_f32 v7, -v3, v6, v5
	s_delay_alu instid0(VALU_DEP_1) | instskip(NEXT) | instid1(VALU_DEP_1)
	v_fmac_f32_e32 v6, v7, v4
	v_fma_f32 v3, -v3, v6, v5
	s_delay_alu instid0(VALU_DEP_1) | instskip(NEXT) | instid1(VALU_DEP_1)
	v_div_fmas_f32 v3, v3, v4, v6
	v_div_fixup_f32 v3, v3, v2, v11
	s_delay_alu instid0(VALU_DEP_1)
	v_cvt_f16_f32_e32 v3, v3
.LBB737_102:
	s_or_b32 exec_lo, exec_lo, s1
	global_store_b16 v[0:1], v3, off offset:384
	s_and_b32 exec_lo, exec_lo, s2
	s_cbranch_execz .LBB737_106
; %bb.103:
	v_mov_b32_e32 v3, 0x7e00
	s_and_saveexec_b32 s1, s0
	s_cbranch_execz .LBB737_105
; %bb.104:
	v_div_scale_f32 v3, null, v2, v2, v10
	s_delay_alu instid0(VALU_DEP_1) | instskip(SKIP_2) | instid1(VALU_DEP_1)
	v_rcp_f32_e32 v4, v3
	s_waitcnt_depctr 0xfff
	v_fma_f32 v5, -v3, v4, 1.0
	v_fmac_f32_e32 v4, v5, v4
	v_div_scale_f32 v5, vcc_lo, v10, v2, v10
	s_delay_alu instid0(VALU_DEP_1) | instskip(NEXT) | instid1(VALU_DEP_1)
	v_mul_f32_e32 v6, v5, v4
	v_fma_f32 v7, -v3, v6, v5
	s_delay_alu instid0(VALU_DEP_1) | instskip(NEXT) | instid1(VALU_DEP_1)
	v_fmac_f32_e32 v6, v7, v4
	v_fma_f32 v3, -v3, v6, v5
	s_delay_alu instid0(VALU_DEP_1) | instskip(NEXT) | instid1(VALU_DEP_1)
	v_div_fmas_f32 v3, v3, v4, v6
	v_div_fixup_f32 v2, v3, v2, v10
	s_delay_alu instid0(VALU_DEP_1)
	v_cvt_f16_f32_e32 v3, v2
.LBB737_105:
	s_or_b32 exec_lo, exec_lo, s1
	global_store_b16 v[0:1], v3, off offset:448
.LBB737_106:
	s_nop 0
	s_sendmsg sendmsg(MSG_DEALLOC_VGPRS)
	s_endpgm
	.section	.rodata,"a",@progbits
	.p2align	6, 0x0
	.amdhsa_kernel _ZN12_GLOBAL__N_120softmax_warp_forwardIN3c104HalfES2_fLi8ELb0ELb1ELi32EEEvPT0_PKT_iiiPKbib
		.amdhsa_group_segment_fixed_size 0
		.amdhsa_private_segment_fixed_size 0
		.amdhsa_kernarg_size 304
		.amdhsa_user_sgpr_count 15
		.amdhsa_user_sgpr_dispatch_ptr 0
		.amdhsa_user_sgpr_queue_ptr 0
		.amdhsa_user_sgpr_kernarg_segment_ptr 1
		.amdhsa_user_sgpr_dispatch_id 0
		.amdhsa_user_sgpr_private_segment_size 0
		.amdhsa_wavefront_size32 1
		.amdhsa_uses_dynamic_stack 0
		.amdhsa_enable_private_segment 0
		.amdhsa_system_sgpr_workgroup_id_x 1
		.amdhsa_system_sgpr_workgroup_id_y 0
		.amdhsa_system_sgpr_workgroup_id_z 0
		.amdhsa_system_sgpr_workgroup_info 0
		.amdhsa_system_vgpr_workitem_id 1
		.amdhsa_next_free_vgpr 24
		.amdhsa_next_free_sgpr 22
		.amdhsa_reserve_vcc 1
		.amdhsa_float_round_mode_32 0
		.amdhsa_float_round_mode_16_64 0
		.amdhsa_float_denorm_mode_32 3
		.amdhsa_float_denorm_mode_16_64 3
		.amdhsa_dx10_clamp 1
		.amdhsa_ieee_mode 1
		.amdhsa_fp16_overflow 0
		.amdhsa_workgroup_processor_mode 1
		.amdhsa_memory_ordered 1
		.amdhsa_forward_progress 0
		.amdhsa_shared_vgpr_count 0
		.amdhsa_exception_fp_ieee_invalid_op 0
		.amdhsa_exception_fp_denorm_src 0
		.amdhsa_exception_fp_ieee_div_zero 0
		.amdhsa_exception_fp_ieee_overflow 0
		.amdhsa_exception_fp_ieee_underflow 0
		.amdhsa_exception_fp_ieee_inexact 0
		.amdhsa_exception_int_div_zero 0
	.end_amdhsa_kernel
	.section	.text._ZN12_GLOBAL__N_120softmax_warp_forwardIN3c104HalfES2_fLi8ELb0ELb1ELi32EEEvPT0_PKT_iiiPKbib,"axG",@progbits,_ZN12_GLOBAL__N_120softmax_warp_forwardIN3c104HalfES2_fLi8ELb0ELb1ELi32EEEvPT0_PKT_iiiPKbib,comdat
.Lfunc_end737:
	.size	_ZN12_GLOBAL__N_120softmax_warp_forwardIN3c104HalfES2_fLi8ELb0ELb1ELi32EEEvPT0_PKT_iiiPKbib, .Lfunc_end737-_ZN12_GLOBAL__N_120softmax_warp_forwardIN3c104HalfES2_fLi8ELb0ELb1ELi32EEEvPT0_PKT_iiiPKbib
                                        ; -- End function
	.section	.AMDGPU.csdata,"",@progbits
; Kernel info:
; codeLenInByte = 4844
; NumSgprs: 24
; NumVgprs: 24
; ScratchSize: 0
; MemoryBound: 0
; FloatMode: 240
; IeeeMode: 1
; LDSByteSize: 0 bytes/workgroup (compile time only)
; SGPRBlocks: 2
; VGPRBlocks: 2
; NumSGPRsForWavesPerEU: 24
; NumVGPRsForWavesPerEU: 24
; Occupancy: 16
; WaveLimiterHint : 0
; COMPUTE_PGM_RSRC2:SCRATCH_EN: 0
; COMPUTE_PGM_RSRC2:USER_SGPR: 15
; COMPUTE_PGM_RSRC2:TRAP_HANDLER: 0
; COMPUTE_PGM_RSRC2:TGID_X_EN: 1
; COMPUTE_PGM_RSRC2:TGID_Y_EN: 0
; COMPUTE_PGM_RSRC2:TGID_Z_EN: 0
; COMPUTE_PGM_RSRC2:TIDIG_COMP_CNT: 1
	.section	.text._ZN12_GLOBAL__N_120softmax_warp_forwardIN3c104HalfES2_fLi9ELb0ELb1ELi64EEEvPT0_PKT_iiiPKbib,"axG",@progbits,_ZN12_GLOBAL__N_120softmax_warp_forwardIN3c104HalfES2_fLi9ELb0ELb1ELi64EEEvPT0_PKT_iiiPKbib,comdat
	.globl	_ZN12_GLOBAL__N_120softmax_warp_forwardIN3c104HalfES2_fLi9ELb0ELb1ELi64EEEvPT0_PKT_iiiPKbib ; -- Begin function _ZN12_GLOBAL__N_120softmax_warp_forwardIN3c104HalfES2_fLi9ELb0ELb1ELi64EEEvPT0_PKT_iiiPKbib
	.p2align	8
	.type	_ZN12_GLOBAL__N_120softmax_warp_forwardIN3c104HalfES2_fLi9ELb0ELb1ELi64EEEvPT0_PKT_iiiPKbib,@function
_ZN12_GLOBAL__N_120softmax_warp_forwardIN3c104HalfES2_fLi9ELb0ELb1ELi64EEEvPT0_PKT_iiiPKbib: ; @_ZN12_GLOBAL__N_120softmax_warp_forwardIN3c104HalfES2_fLi9ELb0ELb1ELi64EEEvPT0_PKT_iiiPKbib
; %bb.0:
	s_clause 0x1
	s_load_b32 s2, s[0:1], 0x3c
	s_load_b128 s[8:11], s[0:1], 0x10
	v_bfe_u32 v3, v0, 10, 10
	s_waitcnt lgkmcnt(0)
	s_lshr_b32 s2, s2, 16
	s_delay_alu instid0(VALU_DEP_1) | instid1(SALU_CYCLE_1)
	v_mad_u64_u32 v[1:2], null, s15, s2, v[3:4]
	s_load_b64 s[2:3], s[0:1], 0x28
	v_and_b32_e32 v2, 0x3ff, v0
	s_delay_alu instid0(VALU_DEP_2) | instskip(NEXT) | instid1(VALU_DEP_1)
	v_mul_lo_u32 v7, v1, s9
	v_add_nc_u32_e32 v5, v7, v2
	s_delay_alu instid0(VALU_DEP_1) | instskip(SKIP_3) | instid1(VALU_DEP_2)
	v_ashrrev_i32_e32 v6, 31, v5
	v_mov_b32_e32 v3, v5
	s_waitcnt lgkmcnt(0)
	s_bitcmp0_b32 s3, 0
	v_mov_b32_e32 v4, v6
	s_cbranch_scc1 .LBB738_2
; %bb.1:
	s_abs_i32 s3, s2
	v_sub_nc_u32_e32 v4, 0, v7
	v_cvt_f32_u32_e32 v0, s3
	s_sub_i32 s4, 0, s3
	s_delay_alu instid0(VALU_DEP_2) | instskip(NEXT) | instid1(VALU_DEP_2)
	v_max_i32_e32 v4, v7, v4
	v_rcp_iflag_f32_e32 v0, v0
	s_waitcnt_depctr 0xfff
	v_mul_f32_e32 v0, 0x4f7ffffe, v0
	s_delay_alu instid0(VALU_DEP_1) | instskip(NEXT) | instid1(VALU_DEP_1)
	v_cvt_u32_f32_e32 v0, v0
	v_mul_lo_u32 v3, s4, v0
	s_delay_alu instid0(VALU_DEP_1) | instskip(NEXT) | instid1(VALU_DEP_1)
	v_mul_hi_u32 v3, v0, v3
	v_add_nc_u32_e32 v0, v0, v3
	s_delay_alu instid0(VALU_DEP_1) | instskip(NEXT) | instid1(VALU_DEP_1)
	v_mul_hi_u32 v0, v4, v0
	v_mul_lo_u32 v3, v0, s3
	s_delay_alu instid0(VALU_DEP_1) | instskip(SKIP_1) | instid1(VALU_DEP_2)
	v_sub_nc_u32_e32 v3, v4, v3
	v_add_nc_u32_e32 v4, 1, v0
	v_subrev_nc_u32_e32 v8, s3, v3
	v_cmp_le_u32_e32 vcc_lo, s3, v3
	s_delay_alu instid0(VALU_DEP_2) | instskip(NEXT) | instid1(VALU_DEP_4)
	v_cndmask_b32_e32 v3, v3, v8, vcc_lo
	v_cndmask_b32_e32 v0, v0, v4, vcc_lo
	v_xor_b32_e32 v4, s2, v7
	s_delay_alu instid0(VALU_DEP_3) | instskip(NEXT) | instid1(VALU_DEP_3)
	v_cmp_le_u32_e32 vcc_lo, s3, v3
	v_add_nc_u32_e32 v7, 1, v0
	s_delay_alu instid0(VALU_DEP_3) | instskip(NEXT) | instid1(VALU_DEP_2)
	v_ashrrev_i32_e32 v4, 31, v4
	v_cndmask_b32_e32 v0, v0, v7, vcc_lo
	s_delay_alu instid0(VALU_DEP_1) | instskip(NEXT) | instid1(VALU_DEP_1)
	v_xor_b32_e32 v0, v0, v4
	v_sub_nc_u32_e32 v0, v0, v4
	s_delay_alu instid0(VALU_DEP_1) | instskip(NEXT) | instid1(VALU_DEP_1)
	v_mad_u64_u32 v[3:4], null, v0, s9, v[2:3]
	v_ashrrev_i32_e32 v4, 31, v3
.LBB738_2:
	s_load_b128 s[12:15], s[0:1], 0x0
	v_sub_nc_u32_e32 v7, s8, v1
	v_lshlrev_b64 v[0:1], 1, v[5:6]
	v_cmp_gt_i32_e32 vcc_lo, s10, v2
	v_dual_mov_b32 v14, 0xff800000 :: v_dual_mov_b32 v15, 0xff800000
	s_delay_alu instid0(VALU_DEP_4) | instskip(NEXT) | instid1(VALU_DEP_1)
	v_cmp_lt_i32_e64 s9, 0, v7
	s_and_b32 s19, s9, vcc_lo
	s_waitcnt lgkmcnt(0)
	v_add_co_u32 v5, s2, s14, v0
	s_delay_alu instid0(VALU_DEP_1)
	v_add_co_ci_u32_e64 v6, s2, s15, v1, s2
	s_and_saveexec_b32 s2, s19
	s_cbranch_execz .LBB738_4
; %bb.3:
	global_load_u16 v8, v[5:6], off
	s_waitcnt vmcnt(0)
	v_cvt_f32_f16_e32 v15, v8
.LBB738_4:
	s_or_b32 exec_lo, exec_lo, s2
	v_add_nc_u32_e32 v8, 64, v2
	s_delay_alu instid0(VALU_DEP_1) | instskip(NEXT) | instid1(VALU_DEP_1)
	v_cmp_gt_i32_e64 s8, s10, v8
	s_and_b32 s18, s9, s8
	s_delay_alu instid0(SALU_CYCLE_1)
	s_and_saveexec_b32 s2, s18
	s_cbranch_execz .LBB738_6
; %bb.5:
	global_load_u16 v8, v[5:6], off offset:128
	s_waitcnt vmcnt(0)
	v_cvt_f32_f16_e32 v14, v8
.LBB738_6:
	s_or_b32 exec_lo, exec_lo, s2
	v_add_nc_u32_e32 v8, 0x80, v2
	v_dual_mov_b32 v12, 0xff800000 :: v_dual_mov_b32 v13, 0xff800000
	s_delay_alu instid0(VALU_DEP_2) | instskip(NEXT) | instid1(VALU_DEP_1)
	v_cmp_gt_i32_e64 s7, s10, v8
	s_and_b32 s17, s9, s7
	s_delay_alu instid0(SALU_CYCLE_1)
	s_and_saveexec_b32 s2, s17
	s_cbranch_execz .LBB738_8
; %bb.7:
	global_load_u16 v8, v[5:6], off offset:256
	s_waitcnt vmcnt(0)
	v_cvt_f32_f16_e32 v13, v8
.LBB738_8:
	s_or_b32 exec_lo, exec_lo, s2
	v_add_nc_u32_e32 v8, 0xc0, v2
	s_delay_alu instid0(VALU_DEP_1) | instskip(NEXT) | instid1(VALU_DEP_1)
	v_cmp_gt_i32_e64 s6, s10, v8
	s_and_b32 s16, s9, s6
	s_delay_alu instid0(SALU_CYCLE_1)
	s_and_saveexec_b32 s2, s16
	s_cbranch_execz .LBB738_10
; %bb.9:
	global_load_u16 v8, v[5:6], off offset:384
	s_waitcnt vmcnt(0)
	v_cvt_f32_f16_e32 v12, v8
.LBB738_10:
	s_or_b32 exec_lo, exec_lo, s2
	v_add_nc_u32_e32 v8, 0x100, v2
	v_dual_mov_b32 v10, 0xff800000 :: v_dual_mov_b32 v11, 0xff800000
	s_delay_alu instid0(VALU_DEP_2) | instskip(NEXT) | instid1(VALU_DEP_1)
	v_cmp_gt_i32_e64 s5, s10, v8
	s_and_b32 s15, s9, s5
	s_delay_alu instid0(SALU_CYCLE_1)
	s_and_saveexec_b32 s2, s15
	s_cbranch_execz .LBB738_12
; %bb.11:
	global_load_u16 v8, v[5:6], off offset:512
	s_waitcnt vmcnt(0)
	v_cvt_f32_f16_e32 v11, v8
.LBB738_12:
	s_or_b32 exec_lo, exec_lo, s2
	v_add_nc_u32_e32 v8, 0x140, v2
	s_delay_alu instid0(VALU_DEP_1) | instskip(NEXT) | instid1(VALU_DEP_1)
	v_cmp_gt_i32_e64 s4, s10, v8
	s_and_b32 s14, s9, s4
	s_delay_alu instid0(SALU_CYCLE_1)
	s_and_saveexec_b32 s2, s14
	s_cbranch_execz .LBB738_14
; %bb.13:
	global_load_u16 v8, v[5:6], off offset:640
	s_waitcnt vmcnt(0)
	v_cvt_f32_f16_e32 v10, v8
.LBB738_14:
	s_or_b32 exec_lo, exec_lo, s2
	v_add_nc_u32_e32 v8, 0x180, v2
	v_mov_b32_e32 v9, 0xff800000
	s_delay_alu instid0(VALU_DEP_2) | instskip(SKIP_1) | instid1(VALU_DEP_2)
	v_cmp_gt_i32_e64 s3, s10, v8
	v_mov_b32_e32 v8, 0xff800000
	s_and_b32 s11, s9, s3
	s_delay_alu instid0(SALU_CYCLE_1)
	s_and_saveexec_b32 s2, s11
	s_cbranch_execz .LBB738_16
; %bb.15:
	global_load_u16 v9, v[5:6], off offset:768
	s_waitcnt vmcnt(0)
	v_cvt_f32_f16_e32 v9, v9
.LBB738_16:
	s_or_b32 exec_lo, exec_lo, s2
	v_add_nc_u32_e32 v2, 0x1c0, v2
	s_delay_alu instid0(VALU_DEP_1) | instskip(NEXT) | instid1(VALU_DEP_1)
	v_cmp_gt_i32_e64 s2, s10, v2
	s_and_b32 s9, s9, s2
	s_delay_alu instid0(SALU_CYCLE_1)
	s_and_saveexec_b32 s10, s9
	s_cbranch_execz .LBB738_18
; %bb.17:
	global_load_u16 v2, v[5:6], off offset:896
	s_waitcnt vmcnt(0)
	v_cvt_f32_f16_e32 v8, v2
.LBB738_18:
	s_or_b32 exec_lo, exec_lo, s10
	s_load_b64 s[0:1], s[0:1], 0x20
	s_waitcnt lgkmcnt(0)
	v_add_co_u32 v2, s0, s0, v3
	s_delay_alu instid0(VALU_DEP_1)
	v_add_co_ci_u32_e64 v3, s0, s1, v4, s0
	s_mov_b32 s1, 0
	s_and_saveexec_b32 s10, s19
	s_cbranch_execnz .LBB738_26
; %bb.19:
	s_or_b32 exec_lo, exec_lo, s10
	v_mov_b32_e32 v4, v15
	s_and_saveexec_b32 s10, s18
	s_cbranch_execnz .LBB738_27
.LBB738_20:
	s_or_b32 exec_lo, exec_lo, s10
	s_and_saveexec_b32 s10, s17
	s_cbranch_execnz .LBB738_30
.LBB738_21:
	s_or_b32 exec_lo, exec_lo, s10
	s_and_saveexec_b32 s10, s16
	s_cbranch_execnz .LBB738_33
.LBB738_22:
	s_or_b32 exec_lo, exec_lo, s10
	s_and_saveexec_b32 s10, s15
	s_cbranch_execnz .LBB738_36
.LBB738_23:
	s_or_b32 exec_lo, exec_lo, s10
	s_and_saveexec_b32 s10, s14
	s_cbranch_execnz .LBB738_39
.LBB738_24:
	s_or_b32 exec_lo, exec_lo, s10
	s_and_saveexec_b32 s10, s11
	s_cbranch_execnz .LBB738_42
.LBB738_25:
	s_or_b32 exec_lo, exec_lo, s10
	s_and_saveexec_b32 s10, s9
	s_cbranch_execnz .LBB738_45
	s_branch .LBB738_48
.LBB738_26:
	global_load_u8 v4, v[2:3], off
	s_waitcnt vmcnt(0)
	v_and_b32_e32 v4, 1, v4
	s_delay_alu instid0(VALU_DEP_1) | instskip(NEXT) | instid1(VALU_DEP_1)
	v_cmp_eq_u32_e64 s0, 1, v4
	s_xor_b32 s0, s0, -1
	s_delay_alu instid0(SALU_CYCLE_1)
	s_and_b32 s1, s0, exec_lo
	s_or_b32 exec_lo, exec_lo, s10
	v_mov_b32_e32 v4, v15
	s_and_saveexec_b32 s10, s18
	s_cbranch_execz .LBB738_20
.LBB738_27:
	global_load_u8 v4, v[2:3], off offset:64
	s_waitcnt vmcnt(0)
	v_and_b32_e32 v4, 1, v4
	s_delay_alu instid0(VALU_DEP_1) | instskip(SKIP_1) | instid1(VALU_DEP_2)
	v_cmp_eq_u32_e64 s0, 1, v4
	v_mov_b32_e32 v4, v15
	s_xor_b32 s21, s0, -1
	s_mov_b32 s0, s1
	s_and_saveexec_b32 s20, s21
; %bb.28:
	v_cmp_gt_f32_e64 s0, v15, v14
	s_delay_alu instid0(VALU_DEP_1) | instskip(NEXT) | instid1(SALU_CYCLE_1)
	s_and_b32 s0, s1, s0
	v_cndmask_b32_e64 v4, v14, v15, s0
	s_or_b32 s0, s1, exec_lo
; %bb.29:
	s_or_b32 exec_lo, exec_lo, s20
	s_delay_alu instid0(SALU_CYCLE_1) | instskip(SKIP_1) | instid1(SALU_CYCLE_1)
	s_and_not1_b32 s1, s1, exec_lo
	s_and_b32 s0, s0, exec_lo
	s_or_b32 s1, s1, s0
	s_or_b32 exec_lo, exec_lo, s10
	s_and_saveexec_b32 s10, s17
	s_cbranch_execz .LBB738_21
.LBB738_30:
	global_load_u8 v5, v[2:3], off offset:128
	s_waitcnt vmcnt(0)
	v_and_b32_e32 v5, 1, v5
	s_delay_alu instid0(VALU_DEP_1) | instskip(NEXT) | instid1(VALU_DEP_1)
	v_cmp_eq_u32_e64 s0, 1, v5
	s_xor_b32 s21, s0, -1
	s_mov_b32 s0, s1
	s_and_saveexec_b32 s20, s21
; %bb.31:
	v_cmp_gt_f32_e64 s0, v4, v13
	s_delay_alu instid0(VALU_DEP_1) | instskip(NEXT) | instid1(SALU_CYCLE_1)
	s_and_b32 s0, s1, s0
	v_cndmask_b32_e64 v4, v13, v4, s0
	s_or_b32 s0, s1, exec_lo
; %bb.32:
	s_or_b32 exec_lo, exec_lo, s20
	s_delay_alu instid0(SALU_CYCLE_1) | instskip(SKIP_1) | instid1(SALU_CYCLE_1)
	s_and_not1_b32 s1, s1, exec_lo
	s_and_b32 s0, s0, exec_lo
	s_or_b32 s1, s1, s0
	s_or_b32 exec_lo, exec_lo, s10
	s_and_saveexec_b32 s10, s16
	s_cbranch_execz .LBB738_22
.LBB738_33:
	global_load_u8 v5, v[2:3], off offset:192
	s_waitcnt vmcnt(0)
	v_and_b32_e32 v5, 1, v5
	s_delay_alu instid0(VALU_DEP_1) | instskip(NEXT) | instid1(VALU_DEP_1)
	v_cmp_eq_u32_e64 s0, 1, v5
	s_xor_b32 s21, s0, -1
	s_mov_b32 s0, s1
	s_and_saveexec_b32 s20, s21
; %bb.34:
	v_cmp_gt_f32_e64 s0, v4, v12
	s_delay_alu instid0(VALU_DEP_1) | instskip(NEXT) | instid1(SALU_CYCLE_1)
	s_and_b32 s0, s1, s0
	v_cndmask_b32_e64 v4, v12, v4, s0
	s_or_b32 s0, s1, exec_lo
; %bb.35:
	s_or_b32 exec_lo, exec_lo, s20
	s_delay_alu instid0(SALU_CYCLE_1) | instskip(SKIP_1) | instid1(SALU_CYCLE_1)
	s_and_not1_b32 s1, s1, exec_lo
	s_and_b32 s0, s0, exec_lo
	s_or_b32 s1, s1, s0
	s_or_b32 exec_lo, exec_lo, s10
	s_and_saveexec_b32 s10, s15
	s_cbranch_execz .LBB738_23
.LBB738_36:
	global_load_u8 v5, v[2:3], off offset:256
	s_waitcnt vmcnt(0)
	v_and_b32_e32 v5, 1, v5
	s_delay_alu instid0(VALU_DEP_1) | instskip(NEXT) | instid1(VALU_DEP_1)
	v_cmp_eq_u32_e64 s0, 1, v5
	s_xor_b32 s21, s0, -1
	s_mov_b32 s0, s1
	s_and_saveexec_b32 s20, s21
; %bb.37:
	v_cmp_gt_f32_e64 s0, v4, v11
	s_delay_alu instid0(VALU_DEP_1) | instskip(NEXT) | instid1(SALU_CYCLE_1)
	s_and_b32 s0, s1, s0
	v_cndmask_b32_e64 v4, v11, v4, s0
	s_or_b32 s0, s1, exec_lo
; %bb.38:
	s_or_b32 exec_lo, exec_lo, s20
	s_delay_alu instid0(SALU_CYCLE_1) | instskip(SKIP_1) | instid1(SALU_CYCLE_1)
	s_and_not1_b32 s1, s1, exec_lo
	s_and_b32 s0, s0, exec_lo
	s_or_b32 s1, s1, s0
	s_or_b32 exec_lo, exec_lo, s10
	s_and_saveexec_b32 s10, s14
	s_cbranch_execz .LBB738_24
.LBB738_39:
	global_load_u8 v5, v[2:3], off offset:320
	s_waitcnt vmcnt(0)
	v_and_b32_e32 v5, 1, v5
	s_delay_alu instid0(VALU_DEP_1) | instskip(NEXT) | instid1(VALU_DEP_1)
	v_cmp_eq_u32_e64 s0, 1, v5
	s_xor_b32 s21, s0, -1
	s_mov_b32 s0, s1
	s_and_saveexec_b32 s20, s21
; %bb.40:
	v_cmp_gt_f32_e64 s0, v4, v10
	s_delay_alu instid0(VALU_DEP_1) | instskip(NEXT) | instid1(SALU_CYCLE_1)
	s_and_b32 s0, s1, s0
	v_cndmask_b32_e64 v4, v10, v4, s0
	s_or_b32 s0, s1, exec_lo
; %bb.41:
	s_or_b32 exec_lo, exec_lo, s20
	s_delay_alu instid0(SALU_CYCLE_1) | instskip(SKIP_1) | instid1(SALU_CYCLE_1)
	s_and_not1_b32 s1, s1, exec_lo
	s_and_b32 s0, s0, exec_lo
	s_or_b32 s1, s1, s0
	s_or_b32 exec_lo, exec_lo, s10
	s_and_saveexec_b32 s10, s11
	s_cbranch_execz .LBB738_25
.LBB738_42:
	global_load_u8 v5, v[2:3], off offset:384
	s_waitcnt vmcnt(0)
	v_and_b32_e32 v5, 1, v5
	s_delay_alu instid0(VALU_DEP_1) | instskip(NEXT) | instid1(VALU_DEP_1)
	v_cmp_eq_u32_e64 s0, 1, v5
	s_xor_b32 s21, s0, -1
	s_mov_b32 s0, s1
	s_and_saveexec_b32 s20, s21
; %bb.43:
	v_cmp_gt_f32_e64 s0, v4, v9
	s_delay_alu instid0(VALU_DEP_1) | instskip(NEXT) | instid1(SALU_CYCLE_1)
	s_and_b32 s0, s1, s0
	v_cndmask_b32_e64 v4, v9, v4, s0
	s_or_b32 s0, s1, exec_lo
; %bb.44:
	s_or_b32 exec_lo, exec_lo, s20
	s_delay_alu instid0(SALU_CYCLE_1) | instskip(SKIP_1) | instid1(SALU_CYCLE_1)
	s_and_not1_b32 s1, s1, exec_lo
	s_and_b32 s0, s0, exec_lo
	s_or_b32 s1, s1, s0
	s_or_b32 exec_lo, exec_lo, s10
	s_and_saveexec_b32 s10, s9
	s_cbranch_execz .LBB738_48
.LBB738_45:
	global_load_u8 v5, v[2:3], off offset:448
	s_waitcnt vmcnt(0)
	v_and_b32_e32 v5, 1, v5
	s_delay_alu instid0(VALU_DEP_1) | instskip(NEXT) | instid1(VALU_DEP_1)
	v_cmp_eq_u32_e64 s0, 1, v5
	s_xor_b32 s21, s0, -1
	s_mov_b32 s0, s1
	s_and_saveexec_b32 s20, s21
; %bb.46:
	v_cmp_gt_f32_e64 s0, v4, v8
	s_delay_alu instid0(VALU_DEP_1) | instskip(NEXT) | instid1(SALU_CYCLE_1)
	s_and_b32 s0, s1, s0
	v_cndmask_b32_e64 v4, v8, v4, s0
	s_or_b32 s0, s1, exec_lo
; %bb.47:
	s_or_b32 exec_lo, exec_lo, s20
	s_delay_alu instid0(SALU_CYCLE_1) | instskip(SKIP_1) | instid1(SALU_CYCLE_1)
	s_and_not1_b32 s1, s1, exec_lo
	s_and_b32 s0, s0, exec_lo
	s_or_b32 s1, s1, s0
.LBB738_48:
	s_or_b32 exec_lo, exec_lo, s10
	v_mbcnt_lo_u32_b32 v18, -1, 0
	v_cndmask_b32_e64 v4, 0xff800000, v4, s1
	s_delay_alu instid0(VALU_DEP_2) | instskip(SKIP_1) | instid1(VALU_DEP_2)
	v_or_b32_e32 v5, 32, v18
	v_xor_b32_e32 v6, 16, v18
	v_cmp_gt_i32_e64 s0, 64, v5
	s_delay_alu instid0(VALU_DEP_1) | instskip(NEXT) | instid1(VALU_DEP_3)
	v_cndmask_b32_e64 v5, v18, v5, s0
	v_cmp_gt_i32_e64 s0, 64, v6
	s_delay_alu instid0(VALU_DEP_2) | instskip(NEXT) | instid1(VALU_DEP_2)
	v_lshlrev_b32_e32 v5, 2, v5
	v_cndmask_b32_e64 v6, v18, v6, s0
	ds_bpermute_b32 v16, v5, v4
	v_lshlrev_b32_e32 v6, 2, v6
	s_waitcnt lgkmcnt(0)
	v_cmp_lt_f32_e64 s0, v4, v16
	s_delay_alu instid0(VALU_DEP_1) | instskip(SKIP_3) | instid1(VALU_DEP_1)
	v_cndmask_b32_e64 v4, v4, v16, s0
	v_xor_b32_e32 v16, 8, v18
	ds_bpermute_b32 v17, v6, v4
	v_cmp_gt_i32_e64 s0, 64, v16
	v_cndmask_b32_e64 v16, v18, v16, s0
	s_delay_alu instid0(VALU_DEP_1) | instskip(SKIP_2) | instid1(VALU_DEP_1)
	v_lshlrev_b32_e32 v16, 2, v16
	s_waitcnt lgkmcnt(0)
	v_cmp_lt_f32_e64 s0, v4, v17
	v_cndmask_b32_e64 v4, v4, v17, s0
	v_xor_b32_e32 v17, 4, v18
	ds_bpermute_b32 v19, v16, v4
	v_cmp_gt_i32_e64 s0, 64, v17
	s_delay_alu instid0(VALU_DEP_1) | instskip(NEXT) | instid1(VALU_DEP_1)
	v_cndmask_b32_e64 v17, v18, v17, s0
	v_lshlrev_b32_e32 v17, 2, v17
	s_waitcnt lgkmcnt(0)
	v_cmp_lt_f32_e64 s0, v4, v19
	s_delay_alu instid0(VALU_DEP_1) | instskip(SKIP_3) | instid1(VALU_DEP_1)
	v_cndmask_b32_e64 v4, v4, v19, s0
	v_xor_b32_e32 v19, 2, v18
	ds_bpermute_b32 v20, v17, v4
	v_cmp_gt_i32_e64 s0, 64, v19
	v_cndmask_b32_e64 v19, v18, v19, s0
	s_delay_alu instid0(VALU_DEP_1) | instskip(SKIP_2) | instid1(VALU_DEP_1)
	v_lshlrev_b32_e32 v19, 2, v19
	s_waitcnt lgkmcnt(0)
	v_cmp_lt_f32_e64 s0, v4, v20
	v_cndmask_b32_e64 v4, v4, v20, s0
	v_xor_b32_e32 v20, 1, v18
	ds_bpermute_b32 v21, v19, v4
	v_cmp_gt_i32_e64 s0, 64, v20
	s_delay_alu instid0(VALU_DEP_1) | instskip(NEXT) | instid1(VALU_DEP_1)
	v_cndmask_b32_e64 v18, v18, v20, s0
	v_lshlrev_b32_e32 v20, 2, v18
	s_waitcnt lgkmcnt(0)
	v_cmp_lt_f32_e64 s0, v4, v21
	s_delay_alu instid0(VALU_DEP_1) | instskip(SKIP_4) | instid1(VALU_DEP_1)
	v_cndmask_b32_e64 v18, v4, v21, s0
	v_mov_b32_e32 v4, 0
	ds_bpermute_b32 v21, v20, v18
	s_waitcnt lgkmcnt(0)
	v_cmp_lt_f32_e64 s0, v18, v21
	v_cndmask_b32_e64 v21, v18, v21, s0
	v_mov_b32_e32 v18, 0
	s_and_saveexec_b32 s1, s19
	s_cbranch_execz .LBB738_52
; %bb.49:
	global_load_u8 v18, v[2:3], off
	s_waitcnt vmcnt(0)
	v_and_b32_e32 v18, 1, v18
	s_delay_alu instid0(VALU_DEP_1) | instskip(SKIP_1) | instid1(VALU_DEP_2)
	v_cmp_eq_u32_e64 s0, 1, v18
	v_mov_b32_e32 v18, 0
	s_xor_b32 s0, s0, -1
	s_delay_alu instid0(SALU_CYCLE_1)
	s_and_saveexec_b32 s10, s0
	s_cbranch_execz .LBB738_51
; %bb.50:
	v_sub_f32_e32 v15, v15, v21
	s_delay_alu instid0(VALU_DEP_1) | instskip(NEXT) | instid1(VALU_DEP_1)
	v_mul_f32_e32 v18, 0x3fb8aa3b, v15
	v_fma_f32 v22, 0x3fb8aa3b, v15, -v18
	v_rndne_f32_e32 v23, v18
	s_delay_alu instid0(VALU_DEP_1) | instskip(NEXT) | instid1(VALU_DEP_3)
	v_sub_f32_e32 v18, v18, v23
	v_fmamk_f32 v22, v15, 0x32a5705f, v22
	v_cmp_ngt_f32_e64 s0, 0xc2ce8ed0, v15
	s_delay_alu instid0(VALU_DEP_2) | instskip(SKIP_1) | instid1(VALU_DEP_2)
	v_add_f32_e32 v18, v18, v22
	v_cvt_i32_f32_e32 v22, v23
	v_exp_f32_e32 v18, v18
	s_waitcnt_depctr 0xfff
	v_ldexp_f32 v18, v18, v22
	s_delay_alu instid0(VALU_DEP_1) | instskip(SKIP_1) | instid1(VALU_DEP_1)
	v_cndmask_b32_e64 v18, 0, v18, s0
	v_cmp_nlt_f32_e64 s0, 0x42b17218, v15
	v_cndmask_b32_e64 v18, 0x7f800000, v18, s0
.LBB738_51:
	s_or_b32 exec_lo, exec_lo, s10
.LBB738_52:
	s_delay_alu instid0(SALU_CYCLE_1) | instskip(NEXT) | instid1(VALU_DEP_1)
	s_or_b32 exec_lo, exec_lo, s1
	v_mov_b32_e32 v22, v18
	s_and_saveexec_b32 s1, s18
	s_cbranch_execz .LBB738_56
; %bb.53:
	global_load_u8 v4, v[2:3], off offset:64
	v_mov_b32_e32 v22, v18
	s_waitcnt vmcnt(0)
	v_and_b32_e32 v4, 1, v4
	s_delay_alu instid0(VALU_DEP_1) | instskip(SKIP_1) | instid1(VALU_DEP_2)
	v_cmp_eq_u32_e64 s0, 1, v4
	v_mov_b32_e32 v4, 0
	s_xor_b32 s0, s0, -1
	s_delay_alu instid0(SALU_CYCLE_1)
	s_and_saveexec_b32 s10, s0
	s_cbranch_execz .LBB738_55
; %bb.54:
	v_sub_f32_e32 v4, v14, v21
	s_delay_alu instid0(VALU_DEP_1) | instskip(SKIP_1) | instid1(VALU_DEP_2)
	v_mul_f32_e32 v14, 0x3fb8aa3b, v4
	v_cmp_ngt_f32_e64 s0, 0xc2ce8ed0, v4
	v_fma_f32 v15, 0x3fb8aa3b, v4, -v14
	v_rndne_f32_e32 v22, v14
	s_delay_alu instid0(VALU_DEP_1) | instskip(NEXT) | instid1(VALU_DEP_1)
	v_dual_fmamk_f32 v15, v4, 0x32a5705f, v15 :: v_dual_sub_f32 v14, v14, v22
	v_add_f32_e32 v14, v14, v15
	v_cvt_i32_f32_e32 v15, v22
	s_delay_alu instid0(VALU_DEP_2) | instskip(SKIP_2) | instid1(VALU_DEP_1)
	v_exp_f32_e32 v14, v14
	s_waitcnt_depctr 0xfff
	v_ldexp_f32 v14, v14, v15
	v_cndmask_b32_e64 v14, 0, v14, s0
	v_cmp_nlt_f32_e64 s0, 0x42b17218, v4
	s_delay_alu instid0(VALU_DEP_1) | instskip(NEXT) | instid1(VALU_DEP_1)
	v_cndmask_b32_e64 v4, 0x7f800000, v14, s0
	v_add_f32_e32 v22, v18, v4
.LBB738_55:
	s_or_b32 exec_lo, exec_lo, s10
.LBB738_56:
	s_delay_alu instid0(SALU_CYCLE_1)
	s_or_b32 exec_lo, exec_lo, s1
	v_dual_mov_b32 v14, 0 :: v_dual_mov_b32 v15, 0
	s_and_saveexec_b32 s1, s17
	s_cbranch_execz .LBB738_60
; %bb.57:
	global_load_u8 v15, v[2:3], off offset:128
	s_waitcnt vmcnt(0)
	v_and_b32_e32 v15, 1, v15
	s_delay_alu instid0(VALU_DEP_1) | instskip(SKIP_1) | instid1(VALU_DEP_2)
	v_cmp_eq_u32_e64 s0, 1, v15
	v_mov_b32_e32 v15, 0
	s_xor_b32 s0, s0, -1
	s_delay_alu instid0(SALU_CYCLE_1)
	s_and_saveexec_b32 s10, s0
	s_cbranch_execz .LBB738_59
; %bb.58:
	v_sub_f32_e32 v13, v13, v21
	s_delay_alu instid0(VALU_DEP_1) | instskip(SKIP_1) | instid1(VALU_DEP_2)
	v_mul_f32_e32 v15, 0x3fb8aa3b, v13
	v_cmp_ngt_f32_e64 s0, 0xc2ce8ed0, v13
	v_fma_f32 v23, 0x3fb8aa3b, v13, -v15
	v_rndne_f32_e32 v24, v15
	s_delay_alu instid0(VALU_DEP_2) | instskip(NEXT) | instid1(VALU_DEP_2)
	v_fmamk_f32 v23, v13, 0x32a5705f, v23
	v_sub_f32_e32 v15, v15, v24
	s_delay_alu instid0(VALU_DEP_1) | instskip(SKIP_1) | instid1(VALU_DEP_2)
	v_add_f32_e32 v15, v15, v23
	v_cvt_i32_f32_e32 v23, v24
	v_exp_f32_e32 v15, v15
	s_waitcnt_depctr 0xfff
	v_ldexp_f32 v15, v15, v23
	s_delay_alu instid0(VALU_DEP_1) | instskip(SKIP_1) | instid1(VALU_DEP_1)
	v_cndmask_b32_e64 v15, 0, v15, s0
	v_cmp_nlt_f32_e64 s0, 0x42b17218, v13
	v_cndmask_b32_e64 v15, 0x7f800000, v15, s0
	s_delay_alu instid0(VALU_DEP_1)
	v_add_f32_e32 v22, v22, v15
.LBB738_59:
	s_or_b32 exec_lo, exec_lo, s10
.LBB738_60:
	s_delay_alu instid0(SALU_CYCLE_1)
	s_or_b32 exec_lo, exec_lo, s1
	s_and_saveexec_b32 s1, s16
	s_cbranch_execz .LBB738_64
; %bb.61:
	global_load_u8 v13, v[2:3], off offset:192
	s_waitcnt vmcnt(0)
	v_dual_mov_b32 v14, 0 :: v_dual_and_b32 v13, 1, v13
	s_delay_alu instid0(VALU_DEP_1) | instskip(NEXT) | instid1(VALU_DEP_1)
	v_cmp_eq_u32_e64 s0, 1, v13
	s_xor_b32 s0, s0, -1
	s_delay_alu instid0(SALU_CYCLE_1)
	s_and_saveexec_b32 s10, s0
	s_cbranch_execz .LBB738_63
; %bb.62:
	v_sub_f32_e32 v12, v12, v21
	s_delay_alu instid0(VALU_DEP_1) | instskip(NEXT) | instid1(VALU_DEP_1)
	v_mul_f32_e32 v13, 0x3fb8aa3b, v12
	v_fma_f32 v14, 0x3fb8aa3b, v12, -v13
	v_rndne_f32_e32 v23, v13
	s_delay_alu instid0(VALU_DEP_1) | instskip(SKIP_1) | instid1(VALU_DEP_2)
	v_dual_sub_f32 v13, v13, v23 :: v_dual_fmamk_f32 v14, v12, 0x32a5705f, v14
	v_cmp_ngt_f32_e64 s0, 0xc2ce8ed0, v12
	v_add_f32_e32 v13, v13, v14
	v_cvt_i32_f32_e32 v14, v23
	s_delay_alu instid0(VALU_DEP_2) | instskip(SKIP_2) | instid1(VALU_DEP_1)
	v_exp_f32_e32 v13, v13
	s_waitcnt_depctr 0xfff
	v_ldexp_f32 v13, v13, v14
	v_cndmask_b32_e64 v13, 0, v13, s0
	v_cmp_nlt_f32_e64 s0, 0x42b17218, v12
	s_delay_alu instid0(VALU_DEP_1) | instskip(NEXT) | instid1(VALU_DEP_1)
	v_cndmask_b32_e64 v14, 0x7f800000, v13, s0
	v_add_f32_e32 v22, v22, v14
.LBB738_63:
	s_or_b32 exec_lo, exec_lo, s10
.LBB738_64:
	s_delay_alu instid0(SALU_CYCLE_1)
	s_or_b32 exec_lo, exec_lo, s1
	v_dual_mov_b32 v12, 0 :: v_dual_mov_b32 v13, 0
	s_and_saveexec_b32 s1, s15
	s_cbranch_execz .LBB738_68
; %bb.65:
	global_load_u8 v13, v[2:3], off offset:256
	s_waitcnt vmcnt(0)
	v_and_b32_e32 v13, 1, v13
	s_delay_alu instid0(VALU_DEP_1) | instskip(SKIP_1) | instid1(VALU_DEP_2)
	v_cmp_eq_u32_e64 s0, 1, v13
	v_mov_b32_e32 v13, 0
	s_xor_b32 s0, s0, -1
	s_delay_alu instid0(SALU_CYCLE_1)
	s_and_saveexec_b32 s10, s0
	s_cbranch_execz .LBB738_67
; %bb.66:
	v_sub_f32_e32 v11, v11, v21
	s_delay_alu instid0(VALU_DEP_1) | instskip(SKIP_1) | instid1(VALU_DEP_2)
	v_mul_f32_e32 v13, 0x3fb8aa3b, v11
	v_cmp_ngt_f32_e64 s0, 0xc2ce8ed0, v11
	v_fma_f32 v23, 0x3fb8aa3b, v11, -v13
	v_rndne_f32_e32 v24, v13
	s_delay_alu instid0(VALU_DEP_2) | instskip(NEXT) | instid1(VALU_DEP_2)
	v_fmamk_f32 v23, v11, 0x32a5705f, v23
	v_sub_f32_e32 v13, v13, v24
	s_delay_alu instid0(VALU_DEP_1) | instskip(SKIP_1) | instid1(VALU_DEP_2)
	v_add_f32_e32 v13, v13, v23
	v_cvt_i32_f32_e32 v23, v24
	v_exp_f32_e32 v13, v13
	s_waitcnt_depctr 0xfff
	v_ldexp_f32 v13, v13, v23
	s_delay_alu instid0(VALU_DEP_1) | instskip(SKIP_1) | instid1(VALU_DEP_1)
	v_cndmask_b32_e64 v13, 0, v13, s0
	v_cmp_nlt_f32_e64 s0, 0x42b17218, v11
	v_cndmask_b32_e64 v13, 0x7f800000, v13, s0
	s_delay_alu instid0(VALU_DEP_1)
	v_add_f32_e32 v22, v22, v13
.LBB738_67:
	s_or_b32 exec_lo, exec_lo, s10
.LBB738_68:
	s_delay_alu instid0(SALU_CYCLE_1)
	s_or_b32 exec_lo, exec_lo, s1
	s_and_saveexec_b32 s1, s14
	s_cbranch_execz .LBB738_72
; %bb.69:
	global_load_u8 v11, v[2:3], off offset:320
	s_waitcnt vmcnt(0)
	v_dual_mov_b32 v12, 0 :: v_dual_and_b32 v11, 1, v11
	s_delay_alu instid0(VALU_DEP_1) | instskip(NEXT) | instid1(VALU_DEP_1)
	v_cmp_eq_u32_e64 s0, 1, v11
	s_xor_b32 s0, s0, -1
	s_delay_alu instid0(SALU_CYCLE_1)
	s_and_saveexec_b32 s10, s0
	s_cbranch_execz .LBB738_71
; %bb.70:
	v_sub_f32_e32 v10, v10, v21
	s_delay_alu instid0(VALU_DEP_1) | instskip(NEXT) | instid1(VALU_DEP_1)
	v_mul_f32_e32 v11, 0x3fb8aa3b, v10
	v_fma_f32 v12, 0x3fb8aa3b, v10, -v11
	v_rndne_f32_e32 v23, v11
	s_delay_alu instid0(VALU_DEP_1) | instskip(SKIP_1) | instid1(VALU_DEP_2)
	v_dual_sub_f32 v11, v11, v23 :: v_dual_fmamk_f32 v12, v10, 0x32a5705f, v12
	v_cmp_ngt_f32_e64 s0, 0xc2ce8ed0, v10
	v_add_f32_e32 v11, v11, v12
	v_cvt_i32_f32_e32 v12, v23
	s_delay_alu instid0(VALU_DEP_2) | instskip(SKIP_2) | instid1(VALU_DEP_1)
	v_exp_f32_e32 v11, v11
	s_waitcnt_depctr 0xfff
	v_ldexp_f32 v11, v11, v12
	v_cndmask_b32_e64 v11, 0, v11, s0
	v_cmp_nlt_f32_e64 s0, 0x42b17218, v10
	s_delay_alu instid0(VALU_DEP_1) | instskip(NEXT) | instid1(VALU_DEP_1)
	v_cndmask_b32_e64 v12, 0x7f800000, v11, s0
	v_add_f32_e32 v22, v22, v12
.LBB738_71:
	s_or_b32 exec_lo, exec_lo, s10
.LBB738_72:
	s_delay_alu instid0(SALU_CYCLE_1)
	s_or_b32 exec_lo, exec_lo, s1
	v_dual_mov_b32 v10, 0 :: v_dual_mov_b32 v11, 0
	s_and_saveexec_b32 s1, s11
	s_cbranch_execz .LBB738_76
; %bb.73:
	global_load_u8 v11, v[2:3], off offset:384
	s_waitcnt vmcnt(0)
	v_and_b32_e32 v11, 1, v11
	s_delay_alu instid0(VALU_DEP_1) | instskip(SKIP_1) | instid1(VALU_DEP_2)
	v_cmp_eq_u32_e64 s0, 1, v11
	v_mov_b32_e32 v11, 0
	s_xor_b32 s0, s0, -1
	s_delay_alu instid0(SALU_CYCLE_1)
	s_and_saveexec_b32 s10, s0
	s_cbranch_execz .LBB738_75
; %bb.74:
	v_sub_f32_e32 v9, v9, v21
	s_delay_alu instid0(VALU_DEP_1) | instskip(SKIP_1) | instid1(VALU_DEP_2)
	v_mul_f32_e32 v11, 0x3fb8aa3b, v9
	v_cmp_ngt_f32_e64 s0, 0xc2ce8ed0, v9
	v_fma_f32 v23, 0x3fb8aa3b, v9, -v11
	v_rndne_f32_e32 v24, v11
	s_delay_alu instid0(VALU_DEP_2) | instskip(NEXT) | instid1(VALU_DEP_2)
	v_fmamk_f32 v23, v9, 0x32a5705f, v23
	v_sub_f32_e32 v11, v11, v24
	s_delay_alu instid0(VALU_DEP_1) | instskip(SKIP_1) | instid1(VALU_DEP_2)
	v_add_f32_e32 v11, v11, v23
	v_cvt_i32_f32_e32 v23, v24
	v_exp_f32_e32 v11, v11
	s_waitcnt_depctr 0xfff
	v_ldexp_f32 v11, v11, v23
	s_delay_alu instid0(VALU_DEP_1) | instskip(SKIP_1) | instid1(VALU_DEP_1)
	v_cndmask_b32_e64 v11, 0, v11, s0
	v_cmp_nlt_f32_e64 s0, 0x42b17218, v9
	v_cndmask_b32_e64 v11, 0x7f800000, v11, s0
	s_delay_alu instid0(VALU_DEP_1)
	v_add_f32_e32 v22, v22, v11
.LBB738_75:
	s_or_b32 exec_lo, exec_lo, s10
.LBB738_76:
	s_delay_alu instid0(SALU_CYCLE_1)
	s_or_b32 exec_lo, exec_lo, s1
	s_and_saveexec_b32 s1, s9
	s_cbranch_execz .LBB738_80
; %bb.77:
	global_load_u8 v2, v[2:3], off offset:448
	v_mov_b32_e32 v10, 0
	s_waitcnt vmcnt(0)
	v_and_b32_e32 v2, 1, v2
	s_delay_alu instid0(VALU_DEP_1) | instskip(NEXT) | instid1(VALU_DEP_1)
	v_cmp_eq_u32_e64 s0, 1, v2
	s_xor_b32 s0, s0, -1
	s_delay_alu instid0(SALU_CYCLE_1)
	s_and_saveexec_b32 s9, s0
	s_cbranch_execz .LBB738_79
; %bb.78:
	v_sub_f32_e32 v2, v8, v21
	s_delay_alu instid0(VALU_DEP_1) | instskip(NEXT) | instid1(VALU_DEP_1)
	v_mul_f32_e32 v3, 0x3fb8aa3b, v2
	v_fma_f32 v8, 0x3fb8aa3b, v2, -v3
	v_rndne_f32_e32 v9, v3
	s_delay_alu instid0(VALU_DEP_1) | instskip(NEXT) | instid1(VALU_DEP_1)
	v_dual_fmamk_f32 v8, v2, 0x32a5705f, v8 :: v_dual_sub_f32 v3, v3, v9
	v_add_f32_e32 v3, v3, v8
	v_cvt_i32_f32_e32 v8, v9
	v_cmp_ngt_f32_e64 s0, 0xc2ce8ed0, v2
	s_delay_alu instid0(VALU_DEP_3) | instskip(SKIP_2) | instid1(VALU_DEP_1)
	v_exp_f32_e32 v3, v3
	s_waitcnt_depctr 0xfff
	v_ldexp_f32 v3, v3, v8
	v_cndmask_b32_e64 v3, 0, v3, s0
	v_cmp_nlt_f32_e64 s0, 0x42b17218, v2
	s_delay_alu instid0(VALU_DEP_1) | instskip(NEXT) | instid1(VALU_DEP_1)
	v_cndmask_b32_e64 v10, 0x7f800000, v3, s0
	v_add_f32_e32 v22, v22, v10
.LBB738_79:
	s_or_b32 exec_lo, exec_lo, s9
.LBB738_80:
	s_delay_alu instid0(SALU_CYCLE_1)
	s_or_b32 exec_lo, exec_lo, s1
	ds_bpermute_b32 v2, v5, v22
	s_mov_b32 s1, exec_lo
	s_waitcnt lgkmcnt(0)
	v_add_f32_e32 v2, v22, v2
	ds_bpermute_b32 v3, v6, v2
	s_waitcnt lgkmcnt(0)
	v_add_f32_e32 v2, v2, v3
	ds_bpermute_b32 v3, v16, v2
	;; [unrolled: 3-line block ×5, first 2 shown]
	v_cmpx_lt_i32_e32 0, v7
	s_cbranch_execz .LBB738_106
; %bb.81:
	s_and_b32 exec_lo, exec_lo, vcc_lo
	s_cbranch_execz .LBB738_106
; %bb.82:
	s_waitcnt lgkmcnt(0)
	v_dual_add_f32 v2, v2, v3 :: v_dual_mov_b32 v3, 0x7e00
	s_delay_alu instid0(VALU_DEP_1) | instskip(NEXT) | instid1(VALU_DEP_1)
	v_cmp_neq_f32_e64 s0, 0, v2
	s_and_saveexec_b32 s1, s0
	s_cbranch_execz .LBB738_84
; %bb.83:
	v_div_scale_f32 v3, null, v2, v2, v18
	s_delay_alu instid0(VALU_DEP_1) | instskip(SKIP_2) | instid1(VALU_DEP_1)
	v_rcp_f32_e32 v5, v3
	s_waitcnt_depctr 0xfff
	v_fma_f32 v6, -v3, v5, 1.0
	v_fmac_f32_e32 v5, v6, v5
	v_div_scale_f32 v6, vcc_lo, v18, v2, v18
	s_delay_alu instid0(VALU_DEP_1) | instskip(NEXT) | instid1(VALU_DEP_1)
	v_mul_f32_e32 v7, v6, v5
	v_fma_f32 v8, -v3, v7, v6
	s_delay_alu instid0(VALU_DEP_1) | instskip(NEXT) | instid1(VALU_DEP_1)
	v_fmac_f32_e32 v7, v8, v5
	v_fma_f32 v3, -v3, v7, v6
	s_delay_alu instid0(VALU_DEP_1) | instskip(NEXT) | instid1(VALU_DEP_1)
	v_div_fmas_f32 v3, v3, v5, v7
	v_div_fixup_f32 v3, v3, v2, v18
	s_delay_alu instid0(VALU_DEP_1)
	v_cvt_f16_f32_e32 v3, v3
.LBB738_84:
	s_or_b32 exec_lo, exec_lo, s1
	v_add_co_u32 v0, vcc_lo, s12, v0
	v_add_co_ci_u32_e32 v1, vcc_lo, s13, v1, vcc_lo
	global_store_b16 v[0:1], v3, off
	s_and_b32 exec_lo, exec_lo, s8
	s_cbranch_execz .LBB738_106
; %bb.85:
	v_mov_b32_e32 v3, 0x7e00
	s_and_saveexec_b32 s1, s0
	s_cbranch_execz .LBB738_87
; %bb.86:
	v_div_scale_f32 v3, null, v2, v2, v4
	s_delay_alu instid0(VALU_DEP_1) | instskip(SKIP_2) | instid1(VALU_DEP_1)
	v_rcp_f32_e32 v5, v3
	s_waitcnt_depctr 0xfff
	v_fma_f32 v6, -v3, v5, 1.0
	v_fmac_f32_e32 v5, v6, v5
	v_div_scale_f32 v6, vcc_lo, v4, v2, v4
	s_delay_alu instid0(VALU_DEP_1) | instskip(NEXT) | instid1(VALU_DEP_1)
	v_mul_f32_e32 v7, v6, v5
	v_fma_f32 v8, -v3, v7, v6
	s_delay_alu instid0(VALU_DEP_1) | instskip(NEXT) | instid1(VALU_DEP_1)
	v_fmac_f32_e32 v7, v8, v5
	v_fma_f32 v3, -v3, v7, v6
	s_delay_alu instid0(VALU_DEP_1) | instskip(NEXT) | instid1(VALU_DEP_1)
	v_div_fmas_f32 v3, v3, v5, v7
	v_div_fixup_f32 v3, v3, v2, v4
	s_delay_alu instid0(VALU_DEP_1)
	v_cvt_f16_f32_e32 v3, v3
.LBB738_87:
	s_or_b32 exec_lo, exec_lo, s1
	global_store_b16 v[0:1], v3, off offset:128
	s_and_b32 exec_lo, exec_lo, s7
	s_cbranch_execz .LBB738_106
; %bb.88:
	v_mov_b32_e32 v3, 0x7e00
	s_and_saveexec_b32 s1, s0
	s_cbranch_execz .LBB738_90
; %bb.89:
	v_div_scale_f32 v3, null, v2, v2, v15
	s_delay_alu instid0(VALU_DEP_1) | instskip(SKIP_2) | instid1(VALU_DEP_1)
	v_rcp_f32_e32 v4, v3
	s_waitcnt_depctr 0xfff
	v_fma_f32 v5, -v3, v4, 1.0
	v_fmac_f32_e32 v4, v5, v4
	v_div_scale_f32 v5, vcc_lo, v15, v2, v15
	s_delay_alu instid0(VALU_DEP_1) | instskip(NEXT) | instid1(VALU_DEP_1)
	v_mul_f32_e32 v6, v5, v4
	v_fma_f32 v7, -v3, v6, v5
	s_delay_alu instid0(VALU_DEP_1) | instskip(NEXT) | instid1(VALU_DEP_1)
	v_fmac_f32_e32 v6, v7, v4
	v_fma_f32 v3, -v3, v6, v5
	s_delay_alu instid0(VALU_DEP_1) | instskip(NEXT) | instid1(VALU_DEP_1)
	v_div_fmas_f32 v3, v3, v4, v6
	v_div_fixup_f32 v3, v3, v2, v15
	s_delay_alu instid0(VALU_DEP_1)
	v_cvt_f16_f32_e32 v3, v3
.LBB738_90:
	s_or_b32 exec_lo, exec_lo, s1
	global_store_b16 v[0:1], v3, off offset:256
	;; [unrolled: 28-line block ×7, first 2 shown]
.LBB738_106:
	s_nop 0
	s_sendmsg sendmsg(MSG_DEALLOC_VGPRS)
	s_endpgm
	.section	.rodata,"a",@progbits
	.p2align	6, 0x0
	.amdhsa_kernel _ZN12_GLOBAL__N_120softmax_warp_forwardIN3c104HalfES2_fLi9ELb0ELb1ELi64EEEvPT0_PKT_iiiPKbib
		.amdhsa_group_segment_fixed_size 0
		.amdhsa_private_segment_fixed_size 0
		.amdhsa_kernarg_size 304
		.amdhsa_user_sgpr_count 15
		.amdhsa_user_sgpr_dispatch_ptr 0
		.amdhsa_user_sgpr_queue_ptr 0
		.amdhsa_user_sgpr_kernarg_segment_ptr 1
		.amdhsa_user_sgpr_dispatch_id 0
		.amdhsa_user_sgpr_private_segment_size 0
		.amdhsa_wavefront_size32 1
		.amdhsa_uses_dynamic_stack 0
		.amdhsa_enable_private_segment 0
		.amdhsa_system_sgpr_workgroup_id_x 1
		.amdhsa_system_sgpr_workgroup_id_y 0
		.amdhsa_system_sgpr_workgroup_id_z 0
		.amdhsa_system_sgpr_workgroup_info 0
		.amdhsa_system_vgpr_workitem_id 1
		.amdhsa_next_free_vgpr 25
		.amdhsa_next_free_sgpr 22
		.amdhsa_reserve_vcc 1
		.amdhsa_float_round_mode_32 0
		.amdhsa_float_round_mode_16_64 0
		.amdhsa_float_denorm_mode_32 3
		.amdhsa_float_denorm_mode_16_64 3
		.amdhsa_dx10_clamp 1
		.amdhsa_ieee_mode 1
		.amdhsa_fp16_overflow 0
		.amdhsa_workgroup_processor_mode 1
		.amdhsa_memory_ordered 1
		.amdhsa_forward_progress 0
		.amdhsa_shared_vgpr_count 0
		.amdhsa_exception_fp_ieee_invalid_op 0
		.amdhsa_exception_fp_denorm_src 0
		.amdhsa_exception_fp_ieee_div_zero 0
		.amdhsa_exception_fp_ieee_overflow 0
		.amdhsa_exception_fp_ieee_underflow 0
		.amdhsa_exception_fp_ieee_inexact 0
		.amdhsa_exception_int_div_zero 0
	.end_amdhsa_kernel
	.section	.text._ZN12_GLOBAL__N_120softmax_warp_forwardIN3c104HalfES2_fLi9ELb0ELb1ELi64EEEvPT0_PKT_iiiPKbib,"axG",@progbits,_ZN12_GLOBAL__N_120softmax_warp_forwardIN3c104HalfES2_fLi9ELb0ELb1ELi64EEEvPT0_PKT_iiiPKbib,comdat
.Lfunc_end738:
	.size	_ZN12_GLOBAL__N_120softmax_warp_forwardIN3c104HalfES2_fLi9ELb0ELb1ELi64EEEvPT0_PKT_iiiPKbib, .Lfunc_end738-_ZN12_GLOBAL__N_120softmax_warp_forwardIN3c104HalfES2_fLi9ELb0ELb1ELi64EEEvPT0_PKT_iiiPKbib
                                        ; -- End function
	.section	.AMDGPU.csdata,"",@progbits
; Kernel info:
; codeLenInByte = 4928
; NumSgprs: 24
; NumVgprs: 25
; ScratchSize: 0
; MemoryBound: 0
; FloatMode: 240
; IeeeMode: 1
; LDSByteSize: 0 bytes/workgroup (compile time only)
; SGPRBlocks: 2
; VGPRBlocks: 3
; NumSGPRsForWavesPerEU: 24
; NumVGPRsForWavesPerEU: 25
; Occupancy: 16
; WaveLimiterHint : 0
; COMPUTE_PGM_RSRC2:SCRATCH_EN: 0
; COMPUTE_PGM_RSRC2:USER_SGPR: 15
; COMPUTE_PGM_RSRC2:TRAP_HANDLER: 0
; COMPUTE_PGM_RSRC2:TGID_X_EN: 1
; COMPUTE_PGM_RSRC2:TGID_Y_EN: 0
; COMPUTE_PGM_RSRC2:TGID_Z_EN: 0
; COMPUTE_PGM_RSRC2:TIDIG_COMP_CNT: 1
	.section	.text._ZN12_GLOBAL__N_120softmax_warp_forwardIN3c104HalfES2_fLi9ELb0ELb1ELi32EEEvPT0_PKT_iiiPKbib,"axG",@progbits,_ZN12_GLOBAL__N_120softmax_warp_forwardIN3c104HalfES2_fLi9ELb0ELb1ELi32EEEvPT0_PKT_iiiPKbib,comdat
	.globl	_ZN12_GLOBAL__N_120softmax_warp_forwardIN3c104HalfES2_fLi9ELb0ELb1ELi32EEEvPT0_PKT_iiiPKbib ; -- Begin function _ZN12_GLOBAL__N_120softmax_warp_forwardIN3c104HalfES2_fLi9ELb0ELb1ELi32EEEvPT0_PKT_iiiPKbib
	.p2align	8
	.type	_ZN12_GLOBAL__N_120softmax_warp_forwardIN3c104HalfES2_fLi9ELb0ELb1ELi32EEEvPT0_PKT_iiiPKbib,@function
_ZN12_GLOBAL__N_120softmax_warp_forwardIN3c104HalfES2_fLi9ELb0ELb1ELi32EEEvPT0_PKT_iiiPKbib: ; @_ZN12_GLOBAL__N_120softmax_warp_forwardIN3c104HalfES2_fLi9ELb0ELb1ELi32EEEvPT0_PKT_iiiPKbib
; %bb.0:
	s_clause 0x1
	s_load_b32 s2, s[0:1], 0x3c
	s_load_b128 s[16:19], s[0:1], 0x10
	v_bfe_u32 v3, v0, 10, 10
	s_waitcnt lgkmcnt(0)
	s_lshr_b32 s2, s2, 16
	s_delay_alu instid0(VALU_DEP_1) | instid1(SALU_CYCLE_1)
	v_mad_u64_u32 v[1:2], null, s15, s2, v[3:4]
	s_load_b64 s[2:3], s[0:1], 0x28
	v_and_b32_e32 v2, 0x3ff, v0
	s_delay_alu instid0(VALU_DEP_2) | instskip(NEXT) | instid1(VALU_DEP_1)
	v_mul_lo_u32 v7, v1, s17
	v_add_nc_u32_e32 v5, v7, v2
	s_delay_alu instid0(VALU_DEP_1) | instskip(SKIP_3) | instid1(VALU_DEP_2)
	v_ashrrev_i32_e32 v6, 31, v5
	v_mov_b32_e32 v3, v5
	s_waitcnt lgkmcnt(0)
	s_bitcmp0_b32 s3, 0
	v_mov_b32_e32 v4, v6
	s_cbranch_scc1 .LBB739_2
; %bb.1:
	s_abs_i32 s3, s2
	v_sub_nc_u32_e32 v4, 0, v7
	v_cvt_f32_u32_e32 v0, s3
	s_sub_i32 s4, 0, s3
	s_delay_alu instid0(VALU_DEP_2) | instskip(NEXT) | instid1(VALU_DEP_2)
	v_max_i32_e32 v4, v7, v4
	v_rcp_iflag_f32_e32 v0, v0
	s_waitcnt_depctr 0xfff
	v_mul_f32_e32 v0, 0x4f7ffffe, v0
	s_delay_alu instid0(VALU_DEP_1) | instskip(NEXT) | instid1(VALU_DEP_1)
	v_cvt_u32_f32_e32 v0, v0
	v_mul_lo_u32 v3, s4, v0
	s_delay_alu instid0(VALU_DEP_1) | instskip(NEXT) | instid1(VALU_DEP_1)
	v_mul_hi_u32 v3, v0, v3
	v_add_nc_u32_e32 v0, v0, v3
	s_delay_alu instid0(VALU_DEP_1) | instskip(NEXT) | instid1(VALU_DEP_1)
	v_mul_hi_u32 v0, v4, v0
	v_mul_lo_u32 v3, v0, s3
	s_delay_alu instid0(VALU_DEP_1) | instskip(SKIP_1) | instid1(VALU_DEP_2)
	v_sub_nc_u32_e32 v3, v4, v3
	v_add_nc_u32_e32 v4, 1, v0
	v_subrev_nc_u32_e32 v8, s3, v3
	v_cmp_le_u32_e32 vcc_lo, s3, v3
	s_delay_alu instid0(VALU_DEP_2) | instskip(NEXT) | instid1(VALU_DEP_4)
	v_cndmask_b32_e32 v3, v3, v8, vcc_lo
	v_cndmask_b32_e32 v0, v0, v4, vcc_lo
	v_xor_b32_e32 v4, s2, v7
	s_delay_alu instid0(VALU_DEP_3) | instskip(NEXT) | instid1(VALU_DEP_3)
	v_cmp_le_u32_e32 vcc_lo, s3, v3
	v_add_nc_u32_e32 v7, 1, v0
	s_delay_alu instid0(VALU_DEP_3) | instskip(NEXT) | instid1(VALU_DEP_2)
	v_ashrrev_i32_e32 v4, 31, v4
	v_cndmask_b32_e32 v0, v0, v7, vcc_lo
	s_delay_alu instid0(VALU_DEP_1) | instskip(NEXT) | instid1(VALU_DEP_1)
	v_xor_b32_e32 v0, v0, v4
	v_sub_nc_u32_e32 v0, v0, v4
	s_delay_alu instid0(VALU_DEP_1) | instskip(NEXT) | instid1(VALU_DEP_1)
	v_mad_u64_u32 v[3:4], null, v0, s17, v[2:3]
	v_ashrrev_i32_e32 v4, 31, v3
.LBB739_2:
	s_load_b128 s[20:23], s[0:1], 0x0
	v_sub_nc_u32_e32 v7, s16, v1
	v_lshlrev_b64 v[0:1], 1, v[5:6]
	v_cmp_gt_i32_e32 vcc_lo, s18, v2
	v_dual_mov_b32 v22, 0xff800000 :: v_dual_mov_b32 v23, 0xff800000
	s_delay_alu instid0(VALU_DEP_4) | instskip(NEXT) | instid1(VALU_DEP_1)
	v_cmp_lt_i32_e64 s17, 0, v7
	s_and_b32 s36, s17, vcc_lo
	s_waitcnt lgkmcnt(0)
	v_add_co_u32 v5, s2, s22, v0
	s_delay_alu instid0(VALU_DEP_1)
	v_add_co_ci_u32_e64 v6, s2, s23, v1, s2
	s_and_saveexec_b32 s2, s36
	s_cbranch_execz .LBB739_4
; %bb.3:
	global_load_u16 v8, v[5:6], off
	s_waitcnt vmcnt(0)
	v_cvt_f32_f16_e32 v23, v8
.LBB739_4:
	s_or_b32 exec_lo, exec_lo, s2
	v_add_nc_u32_e32 v8, 32, v2
	s_delay_alu instid0(VALU_DEP_1) | instskip(NEXT) | instid1(VALU_DEP_1)
	v_cmp_gt_i32_e64 s16, s18, v8
	s_and_b32 s35, s17, s16
	s_delay_alu instid0(SALU_CYCLE_1)
	s_and_saveexec_b32 s2, s35
	s_cbranch_execz .LBB739_6
; %bb.5:
	global_load_u16 v8, v[5:6], off offset:64
	s_waitcnt vmcnt(0)
	v_cvt_f32_f16_e32 v22, v8
.LBB739_6:
	s_or_b32 exec_lo, exec_lo, s2
	v_dual_mov_b32 v21, 0xff800000 :: v_dual_add_nc_u32 v8, 64, v2
	v_mov_b32_e32 v20, 0xff800000
	s_delay_alu instid0(VALU_DEP_2) | instskip(NEXT) | instid1(VALU_DEP_1)
	v_cmp_gt_i32_e64 s15, s18, v8
	s_and_b32 s34, s17, s15
	s_delay_alu instid0(SALU_CYCLE_1)
	s_and_saveexec_b32 s2, s34
	s_cbranch_execz .LBB739_8
; %bb.7:
	global_load_u16 v8, v[5:6], off offset:128
	s_waitcnt vmcnt(0)
	v_cvt_f32_f16_e32 v21, v8
.LBB739_8:
	s_or_b32 exec_lo, exec_lo, s2
	v_add_nc_u32_e32 v8, 0x60, v2
	s_delay_alu instid0(VALU_DEP_1) | instskip(NEXT) | instid1(VALU_DEP_1)
	v_cmp_gt_i32_e64 s14, s18, v8
	s_and_b32 s33, s17, s14
	s_delay_alu instid0(SALU_CYCLE_1)
	s_and_saveexec_b32 s2, s33
	s_cbranch_execz .LBB739_10
; %bb.9:
	global_load_u16 v8, v[5:6], off offset:192
	s_waitcnt vmcnt(0)
	v_cvt_f32_f16_e32 v20, v8
.LBB739_10:
	s_or_b32 exec_lo, exec_lo, s2
	v_add_nc_u32_e32 v8, 0x80, v2
	v_dual_mov_b32 v18, 0xff800000 :: v_dual_mov_b32 v19, 0xff800000
	s_delay_alu instid0(VALU_DEP_2) | instskip(NEXT) | instid1(VALU_DEP_1)
	v_cmp_gt_i32_e64 s13, s18, v8
	s_and_b32 s31, s17, s13
	s_delay_alu instid0(SALU_CYCLE_1)
	s_and_saveexec_b32 s2, s31
	s_cbranch_execz .LBB739_12
; %bb.11:
	global_load_u16 v8, v[5:6], off offset:256
	s_waitcnt vmcnt(0)
	v_cvt_f32_f16_e32 v19, v8
.LBB739_12:
	s_or_b32 exec_lo, exec_lo, s2
	v_add_nc_u32_e32 v8, 0xa0, v2
	s_delay_alu instid0(VALU_DEP_1) | instskip(NEXT) | instid1(VALU_DEP_1)
	v_cmp_gt_i32_e64 s12, s18, v8
	s_and_b32 s30, s17, s12
	s_delay_alu instid0(SALU_CYCLE_1)
	s_and_saveexec_b32 s2, s30
	s_cbranch_execz .LBB739_14
; %bb.13:
	global_load_u16 v8, v[5:6], off offset:320
	s_waitcnt vmcnt(0)
	v_cvt_f32_f16_e32 v18, v8
.LBB739_14:
	s_or_b32 exec_lo, exec_lo, s2
	v_add_nc_u32_e32 v8, 0xc0, v2
	v_dual_mov_b32 v16, 0xff800000 :: v_dual_mov_b32 v17, 0xff800000
	;; [unrolled: 27-line block ×5, first 2 shown]
	s_delay_alu instid0(VALU_DEP_2) | instskip(NEXT) | instid1(VALU_DEP_1)
	v_cmp_gt_i32_e64 s5, s18, v8
	s_and_b32 s23, s17, s5
	s_delay_alu instid0(SALU_CYCLE_1)
	s_and_saveexec_b32 s2, s23
	s_cbranch_execz .LBB739_28
; %bb.27:
	global_load_u16 v8, v[5:6], off offset:768
	s_waitcnt vmcnt(0)
	v_cvt_f32_f16_e32 v11, v8
.LBB739_28:
	s_or_b32 exec_lo, exec_lo, s2
	v_add_nc_u32_e32 v8, 0x1a0, v2
	s_delay_alu instid0(VALU_DEP_1) | instskip(NEXT) | instid1(VALU_DEP_1)
	v_cmp_gt_i32_e64 s4, s18, v8
	s_and_b32 s22, s17, s4
	s_delay_alu instid0(SALU_CYCLE_1)
	s_and_saveexec_b32 s2, s22
	s_cbranch_execz .LBB739_30
; %bb.29:
	global_load_u16 v8, v[5:6], off offset:832
	s_waitcnt vmcnt(0)
	v_cvt_f32_f16_e32 v10, v8
.LBB739_30:
	s_or_b32 exec_lo, exec_lo, s2
	v_add_nc_u32_e32 v8, 0x1c0, v2
	v_mov_b32_e32 v9, 0xff800000
	s_delay_alu instid0(VALU_DEP_2) | instskip(SKIP_1) | instid1(VALU_DEP_2)
	v_cmp_gt_i32_e64 s3, s18, v8
	v_mov_b32_e32 v8, 0xff800000
	s_and_b32 s19, s17, s3
	s_delay_alu instid0(SALU_CYCLE_1)
	s_and_saveexec_b32 s2, s19
	s_cbranch_execz .LBB739_32
; %bb.31:
	global_load_u16 v9, v[5:6], off offset:896
	s_waitcnt vmcnt(0)
	v_cvt_f32_f16_e32 v9, v9
.LBB739_32:
	s_or_b32 exec_lo, exec_lo, s2
	v_add_nc_u32_e32 v2, 0x1e0, v2
	s_delay_alu instid0(VALU_DEP_1) | instskip(NEXT) | instid1(VALU_DEP_1)
	v_cmp_gt_i32_e64 s2, s18, v2
	s_and_b32 s17, s17, s2
	s_delay_alu instid0(SALU_CYCLE_1)
	s_and_saveexec_b32 s18, s17
	s_cbranch_execz .LBB739_34
; %bb.33:
	global_load_u16 v2, v[5:6], off offset:960
	s_waitcnt vmcnt(0)
	v_cvt_f32_f16_e32 v8, v2
.LBB739_34:
	s_or_b32 exec_lo, exec_lo, s18
	s_load_b64 s[0:1], s[0:1], 0x20
	s_waitcnt lgkmcnt(0)
	v_add_co_u32 v2, s0, s0, v3
	s_delay_alu instid0(VALU_DEP_1)
	v_add_co_ci_u32_e64 v3, s0, s1, v4, s0
	s_mov_b32 s1, 0
	s_and_saveexec_b32 s18, s36
	s_cbranch_execnz .LBB739_50
; %bb.35:
	s_or_b32 exec_lo, exec_lo, s18
	v_mov_b32_e32 v4, v23
	s_and_saveexec_b32 s18, s35
	s_cbranch_execnz .LBB739_51
.LBB739_36:
	s_or_b32 exec_lo, exec_lo, s18
	s_and_saveexec_b32 s18, s34
	s_cbranch_execnz .LBB739_54
.LBB739_37:
	s_or_b32 exec_lo, exec_lo, s18
	s_and_saveexec_b32 s18, s33
	s_cbranch_execnz .LBB739_57
.LBB739_38:
	s_or_b32 exec_lo, exec_lo, s18
	s_and_saveexec_b32 s18, s31
	s_cbranch_execnz .LBB739_60
.LBB739_39:
	s_or_b32 exec_lo, exec_lo, s18
	s_and_saveexec_b32 s18, s30
	s_cbranch_execnz .LBB739_63
.LBB739_40:
	s_or_b32 exec_lo, exec_lo, s18
	s_and_saveexec_b32 s18, s29
	s_cbranch_execnz .LBB739_66
.LBB739_41:
	s_or_b32 exec_lo, exec_lo, s18
	s_and_saveexec_b32 s18, s28
	s_cbranch_execnz .LBB739_69
.LBB739_42:
	s_or_b32 exec_lo, exec_lo, s18
	s_and_saveexec_b32 s18, s27
	s_cbranch_execnz .LBB739_72
.LBB739_43:
	s_or_b32 exec_lo, exec_lo, s18
	s_and_saveexec_b32 s18, s26
	s_cbranch_execnz .LBB739_75
.LBB739_44:
	s_or_b32 exec_lo, exec_lo, s18
	s_and_saveexec_b32 s18, s25
	s_cbranch_execnz .LBB739_78
.LBB739_45:
	s_or_b32 exec_lo, exec_lo, s18
	s_and_saveexec_b32 s18, s24
	s_cbranch_execnz .LBB739_81
.LBB739_46:
	s_or_b32 exec_lo, exec_lo, s18
	s_and_saveexec_b32 s18, s23
	s_cbranch_execnz .LBB739_84
.LBB739_47:
	s_or_b32 exec_lo, exec_lo, s18
	s_and_saveexec_b32 s18, s22
	s_cbranch_execnz .LBB739_87
.LBB739_48:
	s_or_b32 exec_lo, exec_lo, s18
	s_and_saveexec_b32 s18, s19
	s_cbranch_execnz .LBB739_90
.LBB739_49:
	s_or_b32 exec_lo, exec_lo, s18
	s_and_saveexec_b32 s18, s17
	s_cbranch_execnz .LBB739_93
	s_branch .LBB739_96
.LBB739_50:
	global_load_u8 v4, v[2:3], off
	s_waitcnt vmcnt(0)
	v_and_b32_e32 v4, 1, v4
	s_delay_alu instid0(VALU_DEP_1) | instskip(NEXT) | instid1(VALU_DEP_1)
	v_cmp_eq_u32_e64 s0, 1, v4
	s_xor_b32 s0, s0, -1
	s_delay_alu instid0(SALU_CYCLE_1)
	s_and_b32 s1, s0, exec_lo
	s_or_b32 exec_lo, exec_lo, s18
	v_mov_b32_e32 v4, v23
	s_and_saveexec_b32 s18, s35
	s_cbranch_execz .LBB739_36
.LBB739_51:
	global_load_u8 v4, v[2:3], off offset:32
	s_waitcnt vmcnt(0)
	v_and_b32_e32 v4, 1, v4
	s_delay_alu instid0(VALU_DEP_1) | instskip(SKIP_1) | instid1(VALU_DEP_2)
	v_cmp_eq_u32_e64 s0, 1, v4
	v_mov_b32_e32 v4, v23
	s_xor_b32 s38, s0, -1
	s_mov_b32 s0, s1
	s_and_saveexec_b32 s37, s38
; %bb.52:
	v_cmp_gt_f32_e64 s0, v23, v22
	s_delay_alu instid0(VALU_DEP_1) | instskip(NEXT) | instid1(SALU_CYCLE_1)
	s_and_b32 s0, s1, s0
	v_cndmask_b32_e64 v4, v22, v23, s0
	s_or_b32 s0, s1, exec_lo
; %bb.53:
	s_or_b32 exec_lo, exec_lo, s37
	s_delay_alu instid0(SALU_CYCLE_1) | instskip(SKIP_1) | instid1(SALU_CYCLE_1)
	s_and_not1_b32 s1, s1, exec_lo
	s_and_b32 s0, s0, exec_lo
	s_or_b32 s1, s1, s0
	s_or_b32 exec_lo, exec_lo, s18
	s_and_saveexec_b32 s18, s34
	s_cbranch_execz .LBB739_37
.LBB739_54:
	global_load_u8 v5, v[2:3], off offset:64
	s_waitcnt vmcnt(0)
	v_and_b32_e32 v5, 1, v5
	s_delay_alu instid0(VALU_DEP_1) | instskip(NEXT) | instid1(VALU_DEP_1)
	v_cmp_eq_u32_e64 s0, 1, v5
	s_xor_b32 s38, s0, -1
	s_mov_b32 s0, s1
	s_and_saveexec_b32 s37, s38
; %bb.55:
	v_cmp_gt_f32_e64 s0, v4, v21
	s_delay_alu instid0(VALU_DEP_1) | instskip(NEXT) | instid1(SALU_CYCLE_1)
	s_and_b32 s0, s1, s0
	v_cndmask_b32_e64 v4, v21, v4, s0
	s_or_b32 s0, s1, exec_lo
; %bb.56:
	s_or_b32 exec_lo, exec_lo, s37
	s_delay_alu instid0(SALU_CYCLE_1) | instskip(SKIP_1) | instid1(SALU_CYCLE_1)
	s_and_not1_b32 s1, s1, exec_lo
	s_and_b32 s0, s0, exec_lo
	s_or_b32 s1, s1, s0
	s_or_b32 exec_lo, exec_lo, s18
	s_and_saveexec_b32 s18, s33
	s_cbranch_execz .LBB739_38
.LBB739_57:
	global_load_u8 v5, v[2:3], off offset:96
	s_waitcnt vmcnt(0)
	v_and_b32_e32 v5, 1, v5
	s_delay_alu instid0(VALU_DEP_1) | instskip(NEXT) | instid1(VALU_DEP_1)
	v_cmp_eq_u32_e64 s0, 1, v5
	s_xor_b32 s38, s0, -1
	s_mov_b32 s0, s1
	s_and_saveexec_b32 s37, s38
; %bb.58:
	v_cmp_gt_f32_e64 s0, v4, v20
	s_delay_alu instid0(VALU_DEP_1) | instskip(NEXT) | instid1(SALU_CYCLE_1)
	s_and_b32 s0, s1, s0
	v_cndmask_b32_e64 v4, v20, v4, s0
	s_or_b32 s0, s1, exec_lo
; %bb.59:
	s_or_b32 exec_lo, exec_lo, s37
	s_delay_alu instid0(SALU_CYCLE_1) | instskip(SKIP_1) | instid1(SALU_CYCLE_1)
	s_and_not1_b32 s1, s1, exec_lo
	s_and_b32 s0, s0, exec_lo
	s_or_b32 s1, s1, s0
	s_or_b32 exec_lo, exec_lo, s18
	s_and_saveexec_b32 s18, s31
	s_cbranch_execz .LBB739_39
.LBB739_60:
	global_load_u8 v5, v[2:3], off offset:128
	s_waitcnt vmcnt(0)
	v_and_b32_e32 v5, 1, v5
	s_delay_alu instid0(VALU_DEP_1) | instskip(NEXT) | instid1(VALU_DEP_1)
	v_cmp_eq_u32_e64 s0, 1, v5
	s_xor_b32 s38, s0, -1
	s_mov_b32 s0, s1
	s_and_saveexec_b32 s37, s38
; %bb.61:
	v_cmp_gt_f32_e64 s0, v4, v19
	s_delay_alu instid0(VALU_DEP_1) | instskip(NEXT) | instid1(SALU_CYCLE_1)
	s_and_b32 s0, s1, s0
	v_cndmask_b32_e64 v4, v19, v4, s0
	s_or_b32 s0, s1, exec_lo
; %bb.62:
	s_or_b32 exec_lo, exec_lo, s37
	s_delay_alu instid0(SALU_CYCLE_1) | instskip(SKIP_1) | instid1(SALU_CYCLE_1)
	s_and_not1_b32 s1, s1, exec_lo
	s_and_b32 s0, s0, exec_lo
	s_or_b32 s1, s1, s0
	s_or_b32 exec_lo, exec_lo, s18
	s_and_saveexec_b32 s18, s30
	s_cbranch_execz .LBB739_40
.LBB739_63:
	global_load_u8 v5, v[2:3], off offset:160
	s_waitcnt vmcnt(0)
	v_and_b32_e32 v5, 1, v5
	s_delay_alu instid0(VALU_DEP_1) | instskip(NEXT) | instid1(VALU_DEP_1)
	v_cmp_eq_u32_e64 s0, 1, v5
	s_xor_b32 s38, s0, -1
	s_mov_b32 s0, s1
	s_and_saveexec_b32 s37, s38
; %bb.64:
	v_cmp_gt_f32_e64 s0, v4, v18
	s_delay_alu instid0(VALU_DEP_1) | instskip(NEXT) | instid1(SALU_CYCLE_1)
	s_and_b32 s0, s1, s0
	v_cndmask_b32_e64 v4, v18, v4, s0
	s_or_b32 s0, s1, exec_lo
; %bb.65:
	s_or_b32 exec_lo, exec_lo, s37
	s_delay_alu instid0(SALU_CYCLE_1) | instskip(SKIP_1) | instid1(SALU_CYCLE_1)
	s_and_not1_b32 s1, s1, exec_lo
	s_and_b32 s0, s0, exec_lo
	s_or_b32 s1, s1, s0
	s_or_b32 exec_lo, exec_lo, s18
	s_and_saveexec_b32 s18, s29
	s_cbranch_execz .LBB739_41
.LBB739_66:
	global_load_u8 v5, v[2:3], off offset:192
	s_waitcnt vmcnt(0)
	v_and_b32_e32 v5, 1, v5
	s_delay_alu instid0(VALU_DEP_1) | instskip(NEXT) | instid1(VALU_DEP_1)
	v_cmp_eq_u32_e64 s0, 1, v5
	s_xor_b32 s38, s0, -1
	s_mov_b32 s0, s1
	s_and_saveexec_b32 s37, s38
; %bb.67:
	v_cmp_gt_f32_e64 s0, v4, v17
	s_delay_alu instid0(VALU_DEP_1) | instskip(NEXT) | instid1(SALU_CYCLE_1)
	s_and_b32 s0, s1, s0
	v_cndmask_b32_e64 v4, v17, v4, s0
	s_or_b32 s0, s1, exec_lo
; %bb.68:
	s_or_b32 exec_lo, exec_lo, s37
	s_delay_alu instid0(SALU_CYCLE_1) | instskip(SKIP_1) | instid1(SALU_CYCLE_1)
	s_and_not1_b32 s1, s1, exec_lo
	s_and_b32 s0, s0, exec_lo
	s_or_b32 s1, s1, s0
	s_or_b32 exec_lo, exec_lo, s18
	s_and_saveexec_b32 s18, s28
	s_cbranch_execz .LBB739_42
.LBB739_69:
	global_load_u8 v5, v[2:3], off offset:224
	s_waitcnt vmcnt(0)
	v_and_b32_e32 v5, 1, v5
	s_delay_alu instid0(VALU_DEP_1) | instskip(NEXT) | instid1(VALU_DEP_1)
	v_cmp_eq_u32_e64 s0, 1, v5
	s_xor_b32 s38, s0, -1
	s_mov_b32 s0, s1
	s_and_saveexec_b32 s37, s38
; %bb.70:
	v_cmp_gt_f32_e64 s0, v4, v16
	s_delay_alu instid0(VALU_DEP_1) | instskip(NEXT) | instid1(SALU_CYCLE_1)
	s_and_b32 s0, s1, s0
	v_cndmask_b32_e64 v4, v16, v4, s0
	s_or_b32 s0, s1, exec_lo
; %bb.71:
	s_or_b32 exec_lo, exec_lo, s37
	s_delay_alu instid0(SALU_CYCLE_1) | instskip(SKIP_1) | instid1(SALU_CYCLE_1)
	s_and_not1_b32 s1, s1, exec_lo
	s_and_b32 s0, s0, exec_lo
	s_or_b32 s1, s1, s0
	s_or_b32 exec_lo, exec_lo, s18
	s_and_saveexec_b32 s18, s27
	s_cbranch_execz .LBB739_43
.LBB739_72:
	global_load_u8 v5, v[2:3], off offset:256
	s_waitcnt vmcnt(0)
	v_and_b32_e32 v5, 1, v5
	s_delay_alu instid0(VALU_DEP_1) | instskip(NEXT) | instid1(VALU_DEP_1)
	v_cmp_eq_u32_e64 s0, 1, v5
	s_xor_b32 s38, s0, -1
	s_mov_b32 s0, s1
	s_and_saveexec_b32 s37, s38
; %bb.73:
	v_cmp_gt_f32_e64 s0, v4, v15
	s_delay_alu instid0(VALU_DEP_1) | instskip(NEXT) | instid1(SALU_CYCLE_1)
	s_and_b32 s0, s1, s0
	v_cndmask_b32_e64 v4, v15, v4, s0
	s_or_b32 s0, s1, exec_lo
; %bb.74:
	s_or_b32 exec_lo, exec_lo, s37
	s_delay_alu instid0(SALU_CYCLE_1) | instskip(SKIP_1) | instid1(SALU_CYCLE_1)
	s_and_not1_b32 s1, s1, exec_lo
	s_and_b32 s0, s0, exec_lo
	s_or_b32 s1, s1, s0
	s_or_b32 exec_lo, exec_lo, s18
	s_and_saveexec_b32 s18, s26
	s_cbranch_execz .LBB739_44
.LBB739_75:
	global_load_u8 v5, v[2:3], off offset:288
	s_waitcnt vmcnt(0)
	v_and_b32_e32 v5, 1, v5
	s_delay_alu instid0(VALU_DEP_1) | instskip(NEXT) | instid1(VALU_DEP_1)
	v_cmp_eq_u32_e64 s0, 1, v5
	s_xor_b32 s38, s0, -1
	s_mov_b32 s0, s1
	s_and_saveexec_b32 s37, s38
; %bb.76:
	v_cmp_gt_f32_e64 s0, v4, v14
	s_delay_alu instid0(VALU_DEP_1) | instskip(NEXT) | instid1(SALU_CYCLE_1)
	s_and_b32 s0, s1, s0
	v_cndmask_b32_e64 v4, v14, v4, s0
	s_or_b32 s0, s1, exec_lo
; %bb.77:
	s_or_b32 exec_lo, exec_lo, s37
	s_delay_alu instid0(SALU_CYCLE_1) | instskip(SKIP_1) | instid1(SALU_CYCLE_1)
	s_and_not1_b32 s1, s1, exec_lo
	s_and_b32 s0, s0, exec_lo
	s_or_b32 s1, s1, s0
	s_or_b32 exec_lo, exec_lo, s18
	s_and_saveexec_b32 s18, s25
	s_cbranch_execz .LBB739_45
.LBB739_78:
	global_load_u8 v5, v[2:3], off offset:320
	s_waitcnt vmcnt(0)
	v_and_b32_e32 v5, 1, v5
	s_delay_alu instid0(VALU_DEP_1) | instskip(NEXT) | instid1(VALU_DEP_1)
	v_cmp_eq_u32_e64 s0, 1, v5
	s_xor_b32 s38, s0, -1
	s_mov_b32 s0, s1
	s_and_saveexec_b32 s37, s38
; %bb.79:
	v_cmp_gt_f32_e64 s0, v4, v13
	s_delay_alu instid0(VALU_DEP_1) | instskip(NEXT) | instid1(SALU_CYCLE_1)
	s_and_b32 s0, s1, s0
	v_cndmask_b32_e64 v4, v13, v4, s0
	s_or_b32 s0, s1, exec_lo
; %bb.80:
	s_or_b32 exec_lo, exec_lo, s37
	s_delay_alu instid0(SALU_CYCLE_1) | instskip(SKIP_1) | instid1(SALU_CYCLE_1)
	s_and_not1_b32 s1, s1, exec_lo
	s_and_b32 s0, s0, exec_lo
	s_or_b32 s1, s1, s0
	s_or_b32 exec_lo, exec_lo, s18
	s_and_saveexec_b32 s18, s24
	s_cbranch_execz .LBB739_46
.LBB739_81:
	global_load_u8 v5, v[2:3], off offset:352
	s_waitcnt vmcnt(0)
	v_and_b32_e32 v5, 1, v5
	s_delay_alu instid0(VALU_DEP_1) | instskip(NEXT) | instid1(VALU_DEP_1)
	v_cmp_eq_u32_e64 s0, 1, v5
	s_xor_b32 s38, s0, -1
	s_mov_b32 s0, s1
	s_and_saveexec_b32 s37, s38
; %bb.82:
	v_cmp_gt_f32_e64 s0, v4, v12
	s_delay_alu instid0(VALU_DEP_1) | instskip(NEXT) | instid1(SALU_CYCLE_1)
	s_and_b32 s0, s1, s0
	v_cndmask_b32_e64 v4, v12, v4, s0
	s_or_b32 s0, s1, exec_lo
; %bb.83:
	s_or_b32 exec_lo, exec_lo, s37
	s_delay_alu instid0(SALU_CYCLE_1) | instskip(SKIP_1) | instid1(SALU_CYCLE_1)
	s_and_not1_b32 s1, s1, exec_lo
	s_and_b32 s0, s0, exec_lo
	s_or_b32 s1, s1, s0
	s_or_b32 exec_lo, exec_lo, s18
	s_and_saveexec_b32 s18, s23
	s_cbranch_execz .LBB739_47
.LBB739_84:
	global_load_u8 v5, v[2:3], off offset:384
	s_waitcnt vmcnt(0)
	v_and_b32_e32 v5, 1, v5
	s_delay_alu instid0(VALU_DEP_1) | instskip(NEXT) | instid1(VALU_DEP_1)
	v_cmp_eq_u32_e64 s0, 1, v5
	s_xor_b32 s38, s0, -1
	s_mov_b32 s0, s1
	s_and_saveexec_b32 s37, s38
; %bb.85:
	v_cmp_gt_f32_e64 s0, v4, v11
	s_delay_alu instid0(VALU_DEP_1) | instskip(NEXT) | instid1(SALU_CYCLE_1)
	s_and_b32 s0, s1, s0
	v_cndmask_b32_e64 v4, v11, v4, s0
	s_or_b32 s0, s1, exec_lo
; %bb.86:
	s_or_b32 exec_lo, exec_lo, s37
	s_delay_alu instid0(SALU_CYCLE_1) | instskip(SKIP_1) | instid1(SALU_CYCLE_1)
	s_and_not1_b32 s1, s1, exec_lo
	s_and_b32 s0, s0, exec_lo
	s_or_b32 s1, s1, s0
	s_or_b32 exec_lo, exec_lo, s18
	s_and_saveexec_b32 s18, s22
	s_cbranch_execz .LBB739_48
.LBB739_87:
	global_load_u8 v5, v[2:3], off offset:416
	s_waitcnt vmcnt(0)
	v_and_b32_e32 v5, 1, v5
	s_delay_alu instid0(VALU_DEP_1) | instskip(NEXT) | instid1(VALU_DEP_1)
	v_cmp_eq_u32_e64 s0, 1, v5
	s_xor_b32 s38, s0, -1
	s_mov_b32 s0, s1
	s_and_saveexec_b32 s37, s38
; %bb.88:
	v_cmp_gt_f32_e64 s0, v4, v10
	s_delay_alu instid0(VALU_DEP_1) | instskip(NEXT) | instid1(SALU_CYCLE_1)
	s_and_b32 s0, s1, s0
	v_cndmask_b32_e64 v4, v10, v4, s0
	s_or_b32 s0, s1, exec_lo
; %bb.89:
	s_or_b32 exec_lo, exec_lo, s37
	s_delay_alu instid0(SALU_CYCLE_1) | instskip(SKIP_1) | instid1(SALU_CYCLE_1)
	s_and_not1_b32 s1, s1, exec_lo
	s_and_b32 s0, s0, exec_lo
	s_or_b32 s1, s1, s0
	s_or_b32 exec_lo, exec_lo, s18
	s_and_saveexec_b32 s18, s19
	s_cbranch_execz .LBB739_49
.LBB739_90:
	global_load_u8 v5, v[2:3], off offset:448
	s_waitcnt vmcnt(0)
	v_and_b32_e32 v5, 1, v5
	s_delay_alu instid0(VALU_DEP_1) | instskip(NEXT) | instid1(VALU_DEP_1)
	v_cmp_eq_u32_e64 s0, 1, v5
	s_xor_b32 s38, s0, -1
	s_mov_b32 s0, s1
	s_and_saveexec_b32 s37, s38
; %bb.91:
	v_cmp_gt_f32_e64 s0, v4, v9
	s_delay_alu instid0(VALU_DEP_1) | instskip(NEXT) | instid1(SALU_CYCLE_1)
	s_and_b32 s0, s1, s0
	v_cndmask_b32_e64 v4, v9, v4, s0
	s_or_b32 s0, s1, exec_lo
; %bb.92:
	s_or_b32 exec_lo, exec_lo, s37
	s_delay_alu instid0(SALU_CYCLE_1) | instskip(SKIP_1) | instid1(SALU_CYCLE_1)
	s_and_not1_b32 s1, s1, exec_lo
	s_and_b32 s0, s0, exec_lo
	s_or_b32 s1, s1, s0
	s_or_b32 exec_lo, exec_lo, s18
	s_and_saveexec_b32 s18, s17
	s_cbranch_execz .LBB739_96
.LBB739_93:
	global_load_u8 v5, v[2:3], off offset:480
	s_waitcnt vmcnt(0)
	v_and_b32_e32 v5, 1, v5
	s_delay_alu instid0(VALU_DEP_1) | instskip(NEXT) | instid1(VALU_DEP_1)
	v_cmp_eq_u32_e64 s0, 1, v5
	s_xor_b32 s38, s0, -1
	s_mov_b32 s0, s1
	s_and_saveexec_b32 s37, s38
; %bb.94:
	v_cmp_gt_f32_e64 s0, v4, v8
	s_delay_alu instid0(VALU_DEP_1) | instskip(NEXT) | instid1(SALU_CYCLE_1)
	s_and_b32 s0, s1, s0
	v_cndmask_b32_e64 v4, v8, v4, s0
	s_or_b32 s0, s1, exec_lo
; %bb.95:
	s_or_b32 exec_lo, exec_lo, s37
	s_delay_alu instid0(SALU_CYCLE_1) | instskip(SKIP_1) | instid1(SALU_CYCLE_1)
	s_and_not1_b32 s1, s1, exec_lo
	s_and_b32 s0, s0, exec_lo
	s_or_b32 s1, s1, s0
.LBB739_96:
	s_or_b32 exec_lo, exec_lo, s18
	v_mbcnt_lo_u32_b32 v6, -1, 0
	v_cndmask_b32_e64 v4, 0xff800000, v4, s1
	s_delay_alu instid0(VALU_DEP_2) | instskip(SKIP_3) | instid1(VALU_DEP_4)
	v_xor_b32_e32 v5, 16, v6
	v_xor_b32_e32 v24, 8, v6
	;; [unrolled: 1-line block ×4, first 2 shown]
	v_cmp_gt_i32_e64 s0, 32, v5
	s_delay_alu instid0(VALU_DEP_1) | instskip(SKIP_1) | instid1(VALU_DEP_2)
	v_cndmask_b32_e64 v5, v6, v5, s0
	v_cmp_gt_i32_e64 s0, 32, v24
	v_lshlrev_b32_e32 v5, 2, v5
	s_delay_alu instid0(VALU_DEP_2) | instskip(SKIP_4) | instid1(VALU_DEP_1)
	v_cndmask_b32_e64 v24, v6, v24, s0
	ds_bpermute_b32 v25, v5, v4
	v_lshlrev_b32_e32 v24, 2, v24
	s_waitcnt lgkmcnt(0)
	v_cmp_lt_f32_e64 s0, v4, v25
	v_cndmask_b32_e64 v4, v4, v25, s0
	v_xor_b32_e32 v25, 4, v6
	ds_bpermute_b32 v26, v24, v4
	v_cmp_gt_i32_e64 s0, 32, v25
	s_delay_alu instid0(VALU_DEP_1) | instskip(NEXT) | instid1(VALU_DEP_1)
	v_cndmask_b32_e64 v25, v6, v25, s0
	v_lshlrev_b32_e32 v25, 2, v25
	s_waitcnt lgkmcnt(0)
	v_cmp_lt_f32_e64 s0, v4, v26
	s_delay_alu instid0(VALU_DEP_1) | instskip(SKIP_3) | instid1(VALU_DEP_1)
	v_cndmask_b32_e64 v4, v4, v26, s0
	v_cmp_gt_i32_e64 s0, 32, v27
	ds_bpermute_b32 v26, v25, v4
	v_cndmask_b32_e64 v27, v6, v27, s0
	v_lshlrev_b32_e32 v27, 2, v27
	s_waitcnt lgkmcnt(0)
	v_cmp_lt_f32_e64 s0, v4, v26
	s_delay_alu instid0(VALU_DEP_1) | instskip(SKIP_3) | instid1(VALU_DEP_1)
	v_cndmask_b32_e64 v4, v4, v26, s0
	v_cmp_gt_i32_e64 s0, 32, v28
	ds_bpermute_b32 v26, v27, v4
	v_cndmask_b32_e64 v6, v6, v28, s0
	v_lshlrev_b32_e32 v28, 2, v6
	s_waitcnt lgkmcnt(0)
	v_cmp_lt_f32_e64 s0, v4, v26
	s_delay_alu instid0(VALU_DEP_1) | instskip(SKIP_4) | instid1(VALU_DEP_1)
	v_cndmask_b32_e64 v6, v4, v26, s0
	v_mov_b32_e32 v4, 0
	ds_bpermute_b32 v26, v28, v6
	s_waitcnt lgkmcnt(0)
	v_cmp_lt_f32_e64 s0, v6, v26
	v_cndmask_b32_e64 v29, v6, v26, s0
	v_mov_b32_e32 v26, 0
	s_and_saveexec_b32 s1, s36
	s_cbranch_execz .LBB739_100
; %bb.97:
	global_load_u8 v6, v[2:3], off
	v_mov_b32_e32 v26, 0
	s_waitcnt vmcnt(0)
	v_and_b32_e32 v6, 1, v6
	s_delay_alu instid0(VALU_DEP_1) | instskip(NEXT) | instid1(VALU_DEP_1)
	v_cmp_eq_u32_e64 s0, 1, v6
	s_xor_b32 s0, s0, -1
	s_delay_alu instid0(SALU_CYCLE_1)
	s_and_saveexec_b32 s18, s0
	s_cbranch_execz .LBB739_99
; %bb.98:
	v_sub_f32_e32 v6, v23, v29
	s_delay_alu instid0(VALU_DEP_1) | instskip(SKIP_1) | instid1(VALU_DEP_2)
	v_mul_f32_e32 v23, 0x3fb8aa3b, v6
	v_cmp_ngt_f32_e64 s0, 0xc2ce8ed0, v6
	v_fma_f32 v26, 0x3fb8aa3b, v6, -v23
	v_rndne_f32_e32 v30, v23
	s_delay_alu instid0(VALU_DEP_1) | instskip(NEXT) | instid1(VALU_DEP_1)
	v_dual_fmamk_f32 v26, v6, 0x32a5705f, v26 :: v_dual_sub_f32 v23, v23, v30
	v_add_f32_e32 v23, v23, v26
	v_cvt_i32_f32_e32 v26, v30
	s_delay_alu instid0(VALU_DEP_2) | instskip(SKIP_2) | instid1(VALU_DEP_1)
	v_exp_f32_e32 v23, v23
	s_waitcnt_depctr 0xfff
	v_ldexp_f32 v23, v23, v26
	v_cndmask_b32_e64 v23, 0, v23, s0
	v_cmp_nlt_f32_e64 s0, 0x42b17218, v6
	s_delay_alu instid0(VALU_DEP_1)
	v_cndmask_b32_e64 v26, 0x7f800000, v23, s0
.LBB739_99:
	s_or_b32 exec_lo, exec_lo, s18
.LBB739_100:
	s_delay_alu instid0(SALU_CYCLE_1) | instskip(NEXT) | instid1(VALU_DEP_1)
	s_or_b32 exec_lo, exec_lo, s1
	v_mov_b32_e32 v23, v26
	s_and_saveexec_b32 s1, s35
	s_cbranch_execz .LBB739_104
; %bb.101:
	global_load_u8 v4, v[2:3], off offset:32
	s_waitcnt vmcnt(0)
	v_dual_mov_b32 v23, v26 :: v_dual_and_b32 v4, 1, v4
	s_delay_alu instid0(VALU_DEP_1) | instskip(SKIP_1) | instid1(VALU_DEP_2)
	v_cmp_eq_u32_e64 s0, 1, v4
	v_mov_b32_e32 v4, 0
	s_xor_b32 s0, s0, -1
	s_delay_alu instid0(SALU_CYCLE_1)
	s_and_saveexec_b32 s18, s0
	s_cbranch_execz .LBB739_103
; %bb.102:
	v_sub_f32_e32 v4, v22, v29
	s_delay_alu instid0(VALU_DEP_1) | instskip(SKIP_1) | instid1(VALU_DEP_2)
	v_mul_f32_e32 v6, 0x3fb8aa3b, v4
	v_cmp_ngt_f32_e64 s0, 0xc2ce8ed0, v4
	v_fma_f32 v22, 0x3fb8aa3b, v4, -v6
	v_rndne_f32_e32 v23, v6
	s_delay_alu instid0(VALU_DEP_2) | instskip(NEXT) | instid1(VALU_DEP_2)
	v_fmamk_f32 v22, v4, 0x32a5705f, v22
	v_sub_f32_e32 v6, v6, v23
	s_delay_alu instid0(VALU_DEP_1) | instskip(SKIP_1) | instid1(VALU_DEP_2)
	v_add_f32_e32 v6, v6, v22
	v_cvt_i32_f32_e32 v22, v23
	v_exp_f32_e32 v6, v6
	s_waitcnt_depctr 0xfff
	v_ldexp_f32 v6, v6, v22
	s_delay_alu instid0(VALU_DEP_1) | instskip(SKIP_1) | instid1(VALU_DEP_1)
	v_cndmask_b32_e64 v6, 0, v6, s0
	v_cmp_nlt_f32_e64 s0, 0x42b17218, v4
	v_cndmask_b32_e64 v4, 0x7f800000, v6, s0
	s_delay_alu instid0(VALU_DEP_1)
	v_add_f32_e32 v23, v26, v4
.LBB739_103:
	s_or_b32 exec_lo, exec_lo, s18
.LBB739_104:
	s_delay_alu instid0(SALU_CYCLE_1)
	s_or_b32 exec_lo, exec_lo, s1
	v_mov_b32_e32 v6, 0
	v_mov_b32_e32 v22, 0
	s_and_saveexec_b32 s1, s34
	s_cbranch_execz .LBB739_108
; %bb.105:
	global_load_u8 v22, v[2:3], off offset:64
	s_waitcnt vmcnt(0)
	v_and_b32_e32 v22, 1, v22
	s_delay_alu instid0(VALU_DEP_1) | instskip(SKIP_1) | instid1(VALU_DEP_2)
	v_cmp_eq_u32_e64 s0, 1, v22
	v_mov_b32_e32 v22, 0
	s_xor_b32 s0, s0, -1
	s_delay_alu instid0(SALU_CYCLE_1)
	s_and_saveexec_b32 s18, s0
	s_cbranch_execz .LBB739_107
; %bb.106:
	v_sub_f32_e32 v21, v21, v29
	s_delay_alu instid0(VALU_DEP_1) | instskip(NEXT) | instid1(VALU_DEP_1)
	v_mul_f32_e32 v22, 0x3fb8aa3b, v21
	v_fma_f32 v30, 0x3fb8aa3b, v21, -v22
	v_rndne_f32_e32 v31, v22
	s_delay_alu instid0(VALU_DEP_1) | instskip(NEXT) | instid1(VALU_DEP_3)
	v_sub_f32_e32 v22, v22, v31
	v_fmamk_f32 v30, v21, 0x32a5705f, v30
	v_cmp_ngt_f32_e64 s0, 0xc2ce8ed0, v21
	s_delay_alu instid0(VALU_DEP_2) | instskip(SKIP_1) | instid1(VALU_DEP_2)
	v_add_f32_e32 v22, v22, v30
	v_cvt_i32_f32_e32 v30, v31
	v_exp_f32_e32 v22, v22
	s_waitcnt_depctr 0xfff
	v_ldexp_f32 v22, v22, v30
	s_delay_alu instid0(VALU_DEP_1) | instskip(SKIP_1) | instid1(VALU_DEP_1)
	v_cndmask_b32_e64 v22, 0, v22, s0
	v_cmp_nlt_f32_e64 s0, 0x42b17218, v21
	v_cndmask_b32_e64 v22, 0x7f800000, v22, s0
	s_delay_alu instid0(VALU_DEP_1)
	v_add_f32_e32 v23, v23, v22
.LBB739_107:
	s_or_b32 exec_lo, exec_lo, s18
.LBB739_108:
	s_delay_alu instid0(SALU_CYCLE_1)
	s_or_b32 exec_lo, exec_lo, s1
	s_and_saveexec_b32 s1, s33
	s_cbranch_execz .LBB739_112
; %bb.109:
	global_load_u8 v6, v[2:3], off offset:96
	s_waitcnt vmcnt(0)
	v_and_b32_e32 v6, 1, v6
	s_delay_alu instid0(VALU_DEP_1) | instskip(SKIP_1) | instid1(VALU_DEP_2)
	v_cmp_eq_u32_e64 s0, 1, v6
	v_mov_b32_e32 v6, 0
	s_xor_b32 s0, s0, -1
	s_delay_alu instid0(SALU_CYCLE_1)
	s_and_saveexec_b32 s18, s0
	s_cbranch_execz .LBB739_111
; %bb.110:
	v_sub_f32_e32 v6, v20, v29
	s_delay_alu instid0(VALU_DEP_1) | instskip(SKIP_1) | instid1(VALU_DEP_2)
	v_mul_f32_e32 v20, 0x3fb8aa3b, v6
	v_cmp_ngt_f32_e64 s0, 0xc2ce8ed0, v6
	v_fma_f32 v21, 0x3fb8aa3b, v6, -v20
	v_rndne_f32_e32 v30, v20
	s_delay_alu instid0(VALU_DEP_1) | instskip(NEXT) | instid1(VALU_DEP_1)
	v_dual_fmamk_f32 v21, v6, 0x32a5705f, v21 :: v_dual_sub_f32 v20, v20, v30
	v_add_f32_e32 v20, v20, v21
	v_cvt_i32_f32_e32 v21, v30
	s_delay_alu instid0(VALU_DEP_2) | instskip(SKIP_2) | instid1(VALU_DEP_1)
	v_exp_f32_e32 v20, v20
	s_waitcnt_depctr 0xfff
	v_ldexp_f32 v20, v20, v21
	v_cndmask_b32_e64 v20, 0, v20, s0
	v_cmp_nlt_f32_e64 s0, 0x42b17218, v6
	s_delay_alu instid0(VALU_DEP_1) | instskip(NEXT) | instid1(VALU_DEP_1)
	v_cndmask_b32_e64 v6, 0x7f800000, v20, s0
	v_add_f32_e32 v23, v23, v6
.LBB739_111:
	s_or_b32 exec_lo, exec_lo, s18
.LBB739_112:
	s_delay_alu instid0(SALU_CYCLE_1)
	s_or_b32 exec_lo, exec_lo, s1
	v_dual_mov_b32 v20, 0 :: v_dual_mov_b32 v21, 0
	s_and_saveexec_b32 s1, s31
	s_cbranch_execz .LBB739_116
; %bb.113:
	global_load_u8 v21, v[2:3], off offset:128
	s_waitcnt vmcnt(0)
	v_and_b32_e32 v21, 1, v21
	s_delay_alu instid0(VALU_DEP_1) | instskip(SKIP_1) | instid1(VALU_DEP_2)
	v_cmp_eq_u32_e64 s0, 1, v21
	v_mov_b32_e32 v21, 0
	s_xor_b32 s0, s0, -1
	s_delay_alu instid0(SALU_CYCLE_1)
	s_and_saveexec_b32 s18, s0
	s_cbranch_execz .LBB739_115
; %bb.114:
	v_sub_f32_e32 v19, v19, v29
	s_delay_alu instid0(VALU_DEP_1) | instskip(SKIP_1) | instid1(VALU_DEP_2)
	v_mul_f32_e32 v21, 0x3fb8aa3b, v19
	v_cmp_ngt_f32_e64 s0, 0xc2ce8ed0, v19
	v_fma_f32 v30, 0x3fb8aa3b, v19, -v21
	v_rndne_f32_e32 v31, v21
	s_delay_alu instid0(VALU_DEP_1) | instskip(NEXT) | instid1(VALU_DEP_1)
	v_dual_fmamk_f32 v30, v19, 0x32a5705f, v30 :: v_dual_sub_f32 v21, v21, v31
	v_add_f32_e32 v21, v21, v30
	v_cvt_i32_f32_e32 v30, v31
	s_delay_alu instid0(VALU_DEP_2) | instskip(SKIP_2) | instid1(VALU_DEP_1)
	v_exp_f32_e32 v21, v21
	s_waitcnt_depctr 0xfff
	v_ldexp_f32 v21, v21, v30
	v_cndmask_b32_e64 v21, 0, v21, s0
	v_cmp_nlt_f32_e64 s0, 0x42b17218, v19
	s_delay_alu instid0(VALU_DEP_1) | instskip(NEXT) | instid1(VALU_DEP_1)
	v_cndmask_b32_e64 v21, 0x7f800000, v21, s0
	v_add_f32_e32 v23, v23, v21
.LBB739_115:
	s_or_b32 exec_lo, exec_lo, s18
.LBB739_116:
	s_delay_alu instid0(SALU_CYCLE_1)
	s_or_b32 exec_lo, exec_lo, s1
	s_and_saveexec_b32 s1, s30
	s_cbranch_execz .LBB739_120
; %bb.117:
	global_load_u8 v19, v[2:3], off offset:160
	s_waitcnt vmcnt(0)
	v_dual_mov_b32 v20, 0 :: v_dual_and_b32 v19, 1, v19
	s_delay_alu instid0(VALU_DEP_1) | instskip(NEXT) | instid1(VALU_DEP_1)
	v_cmp_eq_u32_e64 s0, 1, v19
	s_xor_b32 s0, s0, -1
	s_delay_alu instid0(SALU_CYCLE_1)
	s_and_saveexec_b32 s18, s0
	s_cbranch_execz .LBB739_119
; %bb.118:
	v_sub_f32_e32 v18, v18, v29
	s_delay_alu instid0(VALU_DEP_1) | instskip(NEXT) | instid1(VALU_DEP_1)
	v_mul_f32_e32 v19, 0x3fb8aa3b, v18
	v_fma_f32 v20, 0x3fb8aa3b, v18, -v19
	v_rndne_f32_e32 v30, v19
	s_delay_alu instid0(VALU_DEP_1) | instskip(SKIP_1) | instid1(VALU_DEP_2)
	v_dual_sub_f32 v19, v19, v30 :: v_dual_fmamk_f32 v20, v18, 0x32a5705f, v20
	v_cmp_ngt_f32_e64 s0, 0xc2ce8ed0, v18
	v_add_f32_e32 v19, v19, v20
	v_cvt_i32_f32_e32 v20, v30
	s_delay_alu instid0(VALU_DEP_2) | instskip(SKIP_2) | instid1(VALU_DEP_1)
	v_exp_f32_e32 v19, v19
	s_waitcnt_depctr 0xfff
	v_ldexp_f32 v19, v19, v20
	v_cndmask_b32_e64 v19, 0, v19, s0
	v_cmp_nlt_f32_e64 s0, 0x42b17218, v18
	s_delay_alu instid0(VALU_DEP_1) | instskip(NEXT) | instid1(VALU_DEP_1)
	v_cndmask_b32_e64 v20, 0x7f800000, v19, s0
	v_add_f32_e32 v23, v23, v20
.LBB739_119:
	s_or_b32 exec_lo, exec_lo, s18
.LBB739_120:
	s_delay_alu instid0(SALU_CYCLE_1)
	s_or_b32 exec_lo, exec_lo, s1
	v_dual_mov_b32 v18, 0 :: v_dual_mov_b32 v19, 0
	s_and_saveexec_b32 s1, s29
	s_cbranch_execz .LBB739_124
; %bb.121:
	global_load_u8 v19, v[2:3], off offset:192
	s_waitcnt vmcnt(0)
	v_and_b32_e32 v19, 1, v19
	s_delay_alu instid0(VALU_DEP_1) | instskip(SKIP_1) | instid1(VALU_DEP_2)
	v_cmp_eq_u32_e64 s0, 1, v19
	v_mov_b32_e32 v19, 0
	s_xor_b32 s0, s0, -1
	s_delay_alu instid0(SALU_CYCLE_1)
	s_and_saveexec_b32 s18, s0
	s_cbranch_execz .LBB739_123
; %bb.122:
	v_sub_f32_e32 v17, v17, v29
	s_delay_alu instid0(VALU_DEP_1) | instskip(SKIP_1) | instid1(VALU_DEP_2)
	v_mul_f32_e32 v19, 0x3fb8aa3b, v17
	v_cmp_ngt_f32_e64 s0, 0xc2ce8ed0, v17
	v_fma_f32 v30, 0x3fb8aa3b, v17, -v19
	v_rndne_f32_e32 v31, v19
	s_delay_alu instid0(VALU_DEP_1) | instskip(NEXT) | instid1(VALU_DEP_1)
	v_dual_fmamk_f32 v30, v17, 0x32a5705f, v30 :: v_dual_sub_f32 v19, v19, v31
	v_add_f32_e32 v19, v19, v30
	v_cvt_i32_f32_e32 v30, v31
	s_delay_alu instid0(VALU_DEP_2) | instskip(SKIP_2) | instid1(VALU_DEP_1)
	v_exp_f32_e32 v19, v19
	s_waitcnt_depctr 0xfff
	v_ldexp_f32 v19, v19, v30
	v_cndmask_b32_e64 v19, 0, v19, s0
	v_cmp_nlt_f32_e64 s0, 0x42b17218, v17
	s_delay_alu instid0(VALU_DEP_1) | instskip(NEXT) | instid1(VALU_DEP_1)
	v_cndmask_b32_e64 v19, 0x7f800000, v19, s0
	v_add_f32_e32 v23, v23, v19
.LBB739_123:
	s_or_b32 exec_lo, exec_lo, s18
.LBB739_124:
	s_delay_alu instid0(SALU_CYCLE_1)
	s_or_b32 exec_lo, exec_lo, s1
	s_and_saveexec_b32 s1, s28
	s_cbranch_execz .LBB739_128
; %bb.125:
	global_load_u8 v17, v[2:3], off offset:224
	s_waitcnt vmcnt(0)
	v_dual_mov_b32 v18, 0 :: v_dual_and_b32 v17, 1, v17
	s_delay_alu instid0(VALU_DEP_1) | instskip(NEXT) | instid1(VALU_DEP_1)
	v_cmp_eq_u32_e64 s0, 1, v17
	s_xor_b32 s0, s0, -1
	s_delay_alu instid0(SALU_CYCLE_1)
	s_and_saveexec_b32 s18, s0
	s_cbranch_execz .LBB739_127
; %bb.126:
	v_sub_f32_e32 v16, v16, v29
	s_delay_alu instid0(VALU_DEP_1) | instskip(NEXT) | instid1(VALU_DEP_1)
	v_mul_f32_e32 v17, 0x3fb8aa3b, v16
	v_fma_f32 v18, 0x3fb8aa3b, v16, -v17
	v_rndne_f32_e32 v30, v17
	s_delay_alu instid0(VALU_DEP_1) | instskip(SKIP_1) | instid1(VALU_DEP_2)
	v_dual_sub_f32 v17, v17, v30 :: v_dual_fmamk_f32 v18, v16, 0x32a5705f, v18
	v_cmp_ngt_f32_e64 s0, 0xc2ce8ed0, v16
	v_add_f32_e32 v17, v17, v18
	v_cvt_i32_f32_e32 v18, v30
	s_delay_alu instid0(VALU_DEP_2) | instskip(SKIP_2) | instid1(VALU_DEP_1)
	v_exp_f32_e32 v17, v17
	s_waitcnt_depctr 0xfff
	v_ldexp_f32 v17, v17, v18
	v_cndmask_b32_e64 v17, 0, v17, s0
	v_cmp_nlt_f32_e64 s0, 0x42b17218, v16
	s_delay_alu instid0(VALU_DEP_1) | instskip(NEXT) | instid1(VALU_DEP_1)
	v_cndmask_b32_e64 v18, 0x7f800000, v17, s0
	v_add_f32_e32 v23, v23, v18
.LBB739_127:
	s_or_b32 exec_lo, exec_lo, s18
.LBB739_128:
	s_delay_alu instid0(SALU_CYCLE_1)
	s_or_b32 exec_lo, exec_lo, s1
	v_dual_mov_b32 v16, 0 :: v_dual_mov_b32 v17, 0
	s_and_saveexec_b32 s1, s27
	s_cbranch_execz .LBB739_132
; %bb.129:
	global_load_u8 v17, v[2:3], off offset:256
	s_waitcnt vmcnt(0)
	v_and_b32_e32 v17, 1, v17
	s_delay_alu instid0(VALU_DEP_1) | instskip(SKIP_1) | instid1(VALU_DEP_2)
	v_cmp_eq_u32_e64 s0, 1, v17
	v_mov_b32_e32 v17, 0
	s_xor_b32 s0, s0, -1
	s_delay_alu instid0(SALU_CYCLE_1)
	s_and_saveexec_b32 s18, s0
	s_cbranch_execz .LBB739_131
; %bb.130:
	v_sub_f32_e32 v15, v15, v29
	s_delay_alu instid0(VALU_DEP_1) | instskip(SKIP_1) | instid1(VALU_DEP_2)
	v_mul_f32_e32 v17, 0x3fb8aa3b, v15
	v_cmp_ngt_f32_e64 s0, 0xc2ce8ed0, v15
	v_fma_f32 v30, 0x3fb8aa3b, v15, -v17
	v_rndne_f32_e32 v31, v17
	s_delay_alu instid0(VALU_DEP_1) | instskip(NEXT) | instid1(VALU_DEP_1)
	v_dual_fmamk_f32 v30, v15, 0x32a5705f, v30 :: v_dual_sub_f32 v17, v17, v31
	v_add_f32_e32 v17, v17, v30
	v_cvt_i32_f32_e32 v30, v31
	s_delay_alu instid0(VALU_DEP_2) | instskip(SKIP_2) | instid1(VALU_DEP_1)
	v_exp_f32_e32 v17, v17
	s_waitcnt_depctr 0xfff
	v_ldexp_f32 v17, v17, v30
	v_cndmask_b32_e64 v17, 0, v17, s0
	v_cmp_nlt_f32_e64 s0, 0x42b17218, v15
	s_delay_alu instid0(VALU_DEP_1) | instskip(NEXT) | instid1(VALU_DEP_1)
	v_cndmask_b32_e64 v17, 0x7f800000, v17, s0
	v_add_f32_e32 v23, v23, v17
.LBB739_131:
	s_or_b32 exec_lo, exec_lo, s18
.LBB739_132:
	s_delay_alu instid0(SALU_CYCLE_1)
	s_or_b32 exec_lo, exec_lo, s1
	s_and_saveexec_b32 s1, s26
	s_cbranch_execz .LBB739_136
; %bb.133:
	global_load_u8 v15, v[2:3], off offset:288
	s_waitcnt vmcnt(0)
	v_dual_mov_b32 v16, 0 :: v_dual_and_b32 v15, 1, v15
	s_delay_alu instid0(VALU_DEP_1) | instskip(NEXT) | instid1(VALU_DEP_1)
	v_cmp_eq_u32_e64 s0, 1, v15
	s_xor_b32 s0, s0, -1
	s_delay_alu instid0(SALU_CYCLE_1)
	s_and_saveexec_b32 s18, s0
	s_cbranch_execz .LBB739_135
; %bb.134:
	v_sub_f32_e32 v14, v14, v29
	s_delay_alu instid0(VALU_DEP_1) | instskip(NEXT) | instid1(VALU_DEP_1)
	v_mul_f32_e32 v15, 0x3fb8aa3b, v14
	v_fma_f32 v16, 0x3fb8aa3b, v14, -v15
	v_rndne_f32_e32 v30, v15
	s_delay_alu instid0(VALU_DEP_1) | instskip(SKIP_1) | instid1(VALU_DEP_2)
	v_dual_sub_f32 v15, v15, v30 :: v_dual_fmamk_f32 v16, v14, 0x32a5705f, v16
	v_cmp_ngt_f32_e64 s0, 0xc2ce8ed0, v14
	v_add_f32_e32 v15, v15, v16
	v_cvt_i32_f32_e32 v16, v30
	s_delay_alu instid0(VALU_DEP_2) | instskip(SKIP_2) | instid1(VALU_DEP_1)
	v_exp_f32_e32 v15, v15
	s_waitcnt_depctr 0xfff
	v_ldexp_f32 v15, v15, v16
	v_cndmask_b32_e64 v15, 0, v15, s0
	v_cmp_nlt_f32_e64 s0, 0x42b17218, v14
	s_delay_alu instid0(VALU_DEP_1) | instskip(NEXT) | instid1(VALU_DEP_1)
	v_cndmask_b32_e64 v16, 0x7f800000, v15, s0
	v_add_f32_e32 v23, v23, v16
.LBB739_135:
	s_or_b32 exec_lo, exec_lo, s18
.LBB739_136:
	s_delay_alu instid0(SALU_CYCLE_1)
	s_or_b32 exec_lo, exec_lo, s1
	v_dual_mov_b32 v14, 0 :: v_dual_mov_b32 v15, 0
	s_and_saveexec_b32 s1, s25
	s_cbranch_execz .LBB739_140
; %bb.137:
	global_load_u8 v15, v[2:3], off offset:320
	s_waitcnt vmcnt(0)
	v_and_b32_e32 v15, 1, v15
	s_delay_alu instid0(VALU_DEP_1) | instskip(SKIP_1) | instid1(VALU_DEP_2)
	v_cmp_eq_u32_e64 s0, 1, v15
	v_mov_b32_e32 v15, 0
	s_xor_b32 s0, s0, -1
	s_delay_alu instid0(SALU_CYCLE_1)
	s_and_saveexec_b32 s18, s0
	s_cbranch_execz .LBB739_139
; %bb.138:
	v_sub_f32_e32 v13, v13, v29
	s_delay_alu instid0(VALU_DEP_1) | instskip(SKIP_1) | instid1(VALU_DEP_2)
	v_mul_f32_e32 v15, 0x3fb8aa3b, v13
	v_cmp_ngt_f32_e64 s0, 0xc2ce8ed0, v13
	v_fma_f32 v30, 0x3fb8aa3b, v13, -v15
	v_rndne_f32_e32 v31, v15
	s_delay_alu instid0(VALU_DEP_1) | instskip(NEXT) | instid1(VALU_DEP_1)
	v_dual_fmamk_f32 v30, v13, 0x32a5705f, v30 :: v_dual_sub_f32 v15, v15, v31
	v_add_f32_e32 v15, v15, v30
	v_cvt_i32_f32_e32 v30, v31
	s_delay_alu instid0(VALU_DEP_2) | instskip(SKIP_2) | instid1(VALU_DEP_1)
	v_exp_f32_e32 v15, v15
	s_waitcnt_depctr 0xfff
	v_ldexp_f32 v15, v15, v30
	v_cndmask_b32_e64 v15, 0, v15, s0
	v_cmp_nlt_f32_e64 s0, 0x42b17218, v13
	s_delay_alu instid0(VALU_DEP_1) | instskip(NEXT) | instid1(VALU_DEP_1)
	v_cndmask_b32_e64 v15, 0x7f800000, v15, s0
	v_add_f32_e32 v23, v23, v15
.LBB739_139:
	s_or_b32 exec_lo, exec_lo, s18
.LBB739_140:
	s_delay_alu instid0(SALU_CYCLE_1)
	s_or_b32 exec_lo, exec_lo, s1
	s_and_saveexec_b32 s1, s24
	s_cbranch_execz .LBB739_144
; %bb.141:
	global_load_u8 v13, v[2:3], off offset:352
	s_waitcnt vmcnt(0)
	v_dual_mov_b32 v14, 0 :: v_dual_and_b32 v13, 1, v13
	s_delay_alu instid0(VALU_DEP_1) | instskip(NEXT) | instid1(VALU_DEP_1)
	v_cmp_eq_u32_e64 s0, 1, v13
	s_xor_b32 s0, s0, -1
	s_delay_alu instid0(SALU_CYCLE_1)
	s_and_saveexec_b32 s18, s0
	s_cbranch_execz .LBB739_143
; %bb.142:
	v_sub_f32_e32 v12, v12, v29
	s_delay_alu instid0(VALU_DEP_1) | instskip(NEXT) | instid1(VALU_DEP_1)
	v_mul_f32_e32 v13, 0x3fb8aa3b, v12
	v_fma_f32 v14, 0x3fb8aa3b, v12, -v13
	v_rndne_f32_e32 v30, v13
	s_delay_alu instid0(VALU_DEP_1) | instskip(SKIP_1) | instid1(VALU_DEP_2)
	v_dual_sub_f32 v13, v13, v30 :: v_dual_fmamk_f32 v14, v12, 0x32a5705f, v14
	v_cmp_ngt_f32_e64 s0, 0xc2ce8ed0, v12
	v_add_f32_e32 v13, v13, v14
	v_cvt_i32_f32_e32 v14, v30
	s_delay_alu instid0(VALU_DEP_2) | instskip(SKIP_2) | instid1(VALU_DEP_1)
	v_exp_f32_e32 v13, v13
	s_waitcnt_depctr 0xfff
	v_ldexp_f32 v13, v13, v14
	v_cndmask_b32_e64 v13, 0, v13, s0
	v_cmp_nlt_f32_e64 s0, 0x42b17218, v12
	s_delay_alu instid0(VALU_DEP_1) | instskip(NEXT) | instid1(VALU_DEP_1)
	v_cndmask_b32_e64 v14, 0x7f800000, v13, s0
	v_add_f32_e32 v23, v23, v14
.LBB739_143:
	s_or_b32 exec_lo, exec_lo, s18
.LBB739_144:
	s_delay_alu instid0(SALU_CYCLE_1)
	s_or_b32 exec_lo, exec_lo, s1
	v_dual_mov_b32 v12, 0 :: v_dual_mov_b32 v13, 0
	s_and_saveexec_b32 s1, s23
	s_cbranch_execz .LBB739_148
; %bb.145:
	global_load_u8 v13, v[2:3], off offset:384
	s_waitcnt vmcnt(0)
	v_and_b32_e32 v13, 1, v13
	s_delay_alu instid0(VALU_DEP_1) | instskip(SKIP_1) | instid1(VALU_DEP_2)
	v_cmp_eq_u32_e64 s0, 1, v13
	v_mov_b32_e32 v13, 0
	s_xor_b32 s0, s0, -1
	s_delay_alu instid0(SALU_CYCLE_1)
	s_and_saveexec_b32 s18, s0
	s_cbranch_execz .LBB739_147
; %bb.146:
	v_sub_f32_e32 v11, v11, v29
	s_delay_alu instid0(VALU_DEP_1) | instskip(SKIP_1) | instid1(VALU_DEP_2)
	v_mul_f32_e32 v13, 0x3fb8aa3b, v11
	v_cmp_ngt_f32_e64 s0, 0xc2ce8ed0, v11
	v_fma_f32 v30, 0x3fb8aa3b, v11, -v13
	v_rndne_f32_e32 v31, v13
	s_delay_alu instid0(VALU_DEP_1) | instskip(NEXT) | instid1(VALU_DEP_1)
	v_dual_fmamk_f32 v30, v11, 0x32a5705f, v30 :: v_dual_sub_f32 v13, v13, v31
	v_add_f32_e32 v13, v13, v30
	v_cvt_i32_f32_e32 v30, v31
	s_delay_alu instid0(VALU_DEP_2) | instskip(SKIP_2) | instid1(VALU_DEP_1)
	v_exp_f32_e32 v13, v13
	s_waitcnt_depctr 0xfff
	v_ldexp_f32 v13, v13, v30
	v_cndmask_b32_e64 v13, 0, v13, s0
	v_cmp_nlt_f32_e64 s0, 0x42b17218, v11
	s_delay_alu instid0(VALU_DEP_1) | instskip(NEXT) | instid1(VALU_DEP_1)
	v_cndmask_b32_e64 v13, 0x7f800000, v13, s0
	v_add_f32_e32 v23, v23, v13
.LBB739_147:
	s_or_b32 exec_lo, exec_lo, s18
.LBB739_148:
	s_delay_alu instid0(SALU_CYCLE_1)
	s_or_b32 exec_lo, exec_lo, s1
	s_and_saveexec_b32 s1, s22
	s_cbranch_execz .LBB739_152
; %bb.149:
	global_load_u8 v11, v[2:3], off offset:416
	s_waitcnt vmcnt(0)
	v_dual_mov_b32 v12, 0 :: v_dual_and_b32 v11, 1, v11
	s_delay_alu instid0(VALU_DEP_1) | instskip(NEXT) | instid1(VALU_DEP_1)
	v_cmp_eq_u32_e64 s0, 1, v11
	s_xor_b32 s0, s0, -1
	s_delay_alu instid0(SALU_CYCLE_1)
	s_and_saveexec_b32 s18, s0
	s_cbranch_execz .LBB739_151
; %bb.150:
	v_sub_f32_e32 v10, v10, v29
	s_delay_alu instid0(VALU_DEP_1) | instskip(NEXT) | instid1(VALU_DEP_1)
	v_mul_f32_e32 v11, 0x3fb8aa3b, v10
	v_fma_f32 v12, 0x3fb8aa3b, v10, -v11
	v_rndne_f32_e32 v30, v11
	s_delay_alu instid0(VALU_DEP_1) | instskip(SKIP_1) | instid1(VALU_DEP_2)
	v_dual_sub_f32 v11, v11, v30 :: v_dual_fmamk_f32 v12, v10, 0x32a5705f, v12
	v_cmp_ngt_f32_e64 s0, 0xc2ce8ed0, v10
	v_add_f32_e32 v11, v11, v12
	v_cvt_i32_f32_e32 v12, v30
	s_delay_alu instid0(VALU_DEP_2) | instskip(SKIP_2) | instid1(VALU_DEP_1)
	v_exp_f32_e32 v11, v11
	s_waitcnt_depctr 0xfff
	v_ldexp_f32 v11, v11, v12
	v_cndmask_b32_e64 v11, 0, v11, s0
	v_cmp_nlt_f32_e64 s0, 0x42b17218, v10
	s_delay_alu instid0(VALU_DEP_1) | instskip(NEXT) | instid1(VALU_DEP_1)
	v_cndmask_b32_e64 v12, 0x7f800000, v11, s0
	v_add_f32_e32 v23, v23, v12
.LBB739_151:
	s_or_b32 exec_lo, exec_lo, s18
.LBB739_152:
	s_delay_alu instid0(SALU_CYCLE_1)
	s_or_b32 exec_lo, exec_lo, s1
	v_dual_mov_b32 v10, 0 :: v_dual_mov_b32 v11, 0
	s_and_saveexec_b32 s1, s19
	s_cbranch_execz .LBB739_156
; %bb.153:
	global_load_u8 v11, v[2:3], off offset:448
	s_waitcnt vmcnt(0)
	v_and_b32_e32 v11, 1, v11
	s_delay_alu instid0(VALU_DEP_1) | instskip(SKIP_1) | instid1(VALU_DEP_2)
	v_cmp_eq_u32_e64 s0, 1, v11
	v_mov_b32_e32 v11, 0
	s_xor_b32 s0, s0, -1
	s_delay_alu instid0(SALU_CYCLE_1)
	s_and_saveexec_b32 s18, s0
	s_cbranch_execz .LBB739_155
; %bb.154:
	v_sub_f32_e32 v9, v9, v29
	s_delay_alu instid0(VALU_DEP_1) | instskip(SKIP_1) | instid1(VALU_DEP_2)
	v_mul_f32_e32 v11, 0x3fb8aa3b, v9
	v_cmp_ngt_f32_e64 s0, 0xc2ce8ed0, v9
	v_fma_f32 v30, 0x3fb8aa3b, v9, -v11
	v_rndne_f32_e32 v31, v11
	s_delay_alu instid0(VALU_DEP_1) | instskip(NEXT) | instid1(VALU_DEP_1)
	v_dual_fmamk_f32 v30, v9, 0x32a5705f, v30 :: v_dual_sub_f32 v11, v11, v31
	v_add_f32_e32 v11, v11, v30
	v_cvt_i32_f32_e32 v30, v31
	s_delay_alu instid0(VALU_DEP_2) | instskip(SKIP_2) | instid1(VALU_DEP_1)
	v_exp_f32_e32 v11, v11
	s_waitcnt_depctr 0xfff
	v_ldexp_f32 v11, v11, v30
	v_cndmask_b32_e64 v11, 0, v11, s0
	v_cmp_nlt_f32_e64 s0, 0x42b17218, v9
	s_delay_alu instid0(VALU_DEP_1) | instskip(NEXT) | instid1(VALU_DEP_1)
	v_cndmask_b32_e64 v11, 0x7f800000, v11, s0
	v_add_f32_e32 v23, v23, v11
.LBB739_155:
	s_or_b32 exec_lo, exec_lo, s18
.LBB739_156:
	s_delay_alu instid0(SALU_CYCLE_1)
	s_or_b32 exec_lo, exec_lo, s1
	s_and_saveexec_b32 s1, s17
	s_cbranch_execz .LBB739_160
; %bb.157:
	global_load_u8 v2, v[2:3], off offset:480
	v_mov_b32_e32 v10, 0
	s_waitcnt vmcnt(0)
	v_and_b32_e32 v2, 1, v2
	s_delay_alu instid0(VALU_DEP_1) | instskip(NEXT) | instid1(VALU_DEP_1)
	v_cmp_eq_u32_e64 s0, 1, v2
	s_xor_b32 s0, s0, -1
	s_delay_alu instid0(SALU_CYCLE_1)
	s_and_saveexec_b32 s17, s0
	s_cbranch_execz .LBB739_159
; %bb.158:
	v_sub_f32_e32 v2, v8, v29
	s_delay_alu instid0(VALU_DEP_1) | instskip(NEXT) | instid1(VALU_DEP_1)
	v_mul_f32_e32 v3, 0x3fb8aa3b, v2
	v_fma_f32 v8, 0x3fb8aa3b, v2, -v3
	v_rndne_f32_e32 v9, v3
	s_delay_alu instid0(VALU_DEP_1) | instskip(NEXT) | instid1(VALU_DEP_1)
	v_dual_fmamk_f32 v8, v2, 0x32a5705f, v8 :: v_dual_sub_f32 v3, v3, v9
	v_add_f32_e32 v3, v3, v8
	v_cvt_i32_f32_e32 v8, v9
	v_cmp_ngt_f32_e64 s0, 0xc2ce8ed0, v2
	s_delay_alu instid0(VALU_DEP_3) | instskip(SKIP_2) | instid1(VALU_DEP_1)
	v_exp_f32_e32 v3, v3
	s_waitcnt_depctr 0xfff
	v_ldexp_f32 v3, v3, v8
	v_cndmask_b32_e64 v3, 0, v3, s0
	v_cmp_nlt_f32_e64 s0, 0x42b17218, v2
	s_delay_alu instid0(VALU_DEP_1) | instskip(NEXT) | instid1(VALU_DEP_1)
	v_cndmask_b32_e64 v10, 0x7f800000, v3, s0
	v_add_f32_e32 v23, v23, v10
.LBB739_159:
	s_or_b32 exec_lo, exec_lo, s17
.LBB739_160:
	s_delay_alu instid0(SALU_CYCLE_1)
	s_or_b32 exec_lo, exec_lo, s1
	ds_bpermute_b32 v2, v5, v23
	s_mov_b32 s1, exec_lo
	s_waitcnt lgkmcnt(0)
	v_add_f32_e32 v2, v23, v2
	ds_bpermute_b32 v3, v24, v2
	s_waitcnt lgkmcnt(0)
	v_add_f32_e32 v2, v2, v3
	ds_bpermute_b32 v3, v25, v2
	s_waitcnt lgkmcnt(0)
	v_add_f32_e32 v2, v2, v3
	ds_bpermute_b32 v3, v27, v2
	s_waitcnt lgkmcnt(0)
	v_add_f32_e32 v2, v2, v3
	ds_bpermute_b32 v3, v28, v2
	v_cmpx_lt_i32_e32 0, v7
	s_cbranch_execz .LBB739_210
; %bb.161:
	s_and_b32 exec_lo, exec_lo, vcc_lo
	s_cbranch_execz .LBB739_210
; %bb.162:
	s_waitcnt lgkmcnt(0)
	v_dual_add_f32 v2, v2, v3 :: v_dual_mov_b32 v3, 0x7e00
	s_delay_alu instid0(VALU_DEP_1) | instskip(NEXT) | instid1(VALU_DEP_1)
	v_cmp_neq_f32_e64 s0, 0, v2
	s_and_saveexec_b32 s1, s0
	s_cbranch_execz .LBB739_164
; %bb.163:
	v_div_scale_f32 v3, null, v2, v2, v26
	s_delay_alu instid0(VALU_DEP_1) | instskip(SKIP_2) | instid1(VALU_DEP_1)
	v_rcp_f32_e32 v5, v3
	s_waitcnt_depctr 0xfff
	v_fma_f32 v7, -v3, v5, 1.0
	v_fmac_f32_e32 v5, v7, v5
	v_div_scale_f32 v7, vcc_lo, v26, v2, v26
	s_delay_alu instid0(VALU_DEP_1) | instskip(NEXT) | instid1(VALU_DEP_1)
	v_mul_f32_e32 v8, v7, v5
	v_fma_f32 v9, -v3, v8, v7
	s_delay_alu instid0(VALU_DEP_1) | instskip(NEXT) | instid1(VALU_DEP_1)
	v_fmac_f32_e32 v8, v9, v5
	v_fma_f32 v3, -v3, v8, v7
	s_delay_alu instid0(VALU_DEP_1) | instskip(NEXT) | instid1(VALU_DEP_1)
	v_div_fmas_f32 v3, v3, v5, v8
	v_div_fixup_f32 v3, v3, v2, v26
	s_delay_alu instid0(VALU_DEP_1)
	v_cvt_f16_f32_e32 v3, v3
.LBB739_164:
	s_or_b32 exec_lo, exec_lo, s1
	v_add_co_u32 v0, vcc_lo, s20, v0
	v_add_co_ci_u32_e32 v1, vcc_lo, s21, v1, vcc_lo
	global_store_b16 v[0:1], v3, off
	s_and_b32 exec_lo, exec_lo, s16
	s_cbranch_execz .LBB739_210
; %bb.165:
	v_mov_b32_e32 v3, 0x7e00
	s_and_saveexec_b32 s1, s0
	s_cbranch_execz .LBB739_167
; %bb.166:
	v_div_scale_f32 v3, null, v2, v2, v4
	s_delay_alu instid0(VALU_DEP_1) | instskip(SKIP_2) | instid1(VALU_DEP_1)
	v_rcp_f32_e32 v5, v3
	s_waitcnt_depctr 0xfff
	v_fma_f32 v7, -v3, v5, 1.0
	v_fmac_f32_e32 v5, v7, v5
	v_div_scale_f32 v7, vcc_lo, v4, v2, v4
	s_delay_alu instid0(VALU_DEP_1) | instskip(NEXT) | instid1(VALU_DEP_1)
	v_mul_f32_e32 v8, v7, v5
	v_fma_f32 v9, -v3, v8, v7
	s_delay_alu instid0(VALU_DEP_1) | instskip(NEXT) | instid1(VALU_DEP_1)
	v_fmac_f32_e32 v8, v9, v5
	v_fma_f32 v3, -v3, v8, v7
	s_delay_alu instid0(VALU_DEP_1) | instskip(NEXT) | instid1(VALU_DEP_1)
	v_div_fmas_f32 v3, v3, v5, v8
	v_div_fixup_f32 v3, v3, v2, v4
	s_delay_alu instid0(VALU_DEP_1)
	v_cvt_f16_f32_e32 v3, v3
.LBB739_167:
	s_or_b32 exec_lo, exec_lo, s1
	global_store_b16 v[0:1], v3, off offset:64
	s_and_b32 exec_lo, exec_lo, s15
	s_cbranch_execz .LBB739_210
; %bb.168:
	v_mov_b32_e32 v3, 0x7e00
	s_and_saveexec_b32 s1, s0
	s_cbranch_execz .LBB739_170
; %bb.169:
	v_div_scale_f32 v3, null, v2, v2, v22
	s_delay_alu instid0(VALU_DEP_1) | instskip(SKIP_2) | instid1(VALU_DEP_1)
	v_rcp_f32_e32 v4, v3
	s_waitcnt_depctr 0xfff
	v_fma_f32 v5, -v3, v4, 1.0
	v_fmac_f32_e32 v4, v5, v4
	v_div_scale_f32 v5, vcc_lo, v22, v2, v22
	s_delay_alu instid0(VALU_DEP_1) | instskip(NEXT) | instid1(VALU_DEP_1)
	v_mul_f32_e32 v7, v5, v4
	v_fma_f32 v8, -v3, v7, v5
	s_delay_alu instid0(VALU_DEP_1) | instskip(NEXT) | instid1(VALU_DEP_1)
	v_fmac_f32_e32 v7, v8, v4
	v_fma_f32 v3, -v3, v7, v5
	s_delay_alu instid0(VALU_DEP_1) | instskip(NEXT) | instid1(VALU_DEP_1)
	v_div_fmas_f32 v3, v3, v4, v7
	v_div_fixup_f32 v3, v3, v2, v22
	s_delay_alu instid0(VALU_DEP_1)
	v_cvt_f16_f32_e32 v3, v3
.LBB739_170:
	s_or_b32 exec_lo, exec_lo, s1
	global_store_b16 v[0:1], v3, off offset:128
	;; [unrolled: 28-line block ×15, first 2 shown]
.LBB739_210:
	s_nop 0
	s_sendmsg sendmsg(MSG_DEALLOC_VGPRS)
	s_endpgm
	.section	.rodata,"a",@progbits
	.p2align	6, 0x0
	.amdhsa_kernel _ZN12_GLOBAL__N_120softmax_warp_forwardIN3c104HalfES2_fLi9ELb0ELb1ELi32EEEvPT0_PKT_iiiPKbib
		.amdhsa_group_segment_fixed_size 0
		.amdhsa_private_segment_fixed_size 0
		.amdhsa_kernarg_size 304
		.amdhsa_user_sgpr_count 15
		.amdhsa_user_sgpr_dispatch_ptr 0
		.amdhsa_user_sgpr_queue_ptr 0
		.amdhsa_user_sgpr_kernarg_segment_ptr 1
		.amdhsa_user_sgpr_dispatch_id 0
		.amdhsa_user_sgpr_private_segment_size 0
		.amdhsa_wavefront_size32 1
		.amdhsa_uses_dynamic_stack 0
		.amdhsa_enable_private_segment 0
		.amdhsa_system_sgpr_workgroup_id_x 1
		.amdhsa_system_sgpr_workgroup_id_y 0
		.amdhsa_system_sgpr_workgroup_id_z 0
		.amdhsa_system_sgpr_workgroup_info 0
		.amdhsa_system_vgpr_workitem_id 1
		.amdhsa_next_free_vgpr 32
		.amdhsa_next_free_sgpr 39
		.amdhsa_reserve_vcc 1
		.amdhsa_float_round_mode_32 0
		.amdhsa_float_round_mode_16_64 0
		.amdhsa_float_denorm_mode_32 3
		.amdhsa_float_denorm_mode_16_64 3
		.amdhsa_dx10_clamp 1
		.amdhsa_ieee_mode 1
		.amdhsa_fp16_overflow 0
		.amdhsa_workgroup_processor_mode 1
		.amdhsa_memory_ordered 1
		.amdhsa_forward_progress 0
		.amdhsa_shared_vgpr_count 0
		.amdhsa_exception_fp_ieee_invalid_op 0
		.amdhsa_exception_fp_denorm_src 0
		.amdhsa_exception_fp_ieee_div_zero 0
		.amdhsa_exception_fp_ieee_overflow 0
		.amdhsa_exception_fp_ieee_underflow 0
		.amdhsa_exception_fp_ieee_inexact 0
		.amdhsa_exception_int_div_zero 0
	.end_amdhsa_kernel
	.section	.text._ZN12_GLOBAL__N_120softmax_warp_forwardIN3c104HalfES2_fLi9ELb0ELb1ELi32EEEvPT0_PKT_iiiPKbib,"axG",@progbits,_ZN12_GLOBAL__N_120softmax_warp_forwardIN3c104HalfES2_fLi9ELb0ELb1ELi32EEEvPT0_PKT_iiiPKbib,comdat
.Lfunc_end739:
	.size	_ZN12_GLOBAL__N_120softmax_warp_forwardIN3c104HalfES2_fLi9ELb0ELb1ELi32EEEvPT0_PKT_iiiPKbib, .Lfunc_end739-_ZN12_GLOBAL__N_120softmax_warp_forwardIN3c104HalfES2_fLi9ELb0ELb1ELi32EEEvPT0_PKT_iiiPKbib
                                        ; -- End function
	.section	.AMDGPU.csdata,"",@progbits
; Kernel info:
; codeLenInByte = 8924
; NumSgprs: 41
; NumVgprs: 32
; ScratchSize: 0
; MemoryBound: 0
; FloatMode: 240
; IeeeMode: 1
; LDSByteSize: 0 bytes/workgroup (compile time only)
; SGPRBlocks: 5
; VGPRBlocks: 3
; NumSGPRsForWavesPerEU: 41
; NumVGPRsForWavesPerEU: 32
; Occupancy: 16
; WaveLimiterHint : 0
; COMPUTE_PGM_RSRC2:SCRATCH_EN: 0
; COMPUTE_PGM_RSRC2:USER_SGPR: 15
; COMPUTE_PGM_RSRC2:TRAP_HANDLER: 0
; COMPUTE_PGM_RSRC2:TGID_X_EN: 1
; COMPUTE_PGM_RSRC2:TGID_Y_EN: 0
; COMPUTE_PGM_RSRC2:TGID_Z_EN: 0
; COMPUTE_PGM_RSRC2:TIDIG_COMP_CNT: 1
	.section	.text._ZN12_GLOBAL__N_120softmax_warp_forwardIN3c104HalfES2_fLi10ELb0ELb1ELi64EEEvPT0_PKT_iiiPKbib,"axG",@progbits,_ZN12_GLOBAL__N_120softmax_warp_forwardIN3c104HalfES2_fLi10ELb0ELb1ELi64EEEvPT0_PKT_iiiPKbib,comdat
	.globl	_ZN12_GLOBAL__N_120softmax_warp_forwardIN3c104HalfES2_fLi10ELb0ELb1ELi64EEEvPT0_PKT_iiiPKbib ; -- Begin function _ZN12_GLOBAL__N_120softmax_warp_forwardIN3c104HalfES2_fLi10ELb0ELb1ELi64EEEvPT0_PKT_iiiPKbib
	.p2align	8
	.type	_ZN12_GLOBAL__N_120softmax_warp_forwardIN3c104HalfES2_fLi10ELb0ELb1ELi64EEEvPT0_PKT_iiiPKbib,@function
_ZN12_GLOBAL__N_120softmax_warp_forwardIN3c104HalfES2_fLi10ELb0ELb1ELi64EEEvPT0_PKT_iiiPKbib: ; @_ZN12_GLOBAL__N_120softmax_warp_forwardIN3c104HalfES2_fLi10ELb0ELb1ELi64EEEvPT0_PKT_iiiPKbib
; %bb.0:
	s_clause 0x1
	s_load_b32 s2, s[0:1], 0x3c
	s_load_b128 s[16:19], s[0:1], 0x10
	v_bfe_u32 v3, v0, 10, 10
	s_waitcnt lgkmcnt(0)
	s_lshr_b32 s2, s2, 16
	s_delay_alu instid0(VALU_DEP_1) | instid1(SALU_CYCLE_1)
	v_mad_u64_u32 v[1:2], null, s15, s2, v[3:4]
	s_load_b64 s[2:3], s[0:1], 0x28
	v_and_b32_e32 v2, 0x3ff, v0
	s_delay_alu instid0(VALU_DEP_2) | instskip(NEXT) | instid1(VALU_DEP_1)
	v_mul_lo_u32 v7, v1, s17
	v_add_nc_u32_e32 v5, v7, v2
	s_delay_alu instid0(VALU_DEP_1) | instskip(SKIP_3) | instid1(VALU_DEP_2)
	v_ashrrev_i32_e32 v6, 31, v5
	v_mov_b32_e32 v3, v5
	s_waitcnt lgkmcnt(0)
	s_bitcmp0_b32 s3, 0
	v_mov_b32_e32 v4, v6
	s_cbranch_scc1 .LBB740_2
; %bb.1:
	s_abs_i32 s3, s2
	v_sub_nc_u32_e32 v4, 0, v7
	v_cvt_f32_u32_e32 v0, s3
	s_sub_i32 s4, 0, s3
	s_delay_alu instid0(VALU_DEP_2) | instskip(NEXT) | instid1(VALU_DEP_2)
	v_max_i32_e32 v4, v7, v4
	v_rcp_iflag_f32_e32 v0, v0
	s_waitcnt_depctr 0xfff
	v_mul_f32_e32 v0, 0x4f7ffffe, v0
	s_delay_alu instid0(VALU_DEP_1) | instskip(NEXT) | instid1(VALU_DEP_1)
	v_cvt_u32_f32_e32 v0, v0
	v_mul_lo_u32 v3, s4, v0
	s_delay_alu instid0(VALU_DEP_1) | instskip(NEXT) | instid1(VALU_DEP_1)
	v_mul_hi_u32 v3, v0, v3
	v_add_nc_u32_e32 v0, v0, v3
	s_delay_alu instid0(VALU_DEP_1) | instskip(NEXT) | instid1(VALU_DEP_1)
	v_mul_hi_u32 v0, v4, v0
	v_mul_lo_u32 v3, v0, s3
	s_delay_alu instid0(VALU_DEP_1) | instskip(SKIP_1) | instid1(VALU_DEP_2)
	v_sub_nc_u32_e32 v3, v4, v3
	v_add_nc_u32_e32 v4, 1, v0
	v_subrev_nc_u32_e32 v8, s3, v3
	v_cmp_le_u32_e32 vcc_lo, s3, v3
	s_delay_alu instid0(VALU_DEP_2) | instskip(NEXT) | instid1(VALU_DEP_4)
	v_cndmask_b32_e32 v3, v3, v8, vcc_lo
	v_cndmask_b32_e32 v0, v0, v4, vcc_lo
	v_xor_b32_e32 v4, s2, v7
	s_delay_alu instid0(VALU_DEP_3) | instskip(NEXT) | instid1(VALU_DEP_3)
	v_cmp_le_u32_e32 vcc_lo, s3, v3
	v_add_nc_u32_e32 v7, 1, v0
	s_delay_alu instid0(VALU_DEP_3) | instskip(NEXT) | instid1(VALU_DEP_2)
	v_ashrrev_i32_e32 v4, 31, v4
	v_cndmask_b32_e32 v0, v0, v7, vcc_lo
	s_delay_alu instid0(VALU_DEP_1) | instskip(NEXT) | instid1(VALU_DEP_1)
	v_xor_b32_e32 v0, v0, v4
	v_sub_nc_u32_e32 v0, v0, v4
	s_delay_alu instid0(VALU_DEP_1) | instskip(NEXT) | instid1(VALU_DEP_1)
	v_mad_u64_u32 v[3:4], null, v0, s17, v[2:3]
	v_ashrrev_i32_e32 v4, 31, v3
.LBB740_2:
	s_load_b128 s[20:23], s[0:1], 0x0
	v_sub_nc_u32_e32 v7, s16, v1
	v_lshlrev_b64 v[0:1], 1, v[5:6]
	v_cmp_gt_i32_e32 vcc_lo, s18, v2
	v_dual_mov_b32 v22, 0xff800000 :: v_dual_mov_b32 v23, 0xff800000
	s_delay_alu instid0(VALU_DEP_4) | instskip(NEXT) | instid1(VALU_DEP_1)
	v_cmp_lt_i32_e64 s17, 0, v7
	s_and_b32 s36, s17, vcc_lo
	s_waitcnt lgkmcnt(0)
	v_add_co_u32 v5, s2, s22, v0
	s_delay_alu instid0(VALU_DEP_1)
	v_add_co_ci_u32_e64 v6, s2, s23, v1, s2
	s_and_saveexec_b32 s2, s36
	s_cbranch_execz .LBB740_4
; %bb.3:
	global_load_u16 v8, v[5:6], off
	s_waitcnt vmcnt(0)
	v_cvt_f32_f16_e32 v23, v8
.LBB740_4:
	s_or_b32 exec_lo, exec_lo, s2
	v_add_nc_u32_e32 v8, 64, v2
	s_delay_alu instid0(VALU_DEP_1) | instskip(NEXT) | instid1(VALU_DEP_1)
	v_cmp_gt_i32_e64 s16, s18, v8
	s_and_b32 s35, s17, s16
	s_delay_alu instid0(SALU_CYCLE_1)
	s_and_saveexec_b32 s2, s35
	s_cbranch_execz .LBB740_6
; %bb.5:
	global_load_u16 v8, v[5:6], off offset:128
	s_waitcnt vmcnt(0)
	v_cvt_f32_f16_e32 v22, v8
.LBB740_6:
	s_or_b32 exec_lo, exec_lo, s2
	v_add_nc_u32_e32 v8, 0x80, v2
	v_dual_mov_b32 v20, 0xff800000 :: v_dual_mov_b32 v21, 0xff800000
	s_delay_alu instid0(VALU_DEP_2) | instskip(NEXT) | instid1(VALU_DEP_1)
	v_cmp_gt_i32_e64 s15, s18, v8
	s_and_b32 s34, s17, s15
	s_delay_alu instid0(SALU_CYCLE_1)
	s_and_saveexec_b32 s2, s34
	s_cbranch_execz .LBB740_8
; %bb.7:
	global_load_u16 v8, v[5:6], off offset:256
	s_waitcnt vmcnt(0)
	v_cvt_f32_f16_e32 v21, v8
.LBB740_8:
	s_or_b32 exec_lo, exec_lo, s2
	v_add_nc_u32_e32 v8, 0xc0, v2
	s_delay_alu instid0(VALU_DEP_1) | instskip(NEXT) | instid1(VALU_DEP_1)
	v_cmp_gt_i32_e64 s14, s18, v8
	s_and_b32 s33, s17, s14
	s_delay_alu instid0(SALU_CYCLE_1)
	s_and_saveexec_b32 s2, s33
	s_cbranch_execz .LBB740_10
; %bb.9:
	global_load_u16 v8, v[5:6], off offset:384
	s_waitcnt vmcnt(0)
	v_cvt_f32_f16_e32 v20, v8
.LBB740_10:
	s_or_b32 exec_lo, exec_lo, s2
	v_add_nc_u32_e32 v8, 0x100, v2
	v_dual_mov_b32 v18, 0xff800000 :: v_dual_mov_b32 v19, 0xff800000
	s_delay_alu instid0(VALU_DEP_2) | instskip(NEXT) | instid1(VALU_DEP_1)
	v_cmp_gt_i32_e64 s13, s18, v8
	s_and_b32 s31, s17, s13
	s_delay_alu instid0(SALU_CYCLE_1)
	s_and_saveexec_b32 s2, s31
	s_cbranch_execz .LBB740_12
; %bb.11:
	global_load_u16 v8, v[5:6], off offset:512
	s_waitcnt vmcnt(0)
	v_cvt_f32_f16_e32 v19, v8
.LBB740_12:
	;; [unrolled: 27-line block ×6, first 2 shown]
	s_or_b32 exec_lo, exec_lo, s2
	v_add_nc_u32_e32 v8, 0x340, v2
	s_delay_alu instid0(VALU_DEP_1) | instskip(NEXT) | instid1(VALU_DEP_1)
	v_cmp_gt_i32_e64 s4, s18, v8
	s_and_b32 s22, s17, s4
	s_delay_alu instid0(SALU_CYCLE_1)
	s_and_saveexec_b32 s2, s22
	s_cbranch_execz .LBB740_30
; %bb.29:
	global_load_u16 v8, v[5:6], off offset:1664
	s_waitcnt vmcnt(0)
	v_cvt_f32_f16_e32 v10, v8
.LBB740_30:
	s_or_b32 exec_lo, exec_lo, s2
	v_add_nc_u32_e32 v8, 0x380, v2
	v_mov_b32_e32 v9, 0xff800000
	s_delay_alu instid0(VALU_DEP_2) | instskip(SKIP_1) | instid1(VALU_DEP_2)
	v_cmp_gt_i32_e64 s3, s18, v8
	v_mov_b32_e32 v8, 0xff800000
	s_and_b32 s19, s17, s3
	s_delay_alu instid0(SALU_CYCLE_1)
	s_and_saveexec_b32 s2, s19
	s_cbranch_execz .LBB740_32
; %bb.31:
	global_load_u16 v9, v[5:6], off offset:1792
	s_waitcnt vmcnt(0)
	v_cvt_f32_f16_e32 v9, v9
.LBB740_32:
	s_or_b32 exec_lo, exec_lo, s2
	v_add_nc_u32_e32 v2, 0x3c0, v2
	s_delay_alu instid0(VALU_DEP_1) | instskip(NEXT) | instid1(VALU_DEP_1)
	v_cmp_gt_i32_e64 s2, s18, v2
	s_and_b32 s17, s17, s2
	s_delay_alu instid0(SALU_CYCLE_1)
	s_and_saveexec_b32 s18, s17
	s_cbranch_execz .LBB740_34
; %bb.33:
	global_load_u16 v2, v[5:6], off offset:1920
	s_waitcnt vmcnt(0)
	v_cvt_f32_f16_e32 v8, v2
.LBB740_34:
	s_or_b32 exec_lo, exec_lo, s18
	s_load_b64 s[0:1], s[0:1], 0x20
	s_waitcnt lgkmcnt(0)
	v_add_co_u32 v2, s0, s0, v3
	s_delay_alu instid0(VALU_DEP_1)
	v_add_co_ci_u32_e64 v3, s0, s1, v4, s0
	s_mov_b32 s1, 0
	s_and_saveexec_b32 s18, s36
	s_cbranch_execnz .LBB740_50
; %bb.35:
	s_or_b32 exec_lo, exec_lo, s18
	v_mov_b32_e32 v4, v23
	s_and_saveexec_b32 s18, s35
	s_cbranch_execnz .LBB740_51
.LBB740_36:
	s_or_b32 exec_lo, exec_lo, s18
	s_and_saveexec_b32 s18, s34
	s_cbranch_execnz .LBB740_54
.LBB740_37:
	s_or_b32 exec_lo, exec_lo, s18
	s_and_saveexec_b32 s18, s33
	s_cbranch_execnz .LBB740_57
.LBB740_38:
	s_or_b32 exec_lo, exec_lo, s18
	s_and_saveexec_b32 s18, s31
	s_cbranch_execnz .LBB740_60
.LBB740_39:
	s_or_b32 exec_lo, exec_lo, s18
	s_and_saveexec_b32 s18, s30
	s_cbranch_execnz .LBB740_63
.LBB740_40:
	s_or_b32 exec_lo, exec_lo, s18
	s_and_saveexec_b32 s18, s29
	s_cbranch_execnz .LBB740_66
.LBB740_41:
	s_or_b32 exec_lo, exec_lo, s18
	s_and_saveexec_b32 s18, s28
	s_cbranch_execnz .LBB740_69
.LBB740_42:
	s_or_b32 exec_lo, exec_lo, s18
	s_and_saveexec_b32 s18, s27
	s_cbranch_execnz .LBB740_72
.LBB740_43:
	s_or_b32 exec_lo, exec_lo, s18
	s_and_saveexec_b32 s18, s26
	s_cbranch_execnz .LBB740_75
.LBB740_44:
	s_or_b32 exec_lo, exec_lo, s18
	s_and_saveexec_b32 s18, s25
	s_cbranch_execnz .LBB740_78
.LBB740_45:
	s_or_b32 exec_lo, exec_lo, s18
	s_and_saveexec_b32 s18, s24
	s_cbranch_execnz .LBB740_81
.LBB740_46:
	s_or_b32 exec_lo, exec_lo, s18
	s_and_saveexec_b32 s18, s23
	s_cbranch_execnz .LBB740_84
.LBB740_47:
	s_or_b32 exec_lo, exec_lo, s18
	s_and_saveexec_b32 s18, s22
	s_cbranch_execnz .LBB740_87
.LBB740_48:
	s_or_b32 exec_lo, exec_lo, s18
	s_and_saveexec_b32 s18, s19
	s_cbranch_execnz .LBB740_90
.LBB740_49:
	s_or_b32 exec_lo, exec_lo, s18
	s_and_saveexec_b32 s18, s17
	s_cbranch_execnz .LBB740_93
	s_branch .LBB740_96
.LBB740_50:
	global_load_u8 v4, v[2:3], off
	s_waitcnt vmcnt(0)
	v_and_b32_e32 v4, 1, v4
	s_delay_alu instid0(VALU_DEP_1) | instskip(NEXT) | instid1(VALU_DEP_1)
	v_cmp_eq_u32_e64 s0, 1, v4
	s_xor_b32 s0, s0, -1
	s_delay_alu instid0(SALU_CYCLE_1)
	s_and_b32 s1, s0, exec_lo
	s_or_b32 exec_lo, exec_lo, s18
	v_mov_b32_e32 v4, v23
	s_and_saveexec_b32 s18, s35
	s_cbranch_execz .LBB740_36
.LBB740_51:
	global_load_u8 v4, v[2:3], off offset:64
	s_waitcnt vmcnt(0)
	v_and_b32_e32 v4, 1, v4
	s_delay_alu instid0(VALU_DEP_1) | instskip(SKIP_1) | instid1(VALU_DEP_2)
	v_cmp_eq_u32_e64 s0, 1, v4
	v_mov_b32_e32 v4, v23
	s_xor_b32 s38, s0, -1
	s_mov_b32 s0, s1
	s_and_saveexec_b32 s37, s38
; %bb.52:
	v_cmp_gt_f32_e64 s0, v23, v22
	s_delay_alu instid0(VALU_DEP_1) | instskip(NEXT) | instid1(SALU_CYCLE_1)
	s_and_b32 s0, s1, s0
	v_cndmask_b32_e64 v4, v22, v23, s0
	s_or_b32 s0, s1, exec_lo
; %bb.53:
	s_or_b32 exec_lo, exec_lo, s37
	s_delay_alu instid0(SALU_CYCLE_1) | instskip(SKIP_1) | instid1(SALU_CYCLE_1)
	s_and_not1_b32 s1, s1, exec_lo
	s_and_b32 s0, s0, exec_lo
	s_or_b32 s1, s1, s0
	s_or_b32 exec_lo, exec_lo, s18
	s_and_saveexec_b32 s18, s34
	s_cbranch_execz .LBB740_37
.LBB740_54:
	global_load_u8 v5, v[2:3], off offset:128
	s_waitcnt vmcnt(0)
	v_and_b32_e32 v5, 1, v5
	s_delay_alu instid0(VALU_DEP_1) | instskip(NEXT) | instid1(VALU_DEP_1)
	v_cmp_eq_u32_e64 s0, 1, v5
	s_xor_b32 s38, s0, -1
	s_mov_b32 s0, s1
	s_and_saveexec_b32 s37, s38
; %bb.55:
	v_cmp_gt_f32_e64 s0, v4, v21
	s_delay_alu instid0(VALU_DEP_1) | instskip(NEXT) | instid1(SALU_CYCLE_1)
	s_and_b32 s0, s1, s0
	v_cndmask_b32_e64 v4, v21, v4, s0
	s_or_b32 s0, s1, exec_lo
; %bb.56:
	s_or_b32 exec_lo, exec_lo, s37
	s_delay_alu instid0(SALU_CYCLE_1) | instskip(SKIP_1) | instid1(SALU_CYCLE_1)
	s_and_not1_b32 s1, s1, exec_lo
	s_and_b32 s0, s0, exec_lo
	s_or_b32 s1, s1, s0
	s_or_b32 exec_lo, exec_lo, s18
	s_and_saveexec_b32 s18, s33
	s_cbranch_execz .LBB740_38
.LBB740_57:
	global_load_u8 v5, v[2:3], off offset:192
	s_waitcnt vmcnt(0)
	v_and_b32_e32 v5, 1, v5
	s_delay_alu instid0(VALU_DEP_1) | instskip(NEXT) | instid1(VALU_DEP_1)
	v_cmp_eq_u32_e64 s0, 1, v5
	s_xor_b32 s38, s0, -1
	s_mov_b32 s0, s1
	s_and_saveexec_b32 s37, s38
; %bb.58:
	v_cmp_gt_f32_e64 s0, v4, v20
	s_delay_alu instid0(VALU_DEP_1) | instskip(NEXT) | instid1(SALU_CYCLE_1)
	s_and_b32 s0, s1, s0
	v_cndmask_b32_e64 v4, v20, v4, s0
	s_or_b32 s0, s1, exec_lo
; %bb.59:
	s_or_b32 exec_lo, exec_lo, s37
	s_delay_alu instid0(SALU_CYCLE_1) | instskip(SKIP_1) | instid1(SALU_CYCLE_1)
	s_and_not1_b32 s1, s1, exec_lo
	s_and_b32 s0, s0, exec_lo
	s_or_b32 s1, s1, s0
	s_or_b32 exec_lo, exec_lo, s18
	s_and_saveexec_b32 s18, s31
	s_cbranch_execz .LBB740_39
.LBB740_60:
	global_load_u8 v5, v[2:3], off offset:256
	s_waitcnt vmcnt(0)
	v_and_b32_e32 v5, 1, v5
	s_delay_alu instid0(VALU_DEP_1) | instskip(NEXT) | instid1(VALU_DEP_1)
	v_cmp_eq_u32_e64 s0, 1, v5
	s_xor_b32 s38, s0, -1
	s_mov_b32 s0, s1
	s_and_saveexec_b32 s37, s38
; %bb.61:
	v_cmp_gt_f32_e64 s0, v4, v19
	s_delay_alu instid0(VALU_DEP_1) | instskip(NEXT) | instid1(SALU_CYCLE_1)
	s_and_b32 s0, s1, s0
	v_cndmask_b32_e64 v4, v19, v4, s0
	s_or_b32 s0, s1, exec_lo
; %bb.62:
	s_or_b32 exec_lo, exec_lo, s37
	s_delay_alu instid0(SALU_CYCLE_1) | instskip(SKIP_1) | instid1(SALU_CYCLE_1)
	s_and_not1_b32 s1, s1, exec_lo
	s_and_b32 s0, s0, exec_lo
	s_or_b32 s1, s1, s0
	s_or_b32 exec_lo, exec_lo, s18
	s_and_saveexec_b32 s18, s30
	s_cbranch_execz .LBB740_40
.LBB740_63:
	global_load_u8 v5, v[2:3], off offset:320
	s_waitcnt vmcnt(0)
	v_and_b32_e32 v5, 1, v5
	s_delay_alu instid0(VALU_DEP_1) | instskip(NEXT) | instid1(VALU_DEP_1)
	v_cmp_eq_u32_e64 s0, 1, v5
	s_xor_b32 s38, s0, -1
	s_mov_b32 s0, s1
	s_and_saveexec_b32 s37, s38
; %bb.64:
	v_cmp_gt_f32_e64 s0, v4, v18
	s_delay_alu instid0(VALU_DEP_1) | instskip(NEXT) | instid1(SALU_CYCLE_1)
	s_and_b32 s0, s1, s0
	v_cndmask_b32_e64 v4, v18, v4, s0
	s_or_b32 s0, s1, exec_lo
; %bb.65:
	s_or_b32 exec_lo, exec_lo, s37
	s_delay_alu instid0(SALU_CYCLE_1) | instskip(SKIP_1) | instid1(SALU_CYCLE_1)
	s_and_not1_b32 s1, s1, exec_lo
	s_and_b32 s0, s0, exec_lo
	s_or_b32 s1, s1, s0
	s_or_b32 exec_lo, exec_lo, s18
	s_and_saveexec_b32 s18, s29
	s_cbranch_execz .LBB740_41
.LBB740_66:
	global_load_u8 v5, v[2:3], off offset:384
	s_waitcnt vmcnt(0)
	v_and_b32_e32 v5, 1, v5
	s_delay_alu instid0(VALU_DEP_1) | instskip(NEXT) | instid1(VALU_DEP_1)
	v_cmp_eq_u32_e64 s0, 1, v5
	s_xor_b32 s38, s0, -1
	s_mov_b32 s0, s1
	s_and_saveexec_b32 s37, s38
; %bb.67:
	v_cmp_gt_f32_e64 s0, v4, v17
	s_delay_alu instid0(VALU_DEP_1) | instskip(NEXT) | instid1(SALU_CYCLE_1)
	s_and_b32 s0, s1, s0
	v_cndmask_b32_e64 v4, v17, v4, s0
	s_or_b32 s0, s1, exec_lo
; %bb.68:
	s_or_b32 exec_lo, exec_lo, s37
	s_delay_alu instid0(SALU_CYCLE_1) | instskip(SKIP_1) | instid1(SALU_CYCLE_1)
	s_and_not1_b32 s1, s1, exec_lo
	s_and_b32 s0, s0, exec_lo
	s_or_b32 s1, s1, s0
	s_or_b32 exec_lo, exec_lo, s18
	s_and_saveexec_b32 s18, s28
	s_cbranch_execz .LBB740_42
.LBB740_69:
	global_load_u8 v5, v[2:3], off offset:448
	s_waitcnt vmcnt(0)
	v_and_b32_e32 v5, 1, v5
	s_delay_alu instid0(VALU_DEP_1) | instskip(NEXT) | instid1(VALU_DEP_1)
	v_cmp_eq_u32_e64 s0, 1, v5
	s_xor_b32 s38, s0, -1
	s_mov_b32 s0, s1
	s_and_saveexec_b32 s37, s38
; %bb.70:
	v_cmp_gt_f32_e64 s0, v4, v16
	s_delay_alu instid0(VALU_DEP_1) | instskip(NEXT) | instid1(SALU_CYCLE_1)
	s_and_b32 s0, s1, s0
	v_cndmask_b32_e64 v4, v16, v4, s0
	s_or_b32 s0, s1, exec_lo
; %bb.71:
	s_or_b32 exec_lo, exec_lo, s37
	s_delay_alu instid0(SALU_CYCLE_1) | instskip(SKIP_1) | instid1(SALU_CYCLE_1)
	s_and_not1_b32 s1, s1, exec_lo
	s_and_b32 s0, s0, exec_lo
	s_or_b32 s1, s1, s0
	s_or_b32 exec_lo, exec_lo, s18
	s_and_saveexec_b32 s18, s27
	s_cbranch_execz .LBB740_43
.LBB740_72:
	global_load_u8 v5, v[2:3], off offset:512
	s_waitcnt vmcnt(0)
	v_and_b32_e32 v5, 1, v5
	s_delay_alu instid0(VALU_DEP_1) | instskip(NEXT) | instid1(VALU_DEP_1)
	v_cmp_eq_u32_e64 s0, 1, v5
	s_xor_b32 s38, s0, -1
	s_mov_b32 s0, s1
	s_and_saveexec_b32 s37, s38
; %bb.73:
	v_cmp_gt_f32_e64 s0, v4, v15
	s_delay_alu instid0(VALU_DEP_1) | instskip(NEXT) | instid1(SALU_CYCLE_1)
	s_and_b32 s0, s1, s0
	v_cndmask_b32_e64 v4, v15, v4, s0
	s_or_b32 s0, s1, exec_lo
; %bb.74:
	s_or_b32 exec_lo, exec_lo, s37
	s_delay_alu instid0(SALU_CYCLE_1) | instskip(SKIP_1) | instid1(SALU_CYCLE_1)
	s_and_not1_b32 s1, s1, exec_lo
	s_and_b32 s0, s0, exec_lo
	s_or_b32 s1, s1, s0
	s_or_b32 exec_lo, exec_lo, s18
	s_and_saveexec_b32 s18, s26
	s_cbranch_execz .LBB740_44
.LBB740_75:
	global_load_u8 v5, v[2:3], off offset:576
	s_waitcnt vmcnt(0)
	v_and_b32_e32 v5, 1, v5
	s_delay_alu instid0(VALU_DEP_1) | instskip(NEXT) | instid1(VALU_DEP_1)
	v_cmp_eq_u32_e64 s0, 1, v5
	s_xor_b32 s38, s0, -1
	s_mov_b32 s0, s1
	s_and_saveexec_b32 s37, s38
; %bb.76:
	v_cmp_gt_f32_e64 s0, v4, v14
	s_delay_alu instid0(VALU_DEP_1) | instskip(NEXT) | instid1(SALU_CYCLE_1)
	s_and_b32 s0, s1, s0
	v_cndmask_b32_e64 v4, v14, v4, s0
	s_or_b32 s0, s1, exec_lo
; %bb.77:
	s_or_b32 exec_lo, exec_lo, s37
	s_delay_alu instid0(SALU_CYCLE_1) | instskip(SKIP_1) | instid1(SALU_CYCLE_1)
	s_and_not1_b32 s1, s1, exec_lo
	s_and_b32 s0, s0, exec_lo
	s_or_b32 s1, s1, s0
	s_or_b32 exec_lo, exec_lo, s18
	s_and_saveexec_b32 s18, s25
	s_cbranch_execz .LBB740_45
.LBB740_78:
	global_load_u8 v5, v[2:3], off offset:640
	s_waitcnt vmcnt(0)
	v_and_b32_e32 v5, 1, v5
	s_delay_alu instid0(VALU_DEP_1) | instskip(NEXT) | instid1(VALU_DEP_1)
	v_cmp_eq_u32_e64 s0, 1, v5
	s_xor_b32 s38, s0, -1
	s_mov_b32 s0, s1
	s_and_saveexec_b32 s37, s38
; %bb.79:
	v_cmp_gt_f32_e64 s0, v4, v13
	s_delay_alu instid0(VALU_DEP_1) | instskip(NEXT) | instid1(SALU_CYCLE_1)
	s_and_b32 s0, s1, s0
	v_cndmask_b32_e64 v4, v13, v4, s0
	s_or_b32 s0, s1, exec_lo
; %bb.80:
	s_or_b32 exec_lo, exec_lo, s37
	s_delay_alu instid0(SALU_CYCLE_1) | instskip(SKIP_1) | instid1(SALU_CYCLE_1)
	s_and_not1_b32 s1, s1, exec_lo
	s_and_b32 s0, s0, exec_lo
	s_or_b32 s1, s1, s0
	s_or_b32 exec_lo, exec_lo, s18
	s_and_saveexec_b32 s18, s24
	s_cbranch_execz .LBB740_46
.LBB740_81:
	global_load_u8 v5, v[2:3], off offset:704
	s_waitcnt vmcnt(0)
	v_and_b32_e32 v5, 1, v5
	s_delay_alu instid0(VALU_DEP_1) | instskip(NEXT) | instid1(VALU_DEP_1)
	v_cmp_eq_u32_e64 s0, 1, v5
	s_xor_b32 s38, s0, -1
	s_mov_b32 s0, s1
	s_and_saveexec_b32 s37, s38
; %bb.82:
	v_cmp_gt_f32_e64 s0, v4, v12
	s_delay_alu instid0(VALU_DEP_1) | instskip(NEXT) | instid1(SALU_CYCLE_1)
	s_and_b32 s0, s1, s0
	v_cndmask_b32_e64 v4, v12, v4, s0
	s_or_b32 s0, s1, exec_lo
; %bb.83:
	s_or_b32 exec_lo, exec_lo, s37
	s_delay_alu instid0(SALU_CYCLE_1) | instskip(SKIP_1) | instid1(SALU_CYCLE_1)
	s_and_not1_b32 s1, s1, exec_lo
	s_and_b32 s0, s0, exec_lo
	s_or_b32 s1, s1, s0
	s_or_b32 exec_lo, exec_lo, s18
	s_and_saveexec_b32 s18, s23
	s_cbranch_execz .LBB740_47
.LBB740_84:
	global_load_u8 v5, v[2:3], off offset:768
	s_waitcnt vmcnt(0)
	v_and_b32_e32 v5, 1, v5
	s_delay_alu instid0(VALU_DEP_1) | instskip(NEXT) | instid1(VALU_DEP_1)
	v_cmp_eq_u32_e64 s0, 1, v5
	s_xor_b32 s38, s0, -1
	s_mov_b32 s0, s1
	s_and_saveexec_b32 s37, s38
; %bb.85:
	v_cmp_gt_f32_e64 s0, v4, v11
	s_delay_alu instid0(VALU_DEP_1) | instskip(NEXT) | instid1(SALU_CYCLE_1)
	s_and_b32 s0, s1, s0
	v_cndmask_b32_e64 v4, v11, v4, s0
	s_or_b32 s0, s1, exec_lo
; %bb.86:
	s_or_b32 exec_lo, exec_lo, s37
	s_delay_alu instid0(SALU_CYCLE_1) | instskip(SKIP_1) | instid1(SALU_CYCLE_1)
	s_and_not1_b32 s1, s1, exec_lo
	s_and_b32 s0, s0, exec_lo
	s_or_b32 s1, s1, s0
	s_or_b32 exec_lo, exec_lo, s18
	s_and_saveexec_b32 s18, s22
	s_cbranch_execz .LBB740_48
.LBB740_87:
	global_load_u8 v5, v[2:3], off offset:832
	s_waitcnt vmcnt(0)
	v_and_b32_e32 v5, 1, v5
	s_delay_alu instid0(VALU_DEP_1) | instskip(NEXT) | instid1(VALU_DEP_1)
	v_cmp_eq_u32_e64 s0, 1, v5
	s_xor_b32 s38, s0, -1
	s_mov_b32 s0, s1
	s_and_saveexec_b32 s37, s38
; %bb.88:
	v_cmp_gt_f32_e64 s0, v4, v10
	s_delay_alu instid0(VALU_DEP_1) | instskip(NEXT) | instid1(SALU_CYCLE_1)
	s_and_b32 s0, s1, s0
	v_cndmask_b32_e64 v4, v10, v4, s0
	s_or_b32 s0, s1, exec_lo
; %bb.89:
	s_or_b32 exec_lo, exec_lo, s37
	s_delay_alu instid0(SALU_CYCLE_1) | instskip(SKIP_1) | instid1(SALU_CYCLE_1)
	s_and_not1_b32 s1, s1, exec_lo
	s_and_b32 s0, s0, exec_lo
	s_or_b32 s1, s1, s0
	s_or_b32 exec_lo, exec_lo, s18
	s_and_saveexec_b32 s18, s19
	s_cbranch_execz .LBB740_49
.LBB740_90:
	global_load_u8 v5, v[2:3], off offset:896
	s_waitcnt vmcnt(0)
	v_and_b32_e32 v5, 1, v5
	s_delay_alu instid0(VALU_DEP_1) | instskip(NEXT) | instid1(VALU_DEP_1)
	v_cmp_eq_u32_e64 s0, 1, v5
	s_xor_b32 s38, s0, -1
	s_mov_b32 s0, s1
	s_and_saveexec_b32 s37, s38
; %bb.91:
	v_cmp_gt_f32_e64 s0, v4, v9
	s_delay_alu instid0(VALU_DEP_1) | instskip(NEXT) | instid1(SALU_CYCLE_1)
	s_and_b32 s0, s1, s0
	v_cndmask_b32_e64 v4, v9, v4, s0
	s_or_b32 s0, s1, exec_lo
; %bb.92:
	s_or_b32 exec_lo, exec_lo, s37
	s_delay_alu instid0(SALU_CYCLE_1) | instskip(SKIP_1) | instid1(SALU_CYCLE_1)
	s_and_not1_b32 s1, s1, exec_lo
	s_and_b32 s0, s0, exec_lo
	s_or_b32 s1, s1, s0
	s_or_b32 exec_lo, exec_lo, s18
	s_and_saveexec_b32 s18, s17
	s_cbranch_execz .LBB740_96
.LBB740_93:
	global_load_u8 v5, v[2:3], off offset:960
	s_waitcnt vmcnt(0)
	v_and_b32_e32 v5, 1, v5
	s_delay_alu instid0(VALU_DEP_1) | instskip(NEXT) | instid1(VALU_DEP_1)
	v_cmp_eq_u32_e64 s0, 1, v5
	s_xor_b32 s38, s0, -1
	s_mov_b32 s0, s1
	s_and_saveexec_b32 s37, s38
; %bb.94:
	v_cmp_gt_f32_e64 s0, v4, v8
	s_delay_alu instid0(VALU_DEP_1) | instskip(NEXT) | instid1(SALU_CYCLE_1)
	s_and_b32 s0, s1, s0
	v_cndmask_b32_e64 v4, v8, v4, s0
	s_or_b32 s0, s1, exec_lo
; %bb.95:
	s_or_b32 exec_lo, exec_lo, s37
	s_delay_alu instid0(SALU_CYCLE_1) | instskip(SKIP_1) | instid1(SALU_CYCLE_1)
	s_and_not1_b32 s1, s1, exec_lo
	s_and_b32 s0, s0, exec_lo
	s_or_b32 s1, s1, s0
.LBB740_96:
	s_or_b32 exec_lo, exec_lo, s18
	v_mbcnt_lo_u32_b32 v26, -1, 0
	v_cndmask_b32_e64 v4, 0xff800000, v4, s1
	s_delay_alu instid0(VALU_DEP_2) | instskip(SKIP_1) | instid1(VALU_DEP_2)
	v_or_b32_e32 v5, 32, v26
	v_xor_b32_e32 v6, 16, v26
	v_cmp_gt_i32_e64 s0, 64, v5
	s_delay_alu instid0(VALU_DEP_1) | instskip(NEXT) | instid1(VALU_DEP_3)
	v_cndmask_b32_e64 v5, v26, v5, s0
	v_cmp_gt_i32_e64 s0, 64, v6
	s_delay_alu instid0(VALU_DEP_2) | instskip(NEXT) | instid1(VALU_DEP_2)
	v_lshlrev_b32_e32 v5, 2, v5
	v_cndmask_b32_e64 v6, v26, v6, s0
	ds_bpermute_b32 v24, v5, v4
	v_lshlrev_b32_e32 v6, 2, v6
	s_waitcnt lgkmcnt(0)
	v_cmp_lt_f32_e64 s0, v4, v24
	s_delay_alu instid0(VALU_DEP_1) | instskip(SKIP_3) | instid1(VALU_DEP_1)
	v_cndmask_b32_e64 v4, v4, v24, s0
	v_xor_b32_e32 v24, 8, v26
	ds_bpermute_b32 v25, v6, v4
	v_cmp_gt_i32_e64 s0, 64, v24
	v_cndmask_b32_e64 v24, v26, v24, s0
	s_delay_alu instid0(VALU_DEP_1) | instskip(SKIP_2) | instid1(VALU_DEP_1)
	v_lshlrev_b32_e32 v24, 2, v24
	s_waitcnt lgkmcnt(0)
	v_cmp_lt_f32_e64 s0, v4, v25
	v_cndmask_b32_e64 v4, v4, v25, s0
	v_xor_b32_e32 v25, 4, v26
	ds_bpermute_b32 v27, v24, v4
	v_cmp_gt_i32_e64 s0, 64, v25
	s_delay_alu instid0(VALU_DEP_1) | instskip(NEXT) | instid1(VALU_DEP_1)
	v_cndmask_b32_e64 v25, v26, v25, s0
	v_lshlrev_b32_e32 v25, 2, v25
	s_waitcnt lgkmcnt(0)
	v_cmp_lt_f32_e64 s0, v4, v27
	s_delay_alu instid0(VALU_DEP_1) | instskip(SKIP_3) | instid1(VALU_DEP_1)
	v_cndmask_b32_e64 v4, v4, v27, s0
	v_xor_b32_e32 v27, 2, v26
	ds_bpermute_b32 v28, v25, v4
	v_cmp_gt_i32_e64 s0, 64, v27
	v_cndmask_b32_e64 v27, v26, v27, s0
	s_delay_alu instid0(VALU_DEP_1) | instskip(SKIP_2) | instid1(VALU_DEP_1)
	v_lshlrev_b32_e32 v27, 2, v27
	s_waitcnt lgkmcnt(0)
	v_cmp_lt_f32_e64 s0, v4, v28
	v_cndmask_b32_e64 v4, v4, v28, s0
	v_xor_b32_e32 v28, 1, v26
	ds_bpermute_b32 v29, v27, v4
	v_cmp_gt_i32_e64 s0, 64, v28
	s_delay_alu instid0(VALU_DEP_1) | instskip(NEXT) | instid1(VALU_DEP_1)
	v_cndmask_b32_e64 v26, v26, v28, s0
	v_lshlrev_b32_e32 v28, 2, v26
	s_waitcnt lgkmcnt(0)
	v_cmp_lt_f32_e64 s0, v4, v29
	s_delay_alu instid0(VALU_DEP_1) | instskip(SKIP_4) | instid1(VALU_DEP_1)
	v_cndmask_b32_e64 v26, v4, v29, s0
	v_mov_b32_e32 v4, 0
	ds_bpermute_b32 v29, v28, v26
	s_waitcnt lgkmcnt(0)
	v_cmp_lt_f32_e64 s0, v26, v29
	v_cndmask_b32_e64 v29, v26, v29, s0
	v_mov_b32_e32 v26, 0
	s_and_saveexec_b32 s1, s36
	s_cbranch_execz .LBB740_100
; %bb.97:
	global_load_u8 v26, v[2:3], off
	s_waitcnt vmcnt(0)
	v_and_b32_e32 v26, 1, v26
	s_delay_alu instid0(VALU_DEP_1) | instskip(SKIP_1) | instid1(VALU_DEP_2)
	v_cmp_eq_u32_e64 s0, 1, v26
	v_mov_b32_e32 v26, 0
	s_xor_b32 s0, s0, -1
	s_delay_alu instid0(SALU_CYCLE_1)
	s_and_saveexec_b32 s18, s0
	s_cbranch_execz .LBB740_99
; %bb.98:
	v_sub_f32_e32 v23, v23, v29
	s_delay_alu instid0(VALU_DEP_1) | instskip(NEXT) | instid1(VALU_DEP_1)
	v_mul_f32_e32 v26, 0x3fb8aa3b, v23
	v_fma_f32 v30, 0x3fb8aa3b, v23, -v26
	v_rndne_f32_e32 v31, v26
	s_delay_alu instid0(VALU_DEP_1) | instskip(NEXT) | instid1(VALU_DEP_3)
	v_sub_f32_e32 v26, v26, v31
	v_fmamk_f32 v30, v23, 0x32a5705f, v30
	v_cmp_ngt_f32_e64 s0, 0xc2ce8ed0, v23
	s_delay_alu instid0(VALU_DEP_2) | instskip(SKIP_1) | instid1(VALU_DEP_2)
	v_add_f32_e32 v26, v26, v30
	v_cvt_i32_f32_e32 v30, v31
	v_exp_f32_e32 v26, v26
	s_waitcnt_depctr 0xfff
	v_ldexp_f32 v26, v26, v30
	s_delay_alu instid0(VALU_DEP_1) | instskip(SKIP_1) | instid1(VALU_DEP_1)
	v_cndmask_b32_e64 v26, 0, v26, s0
	v_cmp_nlt_f32_e64 s0, 0x42b17218, v23
	v_cndmask_b32_e64 v26, 0x7f800000, v26, s0
.LBB740_99:
	s_or_b32 exec_lo, exec_lo, s18
.LBB740_100:
	s_delay_alu instid0(SALU_CYCLE_1) | instskip(NEXT) | instid1(VALU_DEP_1)
	s_or_b32 exec_lo, exec_lo, s1
	v_mov_b32_e32 v30, v26
	s_and_saveexec_b32 s1, s35
	s_cbranch_execz .LBB740_104
; %bb.101:
	global_load_u8 v4, v[2:3], off offset:64
	v_mov_b32_e32 v30, v26
	s_waitcnt vmcnt(0)
	v_and_b32_e32 v4, 1, v4
	s_delay_alu instid0(VALU_DEP_1) | instskip(SKIP_1) | instid1(VALU_DEP_2)
	v_cmp_eq_u32_e64 s0, 1, v4
	v_mov_b32_e32 v4, 0
	s_xor_b32 s0, s0, -1
	s_delay_alu instid0(SALU_CYCLE_1)
	s_and_saveexec_b32 s18, s0
	s_cbranch_execz .LBB740_103
; %bb.102:
	v_sub_f32_e32 v4, v22, v29
	s_delay_alu instid0(VALU_DEP_1) | instskip(SKIP_1) | instid1(VALU_DEP_2)
	v_mul_f32_e32 v22, 0x3fb8aa3b, v4
	v_cmp_ngt_f32_e64 s0, 0xc2ce8ed0, v4
	v_fma_f32 v23, 0x3fb8aa3b, v4, -v22
	v_rndne_f32_e32 v30, v22
	s_delay_alu instid0(VALU_DEP_1) | instskip(NEXT) | instid1(VALU_DEP_1)
	v_dual_fmamk_f32 v23, v4, 0x32a5705f, v23 :: v_dual_sub_f32 v22, v22, v30
	v_add_f32_e32 v22, v22, v23
	v_cvt_i32_f32_e32 v23, v30
	s_delay_alu instid0(VALU_DEP_2) | instskip(SKIP_2) | instid1(VALU_DEP_1)
	v_exp_f32_e32 v22, v22
	s_waitcnt_depctr 0xfff
	v_ldexp_f32 v22, v22, v23
	v_cndmask_b32_e64 v22, 0, v22, s0
	v_cmp_nlt_f32_e64 s0, 0x42b17218, v4
	s_delay_alu instid0(VALU_DEP_1) | instskip(NEXT) | instid1(VALU_DEP_1)
	v_cndmask_b32_e64 v4, 0x7f800000, v22, s0
	v_add_f32_e32 v30, v26, v4
.LBB740_103:
	s_or_b32 exec_lo, exec_lo, s18
.LBB740_104:
	s_delay_alu instid0(SALU_CYCLE_1)
	s_or_b32 exec_lo, exec_lo, s1
	v_dual_mov_b32 v22, 0 :: v_dual_mov_b32 v23, 0
	s_and_saveexec_b32 s1, s34
	s_cbranch_execz .LBB740_108
; %bb.105:
	global_load_u8 v23, v[2:3], off offset:128
	s_waitcnt vmcnt(0)
	v_and_b32_e32 v23, 1, v23
	s_delay_alu instid0(VALU_DEP_1) | instskip(SKIP_1) | instid1(VALU_DEP_2)
	v_cmp_eq_u32_e64 s0, 1, v23
	v_mov_b32_e32 v23, 0
	s_xor_b32 s0, s0, -1
	s_delay_alu instid0(SALU_CYCLE_1)
	s_and_saveexec_b32 s18, s0
	s_cbranch_execz .LBB740_107
; %bb.106:
	v_sub_f32_e32 v21, v21, v29
	s_delay_alu instid0(VALU_DEP_1) | instskip(SKIP_1) | instid1(VALU_DEP_2)
	v_mul_f32_e32 v23, 0x3fb8aa3b, v21
	v_cmp_ngt_f32_e64 s0, 0xc2ce8ed0, v21
	v_fma_f32 v31, 0x3fb8aa3b, v21, -v23
	v_rndne_f32_e32 v32, v23
	s_delay_alu instid0(VALU_DEP_2) | instskip(NEXT) | instid1(VALU_DEP_2)
	v_fmamk_f32 v31, v21, 0x32a5705f, v31
	v_sub_f32_e32 v23, v23, v32
	s_delay_alu instid0(VALU_DEP_1) | instskip(SKIP_1) | instid1(VALU_DEP_2)
	v_add_f32_e32 v23, v23, v31
	v_cvt_i32_f32_e32 v31, v32
	v_exp_f32_e32 v23, v23
	s_waitcnt_depctr 0xfff
	v_ldexp_f32 v23, v23, v31
	s_delay_alu instid0(VALU_DEP_1) | instskip(SKIP_1) | instid1(VALU_DEP_1)
	v_cndmask_b32_e64 v23, 0, v23, s0
	v_cmp_nlt_f32_e64 s0, 0x42b17218, v21
	v_cndmask_b32_e64 v23, 0x7f800000, v23, s0
	s_delay_alu instid0(VALU_DEP_1)
	v_add_f32_e32 v30, v30, v23
.LBB740_107:
	s_or_b32 exec_lo, exec_lo, s18
.LBB740_108:
	s_delay_alu instid0(SALU_CYCLE_1)
	s_or_b32 exec_lo, exec_lo, s1
	s_and_saveexec_b32 s1, s33
	s_cbranch_execz .LBB740_112
; %bb.109:
	global_load_u8 v21, v[2:3], off offset:192
	s_waitcnt vmcnt(0)
	v_dual_mov_b32 v22, 0 :: v_dual_and_b32 v21, 1, v21
	s_delay_alu instid0(VALU_DEP_1) | instskip(NEXT) | instid1(VALU_DEP_1)
	v_cmp_eq_u32_e64 s0, 1, v21
	s_xor_b32 s0, s0, -1
	s_delay_alu instid0(SALU_CYCLE_1)
	s_and_saveexec_b32 s18, s0
	s_cbranch_execz .LBB740_111
; %bb.110:
	v_sub_f32_e32 v20, v20, v29
	s_delay_alu instid0(VALU_DEP_1) | instskip(NEXT) | instid1(VALU_DEP_1)
	v_mul_f32_e32 v21, 0x3fb8aa3b, v20
	v_fma_f32 v22, 0x3fb8aa3b, v20, -v21
	v_rndne_f32_e32 v31, v21
	s_delay_alu instid0(VALU_DEP_1) | instskip(SKIP_1) | instid1(VALU_DEP_2)
	v_dual_sub_f32 v21, v21, v31 :: v_dual_fmamk_f32 v22, v20, 0x32a5705f, v22
	v_cmp_ngt_f32_e64 s0, 0xc2ce8ed0, v20
	v_add_f32_e32 v21, v21, v22
	v_cvt_i32_f32_e32 v22, v31
	s_delay_alu instid0(VALU_DEP_2) | instskip(SKIP_2) | instid1(VALU_DEP_1)
	v_exp_f32_e32 v21, v21
	s_waitcnt_depctr 0xfff
	v_ldexp_f32 v21, v21, v22
	v_cndmask_b32_e64 v21, 0, v21, s0
	v_cmp_nlt_f32_e64 s0, 0x42b17218, v20
	s_delay_alu instid0(VALU_DEP_1) | instskip(NEXT) | instid1(VALU_DEP_1)
	v_cndmask_b32_e64 v22, 0x7f800000, v21, s0
	v_add_f32_e32 v30, v30, v22
.LBB740_111:
	s_or_b32 exec_lo, exec_lo, s18
.LBB740_112:
	s_delay_alu instid0(SALU_CYCLE_1)
	s_or_b32 exec_lo, exec_lo, s1
	v_dual_mov_b32 v20, 0 :: v_dual_mov_b32 v21, 0
	s_and_saveexec_b32 s1, s31
	s_cbranch_execz .LBB740_116
; %bb.113:
	global_load_u8 v21, v[2:3], off offset:256
	s_waitcnt vmcnt(0)
	v_and_b32_e32 v21, 1, v21
	s_delay_alu instid0(VALU_DEP_1) | instskip(SKIP_1) | instid1(VALU_DEP_2)
	v_cmp_eq_u32_e64 s0, 1, v21
	v_mov_b32_e32 v21, 0
	s_xor_b32 s0, s0, -1
	s_delay_alu instid0(SALU_CYCLE_1)
	s_and_saveexec_b32 s18, s0
	s_cbranch_execz .LBB740_115
; %bb.114:
	v_sub_f32_e32 v19, v19, v29
	s_delay_alu instid0(VALU_DEP_1) | instskip(SKIP_1) | instid1(VALU_DEP_2)
	v_mul_f32_e32 v21, 0x3fb8aa3b, v19
	v_cmp_ngt_f32_e64 s0, 0xc2ce8ed0, v19
	v_fma_f32 v31, 0x3fb8aa3b, v19, -v21
	v_rndne_f32_e32 v32, v21
	s_delay_alu instid0(VALU_DEP_2) | instskip(NEXT) | instid1(VALU_DEP_2)
	v_fmamk_f32 v31, v19, 0x32a5705f, v31
	v_sub_f32_e32 v21, v21, v32
	s_delay_alu instid0(VALU_DEP_1) | instskip(SKIP_1) | instid1(VALU_DEP_2)
	v_add_f32_e32 v21, v21, v31
	v_cvt_i32_f32_e32 v31, v32
	v_exp_f32_e32 v21, v21
	s_waitcnt_depctr 0xfff
	v_ldexp_f32 v21, v21, v31
	s_delay_alu instid0(VALU_DEP_1) | instskip(SKIP_1) | instid1(VALU_DEP_1)
	v_cndmask_b32_e64 v21, 0, v21, s0
	v_cmp_nlt_f32_e64 s0, 0x42b17218, v19
	v_cndmask_b32_e64 v21, 0x7f800000, v21, s0
	s_delay_alu instid0(VALU_DEP_1)
	v_add_f32_e32 v30, v30, v21
.LBB740_115:
	s_or_b32 exec_lo, exec_lo, s18
.LBB740_116:
	s_delay_alu instid0(SALU_CYCLE_1)
	s_or_b32 exec_lo, exec_lo, s1
	s_and_saveexec_b32 s1, s30
	s_cbranch_execz .LBB740_120
; %bb.117:
	global_load_u8 v19, v[2:3], off offset:320
	s_waitcnt vmcnt(0)
	v_dual_mov_b32 v20, 0 :: v_dual_and_b32 v19, 1, v19
	s_delay_alu instid0(VALU_DEP_1) | instskip(NEXT) | instid1(VALU_DEP_1)
	v_cmp_eq_u32_e64 s0, 1, v19
	s_xor_b32 s0, s0, -1
	s_delay_alu instid0(SALU_CYCLE_1)
	s_and_saveexec_b32 s18, s0
	s_cbranch_execz .LBB740_119
; %bb.118:
	v_sub_f32_e32 v18, v18, v29
	s_delay_alu instid0(VALU_DEP_1) | instskip(NEXT) | instid1(VALU_DEP_1)
	v_mul_f32_e32 v19, 0x3fb8aa3b, v18
	v_fma_f32 v20, 0x3fb8aa3b, v18, -v19
	v_rndne_f32_e32 v31, v19
	s_delay_alu instid0(VALU_DEP_1) | instskip(SKIP_1) | instid1(VALU_DEP_2)
	v_dual_sub_f32 v19, v19, v31 :: v_dual_fmamk_f32 v20, v18, 0x32a5705f, v20
	v_cmp_ngt_f32_e64 s0, 0xc2ce8ed0, v18
	v_add_f32_e32 v19, v19, v20
	v_cvt_i32_f32_e32 v20, v31
	s_delay_alu instid0(VALU_DEP_2) | instskip(SKIP_2) | instid1(VALU_DEP_1)
	v_exp_f32_e32 v19, v19
	s_waitcnt_depctr 0xfff
	v_ldexp_f32 v19, v19, v20
	v_cndmask_b32_e64 v19, 0, v19, s0
	v_cmp_nlt_f32_e64 s0, 0x42b17218, v18
	s_delay_alu instid0(VALU_DEP_1) | instskip(NEXT) | instid1(VALU_DEP_1)
	v_cndmask_b32_e64 v20, 0x7f800000, v19, s0
	v_add_f32_e32 v30, v30, v20
.LBB740_119:
	s_or_b32 exec_lo, exec_lo, s18
.LBB740_120:
	s_delay_alu instid0(SALU_CYCLE_1)
	s_or_b32 exec_lo, exec_lo, s1
	v_dual_mov_b32 v18, 0 :: v_dual_mov_b32 v19, 0
	s_and_saveexec_b32 s1, s29
	s_cbranch_execz .LBB740_124
; %bb.121:
	global_load_u8 v19, v[2:3], off offset:384
	s_waitcnt vmcnt(0)
	v_and_b32_e32 v19, 1, v19
	s_delay_alu instid0(VALU_DEP_1) | instskip(SKIP_1) | instid1(VALU_DEP_2)
	v_cmp_eq_u32_e64 s0, 1, v19
	v_mov_b32_e32 v19, 0
	s_xor_b32 s0, s0, -1
	s_delay_alu instid0(SALU_CYCLE_1)
	s_and_saveexec_b32 s18, s0
	s_cbranch_execz .LBB740_123
; %bb.122:
	v_sub_f32_e32 v17, v17, v29
	s_delay_alu instid0(VALU_DEP_1) | instskip(SKIP_1) | instid1(VALU_DEP_2)
	v_mul_f32_e32 v19, 0x3fb8aa3b, v17
	v_cmp_ngt_f32_e64 s0, 0xc2ce8ed0, v17
	v_fma_f32 v31, 0x3fb8aa3b, v17, -v19
	v_rndne_f32_e32 v32, v19
	s_delay_alu instid0(VALU_DEP_2) | instskip(NEXT) | instid1(VALU_DEP_2)
	v_fmamk_f32 v31, v17, 0x32a5705f, v31
	v_sub_f32_e32 v19, v19, v32
	s_delay_alu instid0(VALU_DEP_1) | instskip(SKIP_1) | instid1(VALU_DEP_2)
	v_add_f32_e32 v19, v19, v31
	v_cvt_i32_f32_e32 v31, v32
	v_exp_f32_e32 v19, v19
	s_waitcnt_depctr 0xfff
	v_ldexp_f32 v19, v19, v31
	s_delay_alu instid0(VALU_DEP_1) | instskip(SKIP_1) | instid1(VALU_DEP_1)
	v_cndmask_b32_e64 v19, 0, v19, s0
	v_cmp_nlt_f32_e64 s0, 0x42b17218, v17
	v_cndmask_b32_e64 v19, 0x7f800000, v19, s0
	s_delay_alu instid0(VALU_DEP_1)
	v_add_f32_e32 v30, v30, v19
.LBB740_123:
	s_or_b32 exec_lo, exec_lo, s18
.LBB740_124:
	s_delay_alu instid0(SALU_CYCLE_1)
	s_or_b32 exec_lo, exec_lo, s1
	s_and_saveexec_b32 s1, s28
	s_cbranch_execz .LBB740_128
; %bb.125:
	global_load_u8 v17, v[2:3], off offset:448
	s_waitcnt vmcnt(0)
	v_dual_mov_b32 v18, 0 :: v_dual_and_b32 v17, 1, v17
	s_delay_alu instid0(VALU_DEP_1) | instskip(NEXT) | instid1(VALU_DEP_1)
	v_cmp_eq_u32_e64 s0, 1, v17
	s_xor_b32 s0, s0, -1
	s_delay_alu instid0(SALU_CYCLE_1)
	s_and_saveexec_b32 s18, s0
	s_cbranch_execz .LBB740_127
; %bb.126:
	v_sub_f32_e32 v16, v16, v29
	s_delay_alu instid0(VALU_DEP_1) | instskip(NEXT) | instid1(VALU_DEP_1)
	v_mul_f32_e32 v17, 0x3fb8aa3b, v16
	v_fma_f32 v18, 0x3fb8aa3b, v16, -v17
	v_rndne_f32_e32 v31, v17
	s_delay_alu instid0(VALU_DEP_1) | instskip(SKIP_1) | instid1(VALU_DEP_2)
	v_dual_sub_f32 v17, v17, v31 :: v_dual_fmamk_f32 v18, v16, 0x32a5705f, v18
	v_cmp_ngt_f32_e64 s0, 0xc2ce8ed0, v16
	v_add_f32_e32 v17, v17, v18
	v_cvt_i32_f32_e32 v18, v31
	s_delay_alu instid0(VALU_DEP_2) | instskip(SKIP_2) | instid1(VALU_DEP_1)
	v_exp_f32_e32 v17, v17
	s_waitcnt_depctr 0xfff
	v_ldexp_f32 v17, v17, v18
	v_cndmask_b32_e64 v17, 0, v17, s0
	v_cmp_nlt_f32_e64 s0, 0x42b17218, v16
	s_delay_alu instid0(VALU_DEP_1) | instskip(NEXT) | instid1(VALU_DEP_1)
	v_cndmask_b32_e64 v18, 0x7f800000, v17, s0
	v_add_f32_e32 v30, v30, v18
.LBB740_127:
	s_or_b32 exec_lo, exec_lo, s18
.LBB740_128:
	s_delay_alu instid0(SALU_CYCLE_1)
	s_or_b32 exec_lo, exec_lo, s1
	v_dual_mov_b32 v16, 0 :: v_dual_mov_b32 v17, 0
	s_and_saveexec_b32 s1, s27
	s_cbranch_execz .LBB740_132
; %bb.129:
	global_load_u8 v17, v[2:3], off offset:512
	s_waitcnt vmcnt(0)
	v_and_b32_e32 v17, 1, v17
	s_delay_alu instid0(VALU_DEP_1) | instskip(SKIP_1) | instid1(VALU_DEP_2)
	v_cmp_eq_u32_e64 s0, 1, v17
	v_mov_b32_e32 v17, 0
	s_xor_b32 s0, s0, -1
	s_delay_alu instid0(SALU_CYCLE_1)
	s_and_saveexec_b32 s18, s0
	s_cbranch_execz .LBB740_131
; %bb.130:
	v_sub_f32_e32 v15, v15, v29
	s_delay_alu instid0(VALU_DEP_1) | instskip(SKIP_1) | instid1(VALU_DEP_2)
	v_mul_f32_e32 v17, 0x3fb8aa3b, v15
	v_cmp_ngt_f32_e64 s0, 0xc2ce8ed0, v15
	v_fma_f32 v31, 0x3fb8aa3b, v15, -v17
	v_rndne_f32_e32 v32, v17
	s_delay_alu instid0(VALU_DEP_2) | instskip(NEXT) | instid1(VALU_DEP_2)
	v_fmamk_f32 v31, v15, 0x32a5705f, v31
	v_sub_f32_e32 v17, v17, v32
	s_delay_alu instid0(VALU_DEP_1) | instskip(SKIP_1) | instid1(VALU_DEP_2)
	v_add_f32_e32 v17, v17, v31
	v_cvt_i32_f32_e32 v31, v32
	v_exp_f32_e32 v17, v17
	s_waitcnt_depctr 0xfff
	v_ldexp_f32 v17, v17, v31
	s_delay_alu instid0(VALU_DEP_1) | instskip(SKIP_1) | instid1(VALU_DEP_1)
	v_cndmask_b32_e64 v17, 0, v17, s0
	v_cmp_nlt_f32_e64 s0, 0x42b17218, v15
	v_cndmask_b32_e64 v17, 0x7f800000, v17, s0
	s_delay_alu instid0(VALU_DEP_1)
	v_add_f32_e32 v30, v30, v17
.LBB740_131:
	s_or_b32 exec_lo, exec_lo, s18
.LBB740_132:
	s_delay_alu instid0(SALU_CYCLE_1)
	s_or_b32 exec_lo, exec_lo, s1
	s_and_saveexec_b32 s1, s26
	s_cbranch_execz .LBB740_136
; %bb.133:
	global_load_u8 v15, v[2:3], off offset:576
	s_waitcnt vmcnt(0)
	v_dual_mov_b32 v16, 0 :: v_dual_and_b32 v15, 1, v15
	s_delay_alu instid0(VALU_DEP_1) | instskip(NEXT) | instid1(VALU_DEP_1)
	v_cmp_eq_u32_e64 s0, 1, v15
	s_xor_b32 s0, s0, -1
	s_delay_alu instid0(SALU_CYCLE_1)
	s_and_saveexec_b32 s18, s0
	s_cbranch_execz .LBB740_135
; %bb.134:
	v_sub_f32_e32 v14, v14, v29
	s_delay_alu instid0(VALU_DEP_1) | instskip(NEXT) | instid1(VALU_DEP_1)
	v_mul_f32_e32 v15, 0x3fb8aa3b, v14
	v_fma_f32 v16, 0x3fb8aa3b, v14, -v15
	v_rndne_f32_e32 v31, v15
	s_delay_alu instid0(VALU_DEP_1) | instskip(SKIP_1) | instid1(VALU_DEP_2)
	v_dual_sub_f32 v15, v15, v31 :: v_dual_fmamk_f32 v16, v14, 0x32a5705f, v16
	v_cmp_ngt_f32_e64 s0, 0xc2ce8ed0, v14
	v_add_f32_e32 v15, v15, v16
	v_cvt_i32_f32_e32 v16, v31
	s_delay_alu instid0(VALU_DEP_2) | instskip(SKIP_2) | instid1(VALU_DEP_1)
	v_exp_f32_e32 v15, v15
	s_waitcnt_depctr 0xfff
	v_ldexp_f32 v15, v15, v16
	v_cndmask_b32_e64 v15, 0, v15, s0
	v_cmp_nlt_f32_e64 s0, 0x42b17218, v14
	s_delay_alu instid0(VALU_DEP_1) | instskip(NEXT) | instid1(VALU_DEP_1)
	v_cndmask_b32_e64 v16, 0x7f800000, v15, s0
	v_add_f32_e32 v30, v30, v16
.LBB740_135:
	s_or_b32 exec_lo, exec_lo, s18
.LBB740_136:
	s_delay_alu instid0(SALU_CYCLE_1)
	s_or_b32 exec_lo, exec_lo, s1
	v_dual_mov_b32 v14, 0 :: v_dual_mov_b32 v15, 0
	s_and_saveexec_b32 s1, s25
	s_cbranch_execz .LBB740_140
; %bb.137:
	global_load_u8 v15, v[2:3], off offset:640
	s_waitcnt vmcnt(0)
	v_and_b32_e32 v15, 1, v15
	s_delay_alu instid0(VALU_DEP_1) | instskip(SKIP_1) | instid1(VALU_DEP_2)
	v_cmp_eq_u32_e64 s0, 1, v15
	v_mov_b32_e32 v15, 0
	s_xor_b32 s0, s0, -1
	s_delay_alu instid0(SALU_CYCLE_1)
	s_and_saveexec_b32 s18, s0
	s_cbranch_execz .LBB740_139
; %bb.138:
	v_sub_f32_e32 v13, v13, v29
	s_delay_alu instid0(VALU_DEP_1) | instskip(SKIP_1) | instid1(VALU_DEP_2)
	v_mul_f32_e32 v15, 0x3fb8aa3b, v13
	v_cmp_ngt_f32_e64 s0, 0xc2ce8ed0, v13
	v_fma_f32 v31, 0x3fb8aa3b, v13, -v15
	v_rndne_f32_e32 v32, v15
	s_delay_alu instid0(VALU_DEP_2) | instskip(NEXT) | instid1(VALU_DEP_2)
	v_fmamk_f32 v31, v13, 0x32a5705f, v31
	v_sub_f32_e32 v15, v15, v32
	s_delay_alu instid0(VALU_DEP_1) | instskip(SKIP_1) | instid1(VALU_DEP_2)
	v_add_f32_e32 v15, v15, v31
	v_cvt_i32_f32_e32 v31, v32
	v_exp_f32_e32 v15, v15
	s_waitcnt_depctr 0xfff
	v_ldexp_f32 v15, v15, v31
	s_delay_alu instid0(VALU_DEP_1) | instskip(SKIP_1) | instid1(VALU_DEP_1)
	v_cndmask_b32_e64 v15, 0, v15, s0
	v_cmp_nlt_f32_e64 s0, 0x42b17218, v13
	v_cndmask_b32_e64 v15, 0x7f800000, v15, s0
	s_delay_alu instid0(VALU_DEP_1)
	v_add_f32_e32 v30, v30, v15
.LBB740_139:
	s_or_b32 exec_lo, exec_lo, s18
.LBB740_140:
	s_delay_alu instid0(SALU_CYCLE_1)
	s_or_b32 exec_lo, exec_lo, s1
	s_and_saveexec_b32 s1, s24
	s_cbranch_execz .LBB740_144
; %bb.141:
	global_load_u8 v13, v[2:3], off offset:704
	s_waitcnt vmcnt(0)
	v_dual_mov_b32 v14, 0 :: v_dual_and_b32 v13, 1, v13
	s_delay_alu instid0(VALU_DEP_1) | instskip(NEXT) | instid1(VALU_DEP_1)
	v_cmp_eq_u32_e64 s0, 1, v13
	s_xor_b32 s0, s0, -1
	s_delay_alu instid0(SALU_CYCLE_1)
	s_and_saveexec_b32 s18, s0
	s_cbranch_execz .LBB740_143
; %bb.142:
	v_sub_f32_e32 v12, v12, v29
	s_delay_alu instid0(VALU_DEP_1) | instskip(NEXT) | instid1(VALU_DEP_1)
	v_mul_f32_e32 v13, 0x3fb8aa3b, v12
	v_fma_f32 v14, 0x3fb8aa3b, v12, -v13
	v_rndne_f32_e32 v31, v13
	s_delay_alu instid0(VALU_DEP_1) | instskip(SKIP_1) | instid1(VALU_DEP_2)
	v_dual_sub_f32 v13, v13, v31 :: v_dual_fmamk_f32 v14, v12, 0x32a5705f, v14
	v_cmp_ngt_f32_e64 s0, 0xc2ce8ed0, v12
	v_add_f32_e32 v13, v13, v14
	v_cvt_i32_f32_e32 v14, v31
	s_delay_alu instid0(VALU_DEP_2) | instskip(SKIP_2) | instid1(VALU_DEP_1)
	v_exp_f32_e32 v13, v13
	s_waitcnt_depctr 0xfff
	v_ldexp_f32 v13, v13, v14
	v_cndmask_b32_e64 v13, 0, v13, s0
	v_cmp_nlt_f32_e64 s0, 0x42b17218, v12
	s_delay_alu instid0(VALU_DEP_1) | instskip(NEXT) | instid1(VALU_DEP_1)
	v_cndmask_b32_e64 v14, 0x7f800000, v13, s0
	v_add_f32_e32 v30, v30, v14
.LBB740_143:
	s_or_b32 exec_lo, exec_lo, s18
.LBB740_144:
	s_delay_alu instid0(SALU_CYCLE_1)
	s_or_b32 exec_lo, exec_lo, s1
	v_dual_mov_b32 v12, 0 :: v_dual_mov_b32 v13, 0
	s_and_saveexec_b32 s1, s23
	s_cbranch_execz .LBB740_148
; %bb.145:
	global_load_u8 v13, v[2:3], off offset:768
	s_waitcnt vmcnt(0)
	v_and_b32_e32 v13, 1, v13
	s_delay_alu instid0(VALU_DEP_1) | instskip(SKIP_1) | instid1(VALU_DEP_2)
	v_cmp_eq_u32_e64 s0, 1, v13
	v_mov_b32_e32 v13, 0
	s_xor_b32 s0, s0, -1
	s_delay_alu instid0(SALU_CYCLE_1)
	s_and_saveexec_b32 s18, s0
	s_cbranch_execz .LBB740_147
; %bb.146:
	v_sub_f32_e32 v11, v11, v29
	s_delay_alu instid0(VALU_DEP_1) | instskip(SKIP_1) | instid1(VALU_DEP_2)
	v_mul_f32_e32 v13, 0x3fb8aa3b, v11
	v_cmp_ngt_f32_e64 s0, 0xc2ce8ed0, v11
	v_fma_f32 v31, 0x3fb8aa3b, v11, -v13
	v_rndne_f32_e32 v32, v13
	s_delay_alu instid0(VALU_DEP_2) | instskip(NEXT) | instid1(VALU_DEP_2)
	v_fmamk_f32 v31, v11, 0x32a5705f, v31
	v_sub_f32_e32 v13, v13, v32
	s_delay_alu instid0(VALU_DEP_1) | instskip(SKIP_1) | instid1(VALU_DEP_2)
	v_add_f32_e32 v13, v13, v31
	v_cvt_i32_f32_e32 v31, v32
	v_exp_f32_e32 v13, v13
	s_waitcnt_depctr 0xfff
	v_ldexp_f32 v13, v13, v31
	s_delay_alu instid0(VALU_DEP_1) | instskip(SKIP_1) | instid1(VALU_DEP_1)
	v_cndmask_b32_e64 v13, 0, v13, s0
	v_cmp_nlt_f32_e64 s0, 0x42b17218, v11
	v_cndmask_b32_e64 v13, 0x7f800000, v13, s0
	s_delay_alu instid0(VALU_DEP_1)
	v_add_f32_e32 v30, v30, v13
.LBB740_147:
	s_or_b32 exec_lo, exec_lo, s18
.LBB740_148:
	s_delay_alu instid0(SALU_CYCLE_1)
	s_or_b32 exec_lo, exec_lo, s1
	s_and_saveexec_b32 s1, s22
	s_cbranch_execz .LBB740_152
; %bb.149:
	global_load_u8 v11, v[2:3], off offset:832
	s_waitcnt vmcnt(0)
	v_dual_mov_b32 v12, 0 :: v_dual_and_b32 v11, 1, v11
	s_delay_alu instid0(VALU_DEP_1) | instskip(NEXT) | instid1(VALU_DEP_1)
	v_cmp_eq_u32_e64 s0, 1, v11
	s_xor_b32 s0, s0, -1
	s_delay_alu instid0(SALU_CYCLE_1)
	s_and_saveexec_b32 s18, s0
	s_cbranch_execz .LBB740_151
; %bb.150:
	v_sub_f32_e32 v10, v10, v29
	s_delay_alu instid0(VALU_DEP_1) | instskip(NEXT) | instid1(VALU_DEP_1)
	v_mul_f32_e32 v11, 0x3fb8aa3b, v10
	v_fma_f32 v12, 0x3fb8aa3b, v10, -v11
	v_rndne_f32_e32 v31, v11
	s_delay_alu instid0(VALU_DEP_1) | instskip(SKIP_1) | instid1(VALU_DEP_2)
	v_dual_sub_f32 v11, v11, v31 :: v_dual_fmamk_f32 v12, v10, 0x32a5705f, v12
	v_cmp_ngt_f32_e64 s0, 0xc2ce8ed0, v10
	v_add_f32_e32 v11, v11, v12
	v_cvt_i32_f32_e32 v12, v31
	s_delay_alu instid0(VALU_DEP_2) | instskip(SKIP_2) | instid1(VALU_DEP_1)
	v_exp_f32_e32 v11, v11
	s_waitcnt_depctr 0xfff
	v_ldexp_f32 v11, v11, v12
	v_cndmask_b32_e64 v11, 0, v11, s0
	v_cmp_nlt_f32_e64 s0, 0x42b17218, v10
	s_delay_alu instid0(VALU_DEP_1) | instskip(NEXT) | instid1(VALU_DEP_1)
	v_cndmask_b32_e64 v12, 0x7f800000, v11, s0
	v_add_f32_e32 v30, v30, v12
.LBB740_151:
	s_or_b32 exec_lo, exec_lo, s18
.LBB740_152:
	s_delay_alu instid0(SALU_CYCLE_1)
	s_or_b32 exec_lo, exec_lo, s1
	v_dual_mov_b32 v10, 0 :: v_dual_mov_b32 v11, 0
	s_and_saveexec_b32 s1, s19
	s_cbranch_execz .LBB740_156
; %bb.153:
	global_load_u8 v11, v[2:3], off offset:896
	s_waitcnt vmcnt(0)
	v_and_b32_e32 v11, 1, v11
	s_delay_alu instid0(VALU_DEP_1) | instskip(SKIP_1) | instid1(VALU_DEP_2)
	v_cmp_eq_u32_e64 s0, 1, v11
	v_mov_b32_e32 v11, 0
	s_xor_b32 s0, s0, -1
	s_delay_alu instid0(SALU_CYCLE_1)
	s_and_saveexec_b32 s18, s0
	s_cbranch_execz .LBB740_155
; %bb.154:
	v_sub_f32_e32 v9, v9, v29
	s_delay_alu instid0(VALU_DEP_1) | instskip(SKIP_1) | instid1(VALU_DEP_2)
	v_mul_f32_e32 v11, 0x3fb8aa3b, v9
	v_cmp_ngt_f32_e64 s0, 0xc2ce8ed0, v9
	v_fma_f32 v31, 0x3fb8aa3b, v9, -v11
	v_rndne_f32_e32 v32, v11
	s_delay_alu instid0(VALU_DEP_2) | instskip(NEXT) | instid1(VALU_DEP_2)
	v_fmamk_f32 v31, v9, 0x32a5705f, v31
	v_sub_f32_e32 v11, v11, v32
	s_delay_alu instid0(VALU_DEP_1) | instskip(SKIP_1) | instid1(VALU_DEP_2)
	v_add_f32_e32 v11, v11, v31
	v_cvt_i32_f32_e32 v31, v32
	v_exp_f32_e32 v11, v11
	s_waitcnt_depctr 0xfff
	v_ldexp_f32 v11, v11, v31
	s_delay_alu instid0(VALU_DEP_1) | instskip(SKIP_1) | instid1(VALU_DEP_1)
	v_cndmask_b32_e64 v11, 0, v11, s0
	v_cmp_nlt_f32_e64 s0, 0x42b17218, v9
	v_cndmask_b32_e64 v11, 0x7f800000, v11, s0
	s_delay_alu instid0(VALU_DEP_1)
	v_add_f32_e32 v30, v30, v11
.LBB740_155:
	s_or_b32 exec_lo, exec_lo, s18
.LBB740_156:
	s_delay_alu instid0(SALU_CYCLE_1)
	s_or_b32 exec_lo, exec_lo, s1
	s_and_saveexec_b32 s1, s17
	s_cbranch_execz .LBB740_160
; %bb.157:
	global_load_u8 v2, v[2:3], off offset:960
	v_mov_b32_e32 v10, 0
	s_waitcnt vmcnt(0)
	v_and_b32_e32 v2, 1, v2
	s_delay_alu instid0(VALU_DEP_1) | instskip(NEXT) | instid1(VALU_DEP_1)
	v_cmp_eq_u32_e64 s0, 1, v2
	s_xor_b32 s0, s0, -1
	s_delay_alu instid0(SALU_CYCLE_1)
	s_and_saveexec_b32 s17, s0
	s_cbranch_execz .LBB740_159
; %bb.158:
	v_sub_f32_e32 v2, v8, v29
	s_delay_alu instid0(VALU_DEP_1) | instskip(NEXT) | instid1(VALU_DEP_1)
	v_mul_f32_e32 v3, 0x3fb8aa3b, v2
	v_fma_f32 v8, 0x3fb8aa3b, v2, -v3
	v_rndne_f32_e32 v9, v3
	s_delay_alu instid0(VALU_DEP_1) | instskip(NEXT) | instid1(VALU_DEP_1)
	v_dual_fmamk_f32 v8, v2, 0x32a5705f, v8 :: v_dual_sub_f32 v3, v3, v9
	v_add_f32_e32 v3, v3, v8
	v_cvt_i32_f32_e32 v8, v9
	v_cmp_ngt_f32_e64 s0, 0xc2ce8ed0, v2
	s_delay_alu instid0(VALU_DEP_3) | instskip(SKIP_2) | instid1(VALU_DEP_1)
	v_exp_f32_e32 v3, v3
	s_waitcnt_depctr 0xfff
	v_ldexp_f32 v3, v3, v8
	v_cndmask_b32_e64 v3, 0, v3, s0
	v_cmp_nlt_f32_e64 s0, 0x42b17218, v2
	s_delay_alu instid0(VALU_DEP_1) | instskip(NEXT) | instid1(VALU_DEP_1)
	v_cndmask_b32_e64 v10, 0x7f800000, v3, s0
	v_add_f32_e32 v30, v30, v10
.LBB740_159:
	s_or_b32 exec_lo, exec_lo, s17
.LBB740_160:
	s_delay_alu instid0(SALU_CYCLE_1)
	s_or_b32 exec_lo, exec_lo, s1
	ds_bpermute_b32 v2, v5, v30
	s_mov_b32 s1, exec_lo
	s_waitcnt lgkmcnt(0)
	v_add_f32_e32 v2, v30, v2
	ds_bpermute_b32 v3, v6, v2
	s_waitcnt lgkmcnt(0)
	v_add_f32_e32 v2, v2, v3
	ds_bpermute_b32 v3, v24, v2
	s_waitcnt lgkmcnt(0)
	v_add_f32_e32 v2, v2, v3
	ds_bpermute_b32 v3, v25, v2
	s_waitcnt lgkmcnt(0)
	v_add_f32_e32 v2, v2, v3
	ds_bpermute_b32 v3, v27, v2
	s_waitcnt lgkmcnt(0)
	v_add_f32_e32 v2, v2, v3
	ds_bpermute_b32 v3, v28, v2
	v_cmpx_lt_i32_e32 0, v7
	s_cbranch_execz .LBB740_210
; %bb.161:
	s_and_b32 exec_lo, exec_lo, vcc_lo
	s_cbranch_execz .LBB740_210
; %bb.162:
	s_waitcnt lgkmcnt(0)
	v_dual_add_f32 v2, v2, v3 :: v_dual_mov_b32 v3, 0x7e00
	s_delay_alu instid0(VALU_DEP_1) | instskip(NEXT) | instid1(VALU_DEP_1)
	v_cmp_neq_f32_e64 s0, 0, v2
	s_and_saveexec_b32 s1, s0
	s_cbranch_execz .LBB740_164
; %bb.163:
	v_div_scale_f32 v3, null, v2, v2, v26
	s_delay_alu instid0(VALU_DEP_1) | instskip(SKIP_2) | instid1(VALU_DEP_1)
	v_rcp_f32_e32 v5, v3
	s_waitcnt_depctr 0xfff
	v_fma_f32 v6, -v3, v5, 1.0
	v_fmac_f32_e32 v5, v6, v5
	v_div_scale_f32 v6, vcc_lo, v26, v2, v26
	s_delay_alu instid0(VALU_DEP_1) | instskip(NEXT) | instid1(VALU_DEP_1)
	v_mul_f32_e32 v7, v6, v5
	v_fma_f32 v8, -v3, v7, v6
	s_delay_alu instid0(VALU_DEP_1) | instskip(NEXT) | instid1(VALU_DEP_1)
	v_fmac_f32_e32 v7, v8, v5
	v_fma_f32 v3, -v3, v7, v6
	s_delay_alu instid0(VALU_DEP_1) | instskip(NEXT) | instid1(VALU_DEP_1)
	v_div_fmas_f32 v3, v3, v5, v7
	v_div_fixup_f32 v3, v3, v2, v26
	s_delay_alu instid0(VALU_DEP_1)
	v_cvt_f16_f32_e32 v3, v3
.LBB740_164:
	s_or_b32 exec_lo, exec_lo, s1
	v_add_co_u32 v0, vcc_lo, s20, v0
	v_add_co_ci_u32_e32 v1, vcc_lo, s21, v1, vcc_lo
	global_store_b16 v[0:1], v3, off
	s_and_b32 exec_lo, exec_lo, s16
	s_cbranch_execz .LBB740_210
; %bb.165:
	v_mov_b32_e32 v3, 0x7e00
	s_and_saveexec_b32 s1, s0
	s_cbranch_execz .LBB740_167
; %bb.166:
	v_div_scale_f32 v3, null, v2, v2, v4
	s_delay_alu instid0(VALU_DEP_1) | instskip(SKIP_2) | instid1(VALU_DEP_1)
	v_rcp_f32_e32 v5, v3
	s_waitcnt_depctr 0xfff
	v_fma_f32 v6, -v3, v5, 1.0
	v_fmac_f32_e32 v5, v6, v5
	v_div_scale_f32 v6, vcc_lo, v4, v2, v4
	s_delay_alu instid0(VALU_DEP_1) | instskip(NEXT) | instid1(VALU_DEP_1)
	v_mul_f32_e32 v7, v6, v5
	v_fma_f32 v8, -v3, v7, v6
	s_delay_alu instid0(VALU_DEP_1) | instskip(NEXT) | instid1(VALU_DEP_1)
	v_fmac_f32_e32 v7, v8, v5
	v_fma_f32 v3, -v3, v7, v6
	s_delay_alu instid0(VALU_DEP_1) | instskip(NEXT) | instid1(VALU_DEP_1)
	v_div_fmas_f32 v3, v3, v5, v7
	v_div_fixup_f32 v3, v3, v2, v4
	s_delay_alu instid0(VALU_DEP_1)
	v_cvt_f16_f32_e32 v3, v3
.LBB740_167:
	s_or_b32 exec_lo, exec_lo, s1
	global_store_b16 v[0:1], v3, off offset:128
	s_and_b32 exec_lo, exec_lo, s15
	s_cbranch_execz .LBB740_210
; %bb.168:
	v_mov_b32_e32 v3, 0x7e00
	s_and_saveexec_b32 s1, s0
	s_cbranch_execz .LBB740_170
; %bb.169:
	v_div_scale_f32 v3, null, v2, v2, v23
	s_delay_alu instid0(VALU_DEP_1) | instskip(SKIP_2) | instid1(VALU_DEP_1)
	v_rcp_f32_e32 v4, v3
	s_waitcnt_depctr 0xfff
	v_fma_f32 v5, -v3, v4, 1.0
	v_fmac_f32_e32 v4, v5, v4
	v_div_scale_f32 v5, vcc_lo, v23, v2, v23
	s_delay_alu instid0(VALU_DEP_1) | instskip(NEXT) | instid1(VALU_DEP_1)
	v_mul_f32_e32 v6, v5, v4
	v_fma_f32 v7, -v3, v6, v5
	s_delay_alu instid0(VALU_DEP_1) | instskip(NEXT) | instid1(VALU_DEP_1)
	v_fmac_f32_e32 v6, v7, v4
	v_fma_f32 v3, -v3, v6, v5
	s_delay_alu instid0(VALU_DEP_1) | instskip(NEXT) | instid1(VALU_DEP_1)
	v_div_fmas_f32 v3, v3, v4, v6
	v_div_fixup_f32 v3, v3, v2, v23
	s_delay_alu instid0(VALU_DEP_1)
	v_cvt_f16_f32_e32 v3, v3
.LBB740_170:
	s_or_b32 exec_lo, exec_lo, s1
	global_store_b16 v[0:1], v3, off offset:256
	;; [unrolled: 28-line block ×15, first 2 shown]
.LBB740_210:
	s_nop 0
	s_sendmsg sendmsg(MSG_DEALLOC_VGPRS)
	s_endpgm
	.section	.rodata,"a",@progbits
	.p2align	6, 0x0
	.amdhsa_kernel _ZN12_GLOBAL__N_120softmax_warp_forwardIN3c104HalfES2_fLi10ELb0ELb1ELi64EEEvPT0_PKT_iiiPKbib
		.amdhsa_group_segment_fixed_size 0
		.amdhsa_private_segment_fixed_size 0
		.amdhsa_kernarg_size 304
		.amdhsa_user_sgpr_count 15
		.amdhsa_user_sgpr_dispatch_ptr 0
		.amdhsa_user_sgpr_queue_ptr 0
		.amdhsa_user_sgpr_kernarg_segment_ptr 1
		.amdhsa_user_sgpr_dispatch_id 0
		.amdhsa_user_sgpr_private_segment_size 0
		.amdhsa_wavefront_size32 1
		.amdhsa_uses_dynamic_stack 0
		.amdhsa_enable_private_segment 0
		.amdhsa_system_sgpr_workgroup_id_x 1
		.amdhsa_system_sgpr_workgroup_id_y 0
		.amdhsa_system_sgpr_workgroup_id_z 0
		.amdhsa_system_sgpr_workgroup_info 0
		.amdhsa_system_vgpr_workitem_id 1
		.amdhsa_next_free_vgpr 33
		.amdhsa_next_free_sgpr 39
		.amdhsa_reserve_vcc 1
		.amdhsa_float_round_mode_32 0
		.amdhsa_float_round_mode_16_64 0
		.amdhsa_float_denorm_mode_32 3
		.amdhsa_float_denorm_mode_16_64 3
		.amdhsa_dx10_clamp 1
		.amdhsa_ieee_mode 1
		.amdhsa_fp16_overflow 0
		.amdhsa_workgroup_processor_mode 1
		.amdhsa_memory_ordered 1
		.amdhsa_forward_progress 0
		.amdhsa_shared_vgpr_count 0
		.amdhsa_exception_fp_ieee_invalid_op 0
		.amdhsa_exception_fp_denorm_src 0
		.amdhsa_exception_fp_ieee_div_zero 0
		.amdhsa_exception_fp_ieee_overflow 0
		.amdhsa_exception_fp_ieee_underflow 0
		.amdhsa_exception_fp_ieee_inexact 0
		.amdhsa_exception_int_div_zero 0
	.end_amdhsa_kernel
	.section	.text._ZN12_GLOBAL__N_120softmax_warp_forwardIN3c104HalfES2_fLi10ELb0ELb1ELi64EEEvPT0_PKT_iiiPKbib,"axG",@progbits,_ZN12_GLOBAL__N_120softmax_warp_forwardIN3c104HalfES2_fLi10ELb0ELb1ELi64EEEvPT0_PKT_iiiPKbib,comdat
.Lfunc_end740:
	.size	_ZN12_GLOBAL__N_120softmax_warp_forwardIN3c104HalfES2_fLi10ELb0ELb1ELi64EEEvPT0_PKT_iiiPKbib, .Lfunc_end740-_ZN12_GLOBAL__N_120softmax_warp_forwardIN3c104HalfES2_fLi10ELb0ELb1ELi64EEEvPT0_PKT_iiiPKbib
                                        ; -- End function
	.section	.AMDGPU.csdata,"",@progbits
; Kernel info:
; codeLenInByte = 9024
; NumSgprs: 41
; NumVgprs: 33
; ScratchSize: 0
; MemoryBound: 0
; FloatMode: 240
; IeeeMode: 1
; LDSByteSize: 0 bytes/workgroup (compile time only)
; SGPRBlocks: 5
; VGPRBlocks: 4
; NumSGPRsForWavesPerEU: 41
; NumVGPRsForWavesPerEU: 33
; Occupancy: 16
; WaveLimiterHint : 0
; COMPUTE_PGM_RSRC2:SCRATCH_EN: 0
; COMPUTE_PGM_RSRC2:USER_SGPR: 15
; COMPUTE_PGM_RSRC2:TRAP_HANDLER: 0
; COMPUTE_PGM_RSRC2:TGID_X_EN: 1
; COMPUTE_PGM_RSRC2:TGID_Y_EN: 0
; COMPUTE_PGM_RSRC2:TGID_Z_EN: 0
; COMPUTE_PGM_RSRC2:TIDIG_COMP_CNT: 1
	.section	.text._ZN12_GLOBAL__N_120softmax_warp_forwardIN3c104HalfES2_fLi10ELb0ELb1ELi32EEEvPT0_PKT_iiiPKbib,"axG",@progbits,_ZN12_GLOBAL__N_120softmax_warp_forwardIN3c104HalfES2_fLi10ELb0ELb1ELi32EEEvPT0_PKT_iiiPKbib,comdat
	.globl	_ZN12_GLOBAL__N_120softmax_warp_forwardIN3c104HalfES2_fLi10ELb0ELb1ELi32EEEvPT0_PKT_iiiPKbib ; -- Begin function _ZN12_GLOBAL__N_120softmax_warp_forwardIN3c104HalfES2_fLi10ELb0ELb1ELi32EEEvPT0_PKT_iiiPKbib
	.p2align	8
	.type	_ZN12_GLOBAL__N_120softmax_warp_forwardIN3c104HalfES2_fLi10ELb0ELb1ELi32EEEvPT0_PKT_iiiPKbib,@function
_ZN12_GLOBAL__N_120softmax_warp_forwardIN3c104HalfES2_fLi10ELb0ELb1ELi32EEEvPT0_PKT_iiiPKbib: ; @_ZN12_GLOBAL__N_120softmax_warp_forwardIN3c104HalfES2_fLi10ELb0ELb1ELi32EEEvPT0_PKT_iiiPKbib
; %bb.0:
	s_clause 0x1
	s_load_b32 s2, s[0:1], 0x3c
	s_load_b128 s[40:43], s[0:1], 0x10
	v_bfe_u32 v3, v0, 10, 10
	s_waitcnt lgkmcnt(0)
	s_lshr_b32 s2, s2, 16
	s_delay_alu instid0(VALU_DEP_1) | instid1(SALU_CYCLE_1)
	v_mad_u64_u32 v[1:2], null, s15, s2, v[3:4]
	s_load_b64 s[2:3], s[0:1], 0x28
	v_and_b32_e32 v2, 0x3ff, v0
	s_delay_alu instid0(VALU_DEP_2) | instskip(NEXT) | instid1(VALU_DEP_1)
	v_mul_lo_u32 v7, v1, s41
	v_add_nc_u32_e32 v5, v7, v2
	s_delay_alu instid0(VALU_DEP_1) | instskip(SKIP_3) | instid1(VALU_DEP_2)
	v_ashrrev_i32_e32 v6, 31, v5
	v_mov_b32_e32 v3, v5
	s_waitcnt lgkmcnt(0)
	s_bitcmp0_b32 s3, 0
	v_mov_b32_e32 v4, v6
	s_cbranch_scc1 .LBB741_2
; %bb.1:
	s_abs_i32 s3, s2
	v_sub_nc_u32_e32 v4, 0, v7
	v_cvt_f32_u32_e32 v0, s3
	s_sub_i32 s4, 0, s3
	s_delay_alu instid0(VALU_DEP_2) | instskip(NEXT) | instid1(VALU_DEP_2)
	v_max_i32_e32 v4, v7, v4
	v_rcp_iflag_f32_e32 v0, v0
	s_waitcnt_depctr 0xfff
	v_mul_f32_e32 v0, 0x4f7ffffe, v0
	s_delay_alu instid0(VALU_DEP_1) | instskip(NEXT) | instid1(VALU_DEP_1)
	v_cvt_u32_f32_e32 v0, v0
	v_mul_lo_u32 v3, s4, v0
	s_delay_alu instid0(VALU_DEP_1) | instskip(NEXT) | instid1(VALU_DEP_1)
	v_mul_hi_u32 v3, v0, v3
	v_add_nc_u32_e32 v0, v0, v3
	s_delay_alu instid0(VALU_DEP_1) | instskip(NEXT) | instid1(VALU_DEP_1)
	v_mul_hi_u32 v0, v4, v0
	v_mul_lo_u32 v3, v0, s3
	s_delay_alu instid0(VALU_DEP_1) | instskip(SKIP_1) | instid1(VALU_DEP_2)
	v_sub_nc_u32_e32 v3, v4, v3
	v_add_nc_u32_e32 v4, 1, v0
	v_subrev_nc_u32_e32 v8, s3, v3
	v_cmp_le_u32_e32 vcc_lo, s3, v3
	s_delay_alu instid0(VALU_DEP_2) | instskip(NEXT) | instid1(VALU_DEP_4)
	v_cndmask_b32_e32 v3, v3, v8, vcc_lo
	v_cndmask_b32_e32 v0, v0, v4, vcc_lo
	v_xor_b32_e32 v4, s2, v7
	s_delay_alu instid0(VALU_DEP_3) | instskip(NEXT) | instid1(VALU_DEP_3)
	v_cmp_le_u32_e32 vcc_lo, s3, v3
	v_add_nc_u32_e32 v7, 1, v0
	s_delay_alu instid0(VALU_DEP_3) | instskip(NEXT) | instid1(VALU_DEP_2)
	v_ashrrev_i32_e32 v4, 31, v4
	v_cndmask_b32_e32 v0, v0, v7, vcc_lo
	s_delay_alu instid0(VALU_DEP_1) | instskip(NEXT) | instid1(VALU_DEP_1)
	v_xor_b32_e32 v0, v0, v4
	v_sub_nc_u32_e32 v0, v0, v4
	s_delay_alu instid0(VALU_DEP_1) | instskip(NEXT) | instid1(VALU_DEP_1)
	v_mad_u64_u32 v[3:4], null, v0, s41, v[2:3]
	v_ashrrev_i32_e32 v4, 31, v3
.LBB741_2:
	s_load_b128 s[36:39], s[0:1], 0x0
	v_sub_nc_u32_e32 v7, s40, v1
	v_lshlrev_b64 v[0:1], 1, v[5:6]
	v_cmp_gt_i32_e32 vcc_lo, s42, v2
	v_dual_mov_b32 v38, 0xff800000 :: v_dual_mov_b32 v39, 0xff800000
	s_delay_alu instid0(VALU_DEP_4) | instskip(NEXT) | instid1(VALU_DEP_1)
	v_cmp_lt_i32_e64 s34, 0, v7
	s_and_b32 s68, s34, vcc_lo
	s_waitcnt lgkmcnt(0)
	v_add_co_u32 v5, s2, s38, v0
	s_delay_alu instid0(VALU_DEP_1)
	v_add_co_ci_u32_e64 v6, s2, s39, v1, s2
	s_and_saveexec_b32 s2, s68
	s_cbranch_execz .LBB741_4
; %bb.3:
	global_load_u16 v8, v[5:6], off
	s_waitcnt vmcnt(0)
	v_cvt_f32_f16_e32 v39, v8
.LBB741_4:
	s_or_b32 exec_lo, exec_lo, s2
	v_add_nc_u32_e32 v8, 32, v2
	s_delay_alu instid0(VALU_DEP_1) | instskip(NEXT) | instid1(VALU_DEP_1)
	v_cmp_gt_i32_e64 s33, s42, v8
	s_and_b32 s67, s34, s33
	s_delay_alu instid0(SALU_CYCLE_1)
	s_and_saveexec_b32 s2, s67
	s_cbranch_execz .LBB741_6
; %bb.5:
	global_load_u16 v8, v[5:6], off offset:64
	s_waitcnt vmcnt(0)
	v_cvt_f32_f16_e32 v38, v8
.LBB741_6:
	s_or_b32 exec_lo, exec_lo, s2
	v_dual_mov_b32 v37, 0xff800000 :: v_dual_add_nc_u32 v8, 64, v2
	v_mov_b32_e32 v36, 0xff800000
	s_delay_alu instid0(VALU_DEP_2) | instskip(NEXT) | instid1(VALU_DEP_1)
	v_cmp_gt_i32_e64 s31, s42, v8
	s_and_b32 s66, s34, s31
	s_delay_alu instid0(SALU_CYCLE_1)
	s_and_saveexec_b32 s2, s66
	s_cbranch_execz .LBB741_8
; %bb.7:
	global_load_u16 v8, v[5:6], off offset:128
	s_waitcnt vmcnt(0)
	v_cvt_f32_f16_e32 v37, v8
.LBB741_8:
	s_or_b32 exec_lo, exec_lo, s2
	v_add_nc_u32_e32 v8, 0x60, v2
	s_delay_alu instid0(VALU_DEP_1) | instskip(NEXT) | instid1(VALU_DEP_1)
	v_cmp_gt_i32_e64 s30, s42, v8
	s_and_b32 s65, s34, s30
	s_delay_alu instid0(SALU_CYCLE_1)
	s_and_saveexec_b32 s2, s65
	s_cbranch_execz .LBB741_10
; %bb.9:
	global_load_u16 v8, v[5:6], off offset:192
	s_waitcnt vmcnt(0)
	v_cvt_f32_f16_e32 v36, v8
.LBB741_10:
	s_or_b32 exec_lo, exec_lo, s2
	v_add_nc_u32_e32 v8, 0x80, v2
	v_dual_mov_b32 v34, 0xff800000 :: v_dual_mov_b32 v35, 0xff800000
	s_delay_alu instid0(VALU_DEP_2) | instskip(NEXT) | instid1(VALU_DEP_1)
	v_cmp_gt_i32_e64 s29, s42, v8
	s_and_b32 s64, s34, s29
	s_delay_alu instid0(SALU_CYCLE_1)
	s_and_saveexec_b32 s2, s64
	s_cbranch_execz .LBB741_12
; %bb.11:
	global_load_u16 v8, v[5:6], off offset:256
	s_waitcnt vmcnt(0)
	v_cvt_f32_f16_e32 v35, v8
.LBB741_12:
	s_or_b32 exec_lo, exec_lo, s2
	v_add_nc_u32_e32 v8, 0xa0, v2
	s_delay_alu instid0(VALU_DEP_1) | instskip(NEXT) | instid1(VALU_DEP_1)
	v_cmp_gt_i32_e64 s28, s42, v8
	s_and_b32 s63, s34, s28
	s_delay_alu instid0(SALU_CYCLE_1)
	s_and_saveexec_b32 s2, s63
	s_cbranch_execz .LBB741_14
; %bb.13:
	global_load_u16 v8, v[5:6], off offset:320
	s_waitcnt vmcnt(0)
	v_cvt_f32_f16_e32 v34, v8
.LBB741_14:
	s_or_b32 exec_lo, exec_lo, s2
	v_add_nc_u32_e32 v8, 0xc0, v2
	v_dual_mov_b32 v32, 0xff800000 :: v_dual_mov_b32 v33, 0xff800000
	;; [unrolled: 27-line block ×13, first 2 shown]
	s_delay_alu instid0(VALU_DEP_2) | instskip(NEXT) | instid1(VALU_DEP_1)
	v_cmp_gt_i32_e64 s5, s42, v8
	s_and_b32 s39, s34, s5
	s_delay_alu instid0(SALU_CYCLE_1)
	s_and_saveexec_b32 s2, s39
	s_cbranch_execz .LBB741_60
; %bb.59:
	global_load_u16 v8, v[5:6], off offset:1792
	s_waitcnt vmcnt(0)
	v_cvt_f32_f16_e32 v11, v8
.LBB741_60:
	s_or_b32 exec_lo, exec_lo, s2
	v_add_nc_u32_e32 v8, 0x3a0, v2
	s_delay_alu instid0(VALU_DEP_1) | instskip(NEXT) | instid1(VALU_DEP_1)
	v_cmp_gt_i32_e64 s4, s42, v8
	s_and_b32 s38, s34, s4
	s_delay_alu instid0(SALU_CYCLE_1)
	s_and_saveexec_b32 s2, s38
	s_cbranch_execz .LBB741_62
; %bb.61:
	global_load_u16 v8, v[5:6], off offset:1856
	s_waitcnt vmcnt(0)
	v_cvt_f32_f16_e32 v10, v8
.LBB741_62:
	s_or_b32 exec_lo, exec_lo, s2
	v_add_nc_u32_e32 v8, 0x3c0, v2
	v_mov_b32_e32 v9, 0xff800000
	s_delay_alu instid0(VALU_DEP_2) | instskip(SKIP_1) | instid1(VALU_DEP_2)
	v_cmp_gt_i32_e64 s3, s42, v8
	v_mov_b32_e32 v8, 0xff800000
	s_and_b32 s35, s34, s3
	s_delay_alu instid0(SALU_CYCLE_1)
	s_and_saveexec_b32 s2, s35
	s_cbranch_execz .LBB741_64
; %bb.63:
	global_load_u16 v9, v[5:6], off offset:1920
	s_waitcnt vmcnt(0)
	v_cvt_f32_f16_e32 v9, v9
.LBB741_64:
	s_or_b32 exec_lo, exec_lo, s2
	v_add_nc_u32_e32 v2, 0x3e0, v2
	s_delay_alu instid0(VALU_DEP_1) | instskip(NEXT) | instid1(VALU_DEP_1)
	v_cmp_gt_i32_e64 s2, s42, v2
	s_and_b32 s34, s34, s2
	s_delay_alu instid0(SALU_CYCLE_1)
	s_and_saveexec_b32 s42, s34
	s_cbranch_execz .LBB741_66
; %bb.65:
	global_load_u16 v2, v[5:6], off offset:1984
	s_waitcnt vmcnt(0)
	v_cvt_f32_f16_e32 v8, v2
.LBB741_66:
	s_or_b32 exec_lo, exec_lo, s42
	s_load_b64 s[0:1], s[0:1], 0x20
	s_waitcnt lgkmcnt(0)
	v_add_co_u32 v2, s0, s0, v3
	s_delay_alu instid0(VALU_DEP_1)
	v_add_co_ci_u32_e64 v3, s0, s1, v4, s0
	s_mov_b32 s1, 0
	s_and_saveexec_b32 s42, s68
	s_cbranch_execnz .LBB741_98
; %bb.67:
	s_or_b32 exec_lo, exec_lo, s42
	v_mov_b32_e32 v4, v39
	s_and_saveexec_b32 s42, s67
	s_cbranch_execnz .LBB741_99
.LBB741_68:
	s_or_b32 exec_lo, exec_lo, s42
	s_and_saveexec_b32 s42, s66
	s_cbranch_execnz .LBB741_102
.LBB741_69:
	s_or_b32 exec_lo, exec_lo, s42
	s_and_saveexec_b32 s42, s65
	s_cbranch_execnz .LBB741_105
.LBB741_70:
	s_or_b32 exec_lo, exec_lo, s42
	s_and_saveexec_b32 s42, s64
	s_cbranch_execnz .LBB741_108
.LBB741_71:
	s_or_b32 exec_lo, exec_lo, s42
	s_and_saveexec_b32 s42, s63
	s_cbranch_execnz .LBB741_111
.LBB741_72:
	s_or_b32 exec_lo, exec_lo, s42
	s_and_saveexec_b32 s42, s62
	s_cbranch_execnz .LBB741_114
.LBB741_73:
	s_or_b32 exec_lo, exec_lo, s42
	s_and_saveexec_b32 s42, s61
	s_cbranch_execnz .LBB741_117
.LBB741_74:
	s_or_b32 exec_lo, exec_lo, s42
	s_and_saveexec_b32 s42, s60
	s_cbranch_execnz .LBB741_120
.LBB741_75:
	s_or_b32 exec_lo, exec_lo, s42
	s_and_saveexec_b32 s42, s59
	s_cbranch_execnz .LBB741_123
.LBB741_76:
	s_or_b32 exec_lo, exec_lo, s42
	s_and_saveexec_b32 s42, s58
	s_cbranch_execnz .LBB741_126
.LBB741_77:
	s_or_b32 exec_lo, exec_lo, s42
	s_and_saveexec_b32 s42, s57
	s_cbranch_execnz .LBB741_129
.LBB741_78:
	s_or_b32 exec_lo, exec_lo, s42
	s_and_saveexec_b32 s42, s56
	s_cbranch_execnz .LBB741_132
.LBB741_79:
	s_or_b32 exec_lo, exec_lo, s42
	s_and_saveexec_b32 s42, s55
	s_cbranch_execnz .LBB741_135
.LBB741_80:
	s_or_b32 exec_lo, exec_lo, s42
	s_and_saveexec_b32 s42, s54
	s_cbranch_execnz .LBB741_138
.LBB741_81:
	s_or_b32 exec_lo, exec_lo, s42
	s_and_saveexec_b32 s42, s53
	s_cbranch_execnz .LBB741_141
.LBB741_82:
	s_or_b32 exec_lo, exec_lo, s42
	s_and_saveexec_b32 s42, s52
	s_cbranch_execnz .LBB741_144
.LBB741_83:
	s_or_b32 exec_lo, exec_lo, s42
	s_and_saveexec_b32 s42, s51
	s_cbranch_execnz .LBB741_147
.LBB741_84:
	s_or_b32 exec_lo, exec_lo, s42
	s_and_saveexec_b32 s42, s50
	s_cbranch_execnz .LBB741_150
.LBB741_85:
	s_or_b32 exec_lo, exec_lo, s42
	s_and_saveexec_b32 s42, s49
	s_cbranch_execnz .LBB741_153
.LBB741_86:
	s_or_b32 exec_lo, exec_lo, s42
	s_and_saveexec_b32 s42, s48
	s_cbranch_execnz .LBB741_156
.LBB741_87:
	s_or_b32 exec_lo, exec_lo, s42
	s_and_saveexec_b32 s42, s47
	s_cbranch_execnz .LBB741_159
.LBB741_88:
	s_or_b32 exec_lo, exec_lo, s42
	s_and_saveexec_b32 s42, s46
	s_cbranch_execnz .LBB741_162
.LBB741_89:
	s_or_b32 exec_lo, exec_lo, s42
	s_and_saveexec_b32 s42, s45
	s_cbranch_execnz .LBB741_165
.LBB741_90:
	s_or_b32 exec_lo, exec_lo, s42
	s_and_saveexec_b32 s42, s44
	s_cbranch_execnz .LBB741_168
.LBB741_91:
	s_or_b32 exec_lo, exec_lo, s42
	s_and_saveexec_b32 s42, s43
	s_cbranch_execnz .LBB741_171
.LBB741_92:
	s_or_b32 exec_lo, exec_lo, s42
	s_and_saveexec_b32 s42, s41
	s_cbranch_execnz .LBB741_174
.LBB741_93:
	s_or_b32 exec_lo, exec_lo, s42
	s_and_saveexec_b32 s42, s40
	s_cbranch_execnz .LBB741_177
.LBB741_94:
	s_or_b32 exec_lo, exec_lo, s42
	s_and_saveexec_b32 s42, s39
	s_cbranch_execnz .LBB741_180
.LBB741_95:
	s_or_b32 exec_lo, exec_lo, s42
	s_and_saveexec_b32 s42, s38
	s_cbranch_execnz .LBB741_183
.LBB741_96:
	s_or_b32 exec_lo, exec_lo, s42
	s_and_saveexec_b32 s42, s35
	s_cbranch_execnz .LBB741_186
.LBB741_97:
	s_or_b32 exec_lo, exec_lo, s42
	s_and_saveexec_b32 s42, s34
	s_cbranch_execnz .LBB741_189
	s_branch .LBB741_192
.LBB741_98:
	global_load_u8 v4, v[2:3], off
	s_waitcnt vmcnt(0)
	v_and_b32_e32 v4, 1, v4
	s_delay_alu instid0(VALU_DEP_1) | instskip(NEXT) | instid1(VALU_DEP_1)
	v_cmp_eq_u32_e64 s0, 1, v4
	s_xor_b32 s0, s0, -1
	s_delay_alu instid0(SALU_CYCLE_1)
	s_and_b32 s1, s0, exec_lo
	s_or_b32 exec_lo, exec_lo, s42
	v_mov_b32_e32 v4, v39
	s_and_saveexec_b32 s42, s67
	s_cbranch_execz .LBB741_68
.LBB741_99:
	global_load_u8 v4, v[2:3], off offset:32
	s_waitcnt vmcnt(0)
	v_and_b32_e32 v4, 1, v4
	s_delay_alu instid0(VALU_DEP_1) | instskip(SKIP_1) | instid1(VALU_DEP_2)
	v_cmp_eq_u32_e64 s0, 1, v4
	v_mov_b32_e32 v4, v39
	s_xor_b32 s70, s0, -1
	s_mov_b32 s0, s1
	s_and_saveexec_b32 s69, s70
; %bb.100:
	v_cmp_gt_f32_e64 s0, v39, v38
	s_delay_alu instid0(VALU_DEP_1) | instskip(NEXT) | instid1(SALU_CYCLE_1)
	s_and_b32 s0, s1, s0
	v_cndmask_b32_e64 v4, v38, v39, s0
	s_or_b32 s0, s1, exec_lo
; %bb.101:
	s_or_b32 exec_lo, exec_lo, s69
	s_delay_alu instid0(SALU_CYCLE_1) | instskip(SKIP_1) | instid1(SALU_CYCLE_1)
	s_and_not1_b32 s1, s1, exec_lo
	s_and_b32 s0, s0, exec_lo
	s_or_b32 s1, s1, s0
	s_or_b32 exec_lo, exec_lo, s42
	s_and_saveexec_b32 s42, s66
	s_cbranch_execz .LBB741_69
.LBB741_102:
	global_load_u8 v5, v[2:3], off offset:64
	s_waitcnt vmcnt(0)
	v_and_b32_e32 v5, 1, v5
	s_delay_alu instid0(VALU_DEP_1) | instskip(NEXT) | instid1(VALU_DEP_1)
	v_cmp_eq_u32_e64 s0, 1, v5
	s_xor_b32 s70, s0, -1
	s_mov_b32 s0, s1
	s_and_saveexec_b32 s69, s70
; %bb.103:
	v_cmp_gt_f32_e64 s0, v4, v37
	s_delay_alu instid0(VALU_DEP_1) | instskip(NEXT) | instid1(SALU_CYCLE_1)
	s_and_b32 s0, s1, s0
	v_cndmask_b32_e64 v4, v37, v4, s0
	s_or_b32 s0, s1, exec_lo
; %bb.104:
	s_or_b32 exec_lo, exec_lo, s69
	s_delay_alu instid0(SALU_CYCLE_1) | instskip(SKIP_1) | instid1(SALU_CYCLE_1)
	s_and_not1_b32 s1, s1, exec_lo
	s_and_b32 s0, s0, exec_lo
	s_or_b32 s1, s1, s0
	s_or_b32 exec_lo, exec_lo, s42
	s_and_saveexec_b32 s42, s65
	s_cbranch_execz .LBB741_70
.LBB741_105:
	global_load_u8 v5, v[2:3], off offset:96
	s_waitcnt vmcnt(0)
	v_and_b32_e32 v5, 1, v5
	s_delay_alu instid0(VALU_DEP_1) | instskip(NEXT) | instid1(VALU_DEP_1)
	v_cmp_eq_u32_e64 s0, 1, v5
	s_xor_b32 s70, s0, -1
	s_mov_b32 s0, s1
	s_and_saveexec_b32 s69, s70
; %bb.106:
	v_cmp_gt_f32_e64 s0, v4, v36
	s_delay_alu instid0(VALU_DEP_1) | instskip(NEXT) | instid1(SALU_CYCLE_1)
	s_and_b32 s0, s1, s0
	v_cndmask_b32_e64 v4, v36, v4, s0
	s_or_b32 s0, s1, exec_lo
; %bb.107:
	s_or_b32 exec_lo, exec_lo, s69
	s_delay_alu instid0(SALU_CYCLE_1) | instskip(SKIP_1) | instid1(SALU_CYCLE_1)
	s_and_not1_b32 s1, s1, exec_lo
	s_and_b32 s0, s0, exec_lo
	s_or_b32 s1, s1, s0
	s_or_b32 exec_lo, exec_lo, s42
	s_and_saveexec_b32 s42, s64
	s_cbranch_execz .LBB741_71
.LBB741_108:
	global_load_u8 v5, v[2:3], off offset:128
	s_waitcnt vmcnt(0)
	v_and_b32_e32 v5, 1, v5
	s_delay_alu instid0(VALU_DEP_1) | instskip(NEXT) | instid1(VALU_DEP_1)
	v_cmp_eq_u32_e64 s0, 1, v5
	s_xor_b32 s70, s0, -1
	s_mov_b32 s0, s1
	s_and_saveexec_b32 s69, s70
; %bb.109:
	v_cmp_gt_f32_e64 s0, v4, v35
	s_delay_alu instid0(VALU_DEP_1) | instskip(NEXT) | instid1(SALU_CYCLE_1)
	s_and_b32 s0, s1, s0
	v_cndmask_b32_e64 v4, v35, v4, s0
	s_or_b32 s0, s1, exec_lo
; %bb.110:
	s_or_b32 exec_lo, exec_lo, s69
	s_delay_alu instid0(SALU_CYCLE_1) | instskip(SKIP_1) | instid1(SALU_CYCLE_1)
	s_and_not1_b32 s1, s1, exec_lo
	s_and_b32 s0, s0, exec_lo
	s_or_b32 s1, s1, s0
	s_or_b32 exec_lo, exec_lo, s42
	s_and_saveexec_b32 s42, s63
	s_cbranch_execz .LBB741_72
.LBB741_111:
	global_load_u8 v5, v[2:3], off offset:160
	s_waitcnt vmcnt(0)
	v_and_b32_e32 v5, 1, v5
	s_delay_alu instid0(VALU_DEP_1) | instskip(NEXT) | instid1(VALU_DEP_1)
	v_cmp_eq_u32_e64 s0, 1, v5
	s_xor_b32 s70, s0, -1
	s_mov_b32 s0, s1
	s_and_saveexec_b32 s69, s70
; %bb.112:
	v_cmp_gt_f32_e64 s0, v4, v34
	s_delay_alu instid0(VALU_DEP_1) | instskip(NEXT) | instid1(SALU_CYCLE_1)
	s_and_b32 s0, s1, s0
	v_cndmask_b32_e64 v4, v34, v4, s0
	s_or_b32 s0, s1, exec_lo
; %bb.113:
	s_or_b32 exec_lo, exec_lo, s69
	s_delay_alu instid0(SALU_CYCLE_1) | instskip(SKIP_1) | instid1(SALU_CYCLE_1)
	s_and_not1_b32 s1, s1, exec_lo
	s_and_b32 s0, s0, exec_lo
	s_or_b32 s1, s1, s0
	s_or_b32 exec_lo, exec_lo, s42
	s_and_saveexec_b32 s42, s62
	s_cbranch_execz .LBB741_73
.LBB741_114:
	global_load_u8 v5, v[2:3], off offset:192
	s_waitcnt vmcnt(0)
	v_and_b32_e32 v5, 1, v5
	s_delay_alu instid0(VALU_DEP_1) | instskip(NEXT) | instid1(VALU_DEP_1)
	v_cmp_eq_u32_e64 s0, 1, v5
	s_xor_b32 s70, s0, -1
	s_mov_b32 s0, s1
	s_and_saveexec_b32 s69, s70
; %bb.115:
	v_cmp_gt_f32_e64 s0, v4, v33
	s_delay_alu instid0(VALU_DEP_1) | instskip(NEXT) | instid1(SALU_CYCLE_1)
	s_and_b32 s0, s1, s0
	v_cndmask_b32_e64 v4, v33, v4, s0
	s_or_b32 s0, s1, exec_lo
; %bb.116:
	s_or_b32 exec_lo, exec_lo, s69
	s_delay_alu instid0(SALU_CYCLE_1) | instskip(SKIP_1) | instid1(SALU_CYCLE_1)
	s_and_not1_b32 s1, s1, exec_lo
	s_and_b32 s0, s0, exec_lo
	s_or_b32 s1, s1, s0
	s_or_b32 exec_lo, exec_lo, s42
	s_and_saveexec_b32 s42, s61
	s_cbranch_execz .LBB741_74
.LBB741_117:
	global_load_u8 v5, v[2:3], off offset:224
	s_waitcnt vmcnt(0)
	v_and_b32_e32 v5, 1, v5
	s_delay_alu instid0(VALU_DEP_1) | instskip(NEXT) | instid1(VALU_DEP_1)
	v_cmp_eq_u32_e64 s0, 1, v5
	s_xor_b32 s70, s0, -1
	s_mov_b32 s0, s1
	s_and_saveexec_b32 s69, s70
; %bb.118:
	v_cmp_gt_f32_e64 s0, v4, v32
	s_delay_alu instid0(VALU_DEP_1) | instskip(NEXT) | instid1(SALU_CYCLE_1)
	s_and_b32 s0, s1, s0
	v_cndmask_b32_e64 v4, v32, v4, s0
	s_or_b32 s0, s1, exec_lo
; %bb.119:
	s_or_b32 exec_lo, exec_lo, s69
	s_delay_alu instid0(SALU_CYCLE_1) | instskip(SKIP_1) | instid1(SALU_CYCLE_1)
	s_and_not1_b32 s1, s1, exec_lo
	s_and_b32 s0, s0, exec_lo
	s_or_b32 s1, s1, s0
	s_or_b32 exec_lo, exec_lo, s42
	s_and_saveexec_b32 s42, s60
	s_cbranch_execz .LBB741_75
.LBB741_120:
	global_load_u8 v5, v[2:3], off offset:256
	s_waitcnt vmcnt(0)
	v_and_b32_e32 v5, 1, v5
	s_delay_alu instid0(VALU_DEP_1) | instskip(NEXT) | instid1(VALU_DEP_1)
	v_cmp_eq_u32_e64 s0, 1, v5
	s_xor_b32 s70, s0, -1
	s_mov_b32 s0, s1
	s_and_saveexec_b32 s69, s70
; %bb.121:
	v_cmp_gt_f32_e64 s0, v4, v31
	s_delay_alu instid0(VALU_DEP_1) | instskip(NEXT) | instid1(SALU_CYCLE_1)
	s_and_b32 s0, s1, s0
	v_cndmask_b32_e64 v4, v31, v4, s0
	s_or_b32 s0, s1, exec_lo
; %bb.122:
	s_or_b32 exec_lo, exec_lo, s69
	s_delay_alu instid0(SALU_CYCLE_1) | instskip(SKIP_1) | instid1(SALU_CYCLE_1)
	s_and_not1_b32 s1, s1, exec_lo
	s_and_b32 s0, s0, exec_lo
	s_or_b32 s1, s1, s0
	s_or_b32 exec_lo, exec_lo, s42
	s_and_saveexec_b32 s42, s59
	s_cbranch_execz .LBB741_76
.LBB741_123:
	global_load_u8 v5, v[2:3], off offset:288
	s_waitcnt vmcnt(0)
	v_and_b32_e32 v5, 1, v5
	s_delay_alu instid0(VALU_DEP_1) | instskip(NEXT) | instid1(VALU_DEP_1)
	v_cmp_eq_u32_e64 s0, 1, v5
	s_xor_b32 s70, s0, -1
	s_mov_b32 s0, s1
	s_and_saveexec_b32 s69, s70
; %bb.124:
	v_cmp_gt_f32_e64 s0, v4, v30
	s_delay_alu instid0(VALU_DEP_1) | instskip(NEXT) | instid1(SALU_CYCLE_1)
	s_and_b32 s0, s1, s0
	v_cndmask_b32_e64 v4, v30, v4, s0
	s_or_b32 s0, s1, exec_lo
; %bb.125:
	s_or_b32 exec_lo, exec_lo, s69
	s_delay_alu instid0(SALU_CYCLE_1) | instskip(SKIP_1) | instid1(SALU_CYCLE_1)
	s_and_not1_b32 s1, s1, exec_lo
	s_and_b32 s0, s0, exec_lo
	s_or_b32 s1, s1, s0
	s_or_b32 exec_lo, exec_lo, s42
	s_and_saveexec_b32 s42, s58
	s_cbranch_execz .LBB741_77
.LBB741_126:
	global_load_u8 v5, v[2:3], off offset:320
	s_waitcnt vmcnt(0)
	v_and_b32_e32 v5, 1, v5
	s_delay_alu instid0(VALU_DEP_1) | instskip(NEXT) | instid1(VALU_DEP_1)
	v_cmp_eq_u32_e64 s0, 1, v5
	s_xor_b32 s70, s0, -1
	s_mov_b32 s0, s1
	s_and_saveexec_b32 s69, s70
; %bb.127:
	v_cmp_gt_f32_e64 s0, v4, v29
	s_delay_alu instid0(VALU_DEP_1) | instskip(NEXT) | instid1(SALU_CYCLE_1)
	s_and_b32 s0, s1, s0
	v_cndmask_b32_e64 v4, v29, v4, s0
	s_or_b32 s0, s1, exec_lo
; %bb.128:
	s_or_b32 exec_lo, exec_lo, s69
	s_delay_alu instid0(SALU_CYCLE_1) | instskip(SKIP_1) | instid1(SALU_CYCLE_1)
	s_and_not1_b32 s1, s1, exec_lo
	s_and_b32 s0, s0, exec_lo
	s_or_b32 s1, s1, s0
	s_or_b32 exec_lo, exec_lo, s42
	s_and_saveexec_b32 s42, s57
	s_cbranch_execz .LBB741_78
.LBB741_129:
	global_load_u8 v5, v[2:3], off offset:352
	s_waitcnt vmcnt(0)
	v_and_b32_e32 v5, 1, v5
	s_delay_alu instid0(VALU_DEP_1) | instskip(NEXT) | instid1(VALU_DEP_1)
	v_cmp_eq_u32_e64 s0, 1, v5
	s_xor_b32 s70, s0, -1
	s_mov_b32 s0, s1
	s_and_saveexec_b32 s69, s70
; %bb.130:
	v_cmp_gt_f32_e64 s0, v4, v28
	s_delay_alu instid0(VALU_DEP_1) | instskip(NEXT) | instid1(SALU_CYCLE_1)
	s_and_b32 s0, s1, s0
	v_cndmask_b32_e64 v4, v28, v4, s0
	s_or_b32 s0, s1, exec_lo
; %bb.131:
	s_or_b32 exec_lo, exec_lo, s69
	s_delay_alu instid0(SALU_CYCLE_1) | instskip(SKIP_1) | instid1(SALU_CYCLE_1)
	s_and_not1_b32 s1, s1, exec_lo
	s_and_b32 s0, s0, exec_lo
	s_or_b32 s1, s1, s0
	s_or_b32 exec_lo, exec_lo, s42
	s_and_saveexec_b32 s42, s56
	s_cbranch_execz .LBB741_79
.LBB741_132:
	global_load_u8 v5, v[2:3], off offset:384
	s_waitcnt vmcnt(0)
	v_and_b32_e32 v5, 1, v5
	s_delay_alu instid0(VALU_DEP_1) | instskip(NEXT) | instid1(VALU_DEP_1)
	v_cmp_eq_u32_e64 s0, 1, v5
	s_xor_b32 s70, s0, -1
	s_mov_b32 s0, s1
	s_and_saveexec_b32 s69, s70
; %bb.133:
	v_cmp_gt_f32_e64 s0, v4, v27
	s_delay_alu instid0(VALU_DEP_1) | instskip(NEXT) | instid1(SALU_CYCLE_1)
	s_and_b32 s0, s1, s0
	v_cndmask_b32_e64 v4, v27, v4, s0
	s_or_b32 s0, s1, exec_lo
; %bb.134:
	s_or_b32 exec_lo, exec_lo, s69
	s_delay_alu instid0(SALU_CYCLE_1) | instskip(SKIP_1) | instid1(SALU_CYCLE_1)
	s_and_not1_b32 s1, s1, exec_lo
	s_and_b32 s0, s0, exec_lo
	s_or_b32 s1, s1, s0
	s_or_b32 exec_lo, exec_lo, s42
	s_and_saveexec_b32 s42, s55
	s_cbranch_execz .LBB741_80
.LBB741_135:
	global_load_u8 v5, v[2:3], off offset:416
	s_waitcnt vmcnt(0)
	v_and_b32_e32 v5, 1, v5
	s_delay_alu instid0(VALU_DEP_1) | instskip(NEXT) | instid1(VALU_DEP_1)
	v_cmp_eq_u32_e64 s0, 1, v5
	s_xor_b32 s70, s0, -1
	s_mov_b32 s0, s1
	s_and_saveexec_b32 s69, s70
; %bb.136:
	v_cmp_gt_f32_e64 s0, v4, v26
	s_delay_alu instid0(VALU_DEP_1) | instskip(NEXT) | instid1(SALU_CYCLE_1)
	s_and_b32 s0, s1, s0
	v_cndmask_b32_e64 v4, v26, v4, s0
	s_or_b32 s0, s1, exec_lo
; %bb.137:
	s_or_b32 exec_lo, exec_lo, s69
	s_delay_alu instid0(SALU_CYCLE_1) | instskip(SKIP_1) | instid1(SALU_CYCLE_1)
	s_and_not1_b32 s1, s1, exec_lo
	s_and_b32 s0, s0, exec_lo
	s_or_b32 s1, s1, s0
	s_or_b32 exec_lo, exec_lo, s42
	s_and_saveexec_b32 s42, s54
	s_cbranch_execz .LBB741_81
.LBB741_138:
	global_load_u8 v5, v[2:3], off offset:448
	s_waitcnt vmcnt(0)
	v_and_b32_e32 v5, 1, v5
	s_delay_alu instid0(VALU_DEP_1) | instskip(NEXT) | instid1(VALU_DEP_1)
	v_cmp_eq_u32_e64 s0, 1, v5
	s_xor_b32 s70, s0, -1
	s_mov_b32 s0, s1
	s_and_saveexec_b32 s69, s70
; %bb.139:
	v_cmp_gt_f32_e64 s0, v4, v25
	s_delay_alu instid0(VALU_DEP_1) | instskip(NEXT) | instid1(SALU_CYCLE_1)
	s_and_b32 s0, s1, s0
	v_cndmask_b32_e64 v4, v25, v4, s0
	s_or_b32 s0, s1, exec_lo
; %bb.140:
	s_or_b32 exec_lo, exec_lo, s69
	s_delay_alu instid0(SALU_CYCLE_1) | instskip(SKIP_1) | instid1(SALU_CYCLE_1)
	s_and_not1_b32 s1, s1, exec_lo
	s_and_b32 s0, s0, exec_lo
	s_or_b32 s1, s1, s0
	s_or_b32 exec_lo, exec_lo, s42
	s_and_saveexec_b32 s42, s53
	s_cbranch_execz .LBB741_82
.LBB741_141:
	global_load_u8 v5, v[2:3], off offset:480
	s_waitcnt vmcnt(0)
	v_and_b32_e32 v5, 1, v5
	s_delay_alu instid0(VALU_DEP_1) | instskip(NEXT) | instid1(VALU_DEP_1)
	v_cmp_eq_u32_e64 s0, 1, v5
	s_xor_b32 s70, s0, -1
	s_mov_b32 s0, s1
	s_and_saveexec_b32 s69, s70
; %bb.142:
	v_cmp_gt_f32_e64 s0, v4, v24
	s_delay_alu instid0(VALU_DEP_1) | instskip(NEXT) | instid1(SALU_CYCLE_1)
	s_and_b32 s0, s1, s0
	v_cndmask_b32_e64 v4, v24, v4, s0
	s_or_b32 s0, s1, exec_lo
; %bb.143:
	s_or_b32 exec_lo, exec_lo, s69
	s_delay_alu instid0(SALU_CYCLE_1) | instskip(SKIP_1) | instid1(SALU_CYCLE_1)
	s_and_not1_b32 s1, s1, exec_lo
	s_and_b32 s0, s0, exec_lo
	s_or_b32 s1, s1, s0
	s_or_b32 exec_lo, exec_lo, s42
	s_and_saveexec_b32 s42, s52
	s_cbranch_execz .LBB741_83
.LBB741_144:
	global_load_u8 v5, v[2:3], off offset:512
	s_waitcnt vmcnt(0)
	v_and_b32_e32 v5, 1, v5
	s_delay_alu instid0(VALU_DEP_1) | instskip(NEXT) | instid1(VALU_DEP_1)
	v_cmp_eq_u32_e64 s0, 1, v5
	s_xor_b32 s70, s0, -1
	s_mov_b32 s0, s1
	s_and_saveexec_b32 s69, s70
; %bb.145:
	v_cmp_gt_f32_e64 s0, v4, v23
	s_delay_alu instid0(VALU_DEP_1) | instskip(NEXT) | instid1(SALU_CYCLE_1)
	s_and_b32 s0, s1, s0
	v_cndmask_b32_e64 v4, v23, v4, s0
	s_or_b32 s0, s1, exec_lo
; %bb.146:
	s_or_b32 exec_lo, exec_lo, s69
	s_delay_alu instid0(SALU_CYCLE_1) | instskip(SKIP_1) | instid1(SALU_CYCLE_1)
	s_and_not1_b32 s1, s1, exec_lo
	s_and_b32 s0, s0, exec_lo
	s_or_b32 s1, s1, s0
	s_or_b32 exec_lo, exec_lo, s42
	s_and_saveexec_b32 s42, s51
	s_cbranch_execz .LBB741_84
.LBB741_147:
	global_load_u8 v5, v[2:3], off offset:544
	s_waitcnt vmcnt(0)
	v_and_b32_e32 v5, 1, v5
	s_delay_alu instid0(VALU_DEP_1) | instskip(NEXT) | instid1(VALU_DEP_1)
	v_cmp_eq_u32_e64 s0, 1, v5
	s_xor_b32 s70, s0, -1
	s_mov_b32 s0, s1
	s_and_saveexec_b32 s69, s70
; %bb.148:
	v_cmp_gt_f32_e64 s0, v4, v22
	s_delay_alu instid0(VALU_DEP_1) | instskip(NEXT) | instid1(SALU_CYCLE_1)
	s_and_b32 s0, s1, s0
	v_cndmask_b32_e64 v4, v22, v4, s0
	s_or_b32 s0, s1, exec_lo
; %bb.149:
	s_or_b32 exec_lo, exec_lo, s69
	s_delay_alu instid0(SALU_CYCLE_1) | instskip(SKIP_1) | instid1(SALU_CYCLE_1)
	s_and_not1_b32 s1, s1, exec_lo
	s_and_b32 s0, s0, exec_lo
	s_or_b32 s1, s1, s0
	s_or_b32 exec_lo, exec_lo, s42
	s_and_saveexec_b32 s42, s50
	s_cbranch_execz .LBB741_85
.LBB741_150:
	global_load_u8 v5, v[2:3], off offset:576
	s_waitcnt vmcnt(0)
	v_and_b32_e32 v5, 1, v5
	s_delay_alu instid0(VALU_DEP_1) | instskip(NEXT) | instid1(VALU_DEP_1)
	v_cmp_eq_u32_e64 s0, 1, v5
	s_xor_b32 s70, s0, -1
	s_mov_b32 s0, s1
	s_and_saveexec_b32 s69, s70
; %bb.151:
	v_cmp_gt_f32_e64 s0, v4, v21
	s_delay_alu instid0(VALU_DEP_1) | instskip(NEXT) | instid1(SALU_CYCLE_1)
	s_and_b32 s0, s1, s0
	v_cndmask_b32_e64 v4, v21, v4, s0
	s_or_b32 s0, s1, exec_lo
; %bb.152:
	s_or_b32 exec_lo, exec_lo, s69
	s_delay_alu instid0(SALU_CYCLE_1) | instskip(SKIP_1) | instid1(SALU_CYCLE_1)
	s_and_not1_b32 s1, s1, exec_lo
	s_and_b32 s0, s0, exec_lo
	s_or_b32 s1, s1, s0
	s_or_b32 exec_lo, exec_lo, s42
	s_and_saveexec_b32 s42, s49
	s_cbranch_execz .LBB741_86
.LBB741_153:
	global_load_u8 v5, v[2:3], off offset:608
	s_waitcnt vmcnt(0)
	v_and_b32_e32 v5, 1, v5
	s_delay_alu instid0(VALU_DEP_1) | instskip(NEXT) | instid1(VALU_DEP_1)
	v_cmp_eq_u32_e64 s0, 1, v5
	s_xor_b32 s70, s0, -1
	s_mov_b32 s0, s1
	s_and_saveexec_b32 s69, s70
; %bb.154:
	v_cmp_gt_f32_e64 s0, v4, v20
	s_delay_alu instid0(VALU_DEP_1) | instskip(NEXT) | instid1(SALU_CYCLE_1)
	s_and_b32 s0, s1, s0
	v_cndmask_b32_e64 v4, v20, v4, s0
	s_or_b32 s0, s1, exec_lo
; %bb.155:
	s_or_b32 exec_lo, exec_lo, s69
	s_delay_alu instid0(SALU_CYCLE_1) | instskip(SKIP_1) | instid1(SALU_CYCLE_1)
	s_and_not1_b32 s1, s1, exec_lo
	s_and_b32 s0, s0, exec_lo
	s_or_b32 s1, s1, s0
	s_or_b32 exec_lo, exec_lo, s42
	s_and_saveexec_b32 s42, s48
	s_cbranch_execz .LBB741_87
.LBB741_156:
	global_load_u8 v5, v[2:3], off offset:640
	s_waitcnt vmcnt(0)
	v_and_b32_e32 v5, 1, v5
	s_delay_alu instid0(VALU_DEP_1) | instskip(NEXT) | instid1(VALU_DEP_1)
	v_cmp_eq_u32_e64 s0, 1, v5
	s_xor_b32 s70, s0, -1
	s_mov_b32 s0, s1
	s_and_saveexec_b32 s69, s70
; %bb.157:
	v_cmp_gt_f32_e64 s0, v4, v19
	s_delay_alu instid0(VALU_DEP_1) | instskip(NEXT) | instid1(SALU_CYCLE_1)
	s_and_b32 s0, s1, s0
	v_cndmask_b32_e64 v4, v19, v4, s0
	s_or_b32 s0, s1, exec_lo
; %bb.158:
	s_or_b32 exec_lo, exec_lo, s69
	s_delay_alu instid0(SALU_CYCLE_1) | instskip(SKIP_1) | instid1(SALU_CYCLE_1)
	s_and_not1_b32 s1, s1, exec_lo
	s_and_b32 s0, s0, exec_lo
	s_or_b32 s1, s1, s0
	s_or_b32 exec_lo, exec_lo, s42
	s_and_saveexec_b32 s42, s47
	s_cbranch_execz .LBB741_88
.LBB741_159:
	global_load_u8 v5, v[2:3], off offset:672
	s_waitcnt vmcnt(0)
	v_and_b32_e32 v5, 1, v5
	s_delay_alu instid0(VALU_DEP_1) | instskip(NEXT) | instid1(VALU_DEP_1)
	v_cmp_eq_u32_e64 s0, 1, v5
	s_xor_b32 s70, s0, -1
	s_mov_b32 s0, s1
	s_and_saveexec_b32 s69, s70
; %bb.160:
	v_cmp_gt_f32_e64 s0, v4, v18
	s_delay_alu instid0(VALU_DEP_1) | instskip(NEXT) | instid1(SALU_CYCLE_1)
	s_and_b32 s0, s1, s0
	v_cndmask_b32_e64 v4, v18, v4, s0
	s_or_b32 s0, s1, exec_lo
; %bb.161:
	s_or_b32 exec_lo, exec_lo, s69
	s_delay_alu instid0(SALU_CYCLE_1) | instskip(SKIP_1) | instid1(SALU_CYCLE_1)
	s_and_not1_b32 s1, s1, exec_lo
	s_and_b32 s0, s0, exec_lo
	s_or_b32 s1, s1, s0
	s_or_b32 exec_lo, exec_lo, s42
	s_and_saveexec_b32 s42, s46
	s_cbranch_execz .LBB741_89
.LBB741_162:
	global_load_u8 v5, v[2:3], off offset:704
	s_waitcnt vmcnt(0)
	v_and_b32_e32 v5, 1, v5
	s_delay_alu instid0(VALU_DEP_1) | instskip(NEXT) | instid1(VALU_DEP_1)
	v_cmp_eq_u32_e64 s0, 1, v5
	s_xor_b32 s70, s0, -1
	s_mov_b32 s0, s1
	s_and_saveexec_b32 s69, s70
; %bb.163:
	v_cmp_gt_f32_e64 s0, v4, v17
	s_delay_alu instid0(VALU_DEP_1) | instskip(NEXT) | instid1(SALU_CYCLE_1)
	s_and_b32 s0, s1, s0
	v_cndmask_b32_e64 v4, v17, v4, s0
	s_or_b32 s0, s1, exec_lo
; %bb.164:
	s_or_b32 exec_lo, exec_lo, s69
	s_delay_alu instid0(SALU_CYCLE_1) | instskip(SKIP_1) | instid1(SALU_CYCLE_1)
	s_and_not1_b32 s1, s1, exec_lo
	s_and_b32 s0, s0, exec_lo
	s_or_b32 s1, s1, s0
	s_or_b32 exec_lo, exec_lo, s42
	s_and_saveexec_b32 s42, s45
	s_cbranch_execz .LBB741_90
.LBB741_165:
	global_load_u8 v5, v[2:3], off offset:736
	s_waitcnt vmcnt(0)
	v_and_b32_e32 v5, 1, v5
	s_delay_alu instid0(VALU_DEP_1) | instskip(NEXT) | instid1(VALU_DEP_1)
	v_cmp_eq_u32_e64 s0, 1, v5
	s_xor_b32 s70, s0, -1
	s_mov_b32 s0, s1
	s_and_saveexec_b32 s69, s70
; %bb.166:
	v_cmp_gt_f32_e64 s0, v4, v16
	s_delay_alu instid0(VALU_DEP_1) | instskip(NEXT) | instid1(SALU_CYCLE_1)
	s_and_b32 s0, s1, s0
	v_cndmask_b32_e64 v4, v16, v4, s0
	s_or_b32 s0, s1, exec_lo
; %bb.167:
	s_or_b32 exec_lo, exec_lo, s69
	s_delay_alu instid0(SALU_CYCLE_1) | instskip(SKIP_1) | instid1(SALU_CYCLE_1)
	s_and_not1_b32 s1, s1, exec_lo
	s_and_b32 s0, s0, exec_lo
	s_or_b32 s1, s1, s0
	s_or_b32 exec_lo, exec_lo, s42
	s_and_saveexec_b32 s42, s44
	s_cbranch_execz .LBB741_91
.LBB741_168:
	global_load_u8 v5, v[2:3], off offset:768
	s_waitcnt vmcnt(0)
	v_and_b32_e32 v5, 1, v5
	s_delay_alu instid0(VALU_DEP_1) | instskip(NEXT) | instid1(VALU_DEP_1)
	v_cmp_eq_u32_e64 s0, 1, v5
	s_xor_b32 s70, s0, -1
	s_mov_b32 s0, s1
	s_and_saveexec_b32 s69, s70
; %bb.169:
	v_cmp_gt_f32_e64 s0, v4, v15
	s_delay_alu instid0(VALU_DEP_1) | instskip(NEXT) | instid1(SALU_CYCLE_1)
	s_and_b32 s0, s1, s0
	v_cndmask_b32_e64 v4, v15, v4, s0
	s_or_b32 s0, s1, exec_lo
; %bb.170:
	s_or_b32 exec_lo, exec_lo, s69
	s_delay_alu instid0(SALU_CYCLE_1) | instskip(SKIP_1) | instid1(SALU_CYCLE_1)
	s_and_not1_b32 s1, s1, exec_lo
	s_and_b32 s0, s0, exec_lo
	s_or_b32 s1, s1, s0
	s_or_b32 exec_lo, exec_lo, s42
	s_and_saveexec_b32 s42, s43
	s_cbranch_execz .LBB741_92
.LBB741_171:
	global_load_u8 v5, v[2:3], off offset:800
	s_waitcnt vmcnt(0)
	v_and_b32_e32 v5, 1, v5
	s_delay_alu instid0(VALU_DEP_1) | instskip(NEXT) | instid1(VALU_DEP_1)
	v_cmp_eq_u32_e64 s0, 1, v5
	s_xor_b32 s70, s0, -1
	s_mov_b32 s0, s1
	s_and_saveexec_b32 s69, s70
; %bb.172:
	v_cmp_gt_f32_e64 s0, v4, v14
	s_delay_alu instid0(VALU_DEP_1) | instskip(NEXT) | instid1(SALU_CYCLE_1)
	s_and_b32 s0, s1, s0
	v_cndmask_b32_e64 v4, v14, v4, s0
	s_or_b32 s0, s1, exec_lo
; %bb.173:
	s_or_b32 exec_lo, exec_lo, s69
	s_delay_alu instid0(SALU_CYCLE_1) | instskip(SKIP_1) | instid1(SALU_CYCLE_1)
	s_and_not1_b32 s1, s1, exec_lo
	s_and_b32 s0, s0, exec_lo
	s_or_b32 s1, s1, s0
	s_or_b32 exec_lo, exec_lo, s42
	s_and_saveexec_b32 s42, s41
	s_cbranch_execz .LBB741_93
.LBB741_174:
	global_load_u8 v5, v[2:3], off offset:832
	s_waitcnt vmcnt(0)
	v_and_b32_e32 v5, 1, v5
	s_delay_alu instid0(VALU_DEP_1) | instskip(NEXT) | instid1(VALU_DEP_1)
	v_cmp_eq_u32_e64 s0, 1, v5
	s_xor_b32 s70, s0, -1
	s_mov_b32 s0, s1
	s_and_saveexec_b32 s69, s70
; %bb.175:
	v_cmp_gt_f32_e64 s0, v4, v13
	s_delay_alu instid0(VALU_DEP_1) | instskip(NEXT) | instid1(SALU_CYCLE_1)
	s_and_b32 s0, s1, s0
	v_cndmask_b32_e64 v4, v13, v4, s0
	s_or_b32 s0, s1, exec_lo
; %bb.176:
	s_or_b32 exec_lo, exec_lo, s69
	s_delay_alu instid0(SALU_CYCLE_1) | instskip(SKIP_1) | instid1(SALU_CYCLE_1)
	s_and_not1_b32 s1, s1, exec_lo
	s_and_b32 s0, s0, exec_lo
	s_or_b32 s1, s1, s0
	s_or_b32 exec_lo, exec_lo, s42
	s_and_saveexec_b32 s42, s40
	s_cbranch_execz .LBB741_94
.LBB741_177:
	global_load_u8 v5, v[2:3], off offset:864
	s_waitcnt vmcnt(0)
	v_and_b32_e32 v5, 1, v5
	s_delay_alu instid0(VALU_DEP_1) | instskip(NEXT) | instid1(VALU_DEP_1)
	v_cmp_eq_u32_e64 s0, 1, v5
	s_xor_b32 s70, s0, -1
	s_mov_b32 s0, s1
	s_and_saveexec_b32 s69, s70
; %bb.178:
	v_cmp_gt_f32_e64 s0, v4, v12
	s_delay_alu instid0(VALU_DEP_1) | instskip(NEXT) | instid1(SALU_CYCLE_1)
	s_and_b32 s0, s1, s0
	v_cndmask_b32_e64 v4, v12, v4, s0
	s_or_b32 s0, s1, exec_lo
; %bb.179:
	s_or_b32 exec_lo, exec_lo, s69
	s_delay_alu instid0(SALU_CYCLE_1) | instskip(SKIP_1) | instid1(SALU_CYCLE_1)
	s_and_not1_b32 s1, s1, exec_lo
	s_and_b32 s0, s0, exec_lo
	s_or_b32 s1, s1, s0
	s_or_b32 exec_lo, exec_lo, s42
	s_and_saveexec_b32 s42, s39
	s_cbranch_execz .LBB741_95
.LBB741_180:
	global_load_u8 v5, v[2:3], off offset:896
	s_waitcnt vmcnt(0)
	v_and_b32_e32 v5, 1, v5
	s_delay_alu instid0(VALU_DEP_1) | instskip(NEXT) | instid1(VALU_DEP_1)
	v_cmp_eq_u32_e64 s0, 1, v5
	s_xor_b32 s70, s0, -1
	s_mov_b32 s0, s1
	s_and_saveexec_b32 s69, s70
; %bb.181:
	v_cmp_gt_f32_e64 s0, v4, v11
	s_delay_alu instid0(VALU_DEP_1) | instskip(NEXT) | instid1(SALU_CYCLE_1)
	s_and_b32 s0, s1, s0
	v_cndmask_b32_e64 v4, v11, v4, s0
	s_or_b32 s0, s1, exec_lo
; %bb.182:
	s_or_b32 exec_lo, exec_lo, s69
	s_delay_alu instid0(SALU_CYCLE_1) | instskip(SKIP_1) | instid1(SALU_CYCLE_1)
	s_and_not1_b32 s1, s1, exec_lo
	s_and_b32 s0, s0, exec_lo
	s_or_b32 s1, s1, s0
	s_or_b32 exec_lo, exec_lo, s42
	s_and_saveexec_b32 s42, s38
	s_cbranch_execz .LBB741_96
.LBB741_183:
	global_load_u8 v5, v[2:3], off offset:928
	s_waitcnt vmcnt(0)
	v_and_b32_e32 v5, 1, v5
	s_delay_alu instid0(VALU_DEP_1) | instskip(NEXT) | instid1(VALU_DEP_1)
	v_cmp_eq_u32_e64 s0, 1, v5
	s_xor_b32 s70, s0, -1
	s_mov_b32 s0, s1
	s_and_saveexec_b32 s69, s70
; %bb.184:
	v_cmp_gt_f32_e64 s0, v4, v10
	s_delay_alu instid0(VALU_DEP_1) | instskip(NEXT) | instid1(SALU_CYCLE_1)
	s_and_b32 s0, s1, s0
	v_cndmask_b32_e64 v4, v10, v4, s0
	s_or_b32 s0, s1, exec_lo
; %bb.185:
	s_or_b32 exec_lo, exec_lo, s69
	s_delay_alu instid0(SALU_CYCLE_1) | instskip(SKIP_1) | instid1(SALU_CYCLE_1)
	s_and_not1_b32 s1, s1, exec_lo
	s_and_b32 s0, s0, exec_lo
	s_or_b32 s1, s1, s0
	s_or_b32 exec_lo, exec_lo, s42
	s_and_saveexec_b32 s42, s35
	s_cbranch_execz .LBB741_97
.LBB741_186:
	global_load_u8 v5, v[2:3], off offset:960
	s_waitcnt vmcnt(0)
	v_and_b32_e32 v5, 1, v5
	s_delay_alu instid0(VALU_DEP_1) | instskip(NEXT) | instid1(VALU_DEP_1)
	v_cmp_eq_u32_e64 s0, 1, v5
	s_xor_b32 s70, s0, -1
	s_mov_b32 s0, s1
	s_and_saveexec_b32 s69, s70
; %bb.187:
	v_cmp_gt_f32_e64 s0, v4, v9
	s_delay_alu instid0(VALU_DEP_1) | instskip(NEXT) | instid1(SALU_CYCLE_1)
	s_and_b32 s0, s1, s0
	v_cndmask_b32_e64 v4, v9, v4, s0
	s_or_b32 s0, s1, exec_lo
; %bb.188:
	s_or_b32 exec_lo, exec_lo, s69
	s_delay_alu instid0(SALU_CYCLE_1) | instskip(SKIP_1) | instid1(SALU_CYCLE_1)
	s_and_not1_b32 s1, s1, exec_lo
	s_and_b32 s0, s0, exec_lo
	s_or_b32 s1, s1, s0
	s_or_b32 exec_lo, exec_lo, s42
	s_and_saveexec_b32 s42, s34
	s_cbranch_execz .LBB741_192
.LBB741_189:
	global_load_u8 v5, v[2:3], off offset:992
	s_waitcnt vmcnt(0)
	v_and_b32_e32 v5, 1, v5
	s_delay_alu instid0(VALU_DEP_1) | instskip(NEXT) | instid1(VALU_DEP_1)
	v_cmp_eq_u32_e64 s0, 1, v5
	s_xor_b32 s70, s0, -1
	s_mov_b32 s0, s1
	s_and_saveexec_b32 s69, s70
; %bb.190:
	v_cmp_gt_f32_e64 s0, v4, v8
	s_delay_alu instid0(VALU_DEP_1) | instskip(NEXT) | instid1(SALU_CYCLE_1)
	s_and_b32 s0, s1, s0
	v_cndmask_b32_e64 v4, v8, v4, s0
	s_or_b32 s0, s1, exec_lo
; %bb.191:
	s_or_b32 exec_lo, exec_lo, s69
	s_delay_alu instid0(SALU_CYCLE_1) | instskip(SKIP_1) | instid1(SALU_CYCLE_1)
	s_and_not1_b32 s1, s1, exec_lo
	s_and_b32 s0, s0, exec_lo
	s_or_b32 s1, s1, s0
.LBB741_192:
	s_or_b32 exec_lo, exec_lo, s42
	v_mbcnt_lo_u32_b32 v6, -1, 0
	v_cndmask_b32_e64 v4, 0xff800000, v4, s1
	s_delay_alu instid0(VALU_DEP_2) | instskip(SKIP_3) | instid1(VALU_DEP_4)
	v_xor_b32_e32 v5, 16, v6
	v_xor_b32_e32 v40, 8, v6
	v_xor_b32_e32 v43, 2, v6
	v_xor_b32_e32 v44, 1, v6
	v_cmp_gt_i32_e64 s0, 32, v5
	s_delay_alu instid0(VALU_DEP_1) | instskip(SKIP_1) | instid1(VALU_DEP_2)
	v_cndmask_b32_e64 v5, v6, v5, s0
	v_cmp_gt_i32_e64 s0, 32, v40
	v_lshlrev_b32_e32 v5, 2, v5
	s_delay_alu instid0(VALU_DEP_2) | instskip(SKIP_4) | instid1(VALU_DEP_1)
	v_cndmask_b32_e64 v40, v6, v40, s0
	ds_bpermute_b32 v41, v5, v4
	v_lshlrev_b32_e32 v40, 2, v40
	s_waitcnt lgkmcnt(0)
	v_cmp_lt_f32_e64 s0, v4, v41
	v_cndmask_b32_e64 v4, v4, v41, s0
	v_xor_b32_e32 v41, 4, v6
	ds_bpermute_b32 v42, v40, v4
	v_cmp_gt_i32_e64 s0, 32, v41
	s_delay_alu instid0(VALU_DEP_1) | instskip(NEXT) | instid1(VALU_DEP_1)
	v_cndmask_b32_e64 v41, v6, v41, s0
	v_lshlrev_b32_e32 v41, 2, v41
	s_waitcnt lgkmcnt(0)
	v_cmp_lt_f32_e64 s0, v4, v42
	s_delay_alu instid0(VALU_DEP_1) | instskip(SKIP_3) | instid1(VALU_DEP_1)
	v_cndmask_b32_e64 v4, v4, v42, s0
	v_cmp_gt_i32_e64 s0, 32, v43
	ds_bpermute_b32 v42, v41, v4
	v_cndmask_b32_e64 v43, v6, v43, s0
	v_lshlrev_b32_e32 v43, 2, v43
	s_waitcnt lgkmcnt(0)
	v_cmp_lt_f32_e64 s0, v4, v42
	s_delay_alu instid0(VALU_DEP_1) | instskip(SKIP_3) | instid1(VALU_DEP_1)
	v_cndmask_b32_e64 v4, v4, v42, s0
	v_cmp_gt_i32_e64 s0, 32, v44
	ds_bpermute_b32 v42, v43, v4
	v_cndmask_b32_e64 v6, v6, v44, s0
	v_lshlrev_b32_e32 v44, 2, v6
	s_waitcnt lgkmcnt(0)
	v_cmp_lt_f32_e64 s0, v4, v42
	s_delay_alu instid0(VALU_DEP_1) | instskip(SKIP_4) | instid1(VALU_DEP_1)
	v_cndmask_b32_e64 v6, v4, v42, s0
	v_mov_b32_e32 v4, 0
	ds_bpermute_b32 v42, v44, v6
	s_waitcnt lgkmcnt(0)
	v_cmp_lt_f32_e64 s0, v6, v42
	v_cndmask_b32_e64 v45, v6, v42, s0
	v_mov_b32_e32 v42, 0
	s_and_saveexec_b32 s1, s68
	s_cbranch_execz .LBB741_196
; %bb.193:
	global_load_u8 v6, v[2:3], off
	v_mov_b32_e32 v42, 0
	s_waitcnt vmcnt(0)
	v_and_b32_e32 v6, 1, v6
	s_delay_alu instid0(VALU_DEP_1) | instskip(NEXT) | instid1(VALU_DEP_1)
	v_cmp_eq_u32_e64 s0, 1, v6
	s_xor_b32 s0, s0, -1
	s_delay_alu instid0(SALU_CYCLE_1)
	s_and_saveexec_b32 s42, s0
	s_cbranch_execz .LBB741_195
; %bb.194:
	v_sub_f32_e32 v6, v39, v45
	s_delay_alu instid0(VALU_DEP_1) | instskip(SKIP_1) | instid1(VALU_DEP_2)
	v_mul_f32_e32 v39, 0x3fb8aa3b, v6
	v_cmp_ngt_f32_e64 s0, 0xc2ce8ed0, v6
	v_fma_f32 v42, 0x3fb8aa3b, v6, -v39
	v_rndne_f32_e32 v46, v39
	s_delay_alu instid0(VALU_DEP_1) | instskip(NEXT) | instid1(VALU_DEP_1)
	v_dual_fmamk_f32 v42, v6, 0x32a5705f, v42 :: v_dual_sub_f32 v39, v39, v46
	v_add_f32_e32 v39, v39, v42
	v_cvt_i32_f32_e32 v42, v46
	s_delay_alu instid0(VALU_DEP_2) | instskip(SKIP_2) | instid1(VALU_DEP_1)
	v_exp_f32_e32 v39, v39
	s_waitcnt_depctr 0xfff
	v_ldexp_f32 v39, v39, v42
	v_cndmask_b32_e64 v39, 0, v39, s0
	v_cmp_nlt_f32_e64 s0, 0x42b17218, v6
	s_delay_alu instid0(VALU_DEP_1)
	v_cndmask_b32_e64 v42, 0x7f800000, v39, s0
.LBB741_195:
	s_or_b32 exec_lo, exec_lo, s42
.LBB741_196:
	s_delay_alu instid0(SALU_CYCLE_1) | instskip(NEXT) | instid1(VALU_DEP_1)
	s_or_b32 exec_lo, exec_lo, s1
	v_mov_b32_e32 v39, v42
	s_and_saveexec_b32 s1, s67
	s_cbranch_execz .LBB741_200
; %bb.197:
	global_load_u8 v4, v[2:3], off offset:32
	s_waitcnt vmcnt(0)
	v_dual_mov_b32 v39, v42 :: v_dual_and_b32 v4, 1, v4
	s_delay_alu instid0(VALU_DEP_1) | instskip(SKIP_1) | instid1(VALU_DEP_2)
	v_cmp_eq_u32_e64 s0, 1, v4
	v_mov_b32_e32 v4, 0
	s_xor_b32 s0, s0, -1
	s_delay_alu instid0(SALU_CYCLE_1)
	s_and_saveexec_b32 s42, s0
	s_cbranch_execz .LBB741_199
; %bb.198:
	v_sub_f32_e32 v4, v38, v45
	s_delay_alu instid0(VALU_DEP_1) | instskip(SKIP_1) | instid1(VALU_DEP_2)
	v_mul_f32_e32 v6, 0x3fb8aa3b, v4
	v_cmp_ngt_f32_e64 s0, 0xc2ce8ed0, v4
	v_fma_f32 v38, 0x3fb8aa3b, v4, -v6
	v_rndne_f32_e32 v39, v6
	s_delay_alu instid0(VALU_DEP_2) | instskip(NEXT) | instid1(VALU_DEP_2)
	v_fmamk_f32 v38, v4, 0x32a5705f, v38
	v_sub_f32_e32 v6, v6, v39
	s_delay_alu instid0(VALU_DEP_1) | instskip(SKIP_1) | instid1(VALU_DEP_2)
	v_add_f32_e32 v6, v6, v38
	v_cvt_i32_f32_e32 v38, v39
	v_exp_f32_e32 v6, v6
	s_waitcnt_depctr 0xfff
	v_ldexp_f32 v6, v6, v38
	s_delay_alu instid0(VALU_DEP_1) | instskip(SKIP_1) | instid1(VALU_DEP_1)
	v_cndmask_b32_e64 v6, 0, v6, s0
	v_cmp_nlt_f32_e64 s0, 0x42b17218, v4
	v_cndmask_b32_e64 v4, 0x7f800000, v6, s0
	s_delay_alu instid0(VALU_DEP_1)
	v_add_f32_e32 v39, v42, v4
.LBB741_199:
	s_or_b32 exec_lo, exec_lo, s42
.LBB741_200:
	s_delay_alu instid0(SALU_CYCLE_1)
	s_or_b32 exec_lo, exec_lo, s1
	v_mov_b32_e32 v6, 0
	v_mov_b32_e32 v38, 0
	s_and_saveexec_b32 s1, s66
	s_cbranch_execz .LBB741_204
; %bb.201:
	global_load_u8 v38, v[2:3], off offset:64
	s_waitcnt vmcnt(0)
	v_and_b32_e32 v38, 1, v38
	s_delay_alu instid0(VALU_DEP_1) | instskip(SKIP_1) | instid1(VALU_DEP_2)
	v_cmp_eq_u32_e64 s0, 1, v38
	v_mov_b32_e32 v38, 0
	s_xor_b32 s0, s0, -1
	s_delay_alu instid0(SALU_CYCLE_1)
	s_and_saveexec_b32 s42, s0
	s_cbranch_execz .LBB741_203
; %bb.202:
	v_sub_f32_e32 v37, v37, v45
	s_delay_alu instid0(VALU_DEP_1) | instskip(NEXT) | instid1(VALU_DEP_1)
	v_mul_f32_e32 v38, 0x3fb8aa3b, v37
	v_fma_f32 v46, 0x3fb8aa3b, v37, -v38
	v_rndne_f32_e32 v47, v38
	s_delay_alu instid0(VALU_DEP_1) | instskip(NEXT) | instid1(VALU_DEP_3)
	v_sub_f32_e32 v38, v38, v47
	v_fmamk_f32 v46, v37, 0x32a5705f, v46
	v_cmp_ngt_f32_e64 s0, 0xc2ce8ed0, v37
	s_delay_alu instid0(VALU_DEP_2) | instskip(SKIP_1) | instid1(VALU_DEP_2)
	v_add_f32_e32 v38, v38, v46
	v_cvt_i32_f32_e32 v46, v47
	v_exp_f32_e32 v38, v38
	s_waitcnt_depctr 0xfff
	v_ldexp_f32 v38, v38, v46
	s_delay_alu instid0(VALU_DEP_1) | instskip(SKIP_1) | instid1(VALU_DEP_1)
	v_cndmask_b32_e64 v38, 0, v38, s0
	v_cmp_nlt_f32_e64 s0, 0x42b17218, v37
	v_cndmask_b32_e64 v38, 0x7f800000, v38, s0
	s_delay_alu instid0(VALU_DEP_1)
	v_add_f32_e32 v39, v39, v38
.LBB741_203:
	s_or_b32 exec_lo, exec_lo, s42
.LBB741_204:
	s_delay_alu instid0(SALU_CYCLE_1)
	s_or_b32 exec_lo, exec_lo, s1
	s_and_saveexec_b32 s1, s65
	s_cbranch_execz .LBB741_208
; %bb.205:
	global_load_u8 v6, v[2:3], off offset:96
	s_waitcnt vmcnt(0)
	v_and_b32_e32 v6, 1, v6
	s_delay_alu instid0(VALU_DEP_1) | instskip(SKIP_1) | instid1(VALU_DEP_2)
	v_cmp_eq_u32_e64 s0, 1, v6
	v_mov_b32_e32 v6, 0
	s_xor_b32 s0, s0, -1
	s_delay_alu instid0(SALU_CYCLE_1)
	s_and_saveexec_b32 s42, s0
	s_cbranch_execz .LBB741_207
; %bb.206:
	v_sub_f32_e32 v6, v36, v45
	s_delay_alu instid0(VALU_DEP_1) | instskip(SKIP_1) | instid1(VALU_DEP_2)
	v_mul_f32_e32 v36, 0x3fb8aa3b, v6
	v_cmp_ngt_f32_e64 s0, 0xc2ce8ed0, v6
	v_fma_f32 v37, 0x3fb8aa3b, v6, -v36
	v_rndne_f32_e32 v46, v36
	s_delay_alu instid0(VALU_DEP_1) | instskip(NEXT) | instid1(VALU_DEP_1)
	v_dual_fmamk_f32 v37, v6, 0x32a5705f, v37 :: v_dual_sub_f32 v36, v36, v46
	v_add_f32_e32 v36, v36, v37
	v_cvt_i32_f32_e32 v37, v46
	s_delay_alu instid0(VALU_DEP_2) | instskip(SKIP_2) | instid1(VALU_DEP_1)
	v_exp_f32_e32 v36, v36
	s_waitcnt_depctr 0xfff
	v_ldexp_f32 v36, v36, v37
	v_cndmask_b32_e64 v36, 0, v36, s0
	v_cmp_nlt_f32_e64 s0, 0x42b17218, v6
	s_delay_alu instid0(VALU_DEP_1) | instskip(NEXT) | instid1(VALU_DEP_1)
	v_cndmask_b32_e64 v6, 0x7f800000, v36, s0
	v_add_f32_e32 v39, v39, v6
.LBB741_207:
	s_or_b32 exec_lo, exec_lo, s42
.LBB741_208:
	s_delay_alu instid0(SALU_CYCLE_1)
	s_or_b32 exec_lo, exec_lo, s1
	v_dual_mov_b32 v36, 0 :: v_dual_mov_b32 v37, 0
	s_and_saveexec_b32 s1, s64
	s_cbranch_execz .LBB741_212
; %bb.209:
	global_load_u8 v37, v[2:3], off offset:128
	s_waitcnt vmcnt(0)
	v_and_b32_e32 v37, 1, v37
	s_delay_alu instid0(VALU_DEP_1) | instskip(SKIP_1) | instid1(VALU_DEP_2)
	v_cmp_eq_u32_e64 s0, 1, v37
	v_mov_b32_e32 v37, 0
	s_xor_b32 s0, s0, -1
	s_delay_alu instid0(SALU_CYCLE_1)
	s_and_saveexec_b32 s42, s0
	s_cbranch_execz .LBB741_211
; %bb.210:
	v_sub_f32_e32 v35, v35, v45
	s_delay_alu instid0(VALU_DEP_1) | instskip(SKIP_1) | instid1(VALU_DEP_2)
	v_mul_f32_e32 v37, 0x3fb8aa3b, v35
	v_cmp_ngt_f32_e64 s0, 0xc2ce8ed0, v35
	v_fma_f32 v46, 0x3fb8aa3b, v35, -v37
	v_rndne_f32_e32 v47, v37
	s_delay_alu instid0(VALU_DEP_1) | instskip(NEXT) | instid1(VALU_DEP_1)
	v_dual_fmamk_f32 v46, v35, 0x32a5705f, v46 :: v_dual_sub_f32 v37, v37, v47
	v_add_f32_e32 v37, v37, v46
	v_cvt_i32_f32_e32 v46, v47
	s_delay_alu instid0(VALU_DEP_2) | instskip(SKIP_2) | instid1(VALU_DEP_1)
	v_exp_f32_e32 v37, v37
	s_waitcnt_depctr 0xfff
	v_ldexp_f32 v37, v37, v46
	v_cndmask_b32_e64 v37, 0, v37, s0
	v_cmp_nlt_f32_e64 s0, 0x42b17218, v35
	s_delay_alu instid0(VALU_DEP_1) | instskip(NEXT) | instid1(VALU_DEP_1)
	v_cndmask_b32_e64 v37, 0x7f800000, v37, s0
	v_add_f32_e32 v39, v39, v37
.LBB741_211:
	s_or_b32 exec_lo, exec_lo, s42
.LBB741_212:
	s_delay_alu instid0(SALU_CYCLE_1)
	s_or_b32 exec_lo, exec_lo, s1
	s_and_saveexec_b32 s1, s63
	s_cbranch_execz .LBB741_216
; %bb.213:
	global_load_u8 v35, v[2:3], off offset:160
	s_waitcnt vmcnt(0)
	v_dual_mov_b32 v36, 0 :: v_dual_and_b32 v35, 1, v35
	s_delay_alu instid0(VALU_DEP_1) | instskip(NEXT) | instid1(VALU_DEP_1)
	v_cmp_eq_u32_e64 s0, 1, v35
	s_xor_b32 s0, s0, -1
	s_delay_alu instid0(SALU_CYCLE_1)
	s_and_saveexec_b32 s42, s0
	s_cbranch_execz .LBB741_215
; %bb.214:
	v_sub_f32_e32 v34, v34, v45
	s_delay_alu instid0(VALU_DEP_1) | instskip(NEXT) | instid1(VALU_DEP_1)
	v_mul_f32_e32 v35, 0x3fb8aa3b, v34
	v_fma_f32 v36, 0x3fb8aa3b, v34, -v35
	v_rndne_f32_e32 v46, v35
	s_delay_alu instid0(VALU_DEP_1) | instskip(SKIP_1) | instid1(VALU_DEP_2)
	v_dual_sub_f32 v35, v35, v46 :: v_dual_fmamk_f32 v36, v34, 0x32a5705f, v36
	v_cmp_ngt_f32_e64 s0, 0xc2ce8ed0, v34
	v_add_f32_e32 v35, v35, v36
	v_cvt_i32_f32_e32 v36, v46
	s_delay_alu instid0(VALU_DEP_2) | instskip(SKIP_2) | instid1(VALU_DEP_1)
	v_exp_f32_e32 v35, v35
	s_waitcnt_depctr 0xfff
	v_ldexp_f32 v35, v35, v36
	v_cndmask_b32_e64 v35, 0, v35, s0
	v_cmp_nlt_f32_e64 s0, 0x42b17218, v34
	s_delay_alu instid0(VALU_DEP_1) | instskip(NEXT) | instid1(VALU_DEP_1)
	v_cndmask_b32_e64 v36, 0x7f800000, v35, s0
	v_add_f32_e32 v39, v39, v36
.LBB741_215:
	s_or_b32 exec_lo, exec_lo, s42
.LBB741_216:
	s_delay_alu instid0(SALU_CYCLE_1)
	s_or_b32 exec_lo, exec_lo, s1
	v_dual_mov_b32 v34, 0 :: v_dual_mov_b32 v35, 0
	s_and_saveexec_b32 s1, s62
	s_cbranch_execz .LBB741_220
; %bb.217:
	global_load_u8 v35, v[2:3], off offset:192
	s_waitcnt vmcnt(0)
	v_and_b32_e32 v35, 1, v35
	s_delay_alu instid0(VALU_DEP_1) | instskip(SKIP_1) | instid1(VALU_DEP_2)
	v_cmp_eq_u32_e64 s0, 1, v35
	v_mov_b32_e32 v35, 0
	s_xor_b32 s0, s0, -1
	s_delay_alu instid0(SALU_CYCLE_1)
	s_and_saveexec_b32 s42, s0
	s_cbranch_execz .LBB741_219
; %bb.218:
	v_sub_f32_e32 v33, v33, v45
	s_delay_alu instid0(VALU_DEP_1) | instskip(SKIP_1) | instid1(VALU_DEP_2)
	v_mul_f32_e32 v35, 0x3fb8aa3b, v33
	v_cmp_ngt_f32_e64 s0, 0xc2ce8ed0, v33
	v_fma_f32 v46, 0x3fb8aa3b, v33, -v35
	v_rndne_f32_e32 v47, v35
	s_delay_alu instid0(VALU_DEP_1) | instskip(NEXT) | instid1(VALU_DEP_1)
	v_dual_fmamk_f32 v46, v33, 0x32a5705f, v46 :: v_dual_sub_f32 v35, v35, v47
	v_add_f32_e32 v35, v35, v46
	v_cvt_i32_f32_e32 v46, v47
	s_delay_alu instid0(VALU_DEP_2) | instskip(SKIP_2) | instid1(VALU_DEP_1)
	v_exp_f32_e32 v35, v35
	s_waitcnt_depctr 0xfff
	v_ldexp_f32 v35, v35, v46
	v_cndmask_b32_e64 v35, 0, v35, s0
	v_cmp_nlt_f32_e64 s0, 0x42b17218, v33
	s_delay_alu instid0(VALU_DEP_1) | instskip(NEXT) | instid1(VALU_DEP_1)
	v_cndmask_b32_e64 v35, 0x7f800000, v35, s0
	v_add_f32_e32 v39, v39, v35
.LBB741_219:
	s_or_b32 exec_lo, exec_lo, s42
.LBB741_220:
	s_delay_alu instid0(SALU_CYCLE_1)
	s_or_b32 exec_lo, exec_lo, s1
	s_and_saveexec_b32 s1, s61
	s_cbranch_execz .LBB741_224
; %bb.221:
	global_load_u8 v33, v[2:3], off offset:224
	s_waitcnt vmcnt(0)
	v_dual_mov_b32 v34, 0 :: v_dual_and_b32 v33, 1, v33
	s_delay_alu instid0(VALU_DEP_1) | instskip(NEXT) | instid1(VALU_DEP_1)
	v_cmp_eq_u32_e64 s0, 1, v33
	s_xor_b32 s0, s0, -1
	s_delay_alu instid0(SALU_CYCLE_1)
	s_and_saveexec_b32 s42, s0
	s_cbranch_execz .LBB741_223
; %bb.222:
	v_sub_f32_e32 v32, v32, v45
	s_delay_alu instid0(VALU_DEP_1) | instskip(NEXT) | instid1(VALU_DEP_1)
	v_mul_f32_e32 v33, 0x3fb8aa3b, v32
	v_fma_f32 v34, 0x3fb8aa3b, v32, -v33
	v_rndne_f32_e32 v46, v33
	s_delay_alu instid0(VALU_DEP_1) | instskip(SKIP_1) | instid1(VALU_DEP_2)
	v_dual_sub_f32 v33, v33, v46 :: v_dual_fmamk_f32 v34, v32, 0x32a5705f, v34
	v_cmp_ngt_f32_e64 s0, 0xc2ce8ed0, v32
	v_add_f32_e32 v33, v33, v34
	v_cvt_i32_f32_e32 v34, v46
	s_delay_alu instid0(VALU_DEP_2) | instskip(SKIP_2) | instid1(VALU_DEP_1)
	v_exp_f32_e32 v33, v33
	s_waitcnt_depctr 0xfff
	v_ldexp_f32 v33, v33, v34
	v_cndmask_b32_e64 v33, 0, v33, s0
	v_cmp_nlt_f32_e64 s0, 0x42b17218, v32
	s_delay_alu instid0(VALU_DEP_1) | instskip(NEXT) | instid1(VALU_DEP_1)
	v_cndmask_b32_e64 v34, 0x7f800000, v33, s0
	v_add_f32_e32 v39, v39, v34
.LBB741_223:
	s_or_b32 exec_lo, exec_lo, s42
.LBB741_224:
	s_delay_alu instid0(SALU_CYCLE_1)
	s_or_b32 exec_lo, exec_lo, s1
	v_dual_mov_b32 v32, 0 :: v_dual_mov_b32 v33, 0
	s_and_saveexec_b32 s1, s60
	s_cbranch_execz .LBB741_228
; %bb.225:
	global_load_u8 v33, v[2:3], off offset:256
	s_waitcnt vmcnt(0)
	v_and_b32_e32 v33, 1, v33
	s_delay_alu instid0(VALU_DEP_1) | instskip(SKIP_1) | instid1(VALU_DEP_2)
	v_cmp_eq_u32_e64 s0, 1, v33
	v_mov_b32_e32 v33, 0
	s_xor_b32 s0, s0, -1
	s_delay_alu instid0(SALU_CYCLE_1)
	s_and_saveexec_b32 s42, s0
	s_cbranch_execz .LBB741_227
; %bb.226:
	v_sub_f32_e32 v31, v31, v45
	s_delay_alu instid0(VALU_DEP_1) | instskip(SKIP_1) | instid1(VALU_DEP_2)
	v_mul_f32_e32 v33, 0x3fb8aa3b, v31
	v_cmp_ngt_f32_e64 s0, 0xc2ce8ed0, v31
	v_fma_f32 v46, 0x3fb8aa3b, v31, -v33
	v_rndne_f32_e32 v47, v33
	s_delay_alu instid0(VALU_DEP_1) | instskip(NEXT) | instid1(VALU_DEP_1)
	v_dual_fmamk_f32 v46, v31, 0x32a5705f, v46 :: v_dual_sub_f32 v33, v33, v47
	v_add_f32_e32 v33, v33, v46
	v_cvt_i32_f32_e32 v46, v47
	s_delay_alu instid0(VALU_DEP_2) | instskip(SKIP_2) | instid1(VALU_DEP_1)
	v_exp_f32_e32 v33, v33
	s_waitcnt_depctr 0xfff
	v_ldexp_f32 v33, v33, v46
	v_cndmask_b32_e64 v33, 0, v33, s0
	v_cmp_nlt_f32_e64 s0, 0x42b17218, v31
	s_delay_alu instid0(VALU_DEP_1) | instskip(NEXT) | instid1(VALU_DEP_1)
	v_cndmask_b32_e64 v33, 0x7f800000, v33, s0
	v_add_f32_e32 v39, v39, v33
.LBB741_227:
	s_or_b32 exec_lo, exec_lo, s42
.LBB741_228:
	s_delay_alu instid0(SALU_CYCLE_1)
	s_or_b32 exec_lo, exec_lo, s1
	s_and_saveexec_b32 s1, s59
	s_cbranch_execz .LBB741_232
; %bb.229:
	global_load_u8 v31, v[2:3], off offset:288
	s_waitcnt vmcnt(0)
	v_dual_mov_b32 v32, 0 :: v_dual_and_b32 v31, 1, v31
	s_delay_alu instid0(VALU_DEP_1) | instskip(NEXT) | instid1(VALU_DEP_1)
	v_cmp_eq_u32_e64 s0, 1, v31
	s_xor_b32 s0, s0, -1
	s_delay_alu instid0(SALU_CYCLE_1)
	s_and_saveexec_b32 s42, s0
	s_cbranch_execz .LBB741_231
; %bb.230:
	v_sub_f32_e32 v30, v30, v45
	s_delay_alu instid0(VALU_DEP_1) | instskip(NEXT) | instid1(VALU_DEP_1)
	v_mul_f32_e32 v31, 0x3fb8aa3b, v30
	v_fma_f32 v32, 0x3fb8aa3b, v30, -v31
	v_rndne_f32_e32 v46, v31
	s_delay_alu instid0(VALU_DEP_1) | instskip(SKIP_1) | instid1(VALU_DEP_2)
	v_dual_sub_f32 v31, v31, v46 :: v_dual_fmamk_f32 v32, v30, 0x32a5705f, v32
	v_cmp_ngt_f32_e64 s0, 0xc2ce8ed0, v30
	v_add_f32_e32 v31, v31, v32
	v_cvt_i32_f32_e32 v32, v46
	s_delay_alu instid0(VALU_DEP_2) | instskip(SKIP_2) | instid1(VALU_DEP_1)
	v_exp_f32_e32 v31, v31
	s_waitcnt_depctr 0xfff
	v_ldexp_f32 v31, v31, v32
	v_cndmask_b32_e64 v31, 0, v31, s0
	v_cmp_nlt_f32_e64 s0, 0x42b17218, v30
	s_delay_alu instid0(VALU_DEP_1) | instskip(NEXT) | instid1(VALU_DEP_1)
	v_cndmask_b32_e64 v32, 0x7f800000, v31, s0
	v_add_f32_e32 v39, v39, v32
.LBB741_231:
	s_or_b32 exec_lo, exec_lo, s42
.LBB741_232:
	s_delay_alu instid0(SALU_CYCLE_1)
	s_or_b32 exec_lo, exec_lo, s1
	v_dual_mov_b32 v30, 0 :: v_dual_mov_b32 v31, 0
	s_and_saveexec_b32 s1, s58
	s_cbranch_execz .LBB741_236
; %bb.233:
	global_load_u8 v31, v[2:3], off offset:320
	s_waitcnt vmcnt(0)
	v_and_b32_e32 v31, 1, v31
	s_delay_alu instid0(VALU_DEP_1) | instskip(SKIP_1) | instid1(VALU_DEP_2)
	v_cmp_eq_u32_e64 s0, 1, v31
	v_mov_b32_e32 v31, 0
	s_xor_b32 s0, s0, -1
	s_delay_alu instid0(SALU_CYCLE_1)
	s_and_saveexec_b32 s42, s0
	s_cbranch_execz .LBB741_235
; %bb.234:
	v_sub_f32_e32 v29, v29, v45
	s_delay_alu instid0(VALU_DEP_1) | instskip(SKIP_1) | instid1(VALU_DEP_2)
	v_mul_f32_e32 v31, 0x3fb8aa3b, v29
	v_cmp_ngt_f32_e64 s0, 0xc2ce8ed0, v29
	v_fma_f32 v46, 0x3fb8aa3b, v29, -v31
	v_rndne_f32_e32 v47, v31
	s_delay_alu instid0(VALU_DEP_1) | instskip(NEXT) | instid1(VALU_DEP_1)
	v_dual_fmamk_f32 v46, v29, 0x32a5705f, v46 :: v_dual_sub_f32 v31, v31, v47
	v_add_f32_e32 v31, v31, v46
	v_cvt_i32_f32_e32 v46, v47
	s_delay_alu instid0(VALU_DEP_2) | instskip(SKIP_2) | instid1(VALU_DEP_1)
	v_exp_f32_e32 v31, v31
	s_waitcnt_depctr 0xfff
	v_ldexp_f32 v31, v31, v46
	v_cndmask_b32_e64 v31, 0, v31, s0
	v_cmp_nlt_f32_e64 s0, 0x42b17218, v29
	s_delay_alu instid0(VALU_DEP_1) | instskip(NEXT) | instid1(VALU_DEP_1)
	v_cndmask_b32_e64 v31, 0x7f800000, v31, s0
	v_add_f32_e32 v39, v39, v31
.LBB741_235:
	s_or_b32 exec_lo, exec_lo, s42
.LBB741_236:
	s_delay_alu instid0(SALU_CYCLE_1)
	s_or_b32 exec_lo, exec_lo, s1
	s_and_saveexec_b32 s1, s57
	s_cbranch_execz .LBB741_240
; %bb.237:
	global_load_u8 v29, v[2:3], off offset:352
	s_waitcnt vmcnt(0)
	v_dual_mov_b32 v30, 0 :: v_dual_and_b32 v29, 1, v29
	s_delay_alu instid0(VALU_DEP_1) | instskip(NEXT) | instid1(VALU_DEP_1)
	v_cmp_eq_u32_e64 s0, 1, v29
	s_xor_b32 s0, s0, -1
	s_delay_alu instid0(SALU_CYCLE_1)
	s_and_saveexec_b32 s42, s0
	s_cbranch_execz .LBB741_239
; %bb.238:
	v_sub_f32_e32 v28, v28, v45
	s_delay_alu instid0(VALU_DEP_1) | instskip(NEXT) | instid1(VALU_DEP_1)
	v_mul_f32_e32 v29, 0x3fb8aa3b, v28
	v_fma_f32 v30, 0x3fb8aa3b, v28, -v29
	v_rndne_f32_e32 v46, v29
	s_delay_alu instid0(VALU_DEP_1) | instskip(SKIP_1) | instid1(VALU_DEP_2)
	v_dual_sub_f32 v29, v29, v46 :: v_dual_fmamk_f32 v30, v28, 0x32a5705f, v30
	v_cmp_ngt_f32_e64 s0, 0xc2ce8ed0, v28
	v_add_f32_e32 v29, v29, v30
	v_cvt_i32_f32_e32 v30, v46
	s_delay_alu instid0(VALU_DEP_2) | instskip(SKIP_2) | instid1(VALU_DEP_1)
	v_exp_f32_e32 v29, v29
	s_waitcnt_depctr 0xfff
	v_ldexp_f32 v29, v29, v30
	v_cndmask_b32_e64 v29, 0, v29, s0
	v_cmp_nlt_f32_e64 s0, 0x42b17218, v28
	s_delay_alu instid0(VALU_DEP_1) | instskip(NEXT) | instid1(VALU_DEP_1)
	v_cndmask_b32_e64 v30, 0x7f800000, v29, s0
	v_add_f32_e32 v39, v39, v30
.LBB741_239:
	s_or_b32 exec_lo, exec_lo, s42
.LBB741_240:
	s_delay_alu instid0(SALU_CYCLE_1)
	s_or_b32 exec_lo, exec_lo, s1
	v_dual_mov_b32 v28, 0 :: v_dual_mov_b32 v29, 0
	s_and_saveexec_b32 s1, s56
	s_cbranch_execz .LBB741_244
; %bb.241:
	global_load_u8 v29, v[2:3], off offset:384
	s_waitcnt vmcnt(0)
	v_and_b32_e32 v29, 1, v29
	s_delay_alu instid0(VALU_DEP_1) | instskip(SKIP_1) | instid1(VALU_DEP_2)
	v_cmp_eq_u32_e64 s0, 1, v29
	v_mov_b32_e32 v29, 0
	s_xor_b32 s0, s0, -1
	s_delay_alu instid0(SALU_CYCLE_1)
	s_and_saveexec_b32 s42, s0
	s_cbranch_execz .LBB741_243
; %bb.242:
	v_sub_f32_e32 v27, v27, v45
	s_delay_alu instid0(VALU_DEP_1) | instskip(SKIP_1) | instid1(VALU_DEP_2)
	v_mul_f32_e32 v29, 0x3fb8aa3b, v27
	v_cmp_ngt_f32_e64 s0, 0xc2ce8ed0, v27
	v_fma_f32 v46, 0x3fb8aa3b, v27, -v29
	v_rndne_f32_e32 v47, v29
	s_delay_alu instid0(VALU_DEP_1) | instskip(NEXT) | instid1(VALU_DEP_1)
	v_dual_fmamk_f32 v46, v27, 0x32a5705f, v46 :: v_dual_sub_f32 v29, v29, v47
	v_add_f32_e32 v29, v29, v46
	v_cvt_i32_f32_e32 v46, v47
	s_delay_alu instid0(VALU_DEP_2) | instskip(SKIP_2) | instid1(VALU_DEP_1)
	v_exp_f32_e32 v29, v29
	s_waitcnt_depctr 0xfff
	v_ldexp_f32 v29, v29, v46
	v_cndmask_b32_e64 v29, 0, v29, s0
	v_cmp_nlt_f32_e64 s0, 0x42b17218, v27
	s_delay_alu instid0(VALU_DEP_1) | instskip(NEXT) | instid1(VALU_DEP_1)
	v_cndmask_b32_e64 v29, 0x7f800000, v29, s0
	v_add_f32_e32 v39, v39, v29
.LBB741_243:
	s_or_b32 exec_lo, exec_lo, s42
.LBB741_244:
	s_delay_alu instid0(SALU_CYCLE_1)
	s_or_b32 exec_lo, exec_lo, s1
	s_and_saveexec_b32 s1, s55
	s_cbranch_execz .LBB741_248
; %bb.245:
	global_load_u8 v27, v[2:3], off offset:416
	s_waitcnt vmcnt(0)
	v_dual_mov_b32 v28, 0 :: v_dual_and_b32 v27, 1, v27
	s_delay_alu instid0(VALU_DEP_1) | instskip(NEXT) | instid1(VALU_DEP_1)
	v_cmp_eq_u32_e64 s0, 1, v27
	s_xor_b32 s0, s0, -1
	s_delay_alu instid0(SALU_CYCLE_1)
	s_and_saveexec_b32 s42, s0
	s_cbranch_execz .LBB741_247
; %bb.246:
	v_sub_f32_e32 v26, v26, v45
	s_delay_alu instid0(VALU_DEP_1) | instskip(NEXT) | instid1(VALU_DEP_1)
	v_mul_f32_e32 v27, 0x3fb8aa3b, v26
	v_fma_f32 v28, 0x3fb8aa3b, v26, -v27
	v_rndne_f32_e32 v46, v27
	s_delay_alu instid0(VALU_DEP_1) | instskip(SKIP_1) | instid1(VALU_DEP_2)
	v_dual_sub_f32 v27, v27, v46 :: v_dual_fmamk_f32 v28, v26, 0x32a5705f, v28
	v_cmp_ngt_f32_e64 s0, 0xc2ce8ed0, v26
	v_add_f32_e32 v27, v27, v28
	v_cvt_i32_f32_e32 v28, v46
	s_delay_alu instid0(VALU_DEP_2) | instskip(SKIP_2) | instid1(VALU_DEP_1)
	v_exp_f32_e32 v27, v27
	s_waitcnt_depctr 0xfff
	v_ldexp_f32 v27, v27, v28
	v_cndmask_b32_e64 v27, 0, v27, s0
	v_cmp_nlt_f32_e64 s0, 0x42b17218, v26
	s_delay_alu instid0(VALU_DEP_1) | instskip(NEXT) | instid1(VALU_DEP_1)
	v_cndmask_b32_e64 v28, 0x7f800000, v27, s0
	v_add_f32_e32 v39, v39, v28
.LBB741_247:
	s_or_b32 exec_lo, exec_lo, s42
.LBB741_248:
	s_delay_alu instid0(SALU_CYCLE_1)
	s_or_b32 exec_lo, exec_lo, s1
	v_dual_mov_b32 v26, 0 :: v_dual_mov_b32 v27, 0
	s_and_saveexec_b32 s1, s54
	s_cbranch_execz .LBB741_252
; %bb.249:
	global_load_u8 v27, v[2:3], off offset:448
	s_waitcnt vmcnt(0)
	v_and_b32_e32 v27, 1, v27
	s_delay_alu instid0(VALU_DEP_1) | instskip(SKIP_1) | instid1(VALU_DEP_2)
	v_cmp_eq_u32_e64 s0, 1, v27
	v_mov_b32_e32 v27, 0
	s_xor_b32 s0, s0, -1
	s_delay_alu instid0(SALU_CYCLE_1)
	s_and_saveexec_b32 s42, s0
	s_cbranch_execz .LBB741_251
; %bb.250:
	v_sub_f32_e32 v25, v25, v45
	s_delay_alu instid0(VALU_DEP_1) | instskip(SKIP_1) | instid1(VALU_DEP_2)
	v_mul_f32_e32 v27, 0x3fb8aa3b, v25
	v_cmp_ngt_f32_e64 s0, 0xc2ce8ed0, v25
	v_fma_f32 v46, 0x3fb8aa3b, v25, -v27
	v_rndne_f32_e32 v47, v27
	s_delay_alu instid0(VALU_DEP_1) | instskip(NEXT) | instid1(VALU_DEP_1)
	v_dual_fmamk_f32 v46, v25, 0x32a5705f, v46 :: v_dual_sub_f32 v27, v27, v47
	v_add_f32_e32 v27, v27, v46
	v_cvt_i32_f32_e32 v46, v47
	s_delay_alu instid0(VALU_DEP_2) | instskip(SKIP_2) | instid1(VALU_DEP_1)
	v_exp_f32_e32 v27, v27
	s_waitcnt_depctr 0xfff
	v_ldexp_f32 v27, v27, v46
	v_cndmask_b32_e64 v27, 0, v27, s0
	v_cmp_nlt_f32_e64 s0, 0x42b17218, v25
	s_delay_alu instid0(VALU_DEP_1) | instskip(NEXT) | instid1(VALU_DEP_1)
	v_cndmask_b32_e64 v27, 0x7f800000, v27, s0
	v_add_f32_e32 v39, v39, v27
.LBB741_251:
	s_or_b32 exec_lo, exec_lo, s42
.LBB741_252:
	s_delay_alu instid0(SALU_CYCLE_1)
	s_or_b32 exec_lo, exec_lo, s1
	s_and_saveexec_b32 s1, s53
	s_cbranch_execz .LBB741_256
; %bb.253:
	global_load_u8 v25, v[2:3], off offset:480
	s_waitcnt vmcnt(0)
	v_dual_mov_b32 v26, 0 :: v_dual_and_b32 v25, 1, v25
	s_delay_alu instid0(VALU_DEP_1) | instskip(NEXT) | instid1(VALU_DEP_1)
	v_cmp_eq_u32_e64 s0, 1, v25
	s_xor_b32 s0, s0, -1
	s_delay_alu instid0(SALU_CYCLE_1)
	s_and_saveexec_b32 s42, s0
	s_cbranch_execz .LBB741_255
; %bb.254:
	v_sub_f32_e32 v24, v24, v45
	s_delay_alu instid0(VALU_DEP_1) | instskip(NEXT) | instid1(VALU_DEP_1)
	v_mul_f32_e32 v25, 0x3fb8aa3b, v24
	v_fma_f32 v26, 0x3fb8aa3b, v24, -v25
	v_rndne_f32_e32 v46, v25
	s_delay_alu instid0(VALU_DEP_1) | instskip(SKIP_1) | instid1(VALU_DEP_2)
	v_dual_sub_f32 v25, v25, v46 :: v_dual_fmamk_f32 v26, v24, 0x32a5705f, v26
	v_cmp_ngt_f32_e64 s0, 0xc2ce8ed0, v24
	v_add_f32_e32 v25, v25, v26
	v_cvt_i32_f32_e32 v26, v46
	s_delay_alu instid0(VALU_DEP_2) | instskip(SKIP_2) | instid1(VALU_DEP_1)
	v_exp_f32_e32 v25, v25
	s_waitcnt_depctr 0xfff
	v_ldexp_f32 v25, v25, v26
	v_cndmask_b32_e64 v25, 0, v25, s0
	v_cmp_nlt_f32_e64 s0, 0x42b17218, v24
	s_delay_alu instid0(VALU_DEP_1) | instskip(NEXT) | instid1(VALU_DEP_1)
	v_cndmask_b32_e64 v26, 0x7f800000, v25, s0
	v_add_f32_e32 v39, v39, v26
.LBB741_255:
	s_or_b32 exec_lo, exec_lo, s42
.LBB741_256:
	s_delay_alu instid0(SALU_CYCLE_1)
	s_or_b32 exec_lo, exec_lo, s1
	v_dual_mov_b32 v24, 0 :: v_dual_mov_b32 v25, 0
	s_and_saveexec_b32 s1, s52
	s_cbranch_execz .LBB741_260
; %bb.257:
	global_load_u8 v25, v[2:3], off offset:512
	s_waitcnt vmcnt(0)
	v_and_b32_e32 v25, 1, v25
	s_delay_alu instid0(VALU_DEP_1) | instskip(SKIP_1) | instid1(VALU_DEP_2)
	v_cmp_eq_u32_e64 s0, 1, v25
	v_mov_b32_e32 v25, 0
	s_xor_b32 s0, s0, -1
	s_delay_alu instid0(SALU_CYCLE_1)
	s_and_saveexec_b32 s42, s0
	s_cbranch_execz .LBB741_259
; %bb.258:
	v_sub_f32_e32 v23, v23, v45
	s_delay_alu instid0(VALU_DEP_1) | instskip(SKIP_1) | instid1(VALU_DEP_2)
	v_mul_f32_e32 v25, 0x3fb8aa3b, v23
	v_cmp_ngt_f32_e64 s0, 0xc2ce8ed0, v23
	v_fma_f32 v46, 0x3fb8aa3b, v23, -v25
	v_rndne_f32_e32 v47, v25
	s_delay_alu instid0(VALU_DEP_1) | instskip(NEXT) | instid1(VALU_DEP_1)
	v_dual_fmamk_f32 v46, v23, 0x32a5705f, v46 :: v_dual_sub_f32 v25, v25, v47
	v_add_f32_e32 v25, v25, v46
	v_cvt_i32_f32_e32 v46, v47
	s_delay_alu instid0(VALU_DEP_2) | instskip(SKIP_2) | instid1(VALU_DEP_1)
	v_exp_f32_e32 v25, v25
	s_waitcnt_depctr 0xfff
	v_ldexp_f32 v25, v25, v46
	v_cndmask_b32_e64 v25, 0, v25, s0
	v_cmp_nlt_f32_e64 s0, 0x42b17218, v23
	s_delay_alu instid0(VALU_DEP_1) | instskip(NEXT) | instid1(VALU_DEP_1)
	v_cndmask_b32_e64 v25, 0x7f800000, v25, s0
	v_add_f32_e32 v39, v39, v25
.LBB741_259:
	s_or_b32 exec_lo, exec_lo, s42
.LBB741_260:
	s_delay_alu instid0(SALU_CYCLE_1)
	s_or_b32 exec_lo, exec_lo, s1
	s_and_saveexec_b32 s1, s51
	s_cbranch_execz .LBB741_264
; %bb.261:
	global_load_u8 v23, v[2:3], off offset:544
	s_waitcnt vmcnt(0)
	v_dual_mov_b32 v24, 0 :: v_dual_and_b32 v23, 1, v23
	s_delay_alu instid0(VALU_DEP_1) | instskip(NEXT) | instid1(VALU_DEP_1)
	v_cmp_eq_u32_e64 s0, 1, v23
	s_xor_b32 s0, s0, -1
	s_delay_alu instid0(SALU_CYCLE_1)
	s_and_saveexec_b32 s42, s0
	s_cbranch_execz .LBB741_263
; %bb.262:
	v_sub_f32_e32 v22, v22, v45
	s_delay_alu instid0(VALU_DEP_1) | instskip(NEXT) | instid1(VALU_DEP_1)
	v_mul_f32_e32 v23, 0x3fb8aa3b, v22
	v_fma_f32 v24, 0x3fb8aa3b, v22, -v23
	v_rndne_f32_e32 v46, v23
	s_delay_alu instid0(VALU_DEP_1) | instskip(SKIP_1) | instid1(VALU_DEP_2)
	v_dual_sub_f32 v23, v23, v46 :: v_dual_fmamk_f32 v24, v22, 0x32a5705f, v24
	v_cmp_ngt_f32_e64 s0, 0xc2ce8ed0, v22
	v_add_f32_e32 v23, v23, v24
	v_cvt_i32_f32_e32 v24, v46
	s_delay_alu instid0(VALU_DEP_2) | instskip(SKIP_2) | instid1(VALU_DEP_1)
	v_exp_f32_e32 v23, v23
	s_waitcnt_depctr 0xfff
	v_ldexp_f32 v23, v23, v24
	v_cndmask_b32_e64 v23, 0, v23, s0
	v_cmp_nlt_f32_e64 s0, 0x42b17218, v22
	s_delay_alu instid0(VALU_DEP_1) | instskip(NEXT) | instid1(VALU_DEP_1)
	v_cndmask_b32_e64 v24, 0x7f800000, v23, s0
	v_add_f32_e32 v39, v39, v24
.LBB741_263:
	s_or_b32 exec_lo, exec_lo, s42
.LBB741_264:
	s_delay_alu instid0(SALU_CYCLE_1)
	s_or_b32 exec_lo, exec_lo, s1
	v_dual_mov_b32 v22, 0 :: v_dual_mov_b32 v23, 0
	s_and_saveexec_b32 s1, s50
	s_cbranch_execz .LBB741_268
; %bb.265:
	global_load_u8 v23, v[2:3], off offset:576
	s_waitcnt vmcnt(0)
	v_and_b32_e32 v23, 1, v23
	s_delay_alu instid0(VALU_DEP_1) | instskip(SKIP_1) | instid1(VALU_DEP_2)
	v_cmp_eq_u32_e64 s0, 1, v23
	v_mov_b32_e32 v23, 0
	s_xor_b32 s0, s0, -1
	s_delay_alu instid0(SALU_CYCLE_1)
	s_and_saveexec_b32 s42, s0
	s_cbranch_execz .LBB741_267
; %bb.266:
	v_sub_f32_e32 v21, v21, v45
	s_delay_alu instid0(VALU_DEP_1) | instskip(SKIP_1) | instid1(VALU_DEP_2)
	v_mul_f32_e32 v23, 0x3fb8aa3b, v21
	v_cmp_ngt_f32_e64 s0, 0xc2ce8ed0, v21
	v_fma_f32 v46, 0x3fb8aa3b, v21, -v23
	v_rndne_f32_e32 v47, v23
	s_delay_alu instid0(VALU_DEP_1) | instskip(NEXT) | instid1(VALU_DEP_1)
	v_dual_fmamk_f32 v46, v21, 0x32a5705f, v46 :: v_dual_sub_f32 v23, v23, v47
	v_add_f32_e32 v23, v23, v46
	v_cvt_i32_f32_e32 v46, v47
	s_delay_alu instid0(VALU_DEP_2) | instskip(SKIP_2) | instid1(VALU_DEP_1)
	v_exp_f32_e32 v23, v23
	s_waitcnt_depctr 0xfff
	v_ldexp_f32 v23, v23, v46
	v_cndmask_b32_e64 v23, 0, v23, s0
	v_cmp_nlt_f32_e64 s0, 0x42b17218, v21
	s_delay_alu instid0(VALU_DEP_1) | instskip(NEXT) | instid1(VALU_DEP_1)
	v_cndmask_b32_e64 v23, 0x7f800000, v23, s0
	v_add_f32_e32 v39, v39, v23
.LBB741_267:
	s_or_b32 exec_lo, exec_lo, s42
.LBB741_268:
	s_delay_alu instid0(SALU_CYCLE_1)
	s_or_b32 exec_lo, exec_lo, s1
	s_and_saveexec_b32 s1, s49
	s_cbranch_execz .LBB741_272
; %bb.269:
	global_load_u8 v21, v[2:3], off offset:608
	s_waitcnt vmcnt(0)
	v_dual_mov_b32 v22, 0 :: v_dual_and_b32 v21, 1, v21
	s_delay_alu instid0(VALU_DEP_1) | instskip(NEXT) | instid1(VALU_DEP_1)
	v_cmp_eq_u32_e64 s0, 1, v21
	s_xor_b32 s0, s0, -1
	s_delay_alu instid0(SALU_CYCLE_1)
	s_and_saveexec_b32 s42, s0
	s_cbranch_execz .LBB741_271
; %bb.270:
	v_sub_f32_e32 v20, v20, v45
	s_delay_alu instid0(VALU_DEP_1) | instskip(NEXT) | instid1(VALU_DEP_1)
	v_mul_f32_e32 v21, 0x3fb8aa3b, v20
	v_fma_f32 v22, 0x3fb8aa3b, v20, -v21
	v_rndne_f32_e32 v46, v21
	s_delay_alu instid0(VALU_DEP_1) | instskip(SKIP_1) | instid1(VALU_DEP_2)
	v_dual_sub_f32 v21, v21, v46 :: v_dual_fmamk_f32 v22, v20, 0x32a5705f, v22
	v_cmp_ngt_f32_e64 s0, 0xc2ce8ed0, v20
	v_add_f32_e32 v21, v21, v22
	v_cvt_i32_f32_e32 v22, v46
	s_delay_alu instid0(VALU_DEP_2) | instskip(SKIP_2) | instid1(VALU_DEP_1)
	v_exp_f32_e32 v21, v21
	s_waitcnt_depctr 0xfff
	v_ldexp_f32 v21, v21, v22
	v_cndmask_b32_e64 v21, 0, v21, s0
	v_cmp_nlt_f32_e64 s0, 0x42b17218, v20
	s_delay_alu instid0(VALU_DEP_1) | instskip(NEXT) | instid1(VALU_DEP_1)
	v_cndmask_b32_e64 v22, 0x7f800000, v21, s0
	v_add_f32_e32 v39, v39, v22
.LBB741_271:
	s_or_b32 exec_lo, exec_lo, s42
.LBB741_272:
	s_delay_alu instid0(SALU_CYCLE_1)
	s_or_b32 exec_lo, exec_lo, s1
	v_dual_mov_b32 v20, 0 :: v_dual_mov_b32 v21, 0
	s_and_saveexec_b32 s1, s48
	s_cbranch_execz .LBB741_276
; %bb.273:
	global_load_u8 v21, v[2:3], off offset:640
	s_waitcnt vmcnt(0)
	v_and_b32_e32 v21, 1, v21
	s_delay_alu instid0(VALU_DEP_1) | instskip(SKIP_1) | instid1(VALU_DEP_2)
	v_cmp_eq_u32_e64 s0, 1, v21
	v_mov_b32_e32 v21, 0
	s_xor_b32 s0, s0, -1
	s_delay_alu instid0(SALU_CYCLE_1)
	s_and_saveexec_b32 s42, s0
	s_cbranch_execz .LBB741_275
; %bb.274:
	v_sub_f32_e32 v19, v19, v45
	s_delay_alu instid0(VALU_DEP_1) | instskip(SKIP_1) | instid1(VALU_DEP_2)
	v_mul_f32_e32 v21, 0x3fb8aa3b, v19
	v_cmp_ngt_f32_e64 s0, 0xc2ce8ed0, v19
	v_fma_f32 v46, 0x3fb8aa3b, v19, -v21
	v_rndne_f32_e32 v47, v21
	s_delay_alu instid0(VALU_DEP_1) | instskip(NEXT) | instid1(VALU_DEP_1)
	v_dual_fmamk_f32 v46, v19, 0x32a5705f, v46 :: v_dual_sub_f32 v21, v21, v47
	v_add_f32_e32 v21, v21, v46
	v_cvt_i32_f32_e32 v46, v47
	s_delay_alu instid0(VALU_DEP_2) | instskip(SKIP_2) | instid1(VALU_DEP_1)
	v_exp_f32_e32 v21, v21
	s_waitcnt_depctr 0xfff
	v_ldexp_f32 v21, v21, v46
	v_cndmask_b32_e64 v21, 0, v21, s0
	v_cmp_nlt_f32_e64 s0, 0x42b17218, v19
	s_delay_alu instid0(VALU_DEP_1) | instskip(NEXT) | instid1(VALU_DEP_1)
	v_cndmask_b32_e64 v21, 0x7f800000, v21, s0
	v_add_f32_e32 v39, v39, v21
.LBB741_275:
	s_or_b32 exec_lo, exec_lo, s42
.LBB741_276:
	s_delay_alu instid0(SALU_CYCLE_1)
	s_or_b32 exec_lo, exec_lo, s1
	s_and_saveexec_b32 s1, s47
	s_cbranch_execz .LBB741_280
; %bb.277:
	global_load_u8 v19, v[2:3], off offset:672
	s_waitcnt vmcnt(0)
	v_dual_mov_b32 v20, 0 :: v_dual_and_b32 v19, 1, v19
	s_delay_alu instid0(VALU_DEP_1) | instskip(NEXT) | instid1(VALU_DEP_1)
	v_cmp_eq_u32_e64 s0, 1, v19
	s_xor_b32 s0, s0, -1
	s_delay_alu instid0(SALU_CYCLE_1)
	s_and_saveexec_b32 s42, s0
	s_cbranch_execz .LBB741_279
; %bb.278:
	v_sub_f32_e32 v18, v18, v45
	s_delay_alu instid0(VALU_DEP_1) | instskip(NEXT) | instid1(VALU_DEP_1)
	v_mul_f32_e32 v19, 0x3fb8aa3b, v18
	v_fma_f32 v20, 0x3fb8aa3b, v18, -v19
	v_rndne_f32_e32 v46, v19
	s_delay_alu instid0(VALU_DEP_1) | instskip(SKIP_1) | instid1(VALU_DEP_2)
	v_dual_sub_f32 v19, v19, v46 :: v_dual_fmamk_f32 v20, v18, 0x32a5705f, v20
	v_cmp_ngt_f32_e64 s0, 0xc2ce8ed0, v18
	v_add_f32_e32 v19, v19, v20
	v_cvt_i32_f32_e32 v20, v46
	s_delay_alu instid0(VALU_DEP_2) | instskip(SKIP_2) | instid1(VALU_DEP_1)
	v_exp_f32_e32 v19, v19
	s_waitcnt_depctr 0xfff
	v_ldexp_f32 v19, v19, v20
	v_cndmask_b32_e64 v19, 0, v19, s0
	v_cmp_nlt_f32_e64 s0, 0x42b17218, v18
	s_delay_alu instid0(VALU_DEP_1) | instskip(NEXT) | instid1(VALU_DEP_1)
	v_cndmask_b32_e64 v20, 0x7f800000, v19, s0
	v_add_f32_e32 v39, v39, v20
.LBB741_279:
	s_or_b32 exec_lo, exec_lo, s42
.LBB741_280:
	s_delay_alu instid0(SALU_CYCLE_1)
	s_or_b32 exec_lo, exec_lo, s1
	v_dual_mov_b32 v18, 0 :: v_dual_mov_b32 v19, 0
	s_and_saveexec_b32 s1, s46
	s_cbranch_execz .LBB741_284
; %bb.281:
	global_load_u8 v19, v[2:3], off offset:704
	s_waitcnt vmcnt(0)
	v_and_b32_e32 v19, 1, v19
	s_delay_alu instid0(VALU_DEP_1) | instskip(SKIP_1) | instid1(VALU_DEP_2)
	v_cmp_eq_u32_e64 s0, 1, v19
	v_mov_b32_e32 v19, 0
	s_xor_b32 s0, s0, -1
	s_delay_alu instid0(SALU_CYCLE_1)
	s_and_saveexec_b32 s42, s0
	s_cbranch_execz .LBB741_283
; %bb.282:
	v_sub_f32_e32 v17, v17, v45
	s_delay_alu instid0(VALU_DEP_1) | instskip(SKIP_1) | instid1(VALU_DEP_2)
	v_mul_f32_e32 v19, 0x3fb8aa3b, v17
	v_cmp_ngt_f32_e64 s0, 0xc2ce8ed0, v17
	v_fma_f32 v46, 0x3fb8aa3b, v17, -v19
	v_rndne_f32_e32 v47, v19
	s_delay_alu instid0(VALU_DEP_1) | instskip(NEXT) | instid1(VALU_DEP_1)
	v_dual_fmamk_f32 v46, v17, 0x32a5705f, v46 :: v_dual_sub_f32 v19, v19, v47
	v_add_f32_e32 v19, v19, v46
	v_cvt_i32_f32_e32 v46, v47
	s_delay_alu instid0(VALU_DEP_2) | instskip(SKIP_2) | instid1(VALU_DEP_1)
	v_exp_f32_e32 v19, v19
	s_waitcnt_depctr 0xfff
	v_ldexp_f32 v19, v19, v46
	v_cndmask_b32_e64 v19, 0, v19, s0
	v_cmp_nlt_f32_e64 s0, 0x42b17218, v17
	s_delay_alu instid0(VALU_DEP_1) | instskip(NEXT) | instid1(VALU_DEP_1)
	v_cndmask_b32_e64 v19, 0x7f800000, v19, s0
	v_add_f32_e32 v39, v39, v19
.LBB741_283:
	s_or_b32 exec_lo, exec_lo, s42
.LBB741_284:
	s_delay_alu instid0(SALU_CYCLE_1)
	s_or_b32 exec_lo, exec_lo, s1
	s_and_saveexec_b32 s1, s45
	s_cbranch_execz .LBB741_288
; %bb.285:
	global_load_u8 v17, v[2:3], off offset:736
	s_waitcnt vmcnt(0)
	v_dual_mov_b32 v18, 0 :: v_dual_and_b32 v17, 1, v17
	s_delay_alu instid0(VALU_DEP_1) | instskip(NEXT) | instid1(VALU_DEP_1)
	v_cmp_eq_u32_e64 s0, 1, v17
	s_xor_b32 s0, s0, -1
	s_delay_alu instid0(SALU_CYCLE_1)
	s_and_saveexec_b32 s42, s0
	s_cbranch_execz .LBB741_287
; %bb.286:
	v_sub_f32_e32 v16, v16, v45
	s_delay_alu instid0(VALU_DEP_1) | instskip(NEXT) | instid1(VALU_DEP_1)
	v_mul_f32_e32 v17, 0x3fb8aa3b, v16
	v_fma_f32 v18, 0x3fb8aa3b, v16, -v17
	v_rndne_f32_e32 v46, v17
	s_delay_alu instid0(VALU_DEP_1) | instskip(SKIP_1) | instid1(VALU_DEP_2)
	v_dual_sub_f32 v17, v17, v46 :: v_dual_fmamk_f32 v18, v16, 0x32a5705f, v18
	v_cmp_ngt_f32_e64 s0, 0xc2ce8ed0, v16
	v_add_f32_e32 v17, v17, v18
	v_cvt_i32_f32_e32 v18, v46
	s_delay_alu instid0(VALU_DEP_2) | instskip(SKIP_2) | instid1(VALU_DEP_1)
	v_exp_f32_e32 v17, v17
	s_waitcnt_depctr 0xfff
	v_ldexp_f32 v17, v17, v18
	v_cndmask_b32_e64 v17, 0, v17, s0
	v_cmp_nlt_f32_e64 s0, 0x42b17218, v16
	s_delay_alu instid0(VALU_DEP_1) | instskip(NEXT) | instid1(VALU_DEP_1)
	v_cndmask_b32_e64 v18, 0x7f800000, v17, s0
	v_add_f32_e32 v39, v39, v18
.LBB741_287:
	s_or_b32 exec_lo, exec_lo, s42
.LBB741_288:
	s_delay_alu instid0(SALU_CYCLE_1)
	s_or_b32 exec_lo, exec_lo, s1
	v_dual_mov_b32 v16, 0 :: v_dual_mov_b32 v17, 0
	s_and_saveexec_b32 s1, s44
	s_cbranch_execz .LBB741_292
; %bb.289:
	global_load_u8 v17, v[2:3], off offset:768
	s_waitcnt vmcnt(0)
	v_and_b32_e32 v17, 1, v17
	s_delay_alu instid0(VALU_DEP_1) | instskip(SKIP_1) | instid1(VALU_DEP_2)
	v_cmp_eq_u32_e64 s0, 1, v17
	v_mov_b32_e32 v17, 0
	s_xor_b32 s0, s0, -1
	s_delay_alu instid0(SALU_CYCLE_1)
	s_and_saveexec_b32 s42, s0
	s_cbranch_execz .LBB741_291
; %bb.290:
	v_sub_f32_e32 v15, v15, v45
	s_delay_alu instid0(VALU_DEP_1) | instskip(SKIP_1) | instid1(VALU_DEP_2)
	v_mul_f32_e32 v17, 0x3fb8aa3b, v15
	v_cmp_ngt_f32_e64 s0, 0xc2ce8ed0, v15
	v_fma_f32 v46, 0x3fb8aa3b, v15, -v17
	v_rndne_f32_e32 v47, v17
	s_delay_alu instid0(VALU_DEP_1) | instskip(NEXT) | instid1(VALU_DEP_1)
	v_dual_fmamk_f32 v46, v15, 0x32a5705f, v46 :: v_dual_sub_f32 v17, v17, v47
	v_add_f32_e32 v17, v17, v46
	v_cvt_i32_f32_e32 v46, v47
	s_delay_alu instid0(VALU_DEP_2) | instskip(SKIP_2) | instid1(VALU_DEP_1)
	v_exp_f32_e32 v17, v17
	s_waitcnt_depctr 0xfff
	v_ldexp_f32 v17, v17, v46
	v_cndmask_b32_e64 v17, 0, v17, s0
	v_cmp_nlt_f32_e64 s0, 0x42b17218, v15
	s_delay_alu instid0(VALU_DEP_1) | instskip(NEXT) | instid1(VALU_DEP_1)
	v_cndmask_b32_e64 v17, 0x7f800000, v17, s0
	v_add_f32_e32 v39, v39, v17
.LBB741_291:
	s_or_b32 exec_lo, exec_lo, s42
.LBB741_292:
	s_delay_alu instid0(SALU_CYCLE_1)
	s_or_b32 exec_lo, exec_lo, s1
	s_and_saveexec_b32 s1, s43
	s_cbranch_execz .LBB741_296
; %bb.293:
	global_load_u8 v15, v[2:3], off offset:800
	s_waitcnt vmcnt(0)
	v_dual_mov_b32 v16, 0 :: v_dual_and_b32 v15, 1, v15
	s_delay_alu instid0(VALU_DEP_1) | instskip(NEXT) | instid1(VALU_DEP_1)
	v_cmp_eq_u32_e64 s0, 1, v15
	s_xor_b32 s0, s0, -1
	s_delay_alu instid0(SALU_CYCLE_1)
	s_and_saveexec_b32 s42, s0
	s_cbranch_execz .LBB741_295
; %bb.294:
	v_sub_f32_e32 v14, v14, v45
	s_delay_alu instid0(VALU_DEP_1) | instskip(NEXT) | instid1(VALU_DEP_1)
	v_mul_f32_e32 v15, 0x3fb8aa3b, v14
	v_fma_f32 v16, 0x3fb8aa3b, v14, -v15
	v_rndne_f32_e32 v46, v15
	s_delay_alu instid0(VALU_DEP_1) | instskip(SKIP_1) | instid1(VALU_DEP_2)
	v_dual_sub_f32 v15, v15, v46 :: v_dual_fmamk_f32 v16, v14, 0x32a5705f, v16
	v_cmp_ngt_f32_e64 s0, 0xc2ce8ed0, v14
	v_add_f32_e32 v15, v15, v16
	v_cvt_i32_f32_e32 v16, v46
	s_delay_alu instid0(VALU_DEP_2) | instskip(SKIP_2) | instid1(VALU_DEP_1)
	v_exp_f32_e32 v15, v15
	s_waitcnt_depctr 0xfff
	v_ldexp_f32 v15, v15, v16
	v_cndmask_b32_e64 v15, 0, v15, s0
	v_cmp_nlt_f32_e64 s0, 0x42b17218, v14
	s_delay_alu instid0(VALU_DEP_1) | instskip(NEXT) | instid1(VALU_DEP_1)
	v_cndmask_b32_e64 v16, 0x7f800000, v15, s0
	v_add_f32_e32 v39, v39, v16
.LBB741_295:
	s_or_b32 exec_lo, exec_lo, s42
.LBB741_296:
	s_delay_alu instid0(SALU_CYCLE_1)
	s_or_b32 exec_lo, exec_lo, s1
	v_dual_mov_b32 v14, 0 :: v_dual_mov_b32 v15, 0
	s_and_saveexec_b32 s1, s41
	s_cbranch_execz .LBB741_300
; %bb.297:
	global_load_u8 v15, v[2:3], off offset:832
	s_waitcnt vmcnt(0)
	v_and_b32_e32 v15, 1, v15
	s_delay_alu instid0(VALU_DEP_1) | instskip(SKIP_1) | instid1(VALU_DEP_2)
	v_cmp_eq_u32_e64 s0, 1, v15
	v_mov_b32_e32 v15, 0
	s_xor_b32 s0, s0, -1
	s_delay_alu instid0(SALU_CYCLE_1)
	s_and_saveexec_b32 s41, s0
	s_cbranch_execz .LBB741_299
; %bb.298:
	v_sub_f32_e32 v13, v13, v45
	s_delay_alu instid0(VALU_DEP_1) | instskip(SKIP_1) | instid1(VALU_DEP_2)
	v_mul_f32_e32 v15, 0x3fb8aa3b, v13
	v_cmp_ngt_f32_e64 s0, 0xc2ce8ed0, v13
	v_fma_f32 v46, 0x3fb8aa3b, v13, -v15
	v_rndne_f32_e32 v47, v15
	s_delay_alu instid0(VALU_DEP_1) | instskip(NEXT) | instid1(VALU_DEP_1)
	v_dual_fmamk_f32 v46, v13, 0x32a5705f, v46 :: v_dual_sub_f32 v15, v15, v47
	v_add_f32_e32 v15, v15, v46
	v_cvt_i32_f32_e32 v46, v47
	s_delay_alu instid0(VALU_DEP_2) | instskip(SKIP_2) | instid1(VALU_DEP_1)
	v_exp_f32_e32 v15, v15
	s_waitcnt_depctr 0xfff
	v_ldexp_f32 v15, v15, v46
	v_cndmask_b32_e64 v15, 0, v15, s0
	v_cmp_nlt_f32_e64 s0, 0x42b17218, v13
	s_delay_alu instid0(VALU_DEP_1) | instskip(NEXT) | instid1(VALU_DEP_1)
	v_cndmask_b32_e64 v15, 0x7f800000, v15, s0
	v_add_f32_e32 v39, v39, v15
.LBB741_299:
	s_or_b32 exec_lo, exec_lo, s41
.LBB741_300:
	s_delay_alu instid0(SALU_CYCLE_1)
	s_or_b32 exec_lo, exec_lo, s1
	s_and_saveexec_b32 s1, s40
	s_cbranch_execz .LBB741_304
; %bb.301:
	global_load_u8 v13, v[2:3], off offset:864
	s_waitcnt vmcnt(0)
	v_dual_mov_b32 v14, 0 :: v_dual_and_b32 v13, 1, v13
	s_delay_alu instid0(VALU_DEP_1) | instskip(NEXT) | instid1(VALU_DEP_1)
	v_cmp_eq_u32_e64 s0, 1, v13
	s_xor_b32 s0, s0, -1
	s_delay_alu instid0(SALU_CYCLE_1)
	s_and_saveexec_b32 s40, s0
	s_cbranch_execz .LBB741_303
; %bb.302:
	v_sub_f32_e32 v12, v12, v45
	s_delay_alu instid0(VALU_DEP_1) | instskip(NEXT) | instid1(VALU_DEP_1)
	v_mul_f32_e32 v13, 0x3fb8aa3b, v12
	v_fma_f32 v14, 0x3fb8aa3b, v12, -v13
	v_rndne_f32_e32 v46, v13
	s_delay_alu instid0(VALU_DEP_1) | instskip(SKIP_1) | instid1(VALU_DEP_2)
	v_dual_sub_f32 v13, v13, v46 :: v_dual_fmamk_f32 v14, v12, 0x32a5705f, v14
	v_cmp_ngt_f32_e64 s0, 0xc2ce8ed0, v12
	v_add_f32_e32 v13, v13, v14
	v_cvt_i32_f32_e32 v14, v46
	s_delay_alu instid0(VALU_DEP_2) | instskip(SKIP_2) | instid1(VALU_DEP_1)
	v_exp_f32_e32 v13, v13
	s_waitcnt_depctr 0xfff
	v_ldexp_f32 v13, v13, v14
	v_cndmask_b32_e64 v13, 0, v13, s0
	v_cmp_nlt_f32_e64 s0, 0x42b17218, v12
	s_delay_alu instid0(VALU_DEP_1) | instskip(NEXT) | instid1(VALU_DEP_1)
	v_cndmask_b32_e64 v14, 0x7f800000, v13, s0
	v_add_f32_e32 v39, v39, v14
.LBB741_303:
	s_or_b32 exec_lo, exec_lo, s40
.LBB741_304:
	s_delay_alu instid0(SALU_CYCLE_1)
	s_or_b32 exec_lo, exec_lo, s1
	v_dual_mov_b32 v12, 0 :: v_dual_mov_b32 v13, 0
	s_and_saveexec_b32 s1, s39
	s_cbranch_execz .LBB741_308
; %bb.305:
	global_load_u8 v13, v[2:3], off offset:896
	s_waitcnt vmcnt(0)
	v_and_b32_e32 v13, 1, v13
	s_delay_alu instid0(VALU_DEP_1) | instskip(SKIP_1) | instid1(VALU_DEP_2)
	v_cmp_eq_u32_e64 s0, 1, v13
	v_mov_b32_e32 v13, 0
	s_xor_b32 s0, s0, -1
	s_delay_alu instid0(SALU_CYCLE_1)
	s_and_saveexec_b32 s39, s0
	s_cbranch_execz .LBB741_307
; %bb.306:
	v_sub_f32_e32 v11, v11, v45
	s_delay_alu instid0(VALU_DEP_1) | instskip(SKIP_1) | instid1(VALU_DEP_2)
	v_mul_f32_e32 v13, 0x3fb8aa3b, v11
	v_cmp_ngt_f32_e64 s0, 0xc2ce8ed0, v11
	v_fma_f32 v46, 0x3fb8aa3b, v11, -v13
	v_rndne_f32_e32 v47, v13
	s_delay_alu instid0(VALU_DEP_1) | instskip(NEXT) | instid1(VALU_DEP_1)
	v_dual_fmamk_f32 v46, v11, 0x32a5705f, v46 :: v_dual_sub_f32 v13, v13, v47
	v_add_f32_e32 v13, v13, v46
	v_cvt_i32_f32_e32 v46, v47
	s_delay_alu instid0(VALU_DEP_2) | instskip(SKIP_2) | instid1(VALU_DEP_1)
	v_exp_f32_e32 v13, v13
	s_waitcnt_depctr 0xfff
	v_ldexp_f32 v13, v13, v46
	v_cndmask_b32_e64 v13, 0, v13, s0
	v_cmp_nlt_f32_e64 s0, 0x42b17218, v11
	s_delay_alu instid0(VALU_DEP_1) | instskip(NEXT) | instid1(VALU_DEP_1)
	v_cndmask_b32_e64 v13, 0x7f800000, v13, s0
	v_add_f32_e32 v39, v39, v13
.LBB741_307:
	s_or_b32 exec_lo, exec_lo, s39
.LBB741_308:
	s_delay_alu instid0(SALU_CYCLE_1)
	s_or_b32 exec_lo, exec_lo, s1
	s_and_saveexec_b32 s1, s38
	s_cbranch_execz .LBB741_312
; %bb.309:
	global_load_u8 v11, v[2:3], off offset:928
	s_waitcnt vmcnt(0)
	v_dual_mov_b32 v12, 0 :: v_dual_and_b32 v11, 1, v11
	s_delay_alu instid0(VALU_DEP_1) | instskip(NEXT) | instid1(VALU_DEP_1)
	v_cmp_eq_u32_e64 s0, 1, v11
	s_xor_b32 s0, s0, -1
	s_delay_alu instid0(SALU_CYCLE_1)
	s_and_saveexec_b32 s38, s0
	s_cbranch_execz .LBB741_311
; %bb.310:
	v_sub_f32_e32 v10, v10, v45
	s_delay_alu instid0(VALU_DEP_1) | instskip(NEXT) | instid1(VALU_DEP_1)
	v_mul_f32_e32 v11, 0x3fb8aa3b, v10
	v_fma_f32 v12, 0x3fb8aa3b, v10, -v11
	v_rndne_f32_e32 v46, v11
	s_delay_alu instid0(VALU_DEP_1) | instskip(SKIP_1) | instid1(VALU_DEP_2)
	v_dual_sub_f32 v11, v11, v46 :: v_dual_fmamk_f32 v12, v10, 0x32a5705f, v12
	v_cmp_ngt_f32_e64 s0, 0xc2ce8ed0, v10
	v_add_f32_e32 v11, v11, v12
	v_cvt_i32_f32_e32 v12, v46
	s_delay_alu instid0(VALU_DEP_2) | instskip(SKIP_2) | instid1(VALU_DEP_1)
	v_exp_f32_e32 v11, v11
	s_waitcnt_depctr 0xfff
	v_ldexp_f32 v11, v11, v12
	v_cndmask_b32_e64 v11, 0, v11, s0
	v_cmp_nlt_f32_e64 s0, 0x42b17218, v10
	s_delay_alu instid0(VALU_DEP_1) | instskip(NEXT) | instid1(VALU_DEP_1)
	v_cndmask_b32_e64 v12, 0x7f800000, v11, s0
	v_add_f32_e32 v39, v39, v12
.LBB741_311:
	s_or_b32 exec_lo, exec_lo, s38
.LBB741_312:
	s_delay_alu instid0(SALU_CYCLE_1)
	s_or_b32 exec_lo, exec_lo, s1
	v_dual_mov_b32 v10, 0 :: v_dual_mov_b32 v11, 0
	s_and_saveexec_b32 s1, s35
	s_cbranch_execz .LBB741_316
; %bb.313:
	global_load_u8 v11, v[2:3], off offset:960
	s_waitcnt vmcnt(0)
	v_and_b32_e32 v11, 1, v11
	s_delay_alu instid0(VALU_DEP_1) | instskip(SKIP_1) | instid1(VALU_DEP_2)
	v_cmp_eq_u32_e64 s0, 1, v11
	v_mov_b32_e32 v11, 0
	s_xor_b32 s0, s0, -1
	s_delay_alu instid0(SALU_CYCLE_1)
	s_and_saveexec_b32 s35, s0
	s_cbranch_execz .LBB741_315
; %bb.314:
	v_sub_f32_e32 v9, v9, v45
	s_delay_alu instid0(VALU_DEP_1) | instskip(SKIP_1) | instid1(VALU_DEP_2)
	v_mul_f32_e32 v11, 0x3fb8aa3b, v9
	v_cmp_ngt_f32_e64 s0, 0xc2ce8ed0, v9
	v_fma_f32 v46, 0x3fb8aa3b, v9, -v11
	v_rndne_f32_e32 v47, v11
	s_delay_alu instid0(VALU_DEP_1) | instskip(NEXT) | instid1(VALU_DEP_1)
	v_dual_fmamk_f32 v46, v9, 0x32a5705f, v46 :: v_dual_sub_f32 v11, v11, v47
	v_add_f32_e32 v11, v11, v46
	v_cvt_i32_f32_e32 v46, v47
	s_delay_alu instid0(VALU_DEP_2) | instskip(SKIP_2) | instid1(VALU_DEP_1)
	v_exp_f32_e32 v11, v11
	s_waitcnt_depctr 0xfff
	v_ldexp_f32 v11, v11, v46
	v_cndmask_b32_e64 v11, 0, v11, s0
	v_cmp_nlt_f32_e64 s0, 0x42b17218, v9
	s_delay_alu instid0(VALU_DEP_1) | instskip(NEXT) | instid1(VALU_DEP_1)
	v_cndmask_b32_e64 v11, 0x7f800000, v11, s0
	v_add_f32_e32 v39, v39, v11
.LBB741_315:
	s_or_b32 exec_lo, exec_lo, s35
.LBB741_316:
	s_delay_alu instid0(SALU_CYCLE_1)
	s_or_b32 exec_lo, exec_lo, s1
	s_and_saveexec_b32 s1, s34
	s_cbranch_execz .LBB741_320
; %bb.317:
	global_load_u8 v2, v[2:3], off offset:992
	v_mov_b32_e32 v10, 0
	s_waitcnt vmcnt(0)
	v_and_b32_e32 v2, 1, v2
	s_delay_alu instid0(VALU_DEP_1) | instskip(NEXT) | instid1(VALU_DEP_1)
	v_cmp_eq_u32_e64 s0, 1, v2
	s_xor_b32 s0, s0, -1
	s_delay_alu instid0(SALU_CYCLE_1)
	s_and_saveexec_b32 s34, s0
	s_cbranch_execz .LBB741_319
; %bb.318:
	v_sub_f32_e32 v2, v8, v45
	s_delay_alu instid0(VALU_DEP_1) | instskip(NEXT) | instid1(VALU_DEP_1)
	v_mul_f32_e32 v3, 0x3fb8aa3b, v2
	v_fma_f32 v8, 0x3fb8aa3b, v2, -v3
	v_rndne_f32_e32 v9, v3
	s_delay_alu instid0(VALU_DEP_1) | instskip(NEXT) | instid1(VALU_DEP_1)
	v_dual_fmamk_f32 v8, v2, 0x32a5705f, v8 :: v_dual_sub_f32 v3, v3, v9
	v_add_f32_e32 v3, v3, v8
	v_cvt_i32_f32_e32 v8, v9
	v_cmp_ngt_f32_e64 s0, 0xc2ce8ed0, v2
	s_delay_alu instid0(VALU_DEP_3) | instskip(SKIP_2) | instid1(VALU_DEP_1)
	v_exp_f32_e32 v3, v3
	s_waitcnt_depctr 0xfff
	v_ldexp_f32 v3, v3, v8
	v_cndmask_b32_e64 v3, 0, v3, s0
	v_cmp_nlt_f32_e64 s0, 0x42b17218, v2
	s_delay_alu instid0(VALU_DEP_1) | instskip(NEXT) | instid1(VALU_DEP_1)
	v_cndmask_b32_e64 v10, 0x7f800000, v3, s0
	v_add_f32_e32 v39, v39, v10
.LBB741_319:
	s_or_b32 exec_lo, exec_lo, s34
.LBB741_320:
	s_delay_alu instid0(SALU_CYCLE_1)
	s_or_b32 exec_lo, exec_lo, s1
	ds_bpermute_b32 v2, v5, v39
	s_mov_b32 s1, exec_lo
	s_waitcnt lgkmcnt(0)
	v_add_f32_e32 v2, v39, v2
	ds_bpermute_b32 v3, v40, v2
	s_waitcnt lgkmcnt(0)
	v_add_f32_e32 v2, v2, v3
	ds_bpermute_b32 v3, v41, v2
	;; [unrolled: 3-line block ×4, first 2 shown]
	v_cmpx_lt_i32_e32 0, v7
	s_cbranch_execz .LBB741_418
; %bb.321:
	s_and_b32 exec_lo, exec_lo, vcc_lo
	s_cbranch_execz .LBB741_418
; %bb.322:
	s_waitcnt lgkmcnt(0)
	v_dual_add_f32 v2, v2, v3 :: v_dual_mov_b32 v3, 0x7e00
	s_delay_alu instid0(VALU_DEP_1) | instskip(NEXT) | instid1(VALU_DEP_1)
	v_cmp_neq_f32_e64 s0, 0, v2
	s_and_saveexec_b32 s1, s0
	s_cbranch_execz .LBB741_324
; %bb.323:
	v_div_scale_f32 v3, null, v2, v2, v42
	s_delay_alu instid0(VALU_DEP_1) | instskip(SKIP_2) | instid1(VALU_DEP_1)
	v_rcp_f32_e32 v5, v3
	s_waitcnt_depctr 0xfff
	v_fma_f32 v7, -v3, v5, 1.0
	v_fmac_f32_e32 v5, v7, v5
	v_div_scale_f32 v7, vcc_lo, v42, v2, v42
	s_delay_alu instid0(VALU_DEP_1) | instskip(NEXT) | instid1(VALU_DEP_1)
	v_mul_f32_e32 v8, v7, v5
	v_fma_f32 v9, -v3, v8, v7
	s_delay_alu instid0(VALU_DEP_1) | instskip(NEXT) | instid1(VALU_DEP_1)
	v_fmac_f32_e32 v8, v9, v5
	v_fma_f32 v3, -v3, v8, v7
	s_delay_alu instid0(VALU_DEP_1) | instskip(NEXT) | instid1(VALU_DEP_1)
	v_div_fmas_f32 v3, v3, v5, v8
	v_div_fixup_f32 v3, v3, v2, v42
	s_delay_alu instid0(VALU_DEP_1)
	v_cvt_f16_f32_e32 v3, v3
.LBB741_324:
	s_or_b32 exec_lo, exec_lo, s1
	v_add_co_u32 v0, vcc_lo, s36, v0
	v_add_co_ci_u32_e32 v1, vcc_lo, s37, v1, vcc_lo
	global_store_b16 v[0:1], v3, off
	s_and_b32 exec_lo, exec_lo, s33
	s_cbranch_execz .LBB741_418
; %bb.325:
	v_mov_b32_e32 v3, 0x7e00
	s_and_saveexec_b32 s1, s0
	s_cbranch_execz .LBB741_327
; %bb.326:
	v_div_scale_f32 v3, null, v2, v2, v4
	s_delay_alu instid0(VALU_DEP_1) | instskip(SKIP_2) | instid1(VALU_DEP_1)
	v_rcp_f32_e32 v5, v3
	s_waitcnt_depctr 0xfff
	v_fma_f32 v7, -v3, v5, 1.0
	v_fmac_f32_e32 v5, v7, v5
	v_div_scale_f32 v7, vcc_lo, v4, v2, v4
	s_delay_alu instid0(VALU_DEP_1) | instskip(NEXT) | instid1(VALU_DEP_1)
	v_mul_f32_e32 v8, v7, v5
	v_fma_f32 v9, -v3, v8, v7
	s_delay_alu instid0(VALU_DEP_1) | instskip(NEXT) | instid1(VALU_DEP_1)
	v_fmac_f32_e32 v8, v9, v5
	v_fma_f32 v3, -v3, v8, v7
	s_delay_alu instid0(VALU_DEP_1) | instskip(NEXT) | instid1(VALU_DEP_1)
	v_div_fmas_f32 v3, v3, v5, v8
	v_div_fixup_f32 v3, v3, v2, v4
	s_delay_alu instid0(VALU_DEP_1)
	v_cvt_f16_f32_e32 v3, v3
.LBB741_327:
	s_or_b32 exec_lo, exec_lo, s1
	global_store_b16 v[0:1], v3, off offset:64
	s_and_b32 exec_lo, exec_lo, s31
	s_cbranch_execz .LBB741_418
; %bb.328:
	v_mov_b32_e32 v3, 0x7e00
	s_and_saveexec_b32 s1, s0
	s_cbranch_execz .LBB741_330
; %bb.329:
	v_div_scale_f32 v3, null, v2, v2, v38
	s_delay_alu instid0(VALU_DEP_1) | instskip(SKIP_2) | instid1(VALU_DEP_1)
	v_rcp_f32_e32 v4, v3
	s_waitcnt_depctr 0xfff
	v_fma_f32 v5, -v3, v4, 1.0
	v_fmac_f32_e32 v4, v5, v4
	v_div_scale_f32 v5, vcc_lo, v38, v2, v38
	s_delay_alu instid0(VALU_DEP_1) | instskip(NEXT) | instid1(VALU_DEP_1)
	v_mul_f32_e32 v7, v5, v4
	v_fma_f32 v8, -v3, v7, v5
	s_delay_alu instid0(VALU_DEP_1) | instskip(NEXT) | instid1(VALU_DEP_1)
	v_fmac_f32_e32 v7, v8, v4
	v_fma_f32 v3, -v3, v7, v5
	s_delay_alu instid0(VALU_DEP_1) | instskip(NEXT) | instid1(VALU_DEP_1)
	v_div_fmas_f32 v3, v3, v4, v7
	v_div_fixup_f32 v3, v3, v2, v38
	s_delay_alu instid0(VALU_DEP_1)
	v_cvt_f16_f32_e32 v3, v3
.LBB741_330:
	s_or_b32 exec_lo, exec_lo, s1
	global_store_b16 v[0:1], v3, off offset:128
	;; [unrolled: 28-line block ×31, first 2 shown]
.LBB741_418:
	s_nop 0
	s_sendmsg sendmsg(MSG_DEALLOC_VGPRS)
	s_endpgm
	.section	.rodata,"a",@progbits
	.p2align	6, 0x0
	.amdhsa_kernel _ZN12_GLOBAL__N_120softmax_warp_forwardIN3c104HalfES2_fLi10ELb0ELb1ELi32EEEvPT0_PKT_iiiPKbib
		.amdhsa_group_segment_fixed_size 0
		.amdhsa_private_segment_fixed_size 0
		.amdhsa_kernarg_size 304
		.amdhsa_user_sgpr_count 15
		.amdhsa_user_sgpr_dispatch_ptr 0
		.amdhsa_user_sgpr_queue_ptr 0
		.amdhsa_user_sgpr_kernarg_segment_ptr 1
		.amdhsa_user_sgpr_dispatch_id 0
		.amdhsa_user_sgpr_private_segment_size 0
		.amdhsa_wavefront_size32 1
		.amdhsa_uses_dynamic_stack 0
		.amdhsa_enable_private_segment 0
		.amdhsa_system_sgpr_workgroup_id_x 1
		.amdhsa_system_sgpr_workgroup_id_y 0
		.amdhsa_system_sgpr_workgroup_id_z 0
		.amdhsa_system_sgpr_workgroup_info 0
		.amdhsa_system_vgpr_workitem_id 1
		.amdhsa_next_free_vgpr 48
		.amdhsa_next_free_sgpr 71
		.amdhsa_reserve_vcc 1
		.amdhsa_float_round_mode_32 0
		.amdhsa_float_round_mode_16_64 0
		.amdhsa_float_denorm_mode_32 3
		.amdhsa_float_denorm_mode_16_64 3
		.amdhsa_dx10_clamp 1
		.amdhsa_ieee_mode 1
		.amdhsa_fp16_overflow 0
		.amdhsa_workgroup_processor_mode 1
		.amdhsa_memory_ordered 1
		.amdhsa_forward_progress 0
		.amdhsa_shared_vgpr_count 0
		.amdhsa_exception_fp_ieee_invalid_op 0
		.amdhsa_exception_fp_denorm_src 0
		.amdhsa_exception_fp_ieee_div_zero 0
		.amdhsa_exception_fp_ieee_overflow 0
		.amdhsa_exception_fp_ieee_underflow 0
		.amdhsa_exception_fp_ieee_inexact 0
		.amdhsa_exception_int_div_zero 0
	.end_amdhsa_kernel
	.section	.text._ZN12_GLOBAL__N_120softmax_warp_forwardIN3c104HalfES2_fLi10ELb0ELb1ELi32EEEvPT0_PKT_iiiPKbib,"axG",@progbits,_ZN12_GLOBAL__N_120softmax_warp_forwardIN3c104HalfES2_fLi10ELb0ELb1ELi32EEEvPT0_PKT_iiiPKbib,comdat
.Lfunc_end741:
	.size	_ZN12_GLOBAL__N_120softmax_warp_forwardIN3c104HalfES2_fLi10ELb0ELb1ELi32EEEvPT0_PKT_iiiPKbib, .Lfunc_end741-_ZN12_GLOBAL__N_120softmax_warp_forwardIN3c104HalfES2_fLi10ELb0ELb1ELi32EEEvPT0_PKT_iiiPKbib
                                        ; -- End function
	.section	.AMDGPU.csdata,"",@progbits
; Kernel info:
; codeLenInByte = 17084
; NumSgprs: 73
; NumVgprs: 48
; ScratchSize: 0
; MemoryBound: 0
; FloatMode: 240
; IeeeMode: 1
; LDSByteSize: 0 bytes/workgroup (compile time only)
; SGPRBlocks: 9
; VGPRBlocks: 5
; NumSGPRsForWavesPerEU: 73
; NumVGPRsForWavesPerEU: 48
; Occupancy: 16
; WaveLimiterHint : 0
; COMPUTE_PGM_RSRC2:SCRATCH_EN: 0
; COMPUTE_PGM_RSRC2:USER_SGPR: 15
; COMPUTE_PGM_RSRC2:TRAP_HANDLER: 0
; COMPUTE_PGM_RSRC2:TGID_X_EN: 1
; COMPUTE_PGM_RSRC2:TGID_Y_EN: 0
; COMPUTE_PGM_RSRC2:TGID_Z_EN: 0
; COMPUTE_PGM_RSRC2:TIDIG_COMP_CNT: 1
	.section	.text._ZN12_GLOBAL__N_120softmax_warp_forwardIN3c104HalfES2_fLi11ELb0ELb1ELi64EEEvPT0_PKT_iiiPKbib,"axG",@progbits,_ZN12_GLOBAL__N_120softmax_warp_forwardIN3c104HalfES2_fLi11ELb0ELb1ELi64EEEvPT0_PKT_iiiPKbib,comdat
	.globl	_ZN12_GLOBAL__N_120softmax_warp_forwardIN3c104HalfES2_fLi11ELb0ELb1ELi64EEEvPT0_PKT_iiiPKbib ; -- Begin function _ZN12_GLOBAL__N_120softmax_warp_forwardIN3c104HalfES2_fLi11ELb0ELb1ELi64EEEvPT0_PKT_iiiPKbib
	.p2align	8
	.type	_ZN12_GLOBAL__N_120softmax_warp_forwardIN3c104HalfES2_fLi11ELb0ELb1ELi64EEEvPT0_PKT_iiiPKbib,@function
_ZN12_GLOBAL__N_120softmax_warp_forwardIN3c104HalfES2_fLi11ELb0ELb1ELi64EEEvPT0_PKT_iiiPKbib: ; @_ZN12_GLOBAL__N_120softmax_warp_forwardIN3c104HalfES2_fLi11ELb0ELb1ELi64EEEvPT0_PKT_iiiPKbib
; %bb.0:
	s_clause 0x1
	s_load_b32 s2, s[0:1], 0x3c
	s_load_b128 s[40:43], s[0:1], 0x10
	v_bfe_u32 v3, v0, 10, 10
	s_waitcnt lgkmcnt(0)
	s_lshr_b32 s2, s2, 16
	s_delay_alu instid0(VALU_DEP_1) | instid1(SALU_CYCLE_1)
	v_mad_u64_u32 v[1:2], null, s15, s2, v[3:4]
	s_load_b64 s[2:3], s[0:1], 0x28
	v_and_b32_e32 v2, 0x3ff, v0
	s_delay_alu instid0(VALU_DEP_2) | instskip(NEXT) | instid1(VALU_DEP_1)
	v_mul_lo_u32 v7, v1, s41
	v_add_nc_u32_e32 v5, v7, v2
	s_delay_alu instid0(VALU_DEP_1) | instskip(SKIP_3) | instid1(VALU_DEP_2)
	v_ashrrev_i32_e32 v6, 31, v5
	v_mov_b32_e32 v3, v5
	s_waitcnt lgkmcnt(0)
	s_bitcmp0_b32 s3, 0
	v_mov_b32_e32 v4, v6
	s_cbranch_scc1 .LBB742_2
; %bb.1:
	s_abs_i32 s3, s2
	v_sub_nc_u32_e32 v4, 0, v7
	v_cvt_f32_u32_e32 v0, s3
	s_sub_i32 s4, 0, s3
	s_delay_alu instid0(VALU_DEP_2) | instskip(NEXT) | instid1(VALU_DEP_2)
	v_max_i32_e32 v4, v7, v4
	v_rcp_iflag_f32_e32 v0, v0
	s_waitcnt_depctr 0xfff
	v_mul_f32_e32 v0, 0x4f7ffffe, v0
	s_delay_alu instid0(VALU_DEP_1) | instskip(NEXT) | instid1(VALU_DEP_1)
	v_cvt_u32_f32_e32 v0, v0
	v_mul_lo_u32 v3, s4, v0
	s_delay_alu instid0(VALU_DEP_1) | instskip(NEXT) | instid1(VALU_DEP_1)
	v_mul_hi_u32 v3, v0, v3
	v_add_nc_u32_e32 v0, v0, v3
	s_delay_alu instid0(VALU_DEP_1) | instskip(NEXT) | instid1(VALU_DEP_1)
	v_mul_hi_u32 v0, v4, v0
	v_mul_lo_u32 v3, v0, s3
	s_delay_alu instid0(VALU_DEP_1) | instskip(SKIP_1) | instid1(VALU_DEP_2)
	v_sub_nc_u32_e32 v3, v4, v3
	v_add_nc_u32_e32 v4, 1, v0
	v_subrev_nc_u32_e32 v8, s3, v3
	v_cmp_le_u32_e32 vcc_lo, s3, v3
	s_delay_alu instid0(VALU_DEP_2) | instskip(NEXT) | instid1(VALU_DEP_4)
	v_cndmask_b32_e32 v3, v3, v8, vcc_lo
	v_cndmask_b32_e32 v0, v0, v4, vcc_lo
	v_xor_b32_e32 v4, s2, v7
	s_delay_alu instid0(VALU_DEP_3) | instskip(NEXT) | instid1(VALU_DEP_3)
	v_cmp_le_u32_e32 vcc_lo, s3, v3
	v_add_nc_u32_e32 v7, 1, v0
	s_delay_alu instid0(VALU_DEP_3) | instskip(NEXT) | instid1(VALU_DEP_2)
	v_ashrrev_i32_e32 v4, 31, v4
	v_cndmask_b32_e32 v0, v0, v7, vcc_lo
	s_delay_alu instid0(VALU_DEP_1) | instskip(NEXT) | instid1(VALU_DEP_1)
	v_xor_b32_e32 v0, v0, v4
	v_sub_nc_u32_e32 v0, v0, v4
	s_delay_alu instid0(VALU_DEP_1) | instskip(NEXT) | instid1(VALU_DEP_1)
	v_mad_u64_u32 v[3:4], null, v0, s41, v[2:3]
	v_ashrrev_i32_e32 v4, 31, v3
.LBB742_2:
	s_load_b128 s[36:39], s[0:1], 0x0
	v_sub_nc_u32_e32 v7, s40, v1
	v_lshlrev_b64 v[0:1], 1, v[5:6]
	v_cmp_gt_i32_e32 vcc_lo, s42, v2
	v_dual_mov_b32 v38, 0xff800000 :: v_dual_mov_b32 v39, 0xff800000
	s_delay_alu instid0(VALU_DEP_4) | instskip(NEXT) | instid1(VALU_DEP_1)
	v_cmp_lt_i32_e64 s34, 0, v7
	s_and_b32 s68, s34, vcc_lo
	s_waitcnt lgkmcnt(0)
	v_add_co_u32 v5, s2, s38, v0
	s_delay_alu instid0(VALU_DEP_1)
	v_add_co_ci_u32_e64 v6, s2, s39, v1, s2
	s_and_saveexec_b32 s2, s68
	s_cbranch_execz .LBB742_4
; %bb.3:
	global_load_u16 v8, v[5:6], off
	s_waitcnt vmcnt(0)
	v_cvt_f32_f16_e32 v39, v8
.LBB742_4:
	s_or_b32 exec_lo, exec_lo, s2
	v_add_nc_u32_e32 v8, 64, v2
	s_delay_alu instid0(VALU_DEP_1) | instskip(NEXT) | instid1(VALU_DEP_1)
	v_cmp_gt_i32_e64 s33, s42, v8
	s_and_b32 s67, s34, s33
	s_delay_alu instid0(SALU_CYCLE_1)
	s_and_saveexec_b32 s2, s67
	s_cbranch_execz .LBB742_6
; %bb.5:
	global_load_u16 v8, v[5:6], off offset:128
	s_waitcnt vmcnt(0)
	v_cvt_f32_f16_e32 v38, v8
.LBB742_6:
	s_or_b32 exec_lo, exec_lo, s2
	v_add_nc_u32_e32 v8, 0x80, v2
	v_dual_mov_b32 v36, 0xff800000 :: v_dual_mov_b32 v37, 0xff800000
	s_delay_alu instid0(VALU_DEP_2) | instskip(NEXT) | instid1(VALU_DEP_1)
	v_cmp_gt_i32_e64 s31, s42, v8
	s_and_b32 s66, s34, s31
	s_delay_alu instid0(SALU_CYCLE_1)
	s_and_saveexec_b32 s2, s66
	s_cbranch_execz .LBB742_8
; %bb.7:
	global_load_u16 v8, v[5:6], off offset:256
	s_waitcnt vmcnt(0)
	v_cvt_f32_f16_e32 v37, v8
.LBB742_8:
	s_or_b32 exec_lo, exec_lo, s2
	v_add_nc_u32_e32 v8, 0xc0, v2
	s_delay_alu instid0(VALU_DEP_1) | instskip(NEXT) | instid1(VALU_DEP_1)
	v_cmp_gt_i32_e64 s30, s42, v8
	s_and_b32 s65, s34, s30
	s_delay_alu instid0(SALU_CYCLE_1)
	s_and_saveexec_b32 s2, s65
	s_cbranch_execz .LBB742_10
; %bb.9:
	global_load_u16 v8, v[5:6], off offset:384
	s_waitcnt vmcnt(0)
	v_cvt_f32_f16_e32 v36, v8
.LBB742_10:
	s_or_b32 exec_lo, exec_lo, s2
	v_add_nc_u32_e32 v8, 0x100, v2
	v_dual_mov_b32 v34, 0xff800000 :: v_dual_mov_b32 v35, 0xff800000
	s_delay_alu instid0(VALU_DEP_2) | instskip(NEXT) | instid1(VALU_DEP_1)
	v_cmp_gt_i32_e64 s29, s42, v8
	s_and_b32 s64, s34, s29
	s_delay_alu instid0(SALU_CYCLE_1)
	s_and_saveexec_b32 s2, s64
	s_cbranch_execz .LBB742_12
; %bb.11:
	global_load_u16 v8, v[5:6], off offset:512
	s_waitcnt vmcnt(0)
	v_cvt_f32_f16_e32 v35, v8
.LBB742_12:
	;; [unrolled: 27-line block ×7, first 2 shown]
	s_or_b32 exec_lo, exec_lo, s2
	v_add_nc_u32_e32 v8, 0x3c0, v2
	s_delay_alu instid0(VALU_DEP_1) | instskip(NEXT) | instid1(VALU_DEP_1)
	v_cmp_gt_i32_e64 s18, s42, v8
	s_and_b32 s53, s34, s18
	s_delay_alu instid0(SALU_CYCLE_1)
	s_and_saveexec_b32 s2, s53
	s_cbranch_execz .LBB742_34
; %bb.33:
	global_load_u16 v8, v[5:6], off offset:1920
	s_waitcnt vmcnt(0)
	v_cvt_f32_f16_e32 v24, v8
.LBB742_34:
	s_or_b32 exec_lo, exec_lo, s2
	v_or_b32_e32 v8, 0x400, v2
	v_dual_mov_b32 v22, 0xff800000 :: v_dual_mov_b32 v23, 0xff800000
	s_delay_alu instid0(VALU_DEP_2) | instskip(NEXT) | instid1(VALU_DEP_1)
	v_cmp_gt_i32_e64 s17, s42, v8
	s_and_b32 s52, s34, s17
	s_delay_alu instid0(SALU_CYCLE_1)
	s_and_saveexec_b32 s2, s52
	s_cbranch_execz .LBB742_36
; %bb.35:
	global_load_u16 v8, v[5:6], off offset:2048
	s_waitcnt vmcnt(0)
	v_cvt_f32_f16_e32 v23, v8
.LBB742_36:
	s_or_b32 exec_lo, exec_lo, s2
	v_add_nc_u32_e32 v8, 0x440, v2
	s_delay_alu instid0(VALU_DEP_1) | instskip(NEXT) | instid1(VALU_DEP_1)
	v_cmp_gt_i32_e64 s16, s42, v8
	s_and_b32 s51, s34, s16
	s_delay_alu instid0(SALU_CYCLE_1)
	s_and_saveexec_b32 s2, s51
	s_cbranch_execz .LBB742_38
; %bb.37:
	global_load_u16 v8, v[5:6], off offset:2176
	s_waitcnt vmcnt(0)
	v_cvt_f32_f16_e32 v22, v8
.LBB742_38:
	s_or_b32 exec_lo, exec_lo, s2
	v_add_nc_u32_e32 v8, 0x480, v2
	v_dual_mov_b32 v20, 0xff800000 :: v_dual_mov_b32 v21, 0xff800000
	s_delay_alu instid0(VALU_DEP_2) | instskip(NEXT) | instid1(VALU_DEP_1)
	v_cmp_gt_i32_e64 s15, s42, v8
	s_and_b32 s50, s34, s15
	s_delay_alu instid0(SALU_CYCLE_1)
	s_and_saveexec_b32 s2, s50
	s_cbranch_execz .LBB742_40
; %bb.39:
	global_load_u16 v8, v[5:6], off offset:2304
	s_waitcnt vmcnt(0)
	v_cvt_f32_f16_e32 v21, v8
.LBB742_40:
	s_or_b32 exec_lo, exec_lo, s2
	v_add_nc_u32_e32 v8, 0x4c0, v2
	s_delay_alu instid0(VALU_DEP_1) | instskip(NEXT) | instid1(VALU_DEP_1)
	v_cmp_gt_i32_e64 s14, s42, v8
	s_and_b32 s49, s34, s14
	s_delay_alu instid0(SALU_CYCLE_1)
	s_and_saveexec_b32 s2, s49
	s_cbranch_execz .LBB742_42
; %bb.41:
	global_load_u16 v8, v[5:6], off offset:2432
	s_waitcnt vmcnt(0)
	v_cvt_f32_f16_e32 v20, v8
.LBB742_42:
	s_or_b32 exec_lo, exec_lo, s2
	v_add_nc_u32_e32 v8, 0x500, v2
	;; [unrolled: 27-line block ×7, first 2 shown]
	v_mov_b32_e32 v9, 0xff800000
	s_delay_alu instid0(VALU_DEP_2) | instskip(SKIP_1) | instid1(VALU_DEP_2)
	v_cmp_gt_i32_e64 s3, s42, v8
	v_mov_b32_e32 v8, 0xff800000
	s_and_b32 s35, s34, s3
	s_delay_alu instid0(SALU_CYCLE_1)
	s_and_saveexec_b32 s2, s35
	s_cbranch_execz .LBB742_64
; %bb.63:
	global_load_u16 v9, v[5:6], off offset:3840
	s_waitcnt vmcnt(0)
	v_cvt_f32_f16_e32 v9, v9
.LBB742_64:
	s_or_b32 exec_lo, exec_lo, s2
	v_add_nc_u32_e32 v2, 0x7c0, v2
	s_delay_alu instid0(VALU_DEP_1) | instskip(NEXT) | instid1(VALU_DEP_1)
	v_cmp_gt_i32_e64 s2, s42, v2
	s_and_b32 s34, s34, s2
	s_delay_alu instid0(SALU_CYCLE_1)
	s_and_saveexec_b32 s42, s34
	s_cbranch_execz .LBB742_66
; %bb.65:
	global_load_u16 v2, v[5:6], off offset:3968
	s_waitcnt vmcnt(0)
	v_cvt_f32_f16_e32 v8, v2
.LBB742_66:
	s_or_b32 exec_lo, exec_lo, s42
	s_load_b64 s[0:1], s[0:1], 0x20
	s_waitcnt lgkmcnt(0)
	v_add_co_u32 v2, s0, s0, v3
	s_delay_alu instid0(VALU_DEP_1)
	v_add_co_ci_u32_e64 v3, s0, s1, v4, s0
	s_mov_b32 s1, 0
	s_and_saveexec_b32 s42, s68
	s_cbranch_execnz .LBB742_98
; %bb.67:
	s_or_b32 exec_lo, exec_lo, s42
	v_mov_b32_e32 v4, v39
	s_and_saveexec_b32 s42, s67
	s_cbranch_execnz .LBB742_99
.LBB742_68:
	s_or_b32 exec_lo, exec_lo, s42
	s_and_saveexec_b32 s42, s66
	s_cbranch_execnz .LBB742_102
.LBB742_69:
	s_or_b32 exec_lo, exec_lo, s42
	s_and_saveexec_b32 s42, s65
	s_cbranch_execnz .LBB742_105
.LBB742_70:
	s_or_b32 exec_lo, exec_lo, s42
	s_and_saveexec_b32 s42, s64
	s_cbranch_execnz .LBB742_108
.LBB742_71:
	s_or_b32 exec_lo, exec_lo, s42
	s_and_saveexec_b32 s42, s63
	s_cbranch_execnz .LBB742_111
.LBB742_72:
	s_or_b32 exec_lo, exec_lo, s42
	s_and_saveexec_b32 s42, s62
	s_cbranch_execnz .LBB742_114
.LBB742_73:
	s_or_b32 exec_lo, exec_lo, s42
	s_and_saveexec_b32 s42, s61
	s_cbranch_execnz .LBB742_117
.LBB742_74:
	s_or_b32 exec_lo, exec_lo, s42
	s_and_saveexec_b32 s42, s60
	s_cbranch_execnz .LBB742_120
.LBB742_75:
	s_or_b32 exec_lo, exec_lo, s42
	s_and_saveexec_b32 s42, s59
	s_cbranch_execnz .LBB742_123
.LBB742_76:
	s_or_b32 exec_lo, exec_lo, s42
	s_and_saveexec_b32 s42, s58
	s_cbranch_execnz .LBB742_126
.LBB742_77:
	s_or_b32 exec_lo, exec_lo, s42
	s_and_saveexec_b32 s42, s57
	s_cbranch_execnz .LBB742_129
.LBB742_78:
	s_or_b32 exec_lo, exec_lo, s42
	s_and_saveexec_b32 s42, s56
	s_cbranch_execnz .LBB742_132
.LBB742_79:
	s_or_b32 exec_lo, exec_lo, s42
	s_and_saveexec_b32 s42, s55
	s_cbranch_execnz .LBB742_135
.LBB742_80:
	s_or_b32 exec_lo, exec_lo, s42
	s_and_saveexec_b32 s42, s54
	s_cbranch_execnz .LBB742_138
.LBB742_81:
	s_or_b32 exec_lo, exec_lo, s42
	s_and_saveexec_b32 s42, s53
	s_cbranch_execnz .LBB742_141
.LBB742_82:
	s_or_b32 exec_lo, exec_lo, s42
	s_and_saveexec_b32 s42, s52
	s_cbranch_execnz .LBB742_144
.LBB742_83:
	s_or_b32 exec_lo, exec_lo, s42
	s_and_saveexec_b32 s42, s51
	s_cbranch_execnz .LBB742_147
.LBB742_84:
	s_or_b32 exec_lo, exec_lo, s42
	s_and_saveexec_b32 s42, s50
	s_cbranch_execnz .LBB742_150
.LBB742_85:
	s_or_b32 exec_lo, exec_lo, s42
	s_and_saveexec_b32 s42, s49
	s_cbranch_execnz .LBB742_153
.LBB742_86:
	s_or_b32 exec_lo, exec_lo, s42
	s_and_saveexec_b32 s42, s48
	s_cbranch_execnz .LBB742_156
.LBB742_87:
	s_or_b32 exec_lo, exec_lo, s42
	s_and_saveexec_b32 s42, s47
	s_cbranch_execnz .LBB742_159
.LBB742_88:
	s_or_b32 exec_lo, exec_lo, s42
	s_and_saveexec_b32 s42, s46
	s_cbranch_execnz .LBB742_162
.LBB742_89:
	s_or_b32 exec_lo, exec_lo, s42
	s_and_saveexec_b32 s42, s45
	s_cbranch_execnz .LBB742_165
.LBB742_90:
	s_or_b32 exec_lo, exec_lo, s42
	s_and_saveexec_b32 s42, s44
	s_cbranch_execnz .LBB742_168
.LBB742_91:
	s_or_b32 exec_lo, exec_lo, s42
	s_and_saveexec_b32 s42, s43
	s_cbranch_execnz .LBB742_171
.LBB742_92:
	s_or_b32 exec_lo, exec_lo, s42
	s_and_saveexec_b32 s42, s41
	s_cbranch_execnz .LBB742_174
.LBB742_93:
	s_or_b32 exec_lo, exec_lo, s42
	s_and_saveexec_b32 s42, s40
	s_cbranch_execnz .LBB742_177
.LBB742_94:
	s_or_b32 exec_lo, exec_lo, s42
	s_and_saveexec_b32 s42, s39
	s_cbranch_execnz .LBB742_180
.LBB742_95:
	s_or_b32 exec_lo, exec_lo, s42
	s_and_saveexec_b32 s42, s38
	s_cbranch_execnz .LBB742_183
.LBB742_96:
	s_or_b32 exec_lo, exec_lo, s42
	s_and_saveexec_b32 s42, s35
	s_cbranch_execnz .LBB742_186
.LBB742_97:
	s_or_b32 exec_lo, exec_lo, s42
	s_and_saveexec_b32 s42, s34
	s_cbranch_execnz .LBB742_189
	s_branch .LBB742_192
.LBB742_98:
	global_load_u8 v4, v[2:3], off
	s_waitcnt vmcnt(0)
	v_and_b32_e32 v4, 1, v4
	s_delay_alu instid0(VALU_DEP_1) | instskip(NEXT) | instid1(VALU_DEP_1)
	v_cmp_eq_u32_e64 s0, 1, v4
	s_xor_b32 s0, s0, -1
	s_delay_alu instid0(SALU_CYCLE_1)
	s_and_b32 s1, s0, exec_lo
	s_or_b32 exec_lo, exec_lo, s42
	v_mov_b32_e32 v4, v39
	s_and_saveexec_b32 s42, s67
	s_cbranch_execz .LBB742_68
.LBB742_99:
	global_load_u8 v4, v[2:3], off offset:64
	s_waitcnt vmcnt(0)
	v_and_b32_e32 v4, 1, v4
	s_delay_alu instid0(VALU_DEP_1) | instskip(SKIP_1) | instid1(VALU_DEP_2)
	v_cmp_eq_u32_e64 s0, 1, v4
	v_mov_b32_e32 v4, v39
	s_xor_b32 s70, s0, -1
	s_mov_b32 s0, s1
	s_and_saveexec_b32 s69, s70
; %bb.100:
	v_cmp_gt_f32_e64 s0, v39, v38
	s_delay_alu instid0(VALU_DEP_1) | instskip(NEXT) | instid1(SALU_CYCLE_1)
	s_and_b32 s0, s1, s0
	v_cndmask_b32_e64 v4, v38, v39, s0
	s_or_b32 s0, s1, exec_lo
; %bb.101:
	s_or_b32 exec_lo, exec_lo, s69
	s_delay_alu instid0(SALU_CYCLE_1) | instskip(SKIP_1) | instid1(SALU_CYCLE_1)
	s_and_not1_b32 s1, s1, exec_lo
	s_and_b32 s0, s0, exec_lo
	s_or_b32 s1, s1, s0
	s_or_b32 exec_lo, exec_lo, s42
	s_and_saveexec_b32 s42, s66
	s_cbranch_execz .LBB742_69
.LBB742_102:
	global_load_u8 v5, v[2:3], off offset:128
	s_waitcnt vmcnt(0)
	v_and_b32_e32 v5, 1, v5
	s_delay_alu instid0(VALU_DEP_1) | instskip(NEXT) | instid1(VALU_DEP_1)
	v_cmp_eq_u32_e64 s0, 1, v5
	s_xor_b32 s70, s0, -1
	s_mov_b32 s0, s1
	s_and_saveexec_b32 s69, s70
; %bb.103:
	v_cmp_gt_f32_e64 s0, v4, v37
	s_delay_alu instid0(VALU_DEP_1) | instskip(NEXT) | instid1(SALU_CYCLE_1)
	s_and_b32 s0, s1, s0
	v_cndmask_b32_e64 v4, v37, v4, s0
	s_or_b32 s0, s1, exec_lo
; %bb.104:
	s_or_b32 exec_lo, exec_lo, s69
	s_delay_alu instid0(SALU_CYCLE_1) | instskip(SKIP_1) | instid1(SALU_CYCLE_1)
	s_and_not1_b32 s1, s1, exec_lo
	s_and_b32 s0, s0, exec_lo
	s_or_b32 s1, s1, s0
	s_or_b32 exec_lo, exec_lo, s42
	s_and_saveexec_b32 s42, s65
	s_cbranch_execz .LBB742_70
.LBB742_105:
	global_load_u8 v5, v[2:3], off offset:192
	s_waitcnt vmcnt(0)
	v_and_b32_e32 v5, 1, v5
	s_delay_alu instid0(VALU_DEP_1) | instskip(NEXT) | instid1(VALU_DEP_1)
	v_cmp_eq_u32_e64 s0, 1, v5
	s_xor_b32 s70, s0, -1
	s_mov_b32 s0, s1
	s_and_saveexec_b32 s69, s70
; %bb.106:
	v_cmp_gt_f32_e64 s0, v4, v36
	s_delay_alu instid0(VALU_DEP_1) | instskip(NEXT) | instid1(SALU_CYCLE_1)
	s_and_b32 s0, s1, s0
	v_cndmask_b32_e64 v4, v36, v4, s0
	s_or_b32 s0, s1, exec_lo
; %bb.107:
	s_or_b32 exec_lo, exec_lo, s69
	s_delay_alu instid0(SALU_CYCLE_1) | instskip(SKIP_1) | instid1(SALU_CYCLE_1)
	s_and_not1_b32 s1, s1, exec_lo
	s_and_b32 s0, s0, exec_lo
	s_or_b32 s1, s1, s0
	s_or_b32 exec_lo, exec_lo, s42
	s_and_saveexec_b32 s42, s64
	s_cbranch_execz .LBB742_71
.LBB742_108:
	global_load_u8 v5, v[2:3], off offset:256
	s_waitcnt vmcnt(0)
	v_and_b32_e32 v5, 1, v5
	s_delay_alu instid0(VALU_DEP_1) | instskip(NEXT) | instid1(VALU_DEP_1)
	v_cmp_eq_u32_e64 s0, 1, v5
	s_xor_b32 s70, s0, -1
	s_mov_b32 s0, s1
	s_and_saveexec_b32 s69, s70
; %bb.109:
	v_cmp_gt_f32_e64 s0, v4, v35
	s_delay_alu instid0(VALU_DEP_1) | instskip(NEXT) | instid1(SALU_CYCLE_1)
	s_and_b32 s0, s1, s0
	v_cndmask_b32_e64 v4, v35, v4, s0
	s_or_b32 s0, s1, exec_lo
; %bb.110:
	s_or_b32 exec_lo, exec_lo, s69
	s_delay_alu instid0(SALU_CYCLE_1) | instskip(SKIP_1) | instid1(SALU_CYCLE_1)
	s_and_not1_b32 s1, s1, exec_lo
	s_and_b32 s0, s0, exec_lo
	s_or_b32 s1, s1, s0
	s_or_b32 exec_lo, exec_lo, s42
	s_and_saveexec_b32 s42, s63
	s_cbranch_execz .LBB742_72
.LBB742_111:
	global_load_u8 v5, v[2:3], off offset:320
	s_waitcnt vmcnt(0)
	v_and_b32_e32 v5, 1, v5
	s_delay_alu instid0(VALU_DEP_1) | instskip(NEXT) | instid1(VALU_DEP_1)
	v_cmp_eq_u32_e64 s0, 1, v5
	s_xor_b32 s70, s0, -1
	s_mov_b32 s0, s1
	s_and_saveexec_b32 s69, s70
; %bb.112:
	v_cmp_gt_f32_e64 s0, v4, v34
	s_delay_alu instid0(VALU_DEP_1) | instskip(NEXT) | instid1(SALU_CYCLE_1)
	s_and_b32 s0, s1, s0
	v_cndmask_b32_e64 v4, v34, v4, s0
	s_or_b32 s0, s1, exec_lo
; %bb.113:
	s_or_b32 exec_lo, exec_lo, s69
	s_delay_alu instid0(SALU_CYCLE_1) | instskip(SKIP_1) | instid1(SALU_CYCLE_1)
	s_and_not1_b32 s1, s1, exec_lo
	s_and_b32 s0, s0, exec_lo
	s_or_b32 s1, s1, s0
	s_or_b32 exec_lo, exec_lo, s42
	s_and_saveexec_b32 s42, s62
	s_cbranch_execz .LBB742_73
.LBB742_114:
	global_load_u8 v5, v[2:3], off offset:384
	s_waitcnt vmcnt(0)
	v_and_b32_e32 v5, 1, v5
	s_delay_alu instid0(VALU_DEP_1) | instskip(NEXT) | instid1(VALU_DEP_1)
	v_cmp_eq_u32_e64 s0, 1, v5
	s_xor_b32 s70, s0, -1
	s_mov_b32 s0, s1
	s_and_saveexec_b32 s69, s70
; %bb.115:
	v_cmp_gt_f32_e64 s0, v4, v33
	s_delay_alu instid0(VALU_DEP_1) | instskip(NEXT) | instid1(SALU_CYCLE_1)
	s_and_b32 s0, s1, s0
	v_cndmask_b32_e64 v4, v33, v4, s0
	s_or_b32 s0, s1, exec_lo
; %bb.116:
	s_or_b32 exec_lo, exec_lo, s69
	s_delay_alu instid0(SALU_CYCLE_1) | instskip(SKIP_1) | instid1(SALU_CYCLE_1)
	s_and_not1_b32 s1, s1, exec_lo
	s_and_b32 s0, s0, exec_lo
	s_or_b32 s1, s1, s0
	s_or_b32 exec_lo, exec_lo, s42
	s_and_saveexec_b32 s42, s61
	s_cbranch_execz .LBB742_74
.LBB742_117:
	global_load_u8 v5, v[2:3], off offset:448
	s_waitcnt vmcnt(0)
	v_and_b32_e32 v5, 1, v5
	s_delay_alu instid0(VALU_DEP_1) | instskip(NEXT) | instid1(VALU_DEP_1)
	v_cmp_eq_u32_e64 s0, 1, v5
	s_xor_b32 s70, s0, -1
	s_mov_b32 s0, s1
	s_and_saveexec_b32 s69, s70
; %bb.118:
	v_cmp_gt_f32_e64 s0, v4, v32
	s_delay_alu instid0(VALU_DEP_1) | instskip(NEXT) | instid1(SALU_CYCLE_1)
	s_and_b32 s0, s1, s0
	v_cndmask_b32_e64 v4, v32, v4, s0
	s_or_b32 s0, s1, exec_lo
; %bb.119:
	s_or_b32 exec_lo, exec_lo, s69
	s_delay_alu instid0(SALU_CYCLE_1) | instskip(SKIP_1) | instid1(SALU_CYCLE_1)
	s_and_not1_b32 s1, s1, exec_lo
	s_and_b32 s0, s0, exec_lo
	s_or_b32 s1, s1, s0
	s_or_b32 exec_lo, exec_lo, s42
	s_and_saveexec_b32 s42, s60
	s_cbranch_execz .LBB742_75
.LBB742_120:
	global_load_u8 v5, v[2:3], off offset:512
	s_waitcnt vmcnt(0)
	v_and_b32_e32 v5, 1, v5
	s_delay_alu instid0(VALU_DEP_1) | instskip(NEXT) | instid1(VALU_DEP_1)
	v_cmp_eq_u32_e64 s0, 1, v5
	s_xor_b32 s70, s0, -1
	s_mov_b32 s0, s1
	s_and_saveexec_b32 s69, s70
; %bb.121:
	v_cmp_gt_f32_e64 s0, v4, v31
	s_delay_alu instid0(VALU_DEP_1) | instskip(NEXT) | instid1(SALU_CYCLE_1)
	s_and_b32 s0, s1, s0
	v_cndmask_b32_e64 v4, v31, v4, s0
	s_or_b32 s0, s1, exec_lo
; %bb.122:
	s_or_b32 exec_lo, exec_lo, s69
	s_delay_alu instid0(SALU_CYCLE_1) | instskip(SKIP_1) | instid1(SALU_CYCLE_1)
	s_and_not1_b32 s1, s1, exec_lo
	s_and_b32 s0, s0, exec_lo
	s_or_b32 s1, s1, s0
	s_or_b32 exec_lo, exec_lo, s42
	s_and_saveexec_b32 s42, s59
	s_cbranch_execz .LBB742_76
.LBB742_123:
	global_load_u8 v5, v[2:3], off offset:576
	s_waitcnt vmcnt(0)
	v_and_b32_e32 v5, 1, v5
	s_delay_alu instid0(VALU_DEP_1) | instskip(NEXT) | instid1(VALU_DEP_1)
	v_cmp_eq_u32_e64 s0, 1, v5
	s_xor_b32 s70, s0, -1
	s_mov_b32 s0, s1
	s_and_saveexec_b32 s69, s70
; %bb.124:
	v_cmp_gt_f32_e64 s0, v4, v30
	s_delay_alu instid0(VALU_DEP_1) | instskip(NEXT) | instid1(SALU_CYCLE_1)
	s_and_b32 s0, s1, s0
	v_cndmask_b32_e64 v4, v30, v4, s0
	s_or_b32 s0, s1, exec_lo
; %bb.125:
	s_or_b32 exec_lo, exec_lo, s69
	s_delay_alu instid0(SALU_CYCLE_1) | instskip(SKIP_1) | instid1(SALU_CYCLE_1)
	s_and_not1_b32 s1, s1, exec_lo
	s_and_b32 s0, s0, exec_lo
	s_or_b32 s1, s1, s0
	s_or_b32 exec_lo, exec_lo, s42
	s_and_saveexec_b32 s42, s58
	s_cbranch_execz .LBB742_77
.LBB742_126:
	global_load_u8 v5, v[2:3], off offset:640
	s_waitcnt vmcnt(0)
	v_and_b32_e32 v5, 1, v5
	s_delay_alu instid0(VALU_DEP_1) | instskip(NEXT) | instid1(VALU_DEP_1)
	v_cmp_eq_u32_e64 s0, 1, v5
	s_xor_b32 s70, s0, -1
	s_mov_b32 s0, s1
	s_and_saveexec_b32 s69, s70
; %bb.127:
	v_cmp_gt_f32_e64 s0, v4, v29
	s_delay_alu instid0(VALU_DEP_1) | instskip(NEXT) | instid1(SALU_CYCLE_1)
	s_and_b32 s0, s1, s0
	v_cndmask_b32_e64 v4, v29, v4, s0
	s_or_b32 s0, s1, exec_lo
; %bb.128:
	s_or_b32 exec_lo, exec_lo, s69
	s_delay_alu instid0(SALU_CYCLE_1) | instskip(SKIP_1) | instid1(SALU_CYCLE_1)
	s_and_not1_b32 s1, s1, exec_lo
	s_and_b32 s0, s0, exec_lo
	s_or_b32 s1, s1, s0
	s_or_b32 exec_lo, exec_lo, s42
	s_and_saveexec_b32 s42, s57
	s_cbranch_execz .LBB742_78
.LBB742_129:
	global_load_u8 v5, v[2:3], off offset:704
	s_waitcnt vmcnt(0)
	v_and_b32_e32 v5, 1, v5
	s_delay_alu instid0(VALU_DEP_1) | instskip(NEXT) | instid1(VALU_DEP_1)
	v_cmp_eq_u32_e64 s0, 1, v5
	s_xor_b32 s70, s0, -1
	s_mov_b32 s0, s1
	s_and_saveexec_b32 s69, s70
; %bb.130:
	v_cmp_gt_f32_e64 s0, v4, v28
	s_delay_alu instid0(VALU_DEP_1) | instskip(NEXT) | instid1(SALU_CYCLE_1)
	s_and_b32 s0, s1, s0
	v_cndmask_b32_e64 v4, v28, v4, s0
	s_or_b32 s0, s1, exec_lo
; %bb.131:
	s_or_b32 exec_lo, exec_lo, s69
	s_delay_alu instid0(SALU_CYCLE_1) | instskip(SKIP_1) | instid1(SALU_CYCLE_1)
	s_and_not1_b32 s1, s1, exec_lo
	s_and_b32 s0, s0, exec_lo
	s_or_b32 s1, s1, s0
	s_or_b32 exec_lo, exec_lo, s42
	s_and_saveexec_b32 s42, s56
	s_cbranch_execz .LBB742_79
.LBB742_132:
	global_load_u8 v5, v[2:3], off offset:768
	s_waitcnt vmcnt(0)
	v_and_b32_e32 v5, 1, v5
	s_delay_alu instid0(VALU_DEP_1) | instskip(NEXT) | instid1(VALU_DEP_1)
	v_cmp_eq_u32_e64 s0, 1, v5
	s_xor_b32 s70, s0, -1
	s_mov_b32 s0, s1
	s_and_saveexec_b32 s69, s70
; %bb.133:
	v_cmp_gt_f32_e64 s0, v4, v27
	s_delay_alu instid0(VALU_DEP_1) | instskip(NEXT) | instid1(SALU_CYCLE_1)
	s_and_b32 s0, s1, s0
	v_cndmask_b32_e64 v4, v27, v4, s0
	s_or_b32 s0, s1, exec_lo
; %bb.134:
	s_or_b32 exec_lo, exec_lo, s69
	s_delay_alu instid0(SALU_CYCLE_1) | instskip(SKIP_1) | instid1(SALU_CYCLE_1)
	s_and_not1_b32 s1, s1, exec_lo
	s_and_b32 s0, s0, exec_lo
	s_or_b32 s1, s1, s0
	s_or_b32 exec_lo, exec_lo, s42
	s_and_saveexec_b32 s42, s55
	s_cbranch_execz .LBB742_80
.LBB742_135:
	global_load_u8 v5, v[2:3], off offset:832
	s_waitcnt vmcnt(0)
	v_and_b32_e32 v5, 1, v5
	s_delay_alu instid0(VALU_DEP_1) | instskip(NEXT) | instid1(VALU_DEP_1)
	v_cmp_eq_u32_e64 s0, 1, v5
	s_xor_b32 s70, s0, -1
	s_mov_b32 s0, s1
	s_and_saveexec_b32 s69, s70
; %bb.136:
	v_cmp_gt_f32_e64 s0, v4, v26
	s_delay_alu instid0(VALU_DEP_1) | instskip(NEXT) | instid1(SALU_CYCLE_1)
	s_and_b32 s0, s1, s0
	v_cndmask_b32_e64 v4, v26, v4, s0
	s_or_b32 s0, s1, exec_lo
; %bb.137:
	s_or_b32 exec_lo, exec_lo, s69
	s_delay_alu instid0(SALU_CYCLE_1) | instskip(SKIP_1) | instid1(SALU_CYCLE_1)
	s_and_not1_b32 s1, s1, exec_lo
	s_and_b32 s0, s0, exec_lo
	s_or_b32 s1, s1, s0
	s_or_b32 exec_lo, exec_lo, s42
	s_and_saveexec_b32 s42, s54
	s_cbranch_execz .LBB742_81
.LBB742_138:
	global_load_u8 v5, v[2:3], off offset:896
	s_waitcnt vmcnt(0)
	v_and_b32_e32 v5, 1, v5
	s_delay_alu instid0(VALU_DEP_1) | instskip(NEXT) | instid1(VALU_DEP_1)
	v_cmp_eq_u32_e64 s0, 1, v5
	s_xor_b32 s70, s0, -1
	s_mov_b32 s0, s1
	s_and_saveexec_b32 s69, s70
; %bb.139:
	v_cmp_gt_f32_e64 s0, v4, v25
	s_delay_alu instid0(VALU_DEP_1) | instskip(NEXT) | instid1(SALU_CYCLE_1)
	s_and_b32 s0, s1, s0
	v_cndmask_b32_e64 v4, v25, v4, s0
	s_or_b32 s0, s1, exec_lo
; %bb.140:
	s_or_b32 exec_lo, exec_lo, s69
	s_delay_alu instid0(SALU_CYCLE_1) | instskip(SKIP_1) | instid1(SALU_CYCLE_1)
	s_and_not1_b32 s1, s1, exec_lo
	s_and_b32 s0, s0, exec_lo
	s_or_b32 s1, s1, s0
	s_or_b32 exec_lo, exec_lo, s42
	s_and_saveexec_b32 s42, s53
	s_cbranch_execz .LBB742_82
.LBB742_141:
	global_load_u8 v5, v[2:3], off offset:960
	s_waitcnt vmcnt(0)
	v_and_b32_e32 v5, 1, v5
	s_delay_alu instid0(VALU_DEP_1) | instskip(NEXT) | instid1(VALU_DEP_1)
	v_cmp_eq_u32_e64 s0, 1, v5
	s_xor_b32 s70, s0, -1
	s_mov_b32 s0, s1
	s_and_saveexec_b32 s69, s70
; %bb.142:
	v_cmp_gt_f32_e64 s0, v4, v24
	s_delay_alu instid0(VALU_DEP_1) | instskip(NEXT) | instid1(SALU_CYCLE_1)
	s_and_b32 s0, s1, s0
	v_cndmask_b32_e64 v4, v24, v4, s0
	s_or_b32 s0, s1, exec_lo
; %bb.143:
	s_or_b32 exec_lo, exec_lo, s69
	s_delay_alu instid0(SALU_CYCLE_1) | instskip(SKIP_1) | instid1(SALU_CYCLE_1)
	s_and_not1_b32 s1, s1, exec_lo
	s_and_b32 s0, s0, exec_lo
	s_or_b32 s1, s1, s0
	s_or_b32 exec_lo, exec_lo, s42
	s_and_saveexec_b32 s42, s52
	s_cbranch_execz .LBB742_83
.LBB742_144:
	global_load_u8 v5, v[2:3], off offset:1024
	s_waitcnt vmcnt(0)
	v_and_b32_e32 v5, 1, v5
	s_delay_alu instid0(VALU_DEP_1) | instskip(NEXT) | instid1(VALU_DEP_1)
	v_cmp_eq_u32_e64 s0, 1, v5
	s_xor_b32 s70, s0, -1
	s_mov_b32 s0, s1
	s_and_saveexec_b32 s69, s70
; %bb.145:
	v_cmp_gt_f32_e64 s0, v4, v23
	s_delay_alu instid0(VALU_DEP_1) | instskip(NEXT) | instid1(SALU_CYCLE_1)
	s_and_b32 s0, s1, s0
	v_cndmask_b32_e64 v4, v23, v4, s0
	s_or_b32 s0, s1, exec_lo
; %bb.146:
	s_or_b32 exec_lo, exec_lo, s69
	s_delay_alu instid0(SALU_CYCLE_1) | instskip(SKIP_1) | instid1(SALU_CYCLE_1)
	s_and_not1_b32 s1, s1, exec_lo
	s_and_b32 s0, s0, exec_lo
	s_or_b32 s1, s1, s0
	s_or_b32 exec_lo, exec_lo, s42
	s_and_saveexec_b32 s42, s51
	s_cbranch_execz .LBB742_84
.LBB742_147:
	global_load_u8 v5, v[2:3], off offset:1088
	s_waitcnt vmcnt(0)
	v_and_b32_e32 v5, 1, v5
	s_delay_alu instid0(VALU_DEP_1) | instskip(NEXT) | instid1(VALU_DEP_1)
	v_cmp_eq_u32_e64 s0, 1, v5
	s_xor_b32 s70, s0, -1
	s_mov_b32 s0, s1
	s_and_saveexec_b32 s69, s70
; %bb.148:
	v_cmp_gt_f32_e64 s0, v4, v22
	s_delay_alu instid0(VALU_DEP_1) | instskip(NEXT) | instid1(SALU_CYCLE_1)
	s_and_b32 s0, s1, s0
	v_cndmask_b32_e64 v4, v22, v4, s0
	s_or_b32 s0, s1, exec_lo
; %bb.149:
	s_or_b32 exec_lo, exec_lo, s69
	s_delay_alu instid0(SALU_CYCLE_1) | instskip(SKIP_1) | instid1(SALU_CYCLE_1)
	s_and_not1_b32 s1, s1, exec_lo
	s_and_b32 s0, s0, exec_lo
	s_or_b32 s1, s1, s0
	s_or_b32 exec_lo, exec_lo, s42
	s_and_saveexec_b32 s42, s50
	s_cbranch_execz .LBB742_85
.LBB742_150:
	global_load_u8 v5, v[2:3], off offset:1152
	s_waitcnt vmcnt(0)
	v_and_b32_e32 v5, 1, v5
	s_delay_alu instid0(VALU_DEP_1) | instskip(NEXT) | instid1(VALU_DEP_1)
	v_cmp_eq_u32_e64 s0, 1, v5
	s_xor_b32 s70, s0, -1
	s_mov_b32 s0, s1
	s_and_saveexec_b32 s69, s70
; %bb.151:
	v_cmp_gt_f32_e64 s0, v4, v21
	s_delay_alu instid0(VALU_DEP_1) | instskip(NEXT) | instid1(SALU_CYCLE_1)
	s_and_b32 s0, s1, s0
	v_cndmask_b32_e64 v4, v21, v4, s0
	s_or_b32 s0, s1, exec_lo
; %bb.152:
	s_or_b32 exec_lo, exec_lo, s69
	s_delay_alu instid0(SALU_CYCLE_1) | instskip(SKIP_1) | instid1(SALU_CYCLE_1)
	s_and_not1_b32 s1, s1, exec_lo
	s_and_b32 s0, s0, exec_lo
	s_or_b32 s1, s1, s0
	s_or_b32 exec_lo, exec_lo, s42
	s_and_saveexec_b32 s42, s49
	s_cbranch_execz .LBB742_86
.LBB742_153:
	global_load_u8 v5, v[2:3], off offset:1216
	s_waitcnt vmcnt(0)
	v_and_b32_e32 v5, 1, v5
	s_delay_alu instid0(VALU_DEP_1) | instskip(NEXT) | instid1(VALU_DEP_1)
	v_cmp_eq_u32_e64 s0, 1, v5
	s_xor_b32 s70, s0, -1
	s_mov_b32 s0, s1
	s_and_saveexec_b32 s69, s70
; %bb.154:
	v_cmp_gt_f32_e64 s0, v4, v20
	s_delay_alu instid0(VALU_DEP_1) | instskip(NEXT) | instid1(SALU_CYCLE_1)
	s_and_b32 s0, s1, s0
	v_cndmask_b32_e64 v4, v20, v4, s0
	s_or_b32 s0, s1, exec_lo
; %bb.155:
	s_or_b32 exec_lo, exec_lo, s69
	s_delay_alu instid0(SALU_CYCLE_1) | instskip(SKIP_1) | instid1(SALU_CYCLE_1)
	s_and_not1_b32 s1, s1, exec_lo
	s_and_b32 s0, s0, exec_lo
	s_or_b32 s1, s1, s0
	s_or_b32 exec_lo, exec_lo, s42
	s_and_saveexec_b32 s42, s48
	s_cbranch_execz .LBB742_87
.LBB742_156:
	global_load_u8 v5, v[2:3], off offset:1280
	s_waitcnt vmcnt(0)
	v_and_b32_e32 v5, 1, v5
	s_delay_alu instid0(VALU_DEP_1) | instskip(NEXT) | instid1(VALU_DEP_1)
	v_cmp_eq_u32_e64 s0, 1, v5
	s_xor_b32 s70, s0, -1
	s_mov_b32 s0, s1
	s_and_saveexec_b32 s69, s70
; %bb.157:
	v_cmp_gt_f32_e64 s0, v4, v19
	s_delay_alu instid0(VALU_DEP_1) | instskip(NEXT) | instid1(SALU_CYCLE_1)
	s_and_b32 s0, s1, s0
	v_cndmask_b32_e64 v4, v19, v4, s0
	s_or_b32 s0, s1, exec_lo
; %bb.158:
	s_or_b32 exec_lo, exec_lo, s69
	s_delay_alu instid0(SALU_CYCLE_1) | instskip(SKIP_1) | instid1(SALU_CYCLE_1)
	s_and_not1_b32 s1, s1, exec_lo
	s_and_b32 s0, s0, exec_lo
	s_or_b32 s1, s1, s0
	s_or_b32 exec_lo, exec_lo, s42
	s_and_saveexec_b32 s42, s47
	s_cbranch_execz .LBB742_88
.LBB742_159:
	global_load_u8 v5, v[2:3], off offset:1344
	s_waitcnt vmcnt(0)
	v_and_b32_e32 v5, 1, v5
	s_delay_alu instid0(VALU_DEP_1) | instskip(NEXT) | instid1(VALU_DEP_1)
	v_cmp_eq_u32_e64 s0, 1, v5
	s_xor_b32 s70, s0, -1
	s_mov_b32 s0, s1
	s_and_saveexec_b32 s69, s70
; %bb.160:
	v_cmp_gt_f32_e64 s0, v4, v18
	s_delay_alu instid0(VALU_DEP_1) | instskip(NEXT) | instid1(SALU_CYCLE_1)
	s_and_b32 s0, s1, s0
	v_cndmask_b32_e64 v4, v18, v4, s0
	s_or_b32 s0, s1, exec_lo
; %bb.161:
	s_or_b32 exec_lo, exec_lo, s69
	s_delay_alu instid0(SALU_CYCLE_1) | instskip(SKIP_1) | instid1(SALU_CYCLE_1)
	s_and_not1_b32 s1, s1, exec_lo
	s_and_b32 s0, s0, exec_lo
	s_or_b32 s1, s1, s0
	s_or_b32 exec_lo, exec_lo, s42
	s_and_saveexec_b32 s42, s46
	s_cbranch_execz .LBB742_89
.LBB742_162:
	global_load_u8 v5, v[2:3], off offset:1408
	s_waitcnt vmcnt(0)
	v_and_b32_e32 v5, 1, v5
	s_delay_alu instid0(VALU_DEP_1) | instskip(NEXT) | instid1(VALU_DEP_1)
	v_cmp_eq_u32_e64 s0, 1, v5
	s_xor_b32 s70, s0, -1
	s_mov_b32 s0, s1
	s_and_saveexec_b32 s69, s70
; %bb.163:
	v_cmp_gt_f32_e64 s0, v4, v17
	s_delay_alu instid0(VALU_DEP_1) | instskip(NEXT) | instid1(SALU_CYCLE_1)
	s_and_b32 s0, s1, s0
	v_cndmask_b32_e64 v4, v17, v4, s0
	s_or_b32 s0, s1, exec_lo
; %bb.164:
	s_or_b32 exec_lo, exec_lo, s69
	s_delay_alu instid0(SALU_CYCLE_1) | instskip(SKIP_1) | instid1(SALU_CYCLE_1)
	s_and_not1_b32 s1, s1, exec_lo
	s_and_b32 s0, s0, exec_lo
	s_or_b32 s1, s1, s0
	s_or_b32 exec_lo, exec_lo, s42
	s_and_saveexec_b32 s42, s45
	s_cbranch_execz .LBB742_90
.LBB742_165:
	global_load_u8 v5, v[2:3], off offset:1472
	s_waitcnt vmcnt(0)
	v_and_b32_e32 v5, 1, v5
	s_delay_alu instid0(VALU_DEP_1) | instskip(NEXT) | instid1(VALU_DEP_1)
	v_cmp_eq_u32_e64 s0, 1, v5
	s_xor_b32 s70, s0, -1
	s_mov_b32 s0, s1
	s_and_saveexec_b32 s69, s70
; %bb.166:
	v_cmp_gt_f32_e64 s0, v4, v16
	s_delay_alu instid0(VALU_DEP_1) | instskip(NEXT) | instid1(SALU_CYCLE_1)
	s_and_b32 s0, s1, s0
	v_cndmask_b32_e64 v4, v16, v4, s0
	s_or_b32 s0, s1, exec_lo
; %bb.167:
	s_or_b32 exec_lo, exec_lo, s69
	s_delay_alu instid0(SALU_CYCLE_1) | instskip(SKIP_1) | instid1(SALU_CYCLE_1)
	s_and_not1_b32 s1, s1, exec_lo
	s_and_b32 s0, s0, exec_lo
	s_or_b32 s1, s1, s0
	s_or_b32 exec_lo, exec_lo, s42
	s_and_saveexec_b32 s42, s44
	s_cbranch_execz .LBB742_91
.LBB742_168:
	global_load_u8 v5, v[2:3], off offset:1536
	s_waitcnt vmcnt(0)
	v_and_b32_e32 v5, 1, v5
	s_delay_alu instid0(VALU_DEP_1) | instskip(NEXT) | instid1(VALU_DEP_1)
	v_cmp_eq_u32_e64 s0, 1, v5
	s_xor_b32 s70, s0, -1
	s_mov_b32 s0, s1
	s_and_saveexec_b32 s69, s70
; %bb.169:
	v_cmp_gt_f32_e64 s0, v4, v15
	s_delay_alu instid0(VALU_DEP_1) | instskip(NEXT) | instid1(SALU_CYCLE_1)
	s_and_b32 s0, s1, s0
	v_cndmask_b32_e64 v4, v15, v4, s0
	s_or_b32 s0, s1, exec_lo
; %bb.170:
	s_or_b32 exec_lo, exec_lo, s69
	s_delay_alu instid0(SALU_CYCLE_1) | instskip(SKIP_1) | instid1(SALU_CYCLE_1)
	s_and_not1_b32 s1, s1, exec_lo
	s_and_b32 s0, s0, exec_lo
	s_or_b32 s1, s1, s0
	s_or_b32 exec_lo, exec_lo, s42
	s_and_saveexec_b32 s42, s43
	s_cbranch_execz .LBB742_92
.LBB742_171:
	global_load_u8 v5, v[2:3], off offset:1600
	s_waitcnt vmcnt(0)
	v_and_b32_e32 v5, 1, v5
	s_delay_alu instid0(VALU_DEP_1) | instskip(NEXT) | instid1(VALU_DEP_1)
	v_cmp_eq_u32_e64 s0, 1, v5
	s_xor_b32 s70, s0, -1
	s_mov_b32 s0, s1
	s_and_saveexec_b32 s69, s70
; %bb.172:
	v_cmp_gt_f32_e64 s0, v4, v14
	s_delay_alu instid0(VALU_DEP_1) | instskip(NEXT) | instid1(SALU_CYCLE_1)
	s_and_b32 s0, s1, s0
	v_cndmask_b32_e64 v4, v14, v4, s0
	s_or_b32 s0, s1, exec_lo
; %bb.173:
	s_or_b32 exec_lo, exec_lo, s69
	s_delay_alu instid0(SALU_CYCLE_1) | instskip(SKIP_1) | instid1(SALU_CYCLE_1)
	s_and_not1_b32 s1, s1, exec_lo
	s_and_b32 s0, s0, exec_lo
	s_or_b32 s1, s1, s0
	s_or_b32 exec_lo, exec_lo, s42
	s_and_saveexec_b32 s42, s41
	s_cbranch_execz .LBB742_93
.LBB742_174:
	global_load_u8 v5, v[2:3], off offset:1664
	s_waitcnt vmcnt(0)
	v_and_b32_e32 v5, 1, v5
	s_delay_alu instid0(VALU_DEP_1) | instskip(NEXT) | instid1(VALU_DEP_1)
	v_cmp_eq_u32_e64 s0, 1, v5
	s_xor_b32 s70, s0, -1
	s_mov_b32 s0, s1
	s_and_saveexec_b32 s69, s70
; %bb.175:
	v_cmp_gt_f32_e64 s0, v4, v13
	s_delay_alu instid0(VALU_DEP_1) | instskip(NEXT) | instid1(SALU_CYCLE_1)
	s_and_b32 s0, s1, s0
	v_cndmask_b32_e64 v4, v13, v4, s0
	s_or_b32 s0, s1, exec_lo
; %bb.176:
	s_or_b32 exec_lo, exec_lo, s69
	s_delay_alu instid0(SALU_CYCLE_1) | instskip(SKIP_1) | instid1(SALU_CYCLE_1)
	s_and_not1_b32 s1, s1, exec_lo
	s_and_b32 s0, s0, exec_lo
	s_or_b32 s1, s1, s0
	s_or_b32 exec_lo, exec_lo, s42
	s_and_saveexec_b32 s42, s40
	s_cbranch_execz .LBB742_94
.LBB742_177:
	global_load_u8 v5, v[2:3], off offset:1728
	s_waitcnt vmcnt(0)
	v_and_b32_e32 v5, 1, v5
	s_delay_alu instid0(VALU_DEP_1) | instskip(NEXT) | instid1(VALU_DEP_1)
	v_cmp_eq_u32_e64 s0, 1, v5
	s_xor_b32 s70, s0, -1
	s_mov_b32 s0, s1
	s_and_saveexec_b32 s69, s70
; %bb.178:
	v_cmp_gt_f32_e64 s0, v4, v12
	s_delay_alu instid0(VALU_DEP_1) | instskip(NEXT) | instid1(SALU_CYCLE_1)
	s_and_b32 s0, s1, s0
	v_cndmask_b32_e64 v4, v12, v4, s0
	s_or_b32 s0, s1, exec_lo
; %bb.179:
	s_or_b32 exec_lo, exec_lo, s69
	s_delay_alu instid0(SALU_CYCLE_1) | instskip(SKIP_1) | instid1(SALU_CYCLE_1)
	s_and_not1_b32 s1, s1, exec_lo
	s_and_b32 s0, s0, exec_lo
	s_or_b32 s1, s1, s0
	s_or_b32 exec_lo, exec_lo, s42
	s_and_saveexec_b32 s42, s39
	s_cbranch_execz .LBB742_95
.LBB742_180:
	global_load_u8 v5, v[2:3], off offset:1792
	s_waitcnt vmcnt(0)
	v_and_b32_e32 v5, 1, v5
	s_delay_alu instid0(VALU_DEP_1) | instskip(NEXT) | instid1(VALU_DEP_1)
	v_cmp_eq_u32_e64 s0, 1, v5
	s_xor_b32 s70, s0, -1
	s_mov_b32 s0, s1
	s_and_saveexec_b32 s69, s70
; %bb.181:
	v_cmp_gt_f32_e64 s0, v4, v11
	s_delay_alu instid0(VALU_DEP_1) | instskip(NEXT) | instid1(SALU_CYCLE_1)
	s_and_b32 s0, s1, s0
	v_cndmask_b32_e64 v4, v11, v4, s0
	s_or_b32 s0, s1, exec_lo
; %bb.182:
	s_or_b32 exec_lo, exec_lo, s69
	s_delay_alu instid0(SALU_CYCLE_1) | instskip(SKIP_1) | instid1(SALU_CYCLE_1)
	s_and_not1_b32 s1, s1, exec_lo
	s_and_b32 s0, s0, exec_lo
	s_or_b32 s1, s1, s0
	s_or_b32 exec_lo, exec_lo, s42
	s_and_saveexec_b32 s42, s38
	s_cbranch_execz .LBB742_96
.LBB742_183:
	global_load_u8 v5, v[2:3], off offset:1856
	s_waitcnt vmcnt(0)
	v_and_b32_e32 v5, 1, v5
	s_delay_alu instid0(VALU_DEP_1) | instskip(NEXT) | instid1(VALU_DEP_1)
	v_cmp_eq_u32_e64 s0, 1, v5
	s_xor_b32 s70, s0, -1
	s_mov_b32 s0, s1
	s_and_saveexec_b32 s69, s70
; %bb.184:
	v_cmp_gt_f32_e64 s0, v4, v10
	s_delay_alu instid0(VALU_DEP_1) | instskip(NEXT) | instid1(SALU_CYCLE_1)
	s_and_b32 s0, s1, s0
	v_cndmask_b32_e64 v4, v10, v4, s0
	s_or_b32 s0, s1, exec_lo
; %bb.185:
	s_or_b32 exec_lo, exec_lo, s69
	s_delay_alu instid0(SALU_CYCLE_1) | instskip(SKIP_1) | instid1(SALU_CYCLE_1)
	s_and_not1_b32 s1, s1, exec_lo
	s_and_b32 s0, s0, exec_lo
	s_or_b32 s1, s1, s0
	s_or_b32 exec_lo, exec_lo, s42
	s_and_saveexec_b32 s42, s35
	s_cbranch_execz .LBB742_97
.LBB742_186:
	global_load_u8 v5, v[2:3], off offset:1920
	s_waitcnt vmcnt(0)
	v_and_b32_e32 v5, 1, v5
	s_delay_alu instid0(VALU_DEP_1) | instskip(NEXT) | instid1(VALU_DEP_1)
	v_cmp_eq_u32_e64 s0, 1, v5
	s_xor_b32 s70, s0, -1
	s_mov_b32 s0, s1
	s_and_saveexec_b32 s69, s70
; %bb.187:
	v_cmp_gt_f32_e64 s0, v4, v9
	s_delay_alu instid0(VALU_DEP_1) | instskip(NEXT) | instid1(SALU_CYCLE_1)
	s_and_b32 s0, s1, s0
	v_cndmask_b32_e64 v4, v9, v4, s0
	s_or_b32 s0, s1, exec_lo
; %bb.188:
	s_or_b32 exec_lo, exec_lo, s69
	s_delay_alu instid0(SALU_CYCLE_1) | instskip(SKIP_1) | instid1(SALU_CYCLE_1)
	s_and_not1_b32 s1, s1, exec_lo
	s_and_b32 s0, s0, exec_lo
	s_or_b32 s1, s1, s0
	s_or_b32 exec_lo, exec_lo, s42
	s_and_saveexec_b32 s42, s34
	s_cbranch_execz .LBB742_192
.LBB742_189:
	global_load_u8 v5, v[2:3], off offset:1984
	s_waitcnt vmcnt(0)
	v_and_b32_e32 v5, 1, v5
	s_delay_alu instid0(VALU_DEP_1) | instskip(NEXT) | instid1(VALU_DEP_1)
	v_cmp_eq_u32_e64 s0, 1, v5
	s_xor_b32 s70, s0, -1
	s_mov_b32 s0, s1
	s_and_saveexec_b32 s69, s70
; %bb.190:
	v_cmp_gt_f32_e64 s0, v4, v8
	s_delay_alu instid0(VALU_DEP_1) | instskip(NEXT) | instid1(SALU_CYCLE_1)
	s_and_b32 s0, s1, s0
	v_cndmask_b32_e64 v4, v8, v4, s0
	s_or_b32 s0, s1, exec_lo
; %bb.191:
	s_or_b32 exec_lo, exec_lo, s69
	s_delay_alu instid0(SALU_CYCLE_1) | instskip(SKIP_1) | instid1(SALU_CYCLE_1)
	s_and_not1_b32 s1, s1, exec_lo
	s_and_b32 s0, s0, exec_lo
	s_or_b32 s1, s1, s0
.LBB742_192:
	s_or_b32 exec_lo, exec_lo, s42
	v_mbcnt_lo_u32_b32 v42, -1, 0
	v_cndmask_b32_e64 v4, 0xff800000, v4, s1
	s_delay_alu instid0(VALU_DEP_2) | instskip(SKIP_1) | instid1(VALU_DEP_2)
	v_or_b32_e32 v5, 32, v42
	v_xor_b32_e32 v6, 16, v42
	v_cmp_gt_i32_e64 s0, 64, v5
	s_delay_alu instid0(VALU_DEP_1) | instskip(NEXT) | instid1(VALU_DEP_3)
	v_cndmask_b32_e64 v5, v42, v5, s0
	v_cmp_gt_i32_e64 s0, 64, v6
	s_delay_alu instid0(VALU_DEP_2) | instskip(NEXT) | instid1(VALU_DEP_2)
	v_lshlrev_b32_e32 v5, 2, v5
	v_cndmask_b32_e64 v6, v42, v6, s0
	ds_bpermute_b32 v40, v5, v4
	v_lshlrev_b32_e32 v6, 2, v6
	s_waitcnt lgkmcnt(0)
	v_cmp_lt_f32_e64 s0, v4, v40
	s_delay_alu instid0(VALU_DEP_1) | instskip(SKIP_3) | instid1(VALU_DEP_1)
	v_cndmask_b32_e64 v4, v4, v40, s0
	v_xor_b32_e32 v40, 8, v42
	ds_bpermute_b32 v41, v6, v4
	v_cmp_gt_i32_e64 s0, 64, v40
	v_cndmask_b32_e64 v40, v42, v40, s0
	s_delay_alu instid0(VALU_DEP_1) | instskip(SKIP_2) | instid1(VALU_DEP_1)
	v_lshlrev_b32_e32 v40, 2, v40
	s_waitcnt lgkmcnt(0)
	v_cmp_lt_f32_e64 s0, v4, v41
	v_cndmask_b32_e64 v4, v4, v41, s0
	v_xor_b32_e32 v41, 4, v42
	ds_bpermute_b32 v43, v40, v4
	v_cmp_gt_i32_e64 s0, 64, v41
	s_delay_alu instid0(VALU_DEP_1) | instskip(NEXT) | instid1(VALU_DEP_1)
	v_cndmask_b32_e64 v41, v42, v41, s0
	v_lshlrev_b32_e32 v41, 2, v41
	s_waitcnt lgkmcnt(0)
	v_cmp_lt_f32_e64 s0, v4, v43
	s_delay_alu instid0(VALU_DEP_1) | instskip(SKIP_3) | instid1(VALU_DEP_1)
	v_cndmask_b32_e64 v4, v4, v43, s0
	v_xor_b32_e32 v43, 2, v42
	ds_bpermute_b32 v44, v41, v4
	v_cmp_gt_i32_e64 s0, 64, v43
	v_cndmask_b32_e64 v43, v42, v43, s0
	s_delay_alu instid0(VALU_DEP_1) | instskip(SKIP_2) | instid1(VALU_DEP_1)
	v_lshlrev_b32_e32 v43, 2, v43
	s_waitcnt lgkmcnt(0)
	v_cmp_lt_f32_e64 s0, v4, v44
	v_cndmask_b32_e64 v4, v4, v44, s0
	v_xor_b32_e32 v44, 1, v42
	ds_bpermute_b32 v45, v43, v4
	v_cmp_gt_i32_e64 s0, 64, v44
	s_delay_alu instid0(VALU_DEP_1) | instskip(NEXT) | instid1(VALU_DEP_1)
	v_cndmask_b32_e64 v42, v42, v44, s0
	v_lshlrev_b32_e32 v44, 2, v42
	s_waitcnt lgkmcnt(0)
	v_cmp_lt_f32_e64 s0, v4, v45
	s_delay_alu instid0(VALU_DEP_1) | instskip(SKIP_4) | instid1(VALU_DEP_1)
	v_cndmask_b32_e64 v42, v4, v45, s0
	v_mov_b32_e32 v4, 0
	ds_bpermute_b32 v45, v44, v42
	s_waitcnt lgkmcnt(0)
	v_cmp_lt_f32_e64 s0, v42, v45
	v_cndmask_b32_e64 v45, v42, v45, s0
	v_mov_b32_e32 v42, 0
	s_and_saveexec_b32 s1, s68
	s_cbranch_execz .LBB742_196
; %bb.193:
	global_load_u8 v42, v[2:3], off
	s_waitcnt vmcnt(0)
	v_and_b32_e32 v42, 1, v42
	s_delay_alu instid0(VALU_DEP_1) | instskip(SKIP_1) | instid1(VALU_DEP_2)
	v_cmp_eq_u32_e64 s0, 1, v42
	v_mov_b32_e32 v42, 0
	s_xor_b32 s0, s0, -1
	s_delay_alu instid0(SALU_CYCLE_1)
	s_and_saveexec_b32 s42, s0
	s_cbranch_execz .LBB742_195
; %bb.194:
	v_sub_f32_e32 v39, v39, v45
	s_delay_alu instid0(VALU_DEP_1) | instskip(NEXT) | instid1(VALU_DEP_1)
	v_mul_f32_e32 v42, 0x3fb8aa3b, v39
	v_fma_f32 v46, 0x3fb8aa3b, v39, -v42
	v_rndne_f32_e32 v47, v42
	s_delay_alu instid0(VALU_DEP_1) | instskip(NEXT) | instid1(VALU_DEP_3)
	v_sub_f32_e32 v42, v42, v47
	v_fmamk_f32 v46, v39, 0x32a5705f, v46
	v_cmp_ngt_f32_e64 s0, 0xc2ce8ed0, v39
	s_delay_alu instid0(VALU_DEP_2) | instskip(SKIP_1) | instid1(VALU_DEP_2)
	v_add_f32_e32 v42, v42, v46
	v_cvt_i32_f32_e32 v46, v47
	v_exp_f32_e32 v42, v42
	s_waitcnt_depctr 0xfff
	v_ldexp_f32 v42, v42, v46
	s_delay_alu instid0(VALU_DEP_1) | instskip(SKIP_1) | instid1(VALU_DEP_1)
	v_cndmask_b32_e64 v42, 0, v42, s0
	v_cmp_nlt_f32_e64 s0, 0x42b17218, v39
	v_cndmask_b32_e64 v42, 0x7f800000, v42, s0
.LBB742_195:
	s_or_b32 exec_lo, exec_lo, s42
.LBB742_196:
	s_delay_alu instid0(SALU_CYCLE_1) | instskip(NEXT) | instid1(VALU_DEP_1)
	s_or_b32 exec_lo, exec_lo, s1
	v_mov_b32_e32 v46, v42
	s_and_saveexec_b32 s1, s67
	s_cbranch_execz .LBB742_200
; %bb.197:
	global_load_u8 v4, v[2:3], off offset:64
	v_mov_b32_e32 v46, v42
	s_waitcnt vmcnt(0)
	v_and_b32_e32 v4, 1, v4
	s_delay_alu instid0(VALU_DEP_1) | instskip(SKIP_1) | instid1(VALU_DEP_2)
	v_cmp_eq_u32_e64 s0, 1, v4
	v_mov_b32_e32 v4, 0
	s_xor_b32 s0, s0, -1
	s_delay_alu instid0(SALU_CYCLE_1)
	s_and_saveexec_b32 s42, s0
	s_cbranch_execz .LBB742_199
; %bb.198:
	v_sub_f32_e32 v4, v38, v45
	s_delay_alu instid0(VALU_DEP_1) | instskip(SKIP_1) | instid1(VALU_DEP_2)
	v_mul_f32_e32 v38, 0x3fb8aa3b, v4
	v_cmp_ngt_f32_e64 s0, 0xc2ce8ed0, v4
	v_fma_f32 v39, 0x3fb8aa3b, v4, -v38
	v_rndne_f32_e32 v46, v38
	s_delay_alu instid0(VALU_DEP_1) | instskip(NEXT) | instid1(VALU_DEP_1)
	v_dual_fmamk_f32 v39, v4, 0x32a5705f, v39 :: v_dual_sub_f32 v38, v38, v46
	v_add_f32_e32 v38, v38, v39
	v_cvt_i32_f32_e32 v39, v46
	s_delay_alu instid0(VALU_DEP_2) | instskip(SKIP_2) | instid1(VALU_DEP_1)
	v_exp_f32_e32 v38, v38
	s_waitcnt_depctr 0xfff
	v_ldexp_f32 v38, v38, v39
	v_cndmask_b32_e64 v38, 0, v38, s0
	v_cmp_nlt_f32_e64 s0, 0x42b17218, v4
	s_delay_alu instid0(VALU_DEP_1) | instskip(NEXT) | instid1(VALU_DEP_1)
	v_cndmask_b32_e64 v4, 0x7f800000, v38, s0
	v_add_f32_e32 v46, v42, v4
.LBB742_199:
	s_or_b32 exec_lo, exec_lo, s42
.LBB742_200:
	s_delay_alu instid0(SALU_CYCLE_1)
	s_or_b32 exec_lo, exec_lo, s1
	v_dual_mov_b32 v38, 0 :: v_dual_mov_b32 v39, 0
	s_and_saveexec_b32 s1, s66
	s_cbranch_execz .LBB742_204
; %bb.201:
	global_load_u8 v39, v[2:3], off offset:128
	s_waitcnt vmcnt(0)
	v_and_b32_e32 v39, 1, v39
	s_delay_alu instid0(VALU_DEP_1) | instskip(SKIP_1) | instid1(VALU_DEP_2)
	v_cmp_eq_u32_e64 s0, 1, v39
	v_mov_b32_e32 v39, 0
	s_xor_b32 s0, s0, -1
	s_delay_alu instid0(SALU_CYCLE_1)
	s_and_saveexec_b32 s42, s0
	s_cbranch_execz .LBB742_203
; %bb.202:
	v_sub_f32_e32 v37, v37, v45
	s_delay_alu instid0(VALU_DEP_1) | instskip(SKIP_1) | instid1(VALU_DEP_2)
	v_mul_f32_e32 v39, 0x3fb8aa3b, v37
	v_cmp_ngt_f32_e64 s0, 0xc2ce8ed0, v37
	v_fma_f32 v47, 0x3fb8aa3b, v37, -v39
	v_rndne_f32_e32 v48, v39
	s_delay_alu instid0(VALU_DEP_2) | instskip(NEXT) | instid1(VALU_DEP_2)
	v_fmamk_f32 v47, v37, 0x32a5705f, v47
	v_sub_f32_e32 v39, v39, v48
	s_delay_alu instid0(VALU_DEP_1) | instskip(SKIP_1) | instid1(VALU_DEP_2)
	v_add_f32_e32 v39, v39, v47
	v_cvt_i32_f32_e32 v47, v48
	v_exp_f32_e32 v39, v39
	s_waitcnt_depctr 0xfff
	v_ldexp_f32 v39, v39, v47
	s_delay_alu instid0(VALU_DEP_1) | instskip(SKIP_1) | instid1(VALU_DEP_1)
	v_cndmask_b32_e64 v39, 0, v39, s0
	v_cmp_nlt_f32_e64 s0, 0x42b17218, v37
	v_cndmask_b32_e64 v39, 0x7f800000, v39, s0
	s_delay_alu instid0(VALU_DEP_1)
	v_add_f32_e32 v46, v46, v39
.LBB742_203:
	s_or_b32 exec_lo, exec_lo, s42
.LBB742_204:
	s_delay_alu instid0(SALU_CYCLE_1)
	s_or_b32 exec_lo, exec_lo, s1
	s_and_saveexec_b32 s1, s65
	s_cbranch_execz .LBB742_208
; %bb.205:
	global_load_u8 v37, v[2:3], off offset:192
	s_waitcnt vmcnt(0)
	v_dual_mov_b32 v38, 0 :: v_dual_and_b32 v37, 1, v37
	s_delay_alu instid0(VALU_DEP_1) | instskip(NEXT) | instid1(VALU_DEP_1)
	v_cmp_eq_u32_e64 s0, 1, v37
	s_xor_b32 s0, s0, -1
	s_delay_alu instid0(SALU_CYCLE_1)
	s_and_saveexec_b32 s42, s0
	s_cbranch_execz .LBB742_207
; %bb.206:
	v_sub_f32_e32 v36, v36, v45
	s_delay_alu instid0(VALU_DEP_1) | instskip(NEXT) | instid1(VALU_DEP_1)
	v_mul_f32_e32 v37, 0x3fb8aa3b, v36
	v_fma_f32 v38, 0x3fb8aa3b, v36, -v37
	v_rndne_f32_e32 v47, v37
	s_delay_alu instid0(VALU_DEP_1) | instskip(SKIP_1) | instid1(VALU_DEP_2)
	v_dual_sub_f32 v37, v37, v47 :: v_dual_fmamk_f32 v38, v36, 0x32a5705f, v38
	v_cmp_ngt_f32_e64 s0, 0xc2ce8ed0, v36
	v_add_f32_e32 v37, v37, v38
	v_cvt_i32_f32_e32 v38, v47
	s_delay_alu instid0(VALU_DEP_2) | instskip(SKIP_2) | instid1(VALU_DEP_1)
	v_exp_f32_e32 v37, v37
	s_waitcnt_depctr 0xfff
	v_ldexp_f32 v37, v37, v38
	v_cndmask_b32_e64 v37, 0, v37, s0
	v_cmp_nlt_f32_e64 s0, 0x42b17218, v36
	s_delay_alu instid0(VALU_DEP_1) | instskip(NEXT) | instid1(VALU_DEP_1)
	v_cndmask_b32_e64 v38, 0x7f800000, v37, s0
	v_add_f32_e32 v46, v46, v38
.LBB742_207:
	s_or_b32 exec_lo, exec_lo, s42
.LBB742_208:
	s_delay_alu instid0(SALU_CYCLE_1)
	s_or_b32 exec_lo, exec_lo, s1
	v_dual_mov_b32 v36, 0 :: v_dual_mov_b32 v37, 0
	s_and_saveexec_b32 s1, s64
	s_cbranch_execz .LBB742_212
; %bb.209:
	global_load_u8 v37, v[2:3], off offset:256
	s_waitcnt vmcnt(0)
	v_and_b32_e32 v37, 1, v37
	s_delay_alu instid0(VALU_DEP_1) | instskip(SKIP_1) | instid1(VALU_DEP_2)
	v_cmp_eq_u32_e64 s0, 1, v37
	v_mov_b32_e32 v37, 0
	s_xor_b32 s0, s0, -1
	s_delay_alu instid0(SALU_CYCLE_1)
	s_and_saveexec_b32 s42, s0
	s_cbranch_execz .LBB742_211
; %bb.210:
	v_sub_f32_e32 v35, v35, v45
	s_delay_alu instid0(VALU_DEP_1) | instskip(SKIP_1) | instid1(VALU_DEP_2)
	v_mul_f32_e32 v37, 0x3fb8aa3b, v35
	v_cmp_ngt_f32_e64 s0, 0xc2ce8ed0, v35
	v_fma_f32 v47, 0x3fb8aa3b, v35, -v37
	v_rndne_f32_e32 v48, v37
	s_delay_alu instid0(VALU_DEP_2) | instskip(NEXT) | instid1(VALU_DEP_2)
	v_fmamk_f32 v47, v35, 0x32a5705f, v47
	v_sub_f32_e32 v37, v37, v48
	s_delay_alu instid0(VALU_DEP_1) | instskip(SKIP_1) | instid1(VALU_DEP_2)
	v_add_f32_e32 v37, v37, v47
	v_cvt_i32_f32_e32 v47, v48
	v_exp_f32_e32 v37, v37
	s_waitcnt_depctr 0xfff
	v_ldexp_f32 v37, v37, v47
	s_delay_alu instid0(VALU_DEP_1) | instskip(SKIP_1) | instid1(VALU_DEP_1)
	v_cndmask_b32_e64 v37, 0, v37, s0
	v_cmp_nlt_f32_e64 s0, 0x42b17218, v35
	v_cndmask_b32_e64 v37, 0x7f800000, v37, s0
	s_delay_alu instid0(VALU_DEP_1)
	v_add_f32_e32 v46, v46, v37
.LBB742_211:
	s_or_b32 exec_lo, exec_lo, s42
.LBB742_212:
	s_delay_alu instid0(SALU_CYCLE_1)
	s_or_b32 exec_lo, exec_lo, s1
	s_and_saveexec_b32 s1, s63
	s_cbranch_execz .LBB742_216
; %bb.213:
	global_load_u8 v35, v[2:3], off offset:320
	s_waitcnt vmcnt(0)
	v_dual_mov_b32 v36, 0 :: v_dual_and_b32 v35, 1, v35
	s_delay_alu instid0(VALU_DEP_1) | instskip(NEXT) | instid1(VALU_DEP_1)
	v_cmp_eq_u32_e64 s0, 1, v35
	s_xor_b32 s0, s0, -1
	s_delay_alu instid0(SALU_CYCLE_1)
	s_and_saveexec_b32 s42, s0
	s_cbranch_execz .LBB742_215
; %bb.214:
	v_sub_f32_e32 v34, v34, v45
	s_delay_alu instid0(VALU_DEP_1) | instskip(NEXT) | instid1(VALU_DEP_1)
	v_mul_f32_e32 v35, 0x3fb8aa3b, v34
	v_fma_f32 v36, 0x3fb8aa3b, v34, -v35
	v_rndne_f32_e32 v47, v35
	s_delay_alu instid0(VALU_DEP_1) | instskip(SKIP_1) | instid1(VALU_DEP_2)
	v_dual_sub_f32 v35, v35, v47 :: v_dual_fmamk_f32 v36, v34, 0x32a5705f, v36
	v_cmp_ngt_f32_e64 s0, 0xc2ce8ed0, v34
	v_add_f32_e32 v35, v35, v36
	v_cvt_i32_f32_e32 v36, v47
	s_delay_alu instid0(VALU_DEP_2) | instskip(SKIP_2) | instid1(VALU_DEP_1)
	v_exp_f32_e32 v35, v35
	s_waitcnt_depctr 0xfff
	v_ldexp_f32 v35, v35, v36
	v_cndmask_b32_e64 v35, 0, v35, s0
	v_cmp_nlt_f32_e64 s0, 0x42b17218, v34
	s_delay_alu instid0(VALU_DEP_1) | instskip(NEXT) | instid1(VALU_DEP_1)
	v_cndmask_b32_e64 v36, 0x7f800000, v35, s0
	v_add_f32_e32 v46, v46, v36
.LBB742_215:
	s_or_b32 exec_lo, exec_lo, s42
.LBB742_216:
	s_delay_alu instid0(SALU_CYCLE_1)
	s_or_b32 exec_lo, exec_lo, s1
	v_dual_mov_b32 v34, 0 :: v_dual_mov_b32 v35, 0
	s_and_saveexec_b32 s1, s62
	s_cbranch_execz .LBB742_220
; %bb.217:
	global_load_u8 v35, v[2:3], off offset:384
	s_waitcnt vmcnt(0)
	v_and_b32_e32 v35, 1, v35
	s_delay_alu instid0(VALU_DEP_1) | instskip(SKIP_1) | instid1(VALU_DEP_2)
	v_cmp_eq_u32_e64 s0, 1, v35
	v_mov_b32_e32 v35, 0
	s_xor_b32 s0, s0, -1
	s_delay_alu instid0(SALU_CYCLE_1)
	s_and_saveexec_b32 s42, s0
	s_cbranch_execz .LBB742_219
; %bb.218:
	v_sub_f32_e32 v33, v33, v45
	s_delay_alu instid0(VALU_DEP_1) | instskip(SKIP_1) | instid1(VALU_DEP_2)
	v_mul_f32_e32 v35, 0x3fb8aa3b, v33
	v_cmp_ngt_f32_e64 s0, 0xc2ce8ed0, v33
	v_fma_f32 v47, 0x3fb8aa3b, v33, -v35
	v_rndne_f32_e32 v48, v35
	s_delay_alu instid0(VALU_DEP_2) | instskip(NEXT) | instid1(VALU_DEP_2)
	v_fmamk_f32 v47, v33, 0x32a5705f, v47
	v_sub_f32_e32 v35, v35, v48
	s_delay_alu instid0(VALU_DEP_1) | instskip(SKIP_1) | instid1(VALU_DEP_2)
	v_add_f32_e32 v35, v35, v47
	v_cvt_i32_f32_e32 v47, v48
	v_exp_f32_e32 v35, v35
	s_waitcnt_depctr 0xfff
	v_ldexp_f32 v35, v35, v47
	s_delay_alu instid0(VALU_DEP_1) | instskip(SKIP_1) | instid1(VALU_DEP_1)
	v_cndmask_b32_e64 v35, 0, v35, s0
	v_cmp_nlt_f32_e64 s0, 0x42b17218, v33
	v_cndmask_b32_e64 v35, 0x7f800000, v35, s0
	s_delay_alu instid0(VALU_DEP_1)
	v_add_f32_e32 v46, v46, v35
.LBB742_219:
	s_or_b32 exec_lo, exec_lo, s42
.LBB742_220:
	s_delay_alu instid0(SALU_CYCLE_1)
	s_or_b32 exec_lo, exec_lo, s1
	s_and_saveexec_b32 s1, s61
	s_cbranch_execz .LBB742_224
; %bb.221:
	global_load_u8 v33, v[2:3], off offset:448
	s_waitcnt vmcnt(0)
	v_dual_mov_b32 v34, 0 :: v_dual_and_b32 v33, 1, v33
	s_delay_alu instid0(VALU_DEP_1) | instskip(NEXT) | instid1(VALU_DEP_1)
	v_cmp_eq_u32_e64 s0, 1, v33
	s_xor_b32 s0, s0, -1
	s_delay_alu instid0(SALU_CYCLE_1)
	s_and_saveexec_b32 s42, s0
	s_cbranch_execz .LBB742_223
; %bb.222:
	v_sub_f32_e32 v32, v32, v45
	s_delay_alu instid0(VALU_DEP_1) | instskip(NEXT) | instid1(VALU_DEP_1)
	v_mul_f32_e32 v33, 0x3fb8aa3b, v32
	v_fma_f32 v34, 0x3fb8aa3b, v32, -v33
	v_rndne_f32_e32 v47, v33
	s_delay_alu instid0(VALU_DEP_1) | instskip(SKIP_1) | instid1(VALU_DEP_2)
	v_dual_sub_f32 v33, v33, v47 :: v_dual_fmamk_f32 v34, v32, 0x32a5705f, v34
	v_cmp_ngt_f32_e64 s0, 0xc2ce8ed0, v32
	v_add_f32_e32 v33, v33, v34
	v_cvt_i32_f32_e32 v34, v47
	s_delay_alu instid0(VALU_DEP_2) | instskip(SKIP_2) | instid1(VALU_DEP_1)
	v_exp_f32_e32 v33, v33
	s_waitcnt_depctr 0xfff
	v_ldexp_f32 v33, v33, v34
	v_cndmask_b32_e64 v33, 0, v33, s0
	v_cmp_nlt_f32_e64 s0, 0x42b17218, v32
	s_delay_alu instid0(VALU_DEP_1) | instskip(NEXT) | instid1(VALU_DEP_1)
	v_cndmask_b32_e64 v34, 0x7f800000, v33, s0
	v_add_f32_e32 v46, v46, v34
.LBB742_223:
	s_or_b32 exec_lo, exec_lo, s42
.LBB742_224:
	s_delay_alu instid0(SALU_CYCLE_1)
	s_or_b32 exec_lo, exec_lo, s1
	v_dual_mov_b32 v32, 0 :: v_dual_mov_b32 v33, 0
	s_and_saveexec_b32 s1, s60
	s_cbranch_execz .LBB742_228
; %bb.225:
	global_load_u8 v33, v[2:3], off offset:512
	s_waitcnt vmcnt(0)
	v_and_b32_e32 v33, 1, v33
	s_delay_alu instid0(VALU_DEP_1) | instskip(SKIP_1) | instid1(VALU_DEP_2)
	v_cmp_eq_u32_e64 s0, 1, v33
	v_mov_b32_e32 v33, 0
	s_xor_b32 s0, s0, -1
	s_delay_alu instid0(SALU_CYCLE_1)
	s_and_saveexec_b32 s42, s0
	s_cbranch_execz .LBB742_227
; %bb.226:
	v_sub_f32_e32 v31, v31, v45
	s_delay_alu instid0(VALU_DEP_1) | instskip(SKIP_1) | instid1(VALU_DEP_2)
	v_mul_f32_e32 v33, 0x3fb8aa3b, v31
	v_cmp_ngt_f32_e64 s0, 0xc2ce8ed0, v31
	v_fma_f32 v47, 0x3fb8aa3b, v31, -v33
	v_rndne_f32_e32 v48, v33
	s_delay_alu instid0(VALU_DEP_2) | instskip(NEXT) | instid1(VALU_DEP_2)
	v_fmamk_f32 v47, v31, 0x32a5705f, v47
	v_sub_f32_e32 v33, v33, v48
	s_delay_alu instid0(VALU_DEP_1) | instskip(SKIP_1) | instid1(VALU_DEP_2)
	v_add_f32_e32 v33, v33, v47
	v_cvt_i32_f32_e32 v47, v48
	v_exp_f32_e32 v33, v33
	s_waitcnt_depctr 0xfff
	v_ldexp_f32 v33, v33, v47
	s_delay_alu instid0(VALU_DEP_1) | instskip(SKIP_1) | instid1(VALU_DEP_1)
	v_cndmask_b32_e64 v33, 0, v33, s0
	v_cmp_nlt_f32_e64 s0, 0x42b17218, v31
	v_cndmask_b32_e64 v33, 0x7f800000, v33, s0
	s_delay_alu instid0(VALU_DEP_1)
	v_add_f32_e32 v46, v46, v33
.LBB742_227:
	s_or_b32 exec_lo, exec_lo, s42
.LBB742_228:
	s_delay_alu instid0(SALU_CYCLE_1)
	s_or_b32 exec_lo, exec_lo, s1
	s_and_saveexec_b32 s1, s59
	s_cbranch_execz .LBB742_232
; %bb.229:
	global_load_u8 v31, v[2:3], off offset:576
	s_waitcnt vmcnt(0)
	v_dual_mov_b32 v32, 0 :: v_dual_and_b32 v31, 1, v31
	s_delay_alu instid0(VALU_DEP_1) | instskip(NEXT) | instid1(VALU_DEP_1)
	v_cmp_eq_u32_e64 s0, 1, v31
	s_xor_b32 s0, s0, -1
	s_delay_alu instid0(SALU_CYCLE_1)
	s_and_saveexec_b32 s42, s0
	s_cbranch_execz .LBB742_231
; %bb.230:
	v_sub_f32_e32 v30, v30, v45
	s_delay_alu instid0(VALU_DEP_1) | instskip(NEXT) | instid1(VALU_DEP_1)
	v_mul_f32_e32 v31, 0x3fb8aa3b, v30
	v_fma_f32 v32, 0x3fb8aa3b, v30, -v31
	v_rndne_f32_e32 v47, v31
	s_delay_alu instid0(VALU_DEP_1) | instskip(SKIP_1) | instid1(VALU_DEP_2)
	v_dual_sub_f32 v31, v31, v47 :: v_dual_fmamk_f32 v32, v30, 0x32a5705f, v32
	v_cmp_ngt_f32_e64 s0, 0xc2ce8ed0, v30
	v_add_f32_e32 v31, v31, v32
	v_cvt_i32_f32_e32 v32, v47
	s_delay_alu instid0(VALU_DEP_2) | instskip(SKIP_2) | instid1(VALU_DEP_1)
	v_exp_f32_e32 v31, v31
	s_waitcnt_depctr 0xfff
	v_ldexp_f32 v31, v31, v32
	v_cndmask_b32_e64 v31, 0, v31, s0
	v_cmp_nlt_f32_e64 s0, 0x42b17218, v30
	s_delay_alu instid0(VALU_DEP_1) | instskip(NEXT) | instid1(VALU_DEP_1)
	v_cndmask_b32_e64 v32, 0x7f800000, v31, s0
	v_add_f32_e32 v46, v46, v32
.LBB742_231:
	s_or_b32 exec_lo, exec_lo, s42
.LBB742_232:
	s_delay_alu instid0(SALU_CYCLE_1)
	s_or_b32 exec_lo, exec_lo, s1
	v_dual_mov_b32 v30, 0 :: v_dual_mov_b32 v31, 0
	s_and_saveexec_b32 s1, s58
	s_cbranch_execz .LBB742_236
; %bb.233:
	global_load_u8 v31, v[2:3], off offset:640
	s_waitcnt vmcnt(0)
	v_and_b32_e32 v31, 1, v31
	s_delay_alu instid0(VALU_DEP_1) | instskip(SKIP_1) | instid1(VALU_DEP_2)
	v_cmp_eq_u32_e64 s0, 1, v31
	v_mov_b32_e32 v31, 0
	s_xor_b32 s0, s0, -1
	s_delay_alu instid0(SALU_CYCLE_1)
	s_and_saveexec_b32 s42, s0
	s_cbranch_execz .LBB742_235
; %bb.234:
	v_sub_f32_e32 v29, v29, v45
	s_delay_alu instid0(VALU_DEP_1) | instskip(SKIP_1) | instid1(VALU_DEP_2)
	v_mul_f32_e32 v31, 0x3fb8aa3b, v29
	v_cmp_ngt_f32_e64 s0, 0xc2ce8ed0, v29
	v_fma_f32 v47, 0x3fb8aa3b, v29, -v31
	v_rndne_f32_e32 v48, v31
	s_delay_alu instid0(VALU_DEP_2) | instskip(NEXT) | instid1(VALU_DEP_2)
	v_fmamk_f32 v47, v29, 0x32a5705f, v47
	v_sub_f32_e32 v31, v31, v48
	s_delay_alu instid0(VALU_DEP_1) | instskip(SKIP_1) | instid1(VALU_DEP_2)
	v_add_f32_e32 v31, v31, v47
	v_cvt_i32_f32_e32 v47, v48
	v_exp_f32_e32 v31, v31
	s_waitcnt_depctr 0xfff
	v_ldexp_f32 v31, v31, v47
	s_delay_alu instid0(VALU_DEP_1) | instskip(SKIP_1) | instid1(VALU_DEP_1)
	v_cndmask_b32_e64 v31, 0, v31, s0
	v_cmp_nlt_f32_e64 s0, 0x42b17218, v29
	v_cndmask_b32_e64 v31, 0x7f800000, v31, s0
	s_delay_alu instid0(VALU_DEP_1)
	v_add_f32_e32 v46, v46, v31
.LBB742_235:
	s_or_b32 exec_lo, exec_lo, s42
.LBB742_236:
	s_delay_alu instid0(SALU_CYCLE_1)
	s_or_b32 exec_lo, exec_lo, s1
	s_and_saveexec_b32 s1, s57
	s_cbranch_execz .LBB742_240
; %bb.237:
	global_load_u8 v29, v[2:3], off offset:704
	s_waitcnt vmcnt(0)
	v_dual_mov_b32 v30, 0 :: v_dual_and_b32 v29, 1, v29
	s_delay_alu instid0(VALU_DEP_1) | instskip(NEXT) | instid1(VALU_DEP_1)
	v_cmp_eq_u32_e64 s0, 1, v29
	s_xor_b32 s0, s0, -1
	s_delay_alu instid0(SALU_CYCLE_1)
	s_and_saveexec_b32 s42, s0
	s_cbranch_execz .LBB742_239
; %bb.238:
	v_sub_f32_e32 v28, v28, v45
	s_delay_alu instid0(VALU_DEP_1) | instskip(NEXT) | instid1(VALU_DEP_1)
	v_mul_f32_e32 v29, 0x3fb8aa3b, v28
	v_fma_f32 v30, 0x3fb8aa3b, v28, -v29
	v_rndne_f32_e32 v47, v29
	s_delay_alu instid0(VALU_DEP_1) | instskip(SKIP_1) | instid1(VALU_DEP_2)
	v_dual_sub_f32 v29, v29, v47 :: v_dual_fmamk_f32 v30, v28, 0x32a5705f, v30
	v_cmp_ngt_f32_e64 s0, 0xc2ce8ed0, v28
	v_add_f32_e32 v29, v29, v30
	v_cvt_i32_f32_e32 v30, v47
	s_delay_alu instid0(VALU_DEP_2) | instskip(SKIP_2) | instid1(VALU_DEP_1)
	v_exp_f32_e32 v29, v29
	s_waitcnt_depctr 0xfff
	v_ldexp_f32 v29, v29, v30
	v_cndmask_b32_e64 v29, 0, v29, s0
	v_cmp_nlt_f32_e64 s0, 0x42b17218, v28
	s_delay_alu instid0(VALU_DEP_1) | instskip(NEXT) | instid1(VALU_DEP_1)
	v_cndmask_b32_e64 v30, 0x7f800000, v29, s0
	v_add_f32_e32 v46, v46, v30
.LBB742_239:
	s_or_b32 exec_lo, exec_lo, s42
.LBB742_240:
	s_delay_alu instid0(SALU_CYCLE_1)
	s_or_b32 exec_lo, exec_lo, s1
	v_dual_mov_b32 v28, 0 :: v_dual_mov_b32 v29, 0
	s_and_saveexec_b32 s1, s56
	s_cbranch_execz .LBB742_244
; %bb.241:
	global_load_u8 v29, v[2:3], off offset:768
	s_waitcnt vmcnt(0)
	v_and_b32_e32 v29, 1, v29
	s_delay_alu instid0(VALU_DEP_1) | instskip(SKIP_1) | instid1(VALU_DEP_2)
	v_cmp_eq_u32_e64 s0, 1, v29
	v_mov_b32_e32 v29, 0
	s_xor_b32 s0, s0, -1
	s_delay_alu instid0(SALU_CYCLE_1)
	s_and_saveexec_b32 s42, s0
	s_cbranch_execz .LBB742_243
; %bb.242:
	v_sub_f32_e32 v27, v27, v45
	s_delay_alu instid0(VALU_DEP_1) | instskip(SKIP_1) | instid1(VALU_DEP_2)
	v_mul_f32_e32 v29, 0x3fb8aa3b, v27
	v_cmp_ngt_f32_e64 s0, 0xc2ce8ed0, v27
	v_fma_f32 v47, 0x3fb8aa3b, v27, -v29
	v_rndne_f32_e32 v48, v29
	s_delay_alu instid0(VALU_DEP_2) | instskip(NEXT) | instid1(VALU_DEP_2)
	v_fmamk_f32 v47, v27, 0x32a5705f, v47
	v_sub_f32_e32 v29, v29, v48
	s_delay_alu instid0(VALU_DEP_1) | instskip(SKIP_1) | instid1(VALU_DEP_2)
	v_add_f32_e32 v29, v29, v47
	v_cvt_i32_f32_e32 v47, v48
	v_exp_f32_e32 v29, v29
	s_waitcnt_depctr 0xfff
	v_ldexp_f32 v29, v29, v47
	s_delay_alu instid0(VALU_DEP_1) | instskip(SKIP_1) | instid1(VALU_DEP_1)
	v_cndmask_b32_e64 v29, 0, v29, s0
	v_cmp_nlt_f32_e64 s0, 0x42b17218, v27
	v_cndmask_b32_e64 v29, 0x7f800000, v29, s0
	s_delay_alu instid0(VALU_DEP_1)
	v_add_f32_e32 v46, v46, v29
.LBB742_243:
	s_or_b32 exec_lo, exec_lo, s42
.LBB742_244:
	s_delay_alu instid0(SALU_CYCLE_1)
	s_or_b32 exec_lo, exec_lo, s1
	s_and_saveexec_b32 s1, s55
	s_cbranch_execz .LBB742_248
; %bb.245:
	global_load_u8 v27, v[2:3], off offset:832
	s_waitcnt vmcnt(0)
	v_dual_mov_b32 v28, 0 :: v_dual_and_b32 v27, 1, v27
	s_delay_alu instid0(VALU_DEP_1) | instskip(NEXT) | instid1(VALU_DEP_1)
	v_cmp_eq_u32_e64 s0, 1, v27
	s_xor_b32 s0, s0, -1
	s_delay_alu instid0(SALU_CYCLE_1)
	s_and_saveexec_b32 s42, s0
	s_cbranch_execz .LBB742_247
; %bb.246:
	v_sub_f32_e32 v26, v26, v45
	s_delay_alu instid0(VALU_DEP_1) | instskip(NEXT) | instid1(VALU_DEP_1)
	v_mul_f32_e32 v27, 0x3fb8aa3b, v26
	v_fma_f32 v28, 0x3fb8aa3b, v26, -v27
	v_rndne_f32_e32 v47, v27
	s_delay_alu instid0(VALU_DEP_1) | instskip(SKIP_1) | instid1(VALU_DEP_2)
	v_dual_sub_f32 v27, v27, v47 :: v_dual_fmamk_f32 v28, v26, 0x32a5705f, v28
	v_cmp_ngt_f32_e64 s0, 0xc2ce8ed0, v26
	v_add_f32_e32 v27, v27, v28
	v_cvt_i32_f32_e32 v28, v47
	s_delay_alu instid0(VALU_DEP_2) | instskip(SKIP_2) | instid1(VALU_DEP_1)
	v_exp_f32_e32 v27, v27
	s_waitcnt_depctr 0xfff
	v_ldexp_f32 v27, v27, v28
	v_cndmask_b32_e64 v27, 0, v27, s0
	v_cmp_nlt_f32_e64 s0, 0x42b17218, v26
	s_delay_alu instid0(VALU_DEP_1) | instskip(NEXT) | instid1(VALU_DEP_1)
	v_cndmask_b32_e64 v28, 0x7f800000, v27, s0
	v_add_f32_e32 v46, v46, v28
.LBB742_247:
	s_or_b32 exec_lo, exec_lo, s42
.LBB742_248:
	s_delay_alu instid0(SALU_CYCLE_1)
	s_or_b32 exec_lo, exec_lo, s1
	v_dual_mov_b32 v26, 0 :: v_dual_mov_b32 v27, 0
	s_and_saveexec_b32 s1, s54
	s_cbranch_execz .LBB742_252
; %bb.249:
	global_load_u8 v27, v[2:3], off offset:896
	s_waitcnt vmcnt(0)
	v_and_b32_e32 v27, 1, v27
	s_delay_alu instid0(VALU_DEP_1) | instskip(SKIP_1) | instid1(VALU_DEP_2)
	v_cmp_eq_u32_e64 s0, 1, v27
	v_mov_b32_e32 v27, 0
	s_xor_b32 s0, s0, -1
	s_delay_alu instid0(SALU_CYCLE_1)
	s_and_saveexec_b32 s42, s0
	s_cbranch_execz .LBB742_251
; %bb.250:
	v_sub_f32_e32 v25, v25, v45
	s_delay_alu instid0(VALU_DEP_1) | instskip(SKIP_1) | instid1(VALU_DEP_2)
	v_mul_f32_e32 v27, 0x3fb8aa3b, v25
	v_cmp_ngt_f32_e64 s0, 0xc2ce8ed0, v25
	v_fma_f32 v47, 0x3fb8aa3b, v25, -v27
	v_rndne_f32_e32 v48, v27
	s_delay_alu instid0(VALU_DEP_2) | instskip(NEXT) | instid1(VALU_DEP_2)
	v_fmamk_f32 v47, v25, 0x32a5705f, v47
	v_sub_f32_e32 v27, v27, v48
	s_delay_alu instid0(VALU_DEP_1) | instskip(SKIP_1) | instid1(VALU_DEP_2)
	v_add_f32_e32 v27, v27, v47
	v_cvt_i32_f32_e32 v47, v48
	v_exp_f32_e32 v27, v27
	s_waitcnt_depctr 0xfff
	v_ldexp_f32 v27, v27, v47
	s_delay_alu instid0(VALU_DEP_1) | instskip(SKIP_1) | instid1(VALU_DEP_1)
	v_cndmask_b32_e64 v27, 0, v27, s0
	v_cmp_nlt_f32_e64 s0, 0x42b17218, v25
	v_cndmask_b32_e64 v27, 0x7f800000, v27, s0
	s_delay_alu instid0(VALU_DEP_1)
	v_add_f32_e32 v46, v46, v27
.LBB742_251:
	s_or_b32 exec_lo, exec_lo, s42
.LBB742_252:
	s_delay_alu instid0(SALU_CYCLE_1)
	s_or_b32 exec_lo, exec_lo, s1
	s_and_saveexec_b32 s1, s53
	s_cbranch_execz .LBB742_256
; %bb.253:
	global_load_u8 v25, v[2:3], off offset:960
	s_waitcnt vmcnt(0)
	v_dual_mov_b32 v26, 0 :: v_dual_and_b32 v25, 1, v25
	s_delay_alu instid0(VALU_DEP_1) | instskip(NEXT) | instid1(VALU_DEP_1)
	v_cmp_eq_u32_e64 s0, 1, v25
	s_xor_b32 s0, s0, -1
	s_delay_alu instid0(SALU_CYCLE_1)
	s_and_saveexec_b32 s42, s0
	s_cbranch_execz .LBB742_255
; %bb.254:
	v_sub_f32_e32 v24, v24, v45
	s_delay_alu instid0(VALU_DEP_1) | instskip(NEXT) | instid1(VALU_DEP_1)
	v_mul_f32_e32 v25, 0x3fb8aa3b, v24
	v_fma_f32 v26, 0x3fb8aa3b, v24, -v25
	v_rndne_f32_e32 v47, v25
	s_delay_alu instid0(VALU_DEP_1) | instskip(SKIP_1) | instid1(VALU_DEP_2)
	v_dual_sub_f32 v25, v25, v47 :: v_dual_fmamk_f32 v26, v24, 0x32a5705f, v26
	v_cmp_ngt_f32_e64 s0, 0xc2ce8ed0, v24
	v_add_f32_e32 v25, v25, v26
	v_cvt_i32_f32_e32 v26, v47
	s_delay_alu instid0(VALU_DEP_2) | instskip(SKIP_2) | instid1(VALU_DEP_1)
	v_exp_f32_e32 v25, v25
	s_waitcnt_depctr 0xfff
	v_ldexp_f32 v25, v25, v26
	v_cndmask_b32_e64 v25, 0, v25, s0
	v_cmp_nlt_f32_e64 s0, 0x42b17218, v24
	s_delay_alu instid0(VALU_DEP_1) | instskip(NEXT) | instid1(VALU_DEP_1)
	v_cndmask_b32_e64 v26, 0x7f800000, v25, s0
	v_add_f32_e32 v46, v46, v26
.LBB742_255:
	s_or_b32 exec_lo, exec_lo, s42
.LBB742_256:
	s_delay_alu instid0(SALU_CYCLE_1)
	s_or_b32 exec_lo, exec_lo, s1
	v_dual_mov_b32 v24, 0 :: v_dual_mov_b32 v25, 0
	s_and_saveexec_b32 s1, s52
	s_cbranch_execz .LBB742_260
; %bb.257:
	global_load_u8 v25, v[2:3], off offset:1024
	s_waitcnt vmcnt(0)
	v_and_b32_e32 v25, 1, v25
	s_delay_alu instid0(VALU_DEP_1) | instskip(SKIP_1) | instid1(VALU_DEP_2)
	v_cmp_eq_u32_e64 s0, 1, v25
	v_mov_b32_e32 v25, 0
	s_xor_b32 s0, s0, -1
	s_delay_alu instid0(SALU_CYCLE_1)
	s_and_saveexec_b32 s42, s0
	s_cbranch_execz .LBB742_259
; %bb.258:
	v_sub_f32_e32 v23, v23, v45
	s_delay_alu instid0(VALU_DEP_1) | instskip(SKIP_1) | instid1(VALU_DEP_2)
	v_mul_f32_e32 v25, 0x3fb8aa3b, v23
	v_cmp_ngt_f32_e64 s0, 0xc2ce8ed0, v23
	v_fma_f32 v47, 0x3fb8aa3b, v23, -v25
	v_rndne_f32_e32 v48, v25
	s_delay_alu instid0(VALU_DEP_2) | instskip(NEXT) | instid1(VALU_DEP_2)
	v_fmamk_f32 v47, v23, 0x32a5705f, v47
	v_sub_f32_e32 v25, v25, v48
	s_delay_alu instid0(VALU_DEP_1) | instskip(SKIP_1) | instid1(VALU_DEP_2)
	v_add_f32_e32 v25, v25, v47
	v_cvt_i32_f32_e32 v47, v48
	v_exp_f32_e32 v25, v25
	s_waitcnt_depctr 0xfff
	v_ldexp_f32 v25, v25, v47
	s_delay_alu instid0(VALU_DEP_1) | instskip(SKIP_1) | instid1(VALU_DEP_1)
	v_cndmask_b32_e64 v25, 0, v25, s0
	v_cmp_nlt_f32_e64 s0, 0x42b17218, v23
	v_cndmask_b32_e64 v25, 0x7f800000, v25, s0
	s_delay_alu instid0(VALU_DEP_1)
	v_add_f32_e32 v46, v46, v25
.LBB742_259:
	s_or_b32 exec_lo, exec_lo, s42
.LBB742_260:
	s_delay_alu instid0(SALU_CYCLE_1)
	s_or_b32 exec_lo, exec_lo, s1
	s_and_saveexec_b32 s1, s51
	s_cbranch_execz .LBB742_264
; %bb.261:
	global_load_u8 v23, v[2:3], off offset:1088
	s_waitcnt vmcnt(0)
	v_dual_mov_b32 v24, 0 :: v_dual_and_b32 v23, 1, v23
	s_delay_alu instid0(VALU_DEP_1) | instskip(NEXT) | instid1(VALU_DEP_1)
	v_cmp_eq_u32_e64 s0, 1, v23
	s_xor_b32 s0, s0, -1
	s_delay_alu instid0(SALU_CYCLE_1)
	s_and_saveexec_b32 s42, s0
	s_cbranch_execz .LBB742_263
; %bb.262:
	v_sub_f32_e32 v22, v22, v45
	s_delay_alu instid0(VALU_DEP_1) | instskip(NEXT) | instid1(VALU_DEP_1)
	v_mul_f32_e32 v23, 0x3fb8aa3b, v22
	v_fma_f32 v24, 0x3fb8aa3b, v22, -v23
	v_rndne_f32_e32 v47, v23
	s_delay_alu instid0(VALU_DEP_1) | instskip(SKIP_1) | instid1(VALU_DEP_2)
	v_dual_sub_f32 v23, v23, v47 :: v_dual_fmamk_f32 v24, v22, 0x32a5705f, v24
	v_cmp_ngt_f32_e64 s0, 0xc2ce8ed0, v22
	v_add_f32_e32 v23, v23, v24
	v_cvt_i32_f32_e32 v24, v47
	s_delay_alu instid0(VALU_DEP_2) | instskip(SKIP_2) | instid1(VALU_DEP_1)
	v_exp_f32_e32 v23, v23
	s_waitcnt_depctr 0xfff
	v_ldexp_f32 v23, v23, v24
	v_cndmask_b32_e64 v23, 0, v23, s0
	v_cmp_nlt_f32_e64 s0, 0x42b17218, v22
	s_delay_alu instid0(VALU_DEP_1) | instskip(NEXT) | instid1(VALU_DEP_1)
	v_cndmask_b32_e64 v24, 0x7f800000, v23, s0
	v_add_f32_e32 v46, v46, v24
.LBB742_263:
	s_or_b32 exec_lo, exec_lo, s42
.LBB742_264:
	s_delay_alu instid0(SALU_CYCLE_1)
	s_or_b32 exec_lo, exec_lo, s1
	v_dual_mov_b32 v22, 0 :: v_dual_mov_b32 v23, 0
	s_and_saveexec_b32 s1, s50
	s_cbranch_execz .LBB742_268
; %bb.265:
	global_load_u8 v23, v[2:3], off offset:1152
	s_waitcnt vmcnt(0)
	v_and_b32_e32 v23, 1, v23
	s_delay_alu instid0(VALU_DEP_1) | instskip(SKIP_1) | instid1(VALU_DEP_2)
	v_cmp_eq_u32_e64 s0, 1, v23
	v_mov_b32_e32 v23, 0
	s_xor_b32 s0, s0, -1
	s_delay_alu instid0(SALU_CYCLE_1)
	s_and_saveexec_b32 s42, s0
	s_cbranch_execz .LBB742_267
; %bb.266:
	v_sub_f32_e32 v21, v21, v45
	s_delay_alu instid0(VALU_DEP_1) | instskip(SKIP_1) | instid1(VALU_DEP_2)
	v_mul_f32_e32 v23, 0x3fb8aa3b, v21
	v_cmp_ngt_f32_e64 s0, 0xc2ce8ed0, v21
	v_fma_f32 v47, 0x3fb8aa3b, v21, -v23
	v_rndne_f32_e32 v48, v23
	s_delay_alu instid0(VALU_DEP_2) | instskip(NEXT) | instid1(VALU_DEP_2)
	v_fmamk_f32 v47, v21, 0x32a5705f, v47
	v_sub_f32_e32 v23, v23, v48
	s_delay_alu instid0(VALU_DEP_1) | instskip(SKIP_1) | instid1(VALU_DEP_2)
	v_add_f32_e32 v23, v23, v47
	v_cvt_i32_f32_e32 v47, v48
	v_exp_f32_e32 v23, v23
	s_waitcnt_depctr 0xfff
	v_ldexp_f32 v23, v23, v47
	s_delay_alu instid0(VALU_DEP_1) | instskip(SKIP_1) | instid1(VALU_DEP_1)
	v_cndmask_b32_e64 v23, 0, v23, s0
	v_cmp_nlt_f32_e64 s0, 0x42b17218, v21
	v_cndmask_b32_e64 v23, 0x7f800000, v23, s0
	s_delay_alu instid0(VALU_DEP_1)
	v_add_f32_e32 v46, v46, v23
.LBB742_267:
	s_or_b32 exec_lo, exec_lo, s42
.LBB742_268:
	s_delay_alu instid0(SALU_CYCLE_1)
	s_or_b32 exec_lo, exec_lo, s1
	s_and_saveexec_b32 s1, s49
	s_cbranch_execz .LBB742_272
; %bb.269:
	global_load_u8 v21, v[2:3], off offset:1216
	s_waitcnt vmcnt(0)
	v_dual_mov_b32 v22, 0 :: v_dual_and_b32 v21, 1, v21
	s_delay_alu instid0(VALU_DEP_1) | instskip(NEXT) | instid1(VALU_DEP_1)
	v_cmp_eq_u32_e64 s0, 1, v21
	s_xor_b32 s0, s0, -1
	s_delay_alu instid0(SALU_CYCLE_1)
	s_and_saveexec_b32 s42, s0
	s_cbranch_execz .LBB742_271
; %bb.270:
	v_sub_f32_e32 v20, v20, v45
	s_delay_alu instid0(VALU_DEP_1) | instskip(NEXT) | instid1(VALU_DEP_1)
	v_mul_f32_e32 v21, 0x3fb8aa3b, v20
	v_fma_f32 v22, 0x3fb8aa3b, v20, -v21
	v_rndne_f32_e32 v47, v21
	s_delay_alu instid0(VALU_DEP_1) | instskip(SKIP_1) | instid1(VALU_DEP_2)
	v_dual_sub_f32 v21, v21, v47 :: v_dual_fmamk_f32 v22, v20, 0x32a5705f, v22
	v_cmp_ngt_f32_e64 s0, 0xc2ce8ed0, v20
	v_add_f32_e32 v21, v21, v22
	v_cvt_i32_f32_e32 v22, v47
	s_delay_alu instid0(VALU_DEP_2) | instskip(SKIP_2) | instid1(VALU_DEP_1)
	v_exp_f32_e32 v21, v21
	s_waitcnt_depctr 0xfff
	v_ldexp_f32 v21, v21, v22
	v_cndmask_b32_e64 v21, 0, v21, s0
	v_cmp_nlt_f32_e64 s0, 0x42b17218, v20
	s_delay_alu instid0(VALU_DEP_1) | instskip(NEXT) | instid1(VALU_DEP_1)
	v_cndmask_b32_e64 v22, 0x7f800000, v21, s0
	v_add_f32_e32 v46, v46, v22
.LBB742_271:
	s_or_b32 exec_lo, exec_lo, s42
.LBB742_272:
	s_delay_alu instid0(SALU_CYCLE_1)
	s_or_b32 exec_lo, exec_lo, s1
	v_dual_mov_b32 v20, 0 :: v_dual_mov_b32 v21, 0
	s_and_saveexec_b32 s1, s48
	s_cbranch_execz .LBB742_276
; %bb.273:
	global_load_u8 v21, v[2:3], off offset:1280
	s_waitcnt vmcnt(0)
	v_and_b32_e32 v21, 1, v21
	s_delay_alu instid0(VALU_DEP_1) | instskip(SKIP_1) | instid1(VALU_DEP_2)
	v_cmp_eq_u32_e64 s0, 1, v21
	v_mov_b32_e32 v21, 0
	s_xor_b32 s0, s0, -1
	s_delay_alu instid0(SALU_CYCLE_1)
	s_and_saveexec_b32 s42, s0
	s_cbranch_execz .LBB742_275
; %bb.274:
	v_sub_f32_e32 v19, v19, v45
	s_delay_alu instid0(VALU_DEP_1) | instskip(SKIP_1) | instid1(VALU_DEP_2)
	v_mul_f32_e32 v21, 0x3fb8aa3b, v19
	v_cmp_ngt_f32_e64 s0, 0xc2ce8ed0, v19
	v_fma_f32 v47, 0x3fb8aa3b, v19, -v21
	v_rndne_f32_e32 v48, v21
	s_delay_alu instid0(VALU_DEP_2) | instskip(NEXT) | instid1(VALU_DEP_2)
	v_fmamk_f32 v47, v19, 0x32a5705f, v47
	v_sub_f32_e32 v21, v21, v48
	s_delay_alu instid0(VALU_DEP_1) | instskip(SKIP_1) | instid1(VALU_DEP_2)
	v_add_f32_e32 v21, v21, v47
	v_cvt_i32_f32_e32 v47, v48
	v_exp_f32_e32 v21, v21
	s_waitcnt_depctr 0xfff
	v_ldexp_f32 v21, v21, v47
	s_delay_alu instid0(VALU_DEP_1) | instskip(SKIP_1) | instid1(VALU_DEP_1)
	v_cndmask_b32_e64 v21, 0, v21, s0
	v_cmp_nlt_f32_e64 s0, 0x42b17218, v19
	v_cndmask_b32_e64 v21, 0x7f800000, v21, s0
	s_delay_alu instid0(VALU_DEP_1)
	v_add_f32_e32 v46, v46, v21
.LBB742_275:
	s_or_b32 exec_lo, exec_lo, s42
.LBB742_276:
	s_delay_alu instid0(SALU_CYCLE_1)
	s_or_b32 exec_lo, exec_lo, s1
	s_and_saveexec_b32 s1, s47
	s_cbranch_execz .LBB742_280
; %bb.277:
	global_load_u8 v19, v[2:3], off offset:1344
	s_waitcnt vmcnt(0)
	v_dual_mov_b32 v20, 0 :: v_dual_and_b32 v19, 1, v19
	s_delay_alu instid0(VALU_DEP_1) | instskip(NEXT) | instid1(VALU_DEP_1)
	v_cmp_eq_u32_e64 s0, 1, v19
	s_xor_b32 s0, s0, -1
	s_delay_alu instid0(SALU_CYCLE_1)
	s_and_saveexec_b32 s42, s0
	s_cbranch_execz .LBB742_279
; %bb.278:
	v_sub_f32_e32 v18, v18, v45
	s_delay_alu instid0(VALU_DEP_1) | instskip(NEXT) | instid1(VALU_DEP_1)
	v_mul_f32_e32 v19, 0x3fb8aa3b, v18
	v_fma_f32 v20, 0x3fb8aa3b, v18, -v19
	v_rndne_f32_e32 v47, v19
	s_delay_alu instid0(VALU_DEP_1) | instskip(SKIP_1) | instid1(VALU_DEP_2)
	v_dual_sub_f32 v19, v19, v47 :: v_dual_fmamk_f32 v20, v18, 0x32a5705f, v20
	v_cmp_ngt_f32_e64 s0, 0xc2ce8ed0, v18
	v_add_f32_e32 v19, v19, v20
	v_cvt_i32_f32_e32 v20, v47
	s_delay_alu instid0(VALU_DEP_2) | instskip(SKIP_2) | instid1(VALU_DEP_1)
	v_exp_f32_e32 v19, v19
	s_waitcnt_depctr 0xfff
	v_ldexp_f32 v19, v19, v20
	v_cndmask_b32_e64 v19, 0, v19, s0
	v_cmp_nlt_f32_e64 s0, 0x42b17218, v18
	s_delay_alu instid0(VALU_DEP_1) | instskip(NEXT) | instid1(VALU_DEP_1)
	v_cndmask_b32_e64 v20, 0x7f800000, v19, s0
	v_add_f32_e32 v46, v46, v20
.LBB742_279:
	s_or_b32 exec_lo, exec_lo, s42
.LBB742_280:
	s_delay_alu instid0(SALU_CYCLE_1)
	s_or_b32 exec_lo, exec_lo, s1
	v_dual_mov_b32 v18, 0 :: v_dual_mov_b32 v19, 0
	s_and_saveexec_b32 s1, s46
	s_cbranch_execz .LBB742_284
; %bb.281:
	global_load_u8 v19, v[2:3], off offset:1408
	s_waitcnt vmcnt(0)
	v_and_b32_e32 v19, 1, v19
	s_delay_alu instid0(VALU_DEP_1) | instskip(SKIP_1) | instid1(VALU_DEP_2)
	v_cmp_eq_u32_e64 s0, 1, v19
	v_mov_b32_e32 v19, 0
	s_xor_b32 s0, s0, -1
	s_delay_alu instid0(SALU_CYCLE_1)
	s_and_saveexec_b32 s42, s0
	s_cbranch_execz .LBB742_283
; %bb.282:
	v_sub_f32_e32 v17, v17, v45
	s_delay_alu instid0(VALU_DEP_1) | instskip(SKIP_1) | instid1(VALU_DEP_2)
	v_mul_f32_e32 v19, 0x3fb8aa3b, v17
	v_cmp_ngt_f32_e64 s0, 0xc2ce8ed0, v17
	v_fma_f32 v47, 0x3fb8aa3b, v17, -v19
	v_rndne_f32_e32 v48, v19
	s_delay_alu instid0(VALU_DEP_2) | instskip(NEXT) | instid1(VALU_DEP_2)
	v_fmamk_f32 v47, v17, 0x32a5705f, v47
	v_sub_f32_e32 v19, v19, v48
	s_delay_alu instid0(VALU_DEP_1) | instskip(SKIP_1) | instid1(VALU_DEP_2)
	v_add_f32_e32 v19, v19, v47
	v_cvt_i32_f32_e32 v47, v48
	v_exp_f32_e32 v19, v19
	s_waitcnt_depctr 0xfff
	v_ldexp_f32 v19, v19, v47
	s_delay_alu instid0(VALU_DEP_1) | instskip(SKIP_1) | instid1(VALU_DEP_1)
	v_cndmask_b32_e64 v19, 0, v19, s0
	v_cmp_nlt_f32_e64 s0, 0x42b17218, v17
	v_cndmask_b32_e64 v19, 0x7f800000, v19, s0
	s_delay_alu instid0(VALU_DEP_1)
	v_add_f32_e32 v46, v46, v19
.LBB742_283:
	s_or_b32 exec_lo, exec_lo, s42
.LBB742_284:
	s_delay_alu instid0(SALU_CYCLE_1)
	s_or_b32 exec_lo, exec_lo, s1
	s_and_saveexec_b32 s1, s45
	s_cbranch_execz .LBB742_288
; %bb.285:
	global_load_u8 v17, v[2:3], off offset:1472
	s_waitcnt vmcnt(0)
	v_dual_mov_b32 v18, 0 :: v_dual_and_b32 v17, 1, v17
	s_delay_alu instid0(VALU_DEP_1) | instskip(NEXT) | instid1(VALU_DEP_1)
	v_cmp_eq_u32_e64 s0, 1, v17
	s_xor_b32 s0, s0, -1
	s_delay_alu instid0(SALU_CYCLE_1)
	s_and_saveexec_b32 s42, s0
	s_cbranch_execz .LBB742_287
; %bb.286:
	v_sub_f32_e32 v16, v16, v45
	s_delay_alu instid0(VALU_DEP_1) | instskip(NEXT) | instid1(VALU_DEP_1)
	v_mul_f32_e32 v17, 0x3fb8aa3b, v16
	v_fma_f32 v18, 0x3fb8aa3b, v16, -v17
	v_rndne_f32_e32 v47, v17
	s_delay_alu instid0(VALU_DEP_1) | instskip(SKIP_1) | instid1(VALU_DEP_2)
	v_dual_sub_f32 v17, v17, v47 :: v_dual_fmamk_f32 v18, v16, 0x32a5705f, v18
	v_cmp_ngt_f32_e64 s0, 0xc2ce8ed0, v16
	v_add_f32_e32 v17, v17, v18
	v_cvt_i32_f32_e32 v18, v47
	s_delay_alu instid0(VALU_DEP_2) | instskip(SKIP_2) | instid1(VALU_DEP_1)
	v_exp_f32_e32 v17, v17
	s_waitcnt_depctr 0xfff
	v_ldexp_f32 v17, v17, v18
	v_cndmask_b32_e64 v17, 0, v17, s0
	v_cmp_nlt_f32_e64 s0, 0x42b17218, v16
	s_delay_alu instid0(VALU_DEP_1) | instskip(NEXT) | instid1(VALU_DEP_1)
	v_cndmask_b32_e64 v18, 0x7f800000, v17, s0
	v_add_f32_e32 v46, v46, v18
.LBB742_287:
	s_or_b32 exec_lo, exec_lo, s42
.LBB742_288:
	s_delay_alu instid0(SALU_CYCLE_1)
	s_or_b32 exec_lo, exec_lo, s1
	v_dual_mov_b32 v16, 0 :: v_dual_mov_b32 v17, 0
	s_and_saveexec_b32 s1, s44
	s_cbranch_execz .LBB742_292
; %bb.289:
	global_load_u8 v17, v[2:3], off offset:1536
	s_waitcnt vmcnt(0)
	v_and_b32_e32 v17, 1, v17
	s_delay_alu instid0(VALU_DEP_1) | instskip(SKIP_1) | instid1(VALU_DEP_2)
	v_cmp_eq_u32_e64 s0, 1, v17
	v_mov_b32_e32 v17, 0
	s_xor_b32 s0, s0, -1
	s_delay_alu instid0(SALU_CYCLE_1)
	s_and_saveexec_b32 s42, s0
	s_cbranch_execz .LBB742_291
; %bb.290:
	v_sub_f32_e32 v15, v15, v45
	s_delay_alu instid0(VALU_DEP_1) | instskip(SKIP_1) | instid1(VALU_DEP_2)
	v_mul_f32_e32 v17, 0x3fb8aa3b, v15
	v_cmp_ngt_f32_e64 s0, 0xc2ce8ed0, v15
	v_fma_f32 v47, 0x3fb8aa3b, v15, -v17
	v_rndne_f32_e32 v48, v17
	s_delay_alu instid0(VALU_DEP_2) | instskip(NEXT) | instid1(VALU_DEP_2)
	v_fmamk_f32 v47, v15, 0x32a5705f, v47
	v_sub_f32_e32 v17, v17, v48
	s_delay_alu instid0(VALU_DEP_1) | instskip(SKIP_1) | instid1(VALU_DEP_2)
	v_add_f32_e32 v17, v17, v47
	v_cvt_i32_f32_e32 v47, v48
	v_exp_f32_e32 v17, v17
	s_waitcnt_depctr 0xfff
	v_ldexp_f32 v17, v17, v47
	s_delay_alu instid0(VALU_DEP_1) | instskip(SKIP_1) | instid1(VALU_DEP_1)
	v_cndmask_b32_e64 v17, 0, v17, s0
	v_cmp_nlt_f32_e64 s0, 0x42b17218, v15
	v_cndmask_b32_e64 v17, 0x7f800000, v17, s0
	s_delay_alu instid0(VALU_DEP_1)
	v_add_f32_e32 v46, v46, v17
.LBB742_291:
	s_or_b32 exec_lo, exec_lo, s42
.LBB742_292:
	s_delay_alu instid0(SALU_CYCLE_1)
	s_or_b32 exec_lo, exec_lo, s1
	s_and_saveexec_b32 s1, s43
	s_cbranch_execz .LBB742_296
; %bb.293:
	global_load_u8 v15, v[2:3], off offset:1600
	s_waitcnt vmcnt(0)
	v_dual_mov_b32 v16, 0 :: v_dual_and_b32 v15, 1, v15
	s_delay_alu instid0(VALU_DEP_1) | instskip(NEXT) | instid1(VALU_DEP_1)
	v_cmp_eq_u32_e64 s0, 1, v15
	s_xor_b32 s0, s0, -1
	s_delay_alu instid0(SALU_CYCLE_1)
	s_and_saveexec_b32 s42, s0
	s_cbranch_execz .LBB742_295
; %bb.294:
	v_sub_f32_e32 v14, v14, v45
	s_delay_alu instid0(VALU_DEP_1) | instskip(NEXT) | instid1(VALU_DEP_1)
	v_mul_f32_e32 v15, 0x3fb8aa3b, v14
	v_fma_f32 v16, 0x3fb8aa3b, v14, -v15
	v_rndne_f32_e32 v47, v15
	s_delay_alu instid0(VALU_DEP_1) | instskip(SKIP_1) | instid1(VALU_DEP_2)
	v_dual_sub_f32 v15, v15, v47 :: v_dual_fmamk_f32 v16, v14, 0x32a5705f, v16
	v_cmp_ngt_f32_e64 s0, 0xc2ce8ed0, v14
	v_add_f32_e32 v15, v15, v16
	v_cvt_i32_f32_e32 v16, v47
	s_delay_alu instid0(VALU_DEP_2) | instskip(SKIP_2) | instid1(VALU_DEP_1)
	v_exp_f32_e32 v15, v15
	s_waitcnt_depctr 0xfff
	v_ldexp_f32 v15, v15, v16
	v_cndmask_b32_e64 v15, 0, v15, s0
	v_cmp_nlt_f32_e64 s0, 0x42b17218, v14
	s_delay_alu instid0(VALU_DEP_1) | instskip(NEXT) | instid1(VALU_DEP_1)
	v_cndmask_b32_e64 v16, 0x7f800000, v15, s0
	v_add_f32_e32 v46, v46, v16
.LBB742_295:
	s_or_b32 exec_lo, exec_lo, s42
.LBB742_296:
	s_delay_alu instid0(SALU_CYCLE_1)
	s_or_b32 exec_lo, exec_lo, s1
	v_dual_mov_b32 v14, 0 :: v_dual_mov_b32 v15, 0
	s_and_saveexec_b32 s1, s41
	s_cbranch_execz .LBB742_300
; %bb.297:
	global_load_u8 v15, v[2:3], off offset:1664
	s_waitcnt vmcnt(0)
	v_and_b32_e32 v15, 1, v15
	s_delay_alu instid0(VALU_DEP_1) | instskip(SKIP_1) | instid1(VALU_DEP_2)
	v_cmp_eq_u32_e64 s0, 1, v15
	v_mov_b32_e32 v15, 0
	s_xor_b32 s0, s0, -1
	s_delay_alu instid0(SALU_CYCLE_1)
	s_and_saveexec_b32 s41, s0
	s_cbranch_execz .LBB742_299
; %bb.298:
	v_sub_f32_e32 v13, v13, v45
	s_delay_alu instid0(VALU_DEP_1) | instskip(SKIP_1) | instid1(VALU_DEP_2)
	v_mul_f32_e32 v15, 0x3fb8aa3b, v13
	v_cmp_ngt_f32_e64 s0, 0xc2ce8ed0, v13
	v_fma_f32 v47, 0x3fb8aa3b, v13, -v15
	v_rndne_f32_e32 v48, v15
	s_delay_alu instid0(VALU_DEP_2) | instskip(NEXT) | instid1(VALU_DEP_2)
	v_fmamk_f32 v47, v13, 0x32a5705f, v47
	v_sub_f32_e32 v15, v15, v48
	s_delay_alu instid0(VALU_DEP_1) | instskip(SKIP_1) | instid1(VALU_DEP_2)
	v_add_f32_e32 v15, v15, v47
	v_cvt_i32_f32_e32 v47, v48
	v_exp_f32_e32 v15, v15
	s_waitcnt_depctr 0xfff
	v_ldexp_f32 v15, v15, v47
	s_delay_alu instid0(VALU_DEP_1) | instskip(SKIP_1) | instid1(VALU_DEP_1)
	v_cndmask_b32_e64 v15, 0, v15, s0
	v_cmp_nlt_f32_e64 s0, 0x42b17218, v13
	v_cndmask_b32_e64 v15, 0x7f800000, v15, s0
	s_delay_alu instid0(VALU_DEP_1)
	v_add_f32_e32 v46, v46, v15
.LBB742_299:
	s_or_b32 exec_lo, exec_lo, s41
.LBB742_300:
	s_delay_alu instid0(SALU_CYCLE_1)
	s_or_b32 exec_lo, exec_lo, s1
	s_and_saveexec_b32 s1, s40
	s_cbranch_execz .LBB742_304
; %bb.301:
	global_load_u8 v13, v[2:3], off offset:1728
	s_waitcnt vmcnt(0)
	v_dual_mov_b32 v14, 0 :: v_dual_and_b32 v13, 1, v13
	s_delay_alu instid0(VALU_DEP_1) | instskip(NEXT) | instid1(VALU_DEP_1)
	v_cmp_eq_u32_e64 s0, 1, v13
	s_xor_b32 s0, s0, -1
	s_delay_alu instid0(SALU_CYCLE_1)
	s_and_saveexec_b32 s40, s0
	s_cbranch_execz .LBB742_303
; %bb.302:
	v_sub_f32_e32 v12, v12, v45
	s_delay_alu instid0(VALU_DEP_1) | instskip(NEXT) | instid1(VALU_DEP_1)
	v_mul_f32_e32 v13, 0x3fb8aa3b, v12
	v_fma_f32 v14, 0x3fb8aa3b, v12, -v13
	v_rndne_f32_e32 v47, v13
	s_delay_alu instid0(VALU_DEP_1) | instskip(SKIP_1) | instid1(VALU_DEP_2)
	v_dual_sub_f32 v13, v13, v47 :: v_dual_fmamk_f32 v14, v12, 0x32a5705f, v14
	v_cmp_ngt_f32_e64 s0, 0xc2ce8ed0, v12
	v_add_f32_e32 v13, v13, v14
	v_cvt_i32_f32_e32 v14, v47
	s_delay_alu instid0(VALU_DEP_2) | instskip(SKIP_2) | instid1(VALU_DEP_1)
	v_exp_f32_e32 v13, v13
	s_waitcnt_depctr 0xfff
	v_ldexp_f32 v13, v13, v14
	v_cndmask_b32_e64 v13, 0, v13, s0
	v_cmp_nlt_f32_e64 s0, 0x42b17218, v12
	s_delay_alu instid0(VALU_DEP_1) | instskip(NEXT) | instid1(VALU_DEP_1)
	v_cndmask_b32_e64 v14, 0x7f800000, v13, s0
	v_add_f32_e32 v46, v46, v14
.LBB742_303:
	s_or_b32 exec_lo, exec_lo, s40
.LBB742_304:
	s_delay_alu instid0(SALU_CYCLE_1)
	s_or_b32 exec_lo, exec_lo, s1
	v_dual_mov_b32 v12, 0 :: v_dual_mov_b32 v13, 0
	s_and_saveexec_b32 s1, s39
	s_cbranch_execz .LBB742_308
; %bb.305:
	global_load_u8 v13, v[2:3], off offset:1792
	s_waitcnt vmcnt(0)
	v_and_b32_e32 v13, 1, v13
	s_delay_alu instid0(VALU_DEP_1) | instskip(SKIP_1) | instid1(VALU_DEP_2)
	v_cmp_eq_u32_e64 s0, 1, v13
	v_mov_b32_e32 v13, 0
	s_xor_b32 s0, s0, -1
	s_delay_alu instid0(SALU_CYCLE_1)
	s_and_saveexec_b32 s39, s0
	s_cbranch_execz .LBB742_307
; %bb.306:
	v_sub_f32_e32 v11, v11, v45
	s_delay_alu instid0(VALU_DEP_1) | instskip(SKIP_1) | instid1(VALU_DEP_2)
	v_mul_f32_e32 v13, 0x3fb8aa3b, v11
	v_cmp_ngt_f32_e64 s0, 0xc2ce8ed0, v11
	v_fma_f32 v47, 0x3fb8aa3b, v11, -v13
	v_rndne_f32_e32 v48, v13
	s_delay_alu instid0(VALU_DEP_2) | instskip(NEXT) | instid1(VALU_DEP_2)
	v_fmamk_f32 v47, v11, 0x32a5705f, v47
	v_sub_f32_e32 v13, v13, v48
	s_delay_alu instid0(VALU_DEP_1) | instskip(SKIP_1) | instid1(VALU_DEP_2)
	v_add_f32_e32 v13, v13, v47
	v_cvt_i32_f32_e32 v47, v48
	v_exp_f32_e32 v13, v13
	s_waitcnt_depctr 0xfff
	v_ldexp_f32 v13, v13, v47
	s_delay_alu instid0(VALU_DEP_1) | instskip(SKIP_1) | instid1(VALU_DEP_1)
	v_cndmask_b32_e64 v13, 0, v13, s0
	v_cmp_nlt_f32_e64 s0, 0x42b17218, v11
	v_cndmask_b32_e64 v13, 0x7f800000, v13, s0
	s_delay_alu instid0(VALU_DEP_1)
	v_add_f32_e32 v46, v46, v13
.LBB742_307:
	s_or_b32 exec_lo, exec_lo, s39
.LBB742_308:
	s_delay_alu instid0(SALU_CYCLE_1)
	s_or_b32 exec_lo, exec_lo, s1
	s_and_saveexec_b32 s1, s38
	s_cbranch_execz .LBB742_312
; %bb.309:
	global_load_u8 v11, v[2:3], off offset:1856
	s_waitcnt vmcnt(0)
	v_dual_mov_b32 v12, 0 :: v_dual_and_b32 v11, 1, v11
	s_delay_alu instid0(VALU_DEP_1) | instskip(NEXT) | instid1(VALU_DEP_1)
	v_cmp_eq_u32_e64 s0, 1, v11
	s_xor_b32 s0, s0, -1
	s_delay_alu instid0(SALU_CYCLE_1)
	s_and_saveexec_b32 s38, s0
	s_cbranch_execz .LBB742_311
; %bb.310:
	v_sub_f32_e32 v10, v10, v45
	s_delay_alu instid0(VALU_DEP_1) | instskip(NEXT) | instid1(VALU_DEP_1)
	v_mul_f32_e32 v11, 0x3fb8aa3b, v10
	v_fma_f32 v12, 0x3fb8aa3b, v10, -v11
	v_rndne_f32_e32 v47, v11
	s_delay_alu instid0(VALU_DEP_1) | instskip(SKIP_1) | instid1(VALU_DEP_2)
	v_dual_sub_f32 v11, v11, v47 :: v_dual_fmamk_f32 v12, v10, 0x32a5705f, v12
	v_cmp_ngt_f32_e64 s0, 0xc2ce8ed0, v10
	v_add_f32_e32 v11, v11, v12
	v_cvt_i32_f32_e32 v12, v47
	s_delay_alu instid0(VALU_DEP_2) | instskip(SKIP_2) | instid1(VALU_DEP_1)
	v_exp_f32_e32 v11, v11
	s_waitcnt_depctr 0xfff
	v_ldexp_f32 v11, v11, v12
	v_cndmask_b32_e64 v11, 0, v11, s0
	v_cmp_nlt_f32_e64 s0, 0x42b17218, v10
	s_delay_alu instid0(VALU_DEP_1) | instskip(NEXT) | instid1(VALU_DEP_1)
	v_cndmask_b32_e64 v12, 0x7f800000, v11, s0
	v_add_f32_e32 v46, v46, v12
.LBB742_311:
	s_or_b32 exec_lo, exec_lo, s38
.LBB742_312:
	s_delay_alu instid0(SALU_CYCLE_1)
	s_or_b32 exec_lo, exec_lo, s1
	v_dual_mov_b32 v10, 0 :: v_dual_mov_b32 v11, 0
	s_and_saveexec_b32 s1, s35
	s_cbranch_execz .LBB742_316
; %bb.313:
	global_load_u8 v11, v[2:3], off offset:1920
	s_waitcnt vmcnt(0)
	v_and_b32_e32 v11, 1, v11
	s_delay_alu instid0(VALU_DEP_1) | instskip(SKIP_1) | instid1(VALU_DEP_2)
	v_cmp_eq_u32_e64 s0, 1, v11
	v_mov_b32_e32 v11, 0
	s_xor_b32 s0, s0, -1
	s_delay_alu instid0(SALU_CYCLE_1)
	s_and_saveexec_b32 s35, s0
	s_cbranch_execz .LBB742_315
; %bb.314:
	v_sub_f32_e32 v9, v9, v45
	s_delay_alu instid0(VALU_DEP_1) | instskip(SKIP_1) | instid1(VALU_DEP_2)
	v_mul_f32_e32 v11, 0x3fb8aa3b, v9
	v_cmp_ngt_f32_e64 s0, 0xc2ce8ed0, v9
	v_fma_f32 v47, 0x3fb8aa3b, v9, -v11
	v_rndne_f32_e32 v48, v11
	s_delay_alu instid0(VALU_DEP_2) | instskip(NEXT) | instid1(VALU_DEP_2)
	v_fmamk_f32 v47, v9, 0x32a5705f, v47
	v_sub_f32_e32 v11, v11, v48
	s_delay_alu instid0(VALU_DEP_1) | instskip(SKIP_1) | instid1(VALU_DEP_2)
	v_add_f32_e32 v11, v11, v47
	v_cvt_i32_f32_e32 v47, v48
	v_exp_f32_e32 v11, v11
	s_waitcnt_depctr 0xfff
	v_ldexp_f32 v11, v11, v47
	s_delay_alu instid0(VALU_DEP_1) | instskip(SKIP_1) | instid1(VALU_DEP_1)
	v_cndmask_b32_e64 v11, 0, v11, s0
	v_cmp_nlt_f32_e64 s0, 0x42b17218, v9
	v_cndmask_b32_e64 v11, 0x7f800000, v11, s0
	s_delay_alu instid0(VALU_DEP_1)
	v_add_f32_e32 v46, v46, v11
.LBB742_315:
	s_or_b32 exec_lo, exec_lo, s35
.LBB742_316:
	s_delay_alu instid0(SALU_CYCLE_1)
	s_or_b32 exec_lo, exec_lo, s1
	s_and_saveexec_b32 s1, s34
	s_cbranch_execz .LBB742_320
; %bb.317:
	global_load_u8 v2, v[2:3], off offset:1984
	v_mov_b32_e32 v10, 0
	s_waitcnt vmcnt(0)
	v_and_b32_e32 v2, 1, v2
	s_delay_alu instid0(VALU_DEP_1) | instskip(NEXT) | instid1(VALU_DEP_1)
	v_cmp_eq_u32_e64 s0, 1, v2
	s_xor_b32 s0, s0, -1
	s_delay_alu instid0(SALU_CYCLE_1)
	s_and_saveexec_b32 s34, s0
	s_cbranch_execz .LBB742_319
; %bb.318:
	v_sub_f32_e32 v2, v8, v45
	s_delay_alu instid0(VALU_DEP_1) | instskip(NEXT) | instid1(VALU_DEP_1)
	v_mul_f32_e32 v3, 0x3fb8aa3b, v2
	v_fma_f32 v8, 0x3fb8aa3b, v2, -v3
	v_rndne_f32_e32 v9, v3
	s_delay_alu instid0(VALU_DEP_1) | instskip(NEXT) | instid1(VALU_DEP_1)
	v_dual_fmamk_f32 v8, v2, 0x32a5705f, v8 :: v_dual_sub_f32 v3, v3, v9
	v_add_f32_e32 v3, v3, v8
	v_cvt_i32_f32_e32 v8, v9
	v_cmp_ngt_f32_e64 s0, 0xc2ce8ed0, v2
	s_delay_alu instid0(VALU_DEP_3) | instskip(SKIP_2) | instid1(VALU_DEP_1)
	v_exp_f32_e32 v3, v3
	s_waitcnt_depctr 0xfff
	v_ldexp_f32 v3, v3, v8
	v_cndmask_b32_e64 v3, 0, v3, s0
	v_cmp_nlt_f32_e64 s0, 0x42b17218, v2
	s_delay_alu instid0(VALU_DEP_1) | instskip(NEXT) | instid1(VALU_DEP_1)
	v_cndmask_b32_e64 v10, 0x7f800000, v3, s0
	v_add_f32_e32 v46, v46, v10
.LBB742_319:
	s_or_b32 exec_lo, exec_lo, s34
.LBB742_320:
	s_delay_alu instid0(SALU_CYCLE_1)
	s_or_b32 exec_lo, exec_lo, s1
	ds_bpermute_b32 v2, v5, v46
	s_mov_b32 s1, exec_lo
	s_waitcnt lgkmcnt(0)
	v_add_f32_e32 v2, v46, v2
	ds_bpermute_b32 v3, v6, v2
	s_waitcnt lgkmcnt(0)
	v_add_f32_e32 v2, v2, v3
	ds_bpermute_b32 v3, v40, v2
	;; [unrolled: 3-line block ×5, first 2 shown]
	v_cmpx_lt_i32_e32 0, v7
	s_cbranch_execz .LBB742_418
; %bb.321:
	s_and_b32 exec_lo, exec_lo, vcc_lo
	s_cbranch_execz .LBB742_418
; %bb.322:
	s_waitcnt lgkmcnt(0)
	v_dual_add_f32 v2, v2, v3 :: v_dual_mov_b32 v3, 0x7e00
	s_delay_alu instid0(VALU_DEP_1) | instskip(NEXT) | instid1(VALU_DEP_1)
	v_cmp_neq_f32_e64 s0, 0, v2
	s_and_saveexec_b32 s1, s0
	s_cbranch_execz .LBB742_324
; %bb.323:
	v_div_scale_f32 v3, null, v2, v2, v42
	s_delay_alu instid0(VALU_DEP_1) | instskip(SKIP_2) | instid1(VALU_DEP_1)
	v_rcp_f32_e32 v5, v3
	s_waitcnt_depctr 0xfff
	v_fma_f32 v6, -v3, v5, 1.0
	v_fmac_f32_e32 v5, v6, v5
	v_div_scale_f32 v6, vcc_lo, v42, v2, v42
	s_delay_alu instid0(VALU_DEP_1) | instskip(NEXT) | instid1(VALU_DEP_1)
	v_mul_f32_e32 v7, v6, v5
	v_fma_f32 v8, -v3, v7, v6
	s_delay_alu instid0(VALU_DEP_1) | instskip(NEXT) | instid1(VALU_DEP_1)
	v_fmac_f32_e32 v7, v8, v5
	v_fma_f32 v3, -v3, v7, v6
	s_delay_alu instid0(VALU_DEP_1) | instskip(NEXT) | instid1(VALU_DEP_1)
	v_div_fmas_f32 v3, v3, v5, v7
	v_div_fixup_f32 v3, v3, v2, v42
	s_delay_alu instid0(VALU_DEP_1)
	v_cvt_f16_f32_e32 v3, v3
.LBB742_324:
	s_or_b32 exec_lo, exec_lo, s1
	v_add_co_u32 v0, vcc_lo, s36, v0
	v_add_co_ci_u32_e32 v1, vcc_lo, s37, v1, vcc_lo
	global_store_b16 v[0:1], v3, off
	s_and_b32 exec_lo, exec_lo, s33
	s_cbranch_execz .LBB742_418
; %bb.325:
	v_mov_b32_e32 v3, 0x7e00
	s_and_saveexec_b32 s1, s0
	s_cbranch_execz .LBB742_327
; %bb.326:
	v_div_scale_f32 v3, null, v2, v2, v4
	s_delay_alu instid0(VALU_DEP_1) | instskip(SKIP_2) | instid1(VALU_DEP_1)
	v_rcp_f32_e32 v5, v3
	s_waitcnt_depctr 0xfff
	v_fma_f32 v6, -v3, v5, 1.0
	v_fmac_f32_e32 v5, v6, v5
	v_div_scale_f32 v6, vcc_lo, v4, v2, v4
	s_delay_alu instid0(VALU_DEP_1) | instskip(NEXT) | instid1(VALU_DEP_1)
	v_mul_f32_e32 v7, v6, v5
	v_fma_f32 v8, -v3, v7, v6
	s_delay_alu instid0(VALU_DEP_1) | instskip(NEXT) | instid1(VALU_DEP_1)
	v_fmac_f32_e32 v7, v8, v5
	v_fma_f32 v3, -v3, v7, v6
	s_delay_alu instid0(VALU_DEP_1) | instskip(NEXT) | instid1(VALU_DEP_1)
	v_div_fmas_f32 v3, v3, v5, v7
	v_div_fixup_f32 v3, v3, v2, v4
	s_delay_alu instid0(VALU_DEP_1)
	v_cvt_f16_f32_e32 v3, v3
.LBB742_327:
	s_or_b32 exec_lo, exec_lo, s1
	global_store_b16 v[0:1], v3, off offset:128
	s_and_b32 exec_lo, exec_lo, s31
	s_cbranch_execz .LBB742_418
; %bb.328:
	v_mov_b32_e32 v3, 0x7e00
	s_and_saveexec_b32 s1, s0
	s_cbranch_execz .LBB742_330
; %bb.329:
	v_div_scale_f32 v3, null, v2, v2, v39
	s_delay_alu instid0(VALU_DEP_1) | instskip(SKIP_2) | instid1(VALU_DEP_1)
	v_rcp_f32_e32 v4, v3
	s_waitcnt_depctr 0xfff
	v_fma_f32 v5, -v3, v4, 1.0
	v_fmac_f32_e32 v4, v5, v4
	v_div_scale_f32 v5, vcc_lo, v39, v2, v39
	s_delay_alu instid0(VALU_DEP_1) | instskip(NEXT) | instid1(VALU_DEP_1)
	v_mul_f32_e32 v6, v5, v4
	v_fma_f32 v7, -v3, v6, v5
	s_delay_alu instid0(VALU_DEP_1) | instskip(NEXT) | instid1(VALU_DEP_1)
	v_fmac_f32_e32 v6, v7, v4
	v_fma_f32 v3, -v3, v6, v5
	s_delay_alu instid0(VALU_DEP_1) | instskip(NEXT) | instid1(VALU_DEP_1)
	v_div_fmas_f32 v3, v3, v4, v6
	v_div_fixup_f32 v3, v3, v2, v39
	s_delay_alu instid0(VALU_DEP_1)
	v_cvt_f16_f32_e32 v3, v3
.LBB742_330:
	s_or_b32 exec_lo, exec_lo, s1
	global_store_b16 v[0:1], v3, off offset:256
	s_and_b32 exec_lo, exec_lo, s30
	s_cbranch_execz .LBB742_418
; %bb.331:
	v_mov_b32_e32 v3, 0x7e00
	s_and_saveexec_b32 s1, s0
	s_cbranch_execz .LBB742_333
; %bb.332:
	v_div_scale_f32 v3, null, v2, v2, v38
	s_delay_alu instid0(VALU_DEP_1) | instskip(SKIP_2) | instid1(VALU_DEP_1)
	v_rcp_f32_e32 v4, v3
	s_waitcnt_depctr 0xfff
	v_fma_f32 v5, -v3, v4, 1.0
	v_fmac_f32_e32 v4, v5, v4
	v_div_scale_f32 v5, vcc_lo, v38, v2, v38
	s_delay_alu instid0(VALU_DEP_1) | instskip(NEXT) | instid1(VALU_DEP_1)
	v_mul_f32_e32 v6, v5, v4
	v_fma_f32 v7, -v3, v6, v5
	s_delay_alu instid0(VALU_DEP_1) | instskip(NEXT) | instid1(VALU_DEP_1)
	v_fmac_f32_e32 v6, v7, v4
	v_fma_f32 v3, -v3, v6, v5
	s_delay_alu instid0(VALU_DEP_1) | instskip(NEXT) | instid1(VALU_DEP_1)
	v_div_fmas_f32 v3, v3, v4, v6
	v_div_fixup_f32 v3, v3, v2, v38
	s_delay_alu instid0(VALU_DEP_1)
	v_cvt_f16_f32_e32 v3, v3
.LBB742_333:
	s_or_b32 exec_lo, exec_lo, s1
	global_store_b16 v[0:1], v3, off offset:384
	s_and_b32 exec_lo, exec_lo, s29
	s_cbranch_execz .LBB742_418
; %bb.334:
	v_mov_b32_e32 v3, 0x7e00
	s_and_saveexec_b32 s1, s0
	s_cbranch_execz .LBB742_336
; %bb.335:
	v_div_scale_f32 v3, null, v2, v2, v37
	s_delay_alu instid0(VALU_DEP_1) | instskip(SKIP_2) | instid1(VALU_DEP_1)
	v_rcp_f32_e32 v4, v3
	s_waitcnt_depctr 0xfff
	v_fma_f32 v5, -v3, v4, 1.0
	v_fmac_f32_e32 v4, v5, v4
	v_div_scale_f32 v5, vcc_lo, v37, v2, v37
	s_delay_alu instid0(VALU_DEP_1) | instskip(NEXT) | instid1(VALU_DEP_1)
	v_mul_f32_e32 v6, v5, v4
	v_fma_f32 v7, -v3, v6, v5
	s_delay_alu instid0(VALU_DEP_1) | instskip(NEXT) | instid1(VALU_DEP_1)
	v_fmac_f32_e32 v6, v7, v4
	v_fma_f32 v3, -v3, v6, v5
	s_delay_alu instid0(VALU_DEP_1) | instskip(NEXT) | instid1(VALU_DEP_1)
	v_div_fmas_f32 v3, v3, v4, v6
	v_div_fixup_f32 v3, v3, v2, v37
	s_delay_alu instid0(VALU_DEP_1)
	v_cvt_f16_f32_e32 v3, v3
.LBB742_336:
	s_or_b32 exec_lo, exec_lo, s1
	global_store_b16 v[0:1], v3, off offset:512
	s_and_b32 exec_lo, exec_lo, s28
	s_cbranch_execz .LBB742_418
; %bb.337:
	v_mov_b32_e32 v3, 0x7e00
	s_and_saveexec_b32 s1, s0
	s_cbranch_execz .LBB742_339
; %bb.338:
	v_div_scale_f32 v3, null, v2, v2, v36
	s_delay_alu instid0(VALU_DEP_1) | instskip(SKIP_2) | instid1(VALU_DEP_1)
	v_rcp_f32_e32 v4, v3
	s_waitcnt_depctr 0xfff
	v_fma_f32 v5, -v3, v4, 1.0
	v_fmac_f32_e32 v4, v5, v4
	v_div_scale_f32 v5, vcc_lo, v36, v2, v36
	s_delay_alu instid0(VALU_DEP_1) | instskip(NEXT) | instid1(VALU_DEP_1)
	v_mul_f32_e32 v6, v5, v4
	v_fma_f32 v7, -v3, v6, v5
	s_delay_alu instid0(VALU_DEP_1) | instskip(NEXT) | instid1(VALU_DEP_1)
	v_fmac_f32_e32 v6, v7, v4
	v_fma_f32 v3, -v3, v6, v5
	s_delay_alu instid0(VALU_DEP_1) | instskip(NEXT) | instid1(VALU_DEP_1)
	v_div_fmas_f32 v3, v3, v4, v6
	v_div_fixup_f32 v3, v3, v2, v36
	s_delay_alu instid0(VALU_DEP_1)
	v_cvt_f16_f32_e32 v3, v3
.LBB742_339:
	s_or_b32 exec_lo, exec_lo, s1
	global_store_b16 v[0:1], v3, off offset:640
	s_and_b32 exec_lo, exec_lo, s27
	s_cbranch_execz .LBB742_418
; %bb.340:
	v_mov_b32_e32 v3, 0x7e00
	s_and_saveexec_b32 s1, s0
	s_cbranch_execz .LBB742_342
; %bb.341:
	v_div_scale_f32 v3, null, v2, v2, v35
	s_delay_alu instid0(VALU_DEP_1) | instskip(SKIP_2) | instid1(VALU_DEP_1)
	v_rcp_f32_e32 v4, v3
	s_waitcnt_depctr 0xfff
	v_fma_f32 v5, -v3, v4, 1.0
	v_fmac_f32_e32 v4, v5, v4
	v_div_scale_f32 v5, vcc_lo, v35, v2, v35
	s_delay_alu instid0(VALU_DEP_1) | instskip(NEXT) | instid1(VALU_DEP_1)
	v_mul_f32_e32 v6, v5, v4
	v_fma_f32 v7, -v3, v6, v5
	s_delay_alu instid0(VALU_DEP_1) | instskip(NEXT) | instid1(VALU_DEP_1)
	v_fmac_f32_e32 v6, v7, v4
	v_fma_f32 v3, -v3, v6, v5
	s_delay_alu instid0(VALU_DEP_1) | instskip(NEXT) | instid1(VALU_DEP_1)
	v_div_fmas_f32 v3, v3, v4, v6
	v_div_fixup_f32 v3, v3, v2, v35
	s_delay_alu instid0(VALU_DEP_1)
	v_cvt_f16_f32_e32 v3, v3
.LBB742_342:
	s_or_b32 exec_lo, exec_lo, s1
	global_store_b16 v[0:1], v3, off offset:768
	s_and_b32 exec_lo, exec_lo, s26
	s_cbranch_execz .LBB742_418
; %bb.343:
	v_mov_b32_e32 v3, 0x7e00
	s_and_saveexec_b32 s1, s0
	s_cbranch_execz .LBB742_345
; %bb.344:
	v_div_scale_f32 v3, null, v2, v2, v34
	s_delay_alu instid0(VALU_DEP_1) | instskip(SKIP_2) | instid1(VALU_DEP_1)
	v_rcp_f32_e32 v4, v3
	s_waitcnt_depctr 0xfff
	v_fma_f32 v5, -v3, v4, 1.0
	v_fmac_f32_e32 v4, v5, v4
	v_div_scale_f32 v5, vcc_lo, v34, v2, v34
	s_delay_alu instid0(VALU_DEP_1) | instskip(NEXT) | instid1(VALU_DEP_1)
	v_mul_f32_e32 v6, v5, v4
	v_fma_f32 v7, -v3, v6, v5
	s_delay_alu instid0(VALU_DEP_1) | instskip(NEXT) | instid1(VALU_DEP_1)
	v_fmac_f32_e32 v6, v7, v4
	v_fma_f32 v3, -v3, v6, v5
	s_delay_alu instid0(VALU_DEP_1) | instskip(NEXT) | instid1(VALU_DEP_1)
	v_div_fmas_f32 v3, v3, v4, v6
	v_div_fixup_f32 v3, v3, v2, v34
	s_delay_alu instid0(VALU_DEP_1)
	v_cvt_f16_f32_e32 v3, v3
.LBB742_345:
	s_or_b32 exec_lo, exec_lo, s1
	global_store_b16 v[0:1], v3, off offset:896
	s_and_b32 exec_lo, exec_lo, s25
	s_cbranch_execz .LBB742_418
; %bb.346:
	v_mov_b32_e32 v3, 0x7e00
	s_and_saveexec_b32 s1, s0
	s_cbranch_execz .LBB742_348
; %bb.347:
	v_div_scale_f32 v3, null, v2, v2, v33
	s_delay_alu instid0(VALU_DEP_1) | instskip(SKIP_2) | instid1(VALU_DEP_1)
	v_rcp_f32_e32 v4, v3
	s_waitcnt_depctr 0xfff
	v_fma_f32 v5, -v3, v4, 1.0
	v_fmac_f32_e32 v4, v5, v4
	v_div_scale_f32 v5, vcc_lo, v33, v2, v33
	s_delay_alu instid0(VALU_DEP_1) | instskip(NEXT) | instid1(VALU_DEP_1)
	v_mul_f32_e32 v6, v5, v4
	v_fma_f32 v7, -v3, v6, v5
	s_delay_alu instid0(VALU_DEP_1) | instskip(NEXT) | instid1(VALU_DEP_1)
	v_fmac_f32_e32 v6, v7, v4
	v_fma_f32 v3, -v3, v6, v5
	s_delay_alu instid0(VALU_DEP_1) | instskip(NEXT) | instid1(VALU_DEP_1)
	v_div_fmas_f32 v3, v3, v4, v6
	v_div_fixup_f32 v3, v3, v2, v33
	s_delay_alu instid0(VALU_DEP_1)
	v_cvt_f16_f32_e32 v3, v3
.LBB742_348:
	s_or_b32 exec_lo, exec_lo, s1
	global_store_b16 v[0:1], v3, off offset:1024
	s_and_b32 exec_lo, exec_lo, s24
	s_cbranch_execz .LBB742_418
; %bb.349:
	v_mov_b32_e32 v3, 0x7e00
	s_and_saveexec_b32 s1, s0
	s_cbranch_execz .LBB742_351
; %bb.350:
	v_div_scale_f32 v3, null, v2, v2, v32
	s_delay_alu instid0(VALU_DEP_1) | instskip(SKIP_2) | instid1(VALU_DEP_1)
	v_rcp_f32_e32 v4, v3
	s_waitcnt_depctr 0xfff
	v_fma_f32 v5, -v3, v4, 1.0
	v_fmac_f32_e32 v4, v5, v4
	v_div_scale_f32 v5, vcc_lo, v32, v2, v32
	s_delay_alu instid0(VALU_DEP_1) | instskip(NEXT) | instid1(VALU_DEP_1)
	v_mul_f32_e32 v6, v5, v4
	v_fma_f32 v7, -v3, v6, v5
	s_delay_alu instid0(VALU_DEP_1) | instskip(NEXT) | instid1(VALU_DEP_1)
	v_fmac_f32_e32 v6, v7, v4
	v_fma_f32 v3, -v3, v6, v5
	s_delay_alu instid0(VALU_DEP_1) | instskip(NEXT) | instid1(VALU_DEP_1)
	v_div_fmas_f32 v3, v3, v4, v6
	v_div_fixup_f32 v3, v3, v2, v32
	s_delay_alu instid0(VALU_DEP_1)
	v_cvt_f16_f32_e32 v3, v3
.LBB742_351:
	s_or_b32 exec_lo, exec_lo, s1
	global_store_b16 v[0:1], v3, off offset:1152
	s_and_b32 exec_lo, exec_lo, s23
	s_cbranch_execz .LBB742_418
; %bb.352:
	v_mov_b32_e32 v3, 0x7e00
	s_and_saveexec_b32 s1, s0
	s_cbranch_execz .LBB742_354
; %bb.353:
	v_div_scale_f32 v3, null, v2, v2, v31
	s_delay_alu instid0(VALU_DEP_1) | instskip(SKIP_2) | instid1(VALU_DEP_1)
	v_rcp_f32_e32 v4, v3
	s_waitcnt_depctr 0xfff
	v_fma_f32 v5, -v3, v4, 1.0
	v_fmac_f32_e32 v4, v5, v4
	v_div_scale_f32 v5, vcc_lo, v31, v2, v31
	s_delay_alu instid0(VALU_DEP_1) | instskip(NEXT) | instid1(VALU_DEP_1)
	v_mul_f32_e32 v6, v5, v4
	v_fma_f32 v7, -v3, v6, v5
	s_delay_alu instid0(VALU_DEP_1) | instskip(NEXT) | instid1(VALU_DEP_1)
	v_fmac_f32_e32 v6, v7, v4
	v_fma_f32 v3, -v3, v6, v5
	s_delay_alu instid0(VALU_DEP_1) | instskip(NEXT) | instid1(VALU_DEP_1)
	v_div_fmas_f32 v3, v3, v4, v6
	v_div_fixup_f32 v3, v3, v2, v31
	s_delay_alu instid0(VALU_DEP_1)
	v_cvt_f16_f32_e32 v3, v3
.LBB742_354:
	s_or_b32 exec_lo, exec_lo, s1
	global_store_b16 v[0:1], v3, off offset:1280
	s_and_b32 exec_lo, exec_lo, s22
	s_cbranch_execz .LBB742_418
; %bb.355:
	v_mov_b32_e32 v3, 0x7e00
	s_and_saveexec_b32 s1, s0
	s_cbranch_execz .LBB742_357
; %bb.356:
	v_div_scale_f32 v3, null, v2, v2, v30
	s_delay_alu instid0(VALU_DEP_1) | instskip(SKIP_2) | instid1(VALU_DEP_1)
	v_rcp_f32_e32 v4, v3
	s_waitcnt_depctr 0xfff
	v_fma_f32 v5, -v3, v4, 1.0
	v_fmac_f32_e32 v4, v5, v4
	v_div_scale_f32 v5, vcc_lo, v30, v2, v30
	s_delay_alu instid0(VALU_DEP_1) | instskip(NEXT) | instid1(VALU_DEP_1)
	v_mul_f32_e32 v6, v5, v4
	v_fma_f32 v7, -v3, v6, v5
	s_delay_alu instid0(VALU_DEP_1) | instskip(NEXT) | instid1(VALU_DEP_1)
	v_fmac_f32_e32 v6, v7, v4
	v_fma_f32 v3, -v3, v6, v5
	s_delay_alu instid0(VALU_DEP_1) | instskip(NEXT) | instid1(VALU_DEP_1)
	v_div_fmas_f32 v3, v3, v4, v6
	v_div_fixup_f32 v3, v3, v2, v30
	s_delay_alu instid0(VALU_DEP_1)
	v_cvt_f16_f32_e32 v3, v3
.LBB742_357:
	s_or_b32 exec_lo, exec_lo, s1
	global_store_b16 v[0:1], v3, off offset:1408
	s_and_b32 exec_lo, exec_lo, s21
	s_cbranch_execz .LBB742_418
; %bb.358:
	v_mov_b32_e32 v3, 0x7e00
	s_and_saveexec_b32 s1, s0
	s_cbranch_execz .LBB742_360
; %bb.359:
	v_div_scale_f32 v3, null, v2, v2, v29
	s_delay_alu instid0(VALU_DEP_1) | instskip(SKIP_2) | instid1(VALU_DEP_1)
	v_rcp_f32_e32 v4, v3
	s_waitcnt_depctr 0xfff
	v_fma_f32 v5, -v3, v4, 1.0
	v_fmac_f32_e32 v4, v5, v4
	v_div_scale_f32 v5, vcc_lo, v29, v2, v29
	s_delay_alu instid0(VALU_DEP_1) | instskip(NEXT) | instid1(VALU_DEP_1)
	v_mul_f32_e32 v6, v5, v4
	v_fma_f32 v7, -v3, v6, v5
	s_delay_alu instid0(VALU_DEP_1) | instskip(NEXT) | instid1(VALU_DEP_1)
	v_fmac_f32_e32 v6, v7, v4
	v_fma_f32 v3, -v3, v6, v5
	s_delay_alu instid0(VALU_DEP_1) | instskip(NEXT) | instid1(VALU_DEP_1)
	v_div_fmas_f32 v3, v3, v4, v6
	v_div_fixup_f32 v3, v3, v2, v29
	s_delay_alu instid0(VALU_DEP_1)
	v_cvt_f16_f32_e32 v3, v3
.LBB742_360:
	s_or_b32 exec_lo, exec_lo, s1
	global_store_b16 v[0:1], v3, off offset:1536
	s_and_b32 exec_lo, exec_lo, s20
	s_cbranch_execz .LBB742_418
; %bb.361:
	v_mov_b32_e32 v3, 0x7e00
	s_and_saveexec_b32 s1, s0
	s_cbranch_execz .LBB742_363
; %bb.362:
	v_div_scale_f32 v3, null, v2, v2, v28
	s_delay_alu instid0(VALU_DEP_1) | instskip(SKIP_2) | instid1(VALU_DEP_1)
	v_rcp_f32_e32 v4, v3
	s_waitcnt_depctr 0xfff
	v_fma_f32 v5, -v3, v4, 1.0
	v_fmac_f32_e32 v4, v5, v4
	v_div_scale_f32 v5, vcc_lo, v28, v2, v28
	s_delay_alu instid0(VALU_DEP_1) | instskip(NEXT) | instid1(VALU_DEP_1)
	v_mul_f32_e32 v6, v5, v4
	v_fma_f32 v7, -v3, v6, v5
	s_delay_alu instid0(VALU_DEP_1) | instskip(NEXT) | instid1(VALU_DEP_1)
	v_fmac_f32_e32 v6, v7, v4
	v_fma_f32 v3, -v3, v6, v5
	s_delay_alu instid0(VALU_DEP_1) | instskip(NEXT) | instid1(VALU_DEP_1)
	v_div_fmas_f32 v3, v3, v4, v6
	v_div_fixup_f32 v3, v3, v2, v28
	s_delay_alu instid0(VALU_DEP_1)
	v_cvt_f16_f32_e32 v3, v3
.LBB742_363:
	s_or_b32 exec_lo, exec_lo, s1
	global_store_b16 v[0:1], v3, off offset:1664
	s_and_b32 exec_lo, exec_lo, s19
	s_cbranch_execz .LBB742_418
; %bb.364:
	v_mov_b32_e32 v3, 0x7e00
	s_and_saveexec_b32 s1, s0
	s_cbranch_execz .LBB742_366
; %bb.365:
	v_div_scale_f32 v3, null, v2, v2, v27
	s_delay_alu instid0(VALU_DEP_1) | instskip(SKIP_2) | instid1(VALU_DEP_1)
	v_rcp_f32_e32 v4, v3
	s_waitcnt_depctr 0xfff
	v_fma_f32 v5, -v3, v4, 1.0
	v_fmac_f32_e32 v4, v5, v4
	v_div_scale_f32 v5, vcc_lo, v27, v2, v27
	s_delay_alu instid0(VALU_DEP_1) | instskip(NEXT) | instid1(VALU_DEP_1)
	v_mul_f32_e32 v6, v5, v4
	v_fma_f32 v7, -v3, v6, v5
	s_delay_alu instid0(VALU_DEP_1) | instskip(NEXT) | instid1(VALU_DEP_1)
	v_fmac_f32_e32 v6, v7, v4
	v_fma_f32 v3, -v3, v6, v5
	s_delay_alu instid0(VALU_DEP_1) | instskip(NEXT) | instid1(VALU_DEP_1)
	v_div_fmas_f32 v3, v3, v4, v6
	v_div_fixup_f32 v3, v3, v2, v27
	s_delay_alu instid0(VALU_DEP_1)
	v_cvt_f16_f32_e32 v3, v3
.LBB742_366:
	s_or_b32 exec_lo, exec_lo, s1
	global_store_b16 v[0:1], v3, off offset:1792
	s_and_b32 exec_lo, exec_lo, s18
	s_cbranch_execz .LBB742_418
; %bb.367:
	v_mov_b32_e32 v3, 0x7e00
	s_and_saveexec_b32 s1, s0
	s_cbranch_execz .LBB742_369
; %bb.368:
	v_div_scale_f32 v3, null, v2, v2, v26
	s_delay_alu instid0(VALU_DEP_1) | instskip(SKIP_2) | instid1(VALU_DEP_1)
	v_rcp_f32_e32 v4, v3
	s_waitcnt_depctr 0xfff
	v_fma_f32 v5, -v3, v4, 1.0
	v_fmac_f32_e32 v4, v5, v4
	v_div_scale_f32 v5, vcc_lo, v26, v2, v26
	s_delay_alu instid0(VALU_DEP_1) | instskip(NEXT) | instid1(VALU_DEP_1)
	v_mul_f32_e32 v6, v5, v4
	v_fma_f32 v7, -v3, v6, v5
	s_delay_alu instid0(VALU_DEP_1) | instskip(NEXT) | instid1(VALU_DEP_1)
	v_fmac_f32_e32 v6, v7, v4
	v_fma_f32 v3, -v3, v6, v5
	s_delay_alu instid0(VALU_DEP_1) | instskip(NEXT) | instid1(VALU_DEP_1)
	v_div_fmas_f32 v3, v3, v4, v6
	v_div_fixup_f32 v3, v3, v2, v26
	s_delay_alu instid0(VALU_DEP_1)
	v_cvt_f16_f32_e32 v3, v3
.LBB742_369:
	s_or_b32 exec_lo, exec_lo, s1
	global_store_b16 v[0:1], v3, off offset:1920
	s_and_b32 exec_lo, exec_lo, s17
	s_cbranch_execz .LBB742_418
; %bb.370:
	v_mov_b32_e32 v3, 0x7e00
	s_and_saveexec_b32 s1, s0
	s_cbranch_execz .LBB742_372
; %bb.371:
	v_div_scale_f32 v3, null, v2, v2, v25
	s_delay_alu instid0(VALU_DEP_1) | instskip(SKIP_2) | instid1(VALU_DEP_1)
	v_rcp_f32_e32 v4, v3
	s_waitcnt_depctr 0xfff
	v_fma_f32 v5, -v3, v4, 1.0
	v_fmac_f32_e32 v4, v5, v4
	v_div_scale_f32 v5, vcc_lo, v25, v2, v25
	s_delay_alu instid0(VALU_DEP_1) | instskip(NEXT) | instid1(VALU_DEP_1)
	v_mul_f32_e32 v6, v5, v4
	v_fma_f32 v7, -v3, v6, v5
	s_delay_alu instid0(VALU_DEP_1) | instskip(NEXT) | instid1(VALU_DEP_1)
	v_fmac_f32_e32 v6, v7, v4
	v_fma_f32 v3, -v3, v6, v5
	s_delay_alu instid0(VALU_DEP_1) | instskip(NEXT) | instid1(VALU_DEP_1)
	v_div_fmas_f32 v3, v3, v4, v6
	v_div_fixup_f32 v3, v3, v2, v25
	s_delay_alu instid0(VALU_DEP_1)
	v_cvt_f16_f32_e32 v3, v3
.LBB742_372:
	s_or_b32 exec_lo, exec_lo, s1
	global_store_b16 v[0:1], v3, off offset:2048
	s_and_b32 exec_lo, exec_lo, s16
	s_cbranch_execz .LBB742_418
; %bb.373:
	v_mov_b32_e32 v3, 0x7e00
	s_and_saveexec_b32 s1, s0
	s_cbranch_execz .LBB742_375
; %bb.374:
	v_div_scale_f32 v3, null, v2, v2, v24
	s_delay_alu instid0(VALU_DEP_1) | instskip(SKIP_2) | instid1(VALU_DEP_1)
	v_rcp_f32_e32 v4, v3
	s_waitcnt_depctr 0xfff
	v_fma_f32 v5, -v3, v4, 1.0
	v_fmac_f32_e32 v4, v5, v4
	v_div_scale_f32 v5, vcc_lo, v24, v2, v24
	s_delay_alu instid0(VALU_DEP_1) | instskip(NEXT) | instid1(VALU_DEP_1)
	v_mul_f32_e32 v6, v5, v4
	v_fma_f32 v7, -v3, v6, v5
	s_delay_alu instid0(VALU_DEP_1) | instskip(NEXT) | instid1(VALU_DEP_1)
	v_fmac_f32_e32 v6, v7, v4
	v_fma_f32 v3, -v3, v6, v5
	s_delay_alu instid0(VALU_DEP_1) | instskip(NEXT) | instid1(VALU_DEP_1)
	v_div_fmas_f32 v3, v3, v4, v6
	v_div_fixup_f32 v3, v3, v2, v24
	s_delay_alu instid0(VALU_DEP_1)
	v_cvt_f16_f32_e32 v3, v3
.LBB742_375:
	s_or_b32 exec_lo, exec_lo, s1
	global_store_b16 v[0:1], v3, off offset:2176
	s_and_b32 exec_lo, exec_lo, s15
	s_cbranch_execz .LBB742_418
; %bb.376:
	v_mov_b32_e32 v3, 0x7e00
	s_and_saveexec_b32 s1, s0
	s_cbranch_execz .LBB742_378
; %bb.377:
	v_div_scale_f32 v3, null, v2, v2, v23
	s_delay_alu instid0(VALU_DEP_1) | instskip(SKIP_2) | instid1(VALU_DEP_1)
	v_rcp_f32_e32 v4, v3
	s_waitcnt_depctr 0xfff
	v_fma_f32 v5, -v3, v4, 1.0
	v_fmac_f32_e32 v4, v5, v4
	v_div_scale_f32 v5, vcc_lo, v23, v2, v23
	s_delay_alu instid0(VALU_DEP_1) | instskip(NEXT) | instid1(VALU_DEP_1)
	v_mul_f32_e32 v6, v5, v4
	v_fma_f32 v7, -v3, v6, v5
	s_delay_alu instid0(VALU_DEP_1) | instskip(NEXT) | instid1(VALU_DEP_1)
	v_fmac_f32_e32 v6, v7, v4
	v_fma_f32 v3, -v3, v6, v5
	s_delay_alu instid0(VALU_DEP_1) | instskip(NEXT) | instid1(VALU_DEP_1)
	v_div_fmas_f32 v3, v3, v4, v6
	v_div_fixup_f32 v3, v3, v2, v23
	s_delay_alu instid0(VALU_DEP_1)
	v_cvt_f16_f32_e32 v3, v3
.LBB742_378:
	s_or_b32 exec_lo, exec_lo, s1
	global_store_b16 v[0:1], v3, off offset:2304
	s_and_b32 exec_lo, exec_lo, s14
	s_cbranch_execz .LBB742_418
; %bb.379:
	v_mov_b32_e32 v3, 0x7e00
	s_and_saveexec_b32 s1, s0
	s_cbranch_execz .LBB742_381
; %bb.380:
	v_div_scale_f32 v3, null, v2, v2, v22
	s_delay_alu instid0(VALU_DEP_1) | instskip(SKIP_2) | instid1(VALU_DEP_1)
	v_rcp_f32_e32 v4, v3
	s_waitcnt_depctr 0xfff
	v_fma_f32 v5, -v3, v4, 1.0
	v_fmac_f32_e32 v4, v5, v4
	v_div_scale_f32 v5, vcc_lo, v22, v2, v22
	s_delay_alu instid0(VALU_DEP_1) | instskip(NEXT) | instid1(VALU_DEP_1)
	v_mul_f32_e32 v6, v5, v4
	v_fma_f32 v7, -v3, v6, v5
	s_delay_alu instid0(VALU_DEP_1) | instskip(NEXT) | instid1(VALU_DEP_1)
	v_fmac_f32_e32 v6, v7, v4
	v_fma_f32 v3, -v3, v6, v5
	s_delay_alu instid0(VALU_DEP_1) | instskip(NEXT) | instid1(VALU_DEP_1)
	v_div_fmas_f32 v3, v3, v4, v6
	v_div_fixup_f32 v3, v3, v2, v22
	s_delay_alu instid0(VALU_DEP_1)
	v_cvt_f16_f32_e32 v3, v3
.LBB742_381:
	s_or_b32 exec_lo, exec_lo, s1
	global_store_b16 v[0:1], v3, off offset:2432
	s_and_b32 exec_lo, exec_lo, s13
	s_cbranch_execz .LBB742_418
; %bb.382:
	v_mov_b32_e32 v3, 0x7e00
	s_and_saveexec_b32 s1, s0
	s_cbranch_execz .LBB742_384
; %bb.383:
	v_div_scale_f32 v3, null, v2, v2, v21
	s_delay_alu instid0(VALU_DEP_1) | instskip(SKIP_2) | instid1(VALU_DEP_1)
	v_rcp_f32_e32 v4, v3
	s_waitcnt_depctr 0xfff
	v_fma_f32 v5, -v3, v4, 1.0
	v_fmac_f32_e32 v4, v5, v4
	v_div_scale_f32 v5, vcc_lo, v21, v2, v21
	s_delay_alu instid0(VALU_DEP_1) | instskip(NEXT) | instid1(VALU_DEP_1)
	v_mul_f32_e32 v6, v5, v4
	v_fma_f32 v7, -v3, v6, v5
	s_delay_alu instid0(VALU_DEP_1) | instskip(NEXT) | instid1(VALU_DEP_1)
	v_fmac_f32_e32 v6, v7, v4
	v_fma_f32 v3, -v3, v6, v5
	s_delay_alu instid0(VALU_DEP_1) | instskip(NEXT) | instid1(VALU_DEP_1)
	v_div_fmas_f32 v3, v3, v4, v6
	v_div_fixup_f32 v3, v3, v2, v21
	s_delay_alu instid0(VALU_DEP_1)
	v_cvt_f16_f32_e32 v3, v3
.LBB742_384:
	s_or_b32 exec_lo, exec_lo, s1
	global_store_b16 v[0:1], v3, off offset:2560
	s_and_b32 exec_lo, exec_lo, s12
	s_cbranch_execz .LBB742_418
; %bb.385:
	v_mov_b32_e32 v3, 0x7e00
	s_and_saveexec_b32 s1, s0
	s_cbranch_execz .LBB742_387
; %bb.386:
	v_div_scale_f32 v3, null, v2, v2, v20
	s_delay_alu instid0(VALU_DEP_1) | instskip(SKIP_2) | instid1(VALU_DEP_1)
	v_rcp_f32_e32 v4, v3
	s_waitcnt_depctr 0xfff
	v_fma_f32 v5, -v3, v4, 1.0
	v_fmac_f32_e32 v4, v5, v4
	v_div_scale_f32 v5, vcc_lo, v20, v2, v20
	s_delay_alu instid0(VALU_DEP_1) | instskip(NEXT) | instid1(VALU_DEP_1)
	v_mul_f32_e32 v6, v5, v4
	v_fma_f32 v7, -v3, v6, v5
	s_delay_alu instid0(VALU_DEP_1) | instskip(NEXT) | instid1(VALU_DEP_1)
	v_fmac_f32_e32 v6, v7, v4
	v_fma_f32 v3, -v3, v6, v5
	s_delay_alu instid0(VALU_DEP_1) | instskip(NEXT) | instid1(VALU_DEP_1)
	v_div_fmas_f32 v3, v3, v4, v6
	v_div_fixup_f32 v3, v3, v2, v20
	s_delay_alu instid0(VALU_DEP_1)
	v_cvt_f16_f32_e32 v3, v3
.LBB742_387:
	s_or_b32 exec_lo, exec_lo, s1
	global_store_b16 v[0:1], v3, off offset:2688
	s_and_b32 exec_lo, exec_lo, s11
	s_cbranch_execz .LBB742_418
; %bb.388:
	v_mov_b32_e32 v3, 0x7e00
	s_and_saveexec_b32 s1, s0
	s_cbranch_execz .LBB742_390
; %bb.389:
	v_div_scale_f32 v3, null, v2, v2, v19
	s_delay_alu instid0(VALU_DEP_1) | instskip(SKIP_2) | instid1(VALU_DEP_1)
	v_rcp_f32_e32 v4, v3
	s_waitcnt_depctr 0xfff
	v_fma_f32 v5, -v3, v4, 1.0
	v_fmac_f32_e32 v4, v5, v4
	v_div_scale_f32 v5, vcc_lo, v19, v2, v19
	s_delay_alu instid0(VALU_DEP_1) | instskip(NEXT) | instid1(VALU_DEP_1)
	v_mul_f32_e32 v6, v5, v4
	v_fma_f32 v7, -v3, v6, v5
	s_delay_alu instid0(VALU_DEP_1) | instskip(NEXT) | instid1(VALU_DEP_1)
	v_fmac_f32_e32 v6, v7, v4
	v_fma_f32 v3, -v3, v6, v5
	s_delay_alu instid0(VALU_DEP_1) | instskip(NEXT) | instid1(VALU_DEP_1)
	v_div_fmas_f32 v3, v3, v4, v6
	v_div_fixup_f32 v3, v3, v2, v19
	s_delay_alu instid0(VALU_DEP_1)
	v_cvt_f16_f32_e32 v3, v3
.LBB742_390:
	s_or_b32 exec_lo, exec_lo, s1
	global_store_b16 v[0:1], v3, off offset:2816
	s_and_b32 exec_lo, exec_lo, s10
	s_cbranch_execz .LBB742_418
; %bb.391:
	v_mov_b32_e32 v3, 0x7e00
	s_and_saveexec_b32 s1, s0
	s_cbranch_execz .LBB742_393
; %bb.392:
	v_div_scale_f32 v3, null, v2, v2, v18
	s_delay_alu instid0(VALU_DEP_1) | instskip(SKIP_2) | instid1(VALU_DEP_1)
	v_rcp_f32_e32 v4, v3
	s_waitcnt_depctr 0xfff
	v_fma_f32 v5, -v3, v4, 1.0
	v_fmac_f32_e32 v4, v5, v4
	v_div_scale_f32 v5, vcc_lo, v18, v2, v18
	s_delay_alu instid0(VALU_DEP_1) | instskip(NEXT) | instid1(VALU_DEP_1)
	v_mul_f32_e32 v6, v5, v4
	v_fma_f32 v7, -v3, v6, v5
	s_delay_alu instid0(VALU_DEP_1) | instskip(NEXT) | instid1(VALU_DEP_1)
	v_fmac_f32_e32 v6, v7, v4
	v_fma_f32 v3, -v3, v6, v5
	s_delay_alu instid0(VALU_DEP_1) | instskip(NEXT) | instid1(VALU_DEP_1)
	v_div_fmas_f32 v3, v3, v4, v6
	v_div_fixup_f32 v3, v3, v2, v18
	s_delay_alu instid0(VALU_DEP_1)
	v_cvt_f16_f32_e32 v3, v3
.LBB742_393:
	s_or_b32 exec_lo, exec_lo, s1
	global_store_b16 v[0:1], v3, off offset:2944
	s_and_b32 exec_lo, exec_lo, s9
	s_cbranch_execz .LBB742_418
; %bb.394:
	v_mov_b32_e32 v3, 0x7e00
	s_and_saveexec_b32 s1, s0
	s_cbranch_execz .LBB742_396
; %bb.395:
	v_div_scale_f32 v3, null, v2, v2, v17
	s_delay_alu instid0(VALU_DEP_1) | instskip(SKIP_2) | instid1(VALU_DEP_1)
	v_rcp_f32_e32 v4, v3
	s_waitcnt_depctr 0xfff
	v_fma_f32 v5, -v3, v4, 1.0
	v_fmac_f32_e32 v4, v5, v4
	v_div_scale_f32 v5, vcc_lo, v17, v2, v17
	s_delay_alu instid0(VALU_DEP_1) | instskip(NEXT) | instid1(VALU_DEP_1)
	v_mul_f32_e32 v6, v5, v4
	v_fma_f32 v7, -v3, v6, v5
	s_delay_alu instid0(VALU_DEP_1) | instskip(NEXT) | instid1(VALU_DEP_1)
	v_fmac_f32_e32 v6, v7, v4
	v_fma_f32 v3, -v3, v6, v5
	s_delay_alu instid0(VALU_DEP_1) | instskip(NEXT) | instid1(VALU_DEP_1)
	v_div_fmas_f32 v3, v3, v4, v6
	v_div_fixup_f32 v3, v3, v2, v17
	s_delay_alu instid0(VALU_DEP_1)
	v_cvt_f16_f32_e32 v3, v3
.LBB742_396:
	s_or_b32 exec_lo, exec_lo, s1
	global_store_b16 v[0:1], v3, off offset:3072
	s_and_b32 exec_lo, exec_lo, s8
	s_cbranch_execz .LBB742_418
; %bb.397:
	v_mov_b32_e32 v3, 0x7e00
	s_and_saveexec_b32 s1, s0
	s_cbranch_execz .LBB742_399
; %bb.398:
	v_div_scale_f32 v3, null, v2, v2, v16
	s_delay_alu instid0(VALU_DEP_1) | instskip(SKIP_2) | instid1(VALU_DEP_1)
	v_rcp_f32_e32 v4, v3
	s_waitcnt_depctr 0xfff
	v_fma_f32 v5, -v3, v4, 1.0
	v_fmac_f32_e32 v4, v5, v4
	v_div_scale_f32 v5, vcc_lo, v16, v2, v16
	s_delay_alu instid0(VALU_DEP_1) | instskip(NEXT) | instid1(VALU_DEP_1)
	v_mul_f32_e32 v6, v5, v4
	v_fma_f32 v7, -v3, v6, v5
	s_delay_alu instid0(VALU_DEP_1) | instskip(NEXT) | instid1(VALU_DEP_1)
	v_fmac_f32_e32 v6, v7, v4
	v_fma_f32 v3, -v3, v6, v5
	s_delay_alu instid0(VALU_DEP_1) | instskip(NEXT) | instid1(VALU_DEP_1)
	v_div_fmas_f32 v3, v3, v4, v6
	v_div_fixup_f32 v3, v3, v2, v16
	s_delay_alu instid0(VALU_DEP_1)
	v_cvt_f16_f32_e32 v3, v3
.LBB742_399:
	s_or_b32 exec_lo, exec_lo, s1
	global_store_b16 v[0:1], v3, off offset:3200
	s_and_b32 exec_lo, exec_lo, s7
	s_cbranch_execz .LBB742_418
; %bb.400:
	v_mov_b32_e32 v3, 0x7e00
	s_and_saveexec_b32 s1, s0
	s_cbranch_execz .LBB742_402
; %bb.401:
	v_div_scale_f32 v3, null, v2, v2, v15
	s_delay_alu instid0(VALU_DEP_1) | instskip(SKIP_2) | instid1(VALU_DEP_1)
	v_rcp_f32_e32 v4, v3
	s_waitcnt_depctr 0xfff
	v_fma_f32 v5, -v3, v4, 1.0
	v_fmac_f32_e32 v4, v5, v4
	v_div_scale_f32 v5, vcc_lo, v15, v2, v15
	s_delay_alu instid0(VALU_DEP_1) | instskip(NEXT) | instid1(VALU_DEP_1)
	v_mul_f32_e32 v6, v5, v4
	v_fma_f32 v7, -v3, v6, v5
	s_delay_alu instid0(VALU_DEP_1) | instskip(NEXT) | instid1(VALU_DEP_1)
	v_fmac_f32_e32 v6, v7, v4
	v_fma_f32 v3, -v3, v6, v5
	s_delay_alu instid0(VALU_DEP_1) | instskip(NEXT) | instid1(VALU_DEP_1)
	v_div_fmas_f32 v3, v3, v4, v6
	v_div_fixup_f32 v3, v3, v2, v15
	s_delay_alu instid0(VALU_DEP_1)
	v_cvt_f16_f32_e32 v3, v3
.LBB742_402:
	s_or_b32 exec_lo, exec_lo, s1
	global_store_b16 v[0:1], v3, off offset:3328
	s_and_b32 exec_lo, exec_lo, s6
	s_cbranch_execz .LBB742_418
; %bb.403:
	v_mov_b32_e32 v3, 0x7e00
	s_and_saveexec_b32 s1, s0
	s_cbranch_execz .LBB742_405
; %bb.404:
	v_div_scale_f32 v3, null, v2, v2, v14
	s_delay_alu instid0(VALU_DEP_1) | instskip(SKIP_2) | instid1(VALU_DEP_1)
	v_rcp_f32_e32 v4, v3
	s_waitcnt_depctr 0xfff
	v_fma_f32 v5, -v3, v4, 1.0
	v_fmac_f32_e32 v4, v5, v4
	v_div_scale_f32 v5, vcc_lo, v14, v2, v14
	s_delay_alu instid0(VALU_DEP_1) | instskip(NEXT) | instid1(VALU_DEP_1)
	v_mul_f32_e32 v6, v5, v4
	v_fma_f32 v7, -v3, v6, v5
	s_delay_alu instid0(VALU_DEP_1) | instskip(NEXT) | instid1(VALU_DEP_1)
	v_fmac_f32_e32 v6, v7, v4
	v_fma_f32 v3, -v3, v6, v5
	s_delay_alu instid0(VALU_DEP_1) | instskip(NEXT) | instid1(VALU_DEP_1)
	v_div_fmas_f32 v3, v3, v4, v6
	v_div_fixup_f32 v3, v3, v2, v14
	s_delay_alu instid0(VALU_DEP_1)
	v_cvt_f16_f32_e32 v3, v3
.LBB742_405:
	s_or_b32 exec_lo, exec_lo, s1
	global_store_b16 v[0:1], v3, off offset:3456
	s_and_b32 exec_lo, exec_lo, s5
	s_cbranch_execz .LBB742_418
; %bb.406:
	v_mov_b32_e32 v3, 0x7e00
	s_and_saveexec_b32 s1, s0
	s_cbranch_execz .LBB742_408
; %bb.407:
	v_div_scale_f32 v3, null, v2, v2, v13
	s_delay_alu instid0(VALU_DEP_1) | instskip(SKIP_2) | instid1(VALU_DEP_1)
	v_rcp_f32_e32 v4, v3
	s_waitcnt_depctr 0xfff
	v_fma_f32 v5, -v3, v4, 1.0
	v_fmac_f32_e32 v4, v5, v4
	v_div_scale_f32 v5, vcc_lo, v13, v2, v13
	s_delay_alu instid0(VALU_DEP_1) | instskip(NEXT) | instid1(VALU_DEP_1)
	v_mul_f32_e32 v6, v5, v4
	v_fma_f32 v7, -v3, v6, v5
	s_delay_alu instid0(VALU_DEP_1) | instskip(NEXT) | instid1(VALU_DEP_1)
	v_fmac_f32_e32 v6, v7, v4
	v_fma_f32 v3, -v3, v6, v5
	s_delay_alu instid0(VALU_DEP_1) | instskip(NEXT) | instid1(VALU_DEP_1)
	v_div_fmas_f32 v3, v3, v4, v6
	v_div_fixup_f32 v3, v3, v2, v13
	s_delay_alu instid0(VALU_DEP_1)
	v_cvt_f16_f32_e32 v3, v3
.LBB742_408:
	s_or_b32 exec_lo, exec_lo, s1
	global_store_b16 v[0:1], v3, off offset:3584
	s_and_b32 exec_lo, exec_lo, s4
	s_cbranch_execz .LBB742_418
; %bb.409:
	v_mov_b32_e32 v3, 0x7e00
	s_and_saveexec_b32 s1, s0
	s_cbranch_execz .LBB742_411
; %bb.410:
	v_div_scale_f32 v3, null, v2, v2, v12
	s_delay_alu instid0(VALU_DEP_1) | instskip(SKIP_2) | instid1(VALU_DEP_1)
	v_rcp_f32_e32 v4, v3
	s_waitcnt_depctr 0xfff
	v_fma_f32 v5, -v3, v4, 1.0
	v_fmac_f32_e32 v4, v5, v4
	v_div_scale_f32 v5, vcc_lo, v12, v2, v12
	s_delay_alu instid0(VALU_DEP_1) | instskip(NEXT) | instid1(VALU_DEP_1)
	v_mul_f32_e32 v6, v5, v4
	v_fma_f32 v7, -v3, v6, v5
	s_delay_alu instid0(VALU_DEP_1) | instskip(NEXT) | instid1(VALU_DEP_1)
	v_fmac_f32_e32 v6, v7, v4
	v_fma_f32 v3, -v3, v6, v5
	s_delay_alu instid0(VALU_DEP_1) | instskip(NEXT) | instid1(VALU_DEP_1)
	v_div_fmas_f32 v3, v3, v4, v6
	v_div_fixup_f32 v3, v3, v2, v12
	s_delay_alu instid0(VALU_DEP_1)
	v_cvt_f16_f32_e32 v3, v3
.LBB742_411:
	s_or_b32 exec_lo, exec_lo, s1
	global_store_b16 v[0:1], v3, off offset:3712
	s_and_b32 exec_lo, exec_lo, s3
	s_cbranch_execz .LBB742_418
; %bb.412:
	v_mov_b32_e32 v3, 0x7e00
	s_and_saveexec_b32 s1, s0
	s_cbranch_execz .LBB742_414
; %bb.413:
	v_div_scale_f32 v3, null, v2, v2, v11
	s_delay_alu instid0(VALU_DEP_1) | instskip(SKIP_2) | instid1(VALU_DEP_1)
	v_rcp_f32_e32 v4, v3
	s_waitcnt_depctr 0xfff
	v_fma_f32 v5, -v3, v4, 1.0
	v_fmac_f32_e32 v4, v5, v4
	v_div_scale_f32 v5, vcc_lo, v11, v2, v11
	s_delay_alu instid0(VALU_DEP_1) | instskip(NEXT) | instid1(VALU_DEP_1)
	v_mul_f32_e32 v6, v5, v4
	v_fma_f32 v7, -v3, v6, v5
	s_delay_alu instid0(VALU_DEP_1) | instskip(NEXT) | instid1(VALU_DEP_1)
	v_fmac_f32_e32 v6, v7, v4
	v_fma_f32 v3, -v3, v6, v5
	s_delay_alu instid0(VALU_DEP_1) | instskip(NEXT) | instid1(VALU_DEP_1)
	v_div_fmas_f32 v3, v3, v4, v6
	v_div_fixup_f32 v3, v3, v2, v11
	s_delay_alu instid0(VALU_DEP_1)
	v_cvt_f16_f32_e32 v3, v3
.LBB742_414:
	s_or_b32 exec_lo, exec_lo, s1
	global_store_b16 v[0:1], v3, off offset:3840
	s_and_b32 exec_lo, exec_lo, s2
	s_cbranch_execz .LBB742_418
; %bb.415:
	v_mov_b32_e32 v3, 0x7e00
	s_and_saveexec_b32 s1, s0
	s_cbranch_execz .LBB742_417
; %bb.416:
	v_div_scale_f32 v3, null, v2, v2, v10
	s_delay_alu instid0(VALU_DEP_1) | instskip(SKIP_2) | instid1(VALU_DEP_1)
	v_rcp_f32_e32 v4, v3
	s_waitcnt_depctr 0xfff
	v_fma_f32 v5, -v3, v4, 1.0
	v_fmac_f32_e32 v4, v5, v4
	v_div_scale_f32 v5, vcc_lo, v10, v2, v10
	s_delay_alu instid0(VALU_DEP_1) | instskip(NEXT) | instid1(VALU_DEP_1)
	v_mul_f32_e32 v6, v5, v4
	v_fma_f32 v7, -v3, v6, v5
	s_delay_alu instid0(VALU_DEP_1) | instskip(NEXT) | instid1(VALU_DEP_1)
	v_fmac_f32_e32 v6, v7, v4
	v_fma_f32 v3, -v3, v6, v5
	s_delay_alu instid0(VALU_DEP_1) | instskip(NEXT) | instid1(VALU_DEP_1)
	v_div_fmas_f32 v3, v3, v4, v6
	v_div_fixup_f32 v2, v3, v2, v10
	s_delay_alu instid0(VALU_DEP_1)
	v_cvt_f16_f32_e32 v3, v2
.LBB742_417:
	s_or_b32 exec_lo, exec_lo, s1
	global_store_b16 v[0:1], v3, off offset:3968
.LBB742_418:
	s_nop 0
	s_sendmsg sendmsg(MSG_DEALLOC_VGPRS)
	s_endpgm
	.section	.rodata,"a",@progbits
	.p2align	6, 0x0
	.amdhsa_kernel _ZN12_GLOBAL__N_120softmax_warp_forwardIN3c104HalfES2_fLi11ELb0ELb1ELi64EEEvPT0_PKT_iiiPKbib
		.amdhsa_group_segment_fixed_size 0
		.amdhsa_private_segment_fixed_size 0
		.amdhsa_kernarg_size 304
		.amdhsa_user_sgpr_count 15
		.amdhsa_user_sgpr_dispatch_ptr 0
		.amdhsa_user_sgpr_queue_ptr 0
		.amdhsa_user_sgpr_kernarg_segment_ptr 1
		.amdhsa_user_sgpr_dispatch_id 0
		.amdhsa_user_sgpr_private_segment_size 0
		.amdhsa_wavefront_size32 1
		.amdhsa_uses_dynamic_stack 0
		.amdhsa_enable_private_segment 0
		.amdhsa_system_sgpr_workgroup_id_x 1
		.amdhsa_system_sgpr_workgroup_id_y 0
		.amdhsa_system_sgpr_workgroup_id_z 0
		.amdhsa_system_sgpr_workgroup_info 0
		.amdhsa_system_vgpr_workitem_id 1
		.amdhsa_next_free_vgpr 49
		.amdhsa_next_free_sgpr 71
		.amdhsa_reserve_vcc 1
		.amdhsa_float_round_mode_32 0
		.amdhsa_float_round_mode_16_64 0
		.amdhsa_float_denorm_mode_32 3
		.amdhsa_float_denorm_mode_16_64 3
		.amdhsa_dx10_clamp 1
		.amdhsa_ieee_mode 1
		.amdhsa_fp16_overflow 0
		.amdhsa_workgroup_processor_mode 1
		.amdhsa_memory_ordered 1
		.amdhsa_forward_progress 0
		.amdhsa_shared_vgpr_count 0
		.amdhsa_exception_fp_ieee_invalid_op 0
		.amdhsa_exception_fp_denorm_src 0
		.amdhsa_exception_fp_ieee_div_zero 0
		.amdhsa_exception_fp_ieee_overflow 0
		.amdhsa_exception_fp_ieee_underflow 0
		.amdhsa_exception_fp_ieee_inexact 0
		.amdhsa_exception_int_div_zero 0
	.end_amdhsa_kernel
	.section	.text._ZN12_GLOBAL__N_120softmax_warp_forwardIN3c104HalfES2_fLi11ELb0ELb1ELi64EEEvPT0_PKT_iiiPKbib,"axG",@progbits,_ZN12_GLOBAL__N_120softmax_warp_forwardIN3c104HalfES2_fLi11ELb0ELb1ELi64EEEvPT0_PKT_iiiPKbib,comdat
.Lfunc_end742:
	.size	_ZN12_GLOBAL__N_120softmax_warp_forwardIN3c104HalfES2_fLi11ELb0ELb1ELi64EEEvPT0_PKT_iiiPKbib, .Lfunc_end742-_ZN12_GLOBAL__N_120softmax_warp_forwardIN3c104HalfES2_fLi11ELb0ELb1ELi64EEEvPT0_PKT_iiiPKbib
                                        ; -- End function
	.section	.AMDGPU.csdata,"",@progbits
; Kernel info:
; codeLenInByte = 17216
; NumSgprs: 73
; NumVgprs: 49
; ScratchSize: 0
; MemoryBound: 0
; FloatMode: 240
; IeeeMode: 1
; LDSByteSize: 0 bytes/workgroup (compile time only)
; SGPRBlocks: 9
; VGPRBlocks: 6
; NumSGPRsForWavesPerEU: 73
; NumVGPRsForWavesPerEU: 49
; Occupancy: 16
; WaveLimiterHint : 0
; COMPUTE_PGM_RSRC2:SCRATCH_EN: 0
; COMPUTE_PGM_RSRC2:USER_SGPR: 15
; COMPUTE_PGM_RSRC2:TRAP_HANDLER: 0
; COMPUTE_PGM_RSRC2:TGID_X_EN: 1
; COMPUTE_PGM_RSRC2:TGID_Y_EN: 0
; COMPUTE_PGM_RSRC2:TGID_Z_EN: 0
; COMPUTE_PGM_RSRC2:TIDIG_COMP_CNT: 1
	.section	.text._ZN12_GLOBAL__N_120softmax_warp_forwardIN3c104HalfES2_fLi11ELb0ELb1ELi32EEEvPT0_PKT_iiiPKbib,"axG",@progbits,_ZN12_GLOBAL__N_120softmax_warp_forwardIN3c104HalfES2_fLi11ELb0ELb1ELi32EEEvPT0_PKT_iiiPKbib,comdat
	.globl	_ZN12_GLOBAL__N_120softmax_warp_forwardIN3c104HalfES2_fLi11ELb0ELb1ELi32EEEvPT0_PKT_iiiPKbib ; -- Begin function _ZN12_GLOBAL__N_120softmax_warp_forwardIN3c104HalfES2_fLi11ELb0ELb1ELi32EEEvPT0_PKT_iiiPKbib
	.p2align	8
	.type	_ZN12_GLOBAL__N_120softmax_warp_forwardIN3c104HalfES2_fLi11ELb0ELb1ELi32EEEvPT0_PKT_iiiPKbib,@function
_ZN12_GLOBAL__N_120softmax_warp_forwardIN3c104HalfES2_fLi11ELb0ELb1ELi32EEEvPT0_PKT_iiiPKbib: ; @_ZN12_GLOBAL__N_120softmax_warp_forwardIN3c104HalfES2_fLi11ELb0ELb1ELi32EEEvPT0_PKT_iiiPKbib
; %bb.0:
	s_clause 0x1
	s_load_b32 s2, s[0:1], 0x3c
	s_load_b128 s[72:75], s[0:1], 0x10
	v_bfe_u32 v3, v0, 10, 10
	s_waitcnt lgkmcnt(0)
	s_lshr_b32 s2, s2, 16
	s_delay_alu instid0(VALU_DEP_1) | instid1(SALU_CYCLE_1)
	v_mad_u64_u32 v[1:2], null, s15, s2, v[3:4]
	s_load_b64 s[2:3], s[0:1], 0x28
	v_and_b32_e32 v2, 0x3ff, v0
	s_delay_alu instid0(VALU_DEP_2) | instskip(NEXT) | instid1(VALU_DEP_1)
	v_mul_lo_u32 v7, v1, s73
	v_add_nc_u32_e32 v5, v7, v2
	s_delay_alu instid0(VALU_DEP_1) | instskip(SKIP_3) | instid1(VALU_DEP_2)
	v_ashrrev_i32_e32 v6, 31, v5
	v_mov_b32_e32 v3, v5
	s_waitcnt lgkmcnt(0)
	s_bitcmp0_b32 s3, 0
	v_mov_b32_e32 v4, v6
	s_cbranch_scc1 .LBB743_2
; %bb.1:
	s_abs_i32 s3, s2
	v_sub_nc_u32_e32 v4, 0, v7
	v_cvt_f32_u32_e32 v0, s3
	s_sub_i32 s4, 0, s3
	s_delay_alu instid0(VALU_DEP_2) | instskip(NEXT) | instid1(VALU_DEP_2)
	v_max_i32_e32 v4, v7, v4
	v_rcp_iflag_f32_e32 v0, v0
	s_waitcnt_depctr 0xfff
	v_mul_f32_e32 v0, 0x4f7ffffe, v0
	s_delay_alu instid0(VALU_DEP_1) | instskip(NEXT) | instid1(VALU_DEP_1)
	v_cvt_u32_f32_e32 v0, v0
	v_mul_lo_u32 v3, s4, v0
	s_delay_alu instid0(VALU_DEP_1) | instskip(NEXT) | instid1(VALU_DEP_1)
	v_mul_hi_u32 v3, v0, v3
	v_add_nc_u32_e32 v0, v0, v3
	s_delay_alu instid0(VALU_DEP_1) | instskip(NEXT) | instid1(VALU_DEP_1)
	v_mul_hi_u32 v0, v4, v0
	v_mul_lo_u32 v3, v0, s3
	s_delay_alu instid0(VALU_DEP_1) | instskip(SKIP_1) | instid1(VALU_DEP_2)
	v_sub_nc_u32_e32 v3, v4, v3
	v_add_nc_u32_e32 v4, 1, v0
	v_subrev_nc_u32_e32 v8, s3, v3
	v_cmp_le_u32_e32 vcc_lo, s3, v3
	s_delay_alu instid0(VALU_DEP_2) | instskip(NEXT) | instid1(VALU_DEP_4)
	v_cndmask_b32_e32 v3, v3, v8, vcc_lo
	v_cndmask_b32_e32 v0, v0, v4, vcc_lo
	v_xor_b32_e32 v4, s2, v7
	s_delay_alu instid0(VALU_DEP_3) | instskip(NEXT) | instid1(VALU_DEP_3)
	v_cmp_le_u32_e32 vcc_lo, s3, v3
	v_add_nc_u32_e32 v7, 1, v0
	s_delay_alu instid0(VALU_DEP_3) | instskip(NEXT) | instid1(VALU_DEP_2)
	v_ashrrev_i32_e32 v4, 31, v4
	v_cndmask_b32_e32 v0, v0, v7, vcc_lo
	s_delay_alu instid0(VALU_DEP_1) | instskip(NEXT) | instid1(VALU_DEP_1)
	v_xor_b32_e32 v0, v0, v4
	v_sub_nc_u32_e32 v0, v0, v4
	s_delay_alu instid0(VALU_DEP_1) | instskip(NEXT) | instid1(VALU_DEP_1)
	v_mad_u64_u32 v[3:4], null, v0, s73, v[2:3]
	v_ashrrev_i32_e32 v4, 31, v3
.LBB743_2:
	s_load_b128 s[4:7], s[0:1], 0x0
	v_sub_nc_u32_e32 v7, s72, v1
	v_lshlrev_b64 v[0:1], 1, v[5:6]
                                        ; implicit-def: $vgpr80 : SGPR spill to VGPR lane
	v_cmp_gt_i32_e32 vcc_lo, s74, v2
	v_dual_mov_b32 v70, 0xff800000 :: v_dual_mov_b32 v71, 0xff800000
	s_delay_alu instid0(VALU_DEP_4) | instskip(NEXT) | instid1(VALU_DEP_1)
	v_cmp_lt_i32_e64 s66, 0, v7
	s_and_b32 s26, s66, vcc_lo
	s_waitcnt lgkmcnt(0)
	v_add_co_u32 v5, s2, s6, v0
	v_writelane_b32 v80, s4, 0
	v_add_co_ci_u32_e64 v6, s2, s7, v1, s2
	v_writelane_b32 v80, s5, 1
	v_writelane_b32 v80, s6, 2
	;; [unrolled: 1-line block ×3, first 2 shown]
	s_and_saveexec_b32 s2, s26
	s_cbranch_execz .LBB743_4
; %bb.3:
	global_load_u16 v8, v[5:6], off
	s_waitcnt vmcnt(0)
	v_cvt_f32_f16_e32 v71, v8
.LBB743_4:
	s_or_b32 exec_lo, exec_lo, s2
	v_add_nc_u32_e32 v8, 32, v2
	s_delay_alu instid0(VALU_DEP_1) | instskip(NEXT) | instid1(VALU_DEP_1)
	v_cmp_gt_i32_e64 s65, s74, v8
	s_and_b32 s25, s66, s65
	s_delay_alu instid0(SALU_CYCLE_1)
	s_and_saveexec_b32 s2, s25
	s_cbranch_execz .LBB743_6
; %bb.5:
	global_load_u16 v8, v[5:6], off offset:64
	s_waitcnt vmcnt(0)
	v_cvt_f32_f16_e32 v70, v8
.LBB743_6:
	s_or_b32 exec_lo, exec_lo, s2
	v_dual_mov_b32 v69, 0xff800000 :: v_dual_add_nc_u32 v8, 64, v2
	v_mov_b32_e32 v68, 0xff800000
	s_delay_alu instid0(VALU_DEP_2) | instskip(NEXT) | instid1(VALU_DEP_1)
	v_cmp_gt_i32_e64 s64, s74, v8
	s_and_b32 s24, s66, s64
	s_delay_alu instid0(SALU_CYCLE_1)
	s_and_saveexec_b32 s2, s24
	s_cbranch_execz .LBB743_8
; %bb.7:
	global_load_u16 v8, v[5:6], off offset:128
	s_waitcnt vmcnt(0)
	v_cvt_f32_f16_e32 v69, v8
.LBB743_8:
	s_or_b32 exec_lo, exec_lo, s2
	v_add_nc_u32_e32 v8, 0x60, v2
	s_delay_alu instid0(VALU_DEP_1) | instskip(NEXT) | instid1(VALU_DEP_1)
	v_cmp_gt_i32_e64 s63, s74, v8
	s_and_b32 s23, s66, s63
	s_delay_alu instid0(SALU_CYCLE_1)
	s_and_saveexec_b32 s2, s23
	s_cbranch_execz .LBB743_10
; %bb.9:
	global_load_u16 v8, v[5:6], off offset:192
	s_waitcnt vmcnt(0)
	v_cvt_f32_f16_e32 v68, v8
.LBB743_10:
	s_or_b32 exec_lo, exec_lo, s2
	v_add_nc_u32_e32 v8, 0x80, v2
	v_dual_mov_b32 v66, 0xff800000 :: v_dual_mov_b32 v67, 0xff800000
	s_delay_alu instid0(VALU_DEP_2) | instskip(NEXT) | instid1(VALU_DEP_1)
	v_cmp_gt_i32_e64 s62, s74, v8
	s_and_b32 s22, s66, s62
	s_delay_alu instid0(SALU_CYCLE_1)
	s_and_saveexec_b32 s2, s22
	s_cbranch_execz .LBB743_12
; %bb.11:
	global_load_u16 v8, v[5:6], off offset:256
	s_waitcnt vmcnt(0)
	v_cvt_f32_f16_e32 v67, v8
.LBB743_12:
	s_or_b32 exec_lo, exec_lo, s2
	v_add_nc_u32_e32 v8, 0xa0, v2
	s_delay_alu instid0(VALU_DEP_1) | instskip(NEXT) | instid1(VALU_DEP_1)
	v_cmp_gt_i32_e64 s61, s74, v8
	s_and_b32 s21, s66, s61
	s_delay_alu instid0(SALU_CYCLE_1)
	s_and_saveexec_b32 s2, s21
	s_cbranch_execz .LBB743_14
; %bb.13:
	global_load_u16 v8, v[5:6], off offset:320
	s_waitcnt vmcnt(0)
	v_cvt_f32_f16_e32 v66, v8
.LBB743_14:
	s_or_b32 exec_lo, exec_lo, s2
	v_add_nc_u32_e32 v8, 0xc0, v2
	v_dual_mov_b32 v64, 0xff800000 :: v_dual_mov_b32 v65, 0xff800000
	;; [unrolled: 27-line block ×12, first 2 shown]
	s_delay_alu instid0(VALU_DEP_2) | instskip(NEXT) | instid1(VALU_DEP_1)
	v_cmp_gt_i32_e64 s40, s74, v8
	s_and_b32 s2, s66, s40
	s_delay_alu instid0(SALU_CYCLE_1)
	s_and_saveexec_b32 s27, s2
	s_cbranch_execz .LBB743_56
; %bb.55:
	global_load_u16 v8, v[5:6], off offset:1664
	s_waitcnt vmcnt(0)
	v_cvt_f32_f16_e32 v45, v8
.LBB743_56:
	s_or_b32 exec_lo, exec_lo, s27
	v_add_nc_u32_e32 v8, 0x360, v2
	s_delay_alu instid0(VALU_DEP_1) | instskip(NEXT) | instid1(VALU_DEP_1)
	v_cmp_gt_i32_e64 s39, s74, v8
	s_and_b32 vcc_hi, s66, s39
	s_delay_alu instid0(SALU_CYCLE_1)
	s_and_saveexec_b32 s27, vcc_hi
	s_cbranch_execz .LBB743_58
; %bb.57:
	global_load_u16 v8, v[5:6], off offset:1728
	s_waitcnt vmcnt(0)
	v_cvt_f32_f16_e32 v44, v8
.LBB743_58:
	s_or_b32 exec_lo, exec_lo, s27
	v_add_nc_u32_e32 v8, 0x380, v2
	v_dual_mov_b32 v42, 0xff800000 :: v_dual_mov_b32 v43, 0xff800000
	s_delay_alu instid0(VALU_DEP_2) | instskip(NEXT) | instid1(VALU_DEP_1)
	v_cmp_gt_i32_e64 s38, s74, v8
	s_and_b32 s104, s66, s38
	s_delay_alu instid0(SALU_CYCLE_1)
	s_and_saveexec_b32 s27, s104
	s_cbranch_execz .LBB743_60
; %bb.59:
	global_load_u16 v8, v[5:6], off offset:1792
	s_waitcnt vmcnt(0)
	v_cvt_f32_f16_e32 v43, v8
.LBB743_60:
	s_or_b32 exec_lo, exec_lo, s27
	v_add_nc_u32_e32 v8, 0x3a0, v2
	s_delay_alu instid0(VALU_DEP_1) | instskip(NEXT) | instid1(VALU_DEP_1)
	v_cmp_gt_i32_e64 s37, s74, v8
	s_and_b32 s103, s66, s37
	s_delay_alu instid0(SALU_CYCLE_1)
	s_and_saveexec_b32 s27, s103
	s_cbranch_execz .LBB743_62
; %bb.61:
	global_load_u16 v8, v[5:6], off offset:1856
	s_waitcnt vmcnt(0)
	v_cvt_f32_f16_e32 v42, v8
.LBB743_62:
	s_or_b32 exec_lo, exec_lo, s27
	v_add_nc_u32_e32 v8, 0x3c0, v2
	v_dual_mov_b32 v40, 0xff800000 :: v_dual_mov_b32 v41, 0xff800000
	s_delay_alu instid0(VALU_DEP_2) | instskip(NEXT) | instid1(VALU_DEP_1)
	v_cmp_gt_i32_e64 s36, s74, v8
	s_and_b32 s102, s66, s36
	s_delay_alu instid0(SALU_CYCLE_1)
	s_and_saveexec_b32 s27, s102
	s_cbranch_execz .LBB743_64
; %bb.63:
	global_load_u16 v8, v[5:6], off offset:1920
	s_waitcnt vmcnt(0)
	v_cvt_f32_f16_e32 v41, v8
.LBB743_64:
	s_or_b32 exec_lo, exec_lo, s27
	v_add_nc_u32_e32 v8, 0x3e0, v2
	s_delay_alu instid0(VALU_DEP_1) | instskip(NEXT) | instid1(VALU_DEP_1)
	v_cmp_gt_i32_e64 s35, s74, v8
	s_and_b32 s101, s66, s35
	s_delay_alu instid0(SALU_CYCLE_1)
	s_and_saveexec_b32 s27, s101
	s_cbranch_execz .LBB743_66
; %bb.65:
	global_load_u16 v8, v[5:6], off offset:1984
	s_waitcnt vmcnt(0)
	v_cvt_f32_f16_e32 v40, v8
.LBB743_66:
	s_or_b32 exec_lo, exec_lo, s27
	v_or_b32_e32 v8, 0x400, v2
	v_dual_mov_b32 v38, 0xff800000 :: v_dual_mov_b32 v39, 0xff800000
	s_delay_alu instid0(VALU_DEP_2) | instskip(NEXT) | instid1(VALU_DEP_1)
	v_cmp_gt_i32_e64 s34, s74, v8
	s_and_b32 s100, s66, s34
	s_delay_alu instid0(SALU_CYCLE_1)
	s_and_saveexec_b32 s27, s100
	s_cbranch_execz .LBB743_68
; %bb.67:
	global_load_u16 v8, v[5:6], off offset:2048
	s_waitcnt vmcnt(0)
	v_cvt_f32_f16_e32 v39, v8
.LBB743_68:
	s_or_b32 exec_lo, exec_lo, s27
	v_add_nc_u32_e32 v8, 0x420, v2
	s_delay_alu instid0(VALU_DEP_1) | instskip(NEXT) | instid1(VALU_DEP_1)
	v_cmp_gt_i32_e64 s33, s74, v8
	s_and_b32 s99, s66, s33
	s_delay_alu instid0(SALU_CYCLE_1)
	s_and_saveexec_b32 s27, s99
	s_cbranch_execz .LBB743_70
; %bb.69:
	global_load_u16 v8, v[5:6], off offset:2112
	s_waitcnt vmcnt(0)
	v_cvt_f32_f16_e32 v38, v8
.LBB743_70:
	s_or_b32 exec_lo, exec_lo, s27
	v_add_nc_u32_e32 v8, 0x440, v2
	v_dual_mov_b32 v36, 0xff800000 :: v_dual_mov_b32 v37, 0xff800000
	s_delay_alu instid0(VALU_DEP_2) | instskip(NEXT) | instid1(VALU_DEP_1)
	v_cmp_gt_i32_e64 s31, s74, v8
	s_and_b32 s98, s66, s31
	s_delay_alu instid0(SALU_CYCLE_1)
	s_and_saveexec_b32 s27, s98
	s_cbranch_execz .LBB743_72
; %bb.71:
	global_load_u16 v8, v[5:6], off offset:2176
	s_waitcnt vmcnt(0)
	v_cvt_f32_f16_e32 v37, v8
.LBB743_72:
	s_or_b32 exec_lo, exec_lo, s27
	v_add_nc_u32_e32 v8, 0x460, v2
	s_delay_alu instid0(VALU_DEP_1) | instskip(NEXT) | instid1(VALU_DEP_1)
	v_cmp_gt_i32_e64 s30, s74, v8
	s_and_b32 s97, s66, s30
	s_delay_alu instid0(SALU_CYCLE_1)
	s_and_saveexec_b32 s27, s97
	s_cbranch_execz .LBB743_74
; %bb.73:
	global_load_u16 v8, v[5:6], off offset:2240
	s_waitcnt vmcnt(0)
	v_cvt_f32_f16_e32 v36, v8
.LBB743_74:
	s_or_b32 exec_lo, exec_lo, s27
	v_add_nc_u32_e32 v8, 0x480, v2
	v_dual_mov_b32 v34, 0xff800000 :: v_dual_mov_b32 v35, 0xff800000
	s_delay_alu instid0(VALU_DEP_2) | instskip(NEXT) | instid1(VALU_DEP_1)
	v_cmp_gt_i32_e64 s29, s74, v8
	s_and_b32 s96, s66, s29
	s_delay_alu instid0(SALU_CYCLE_1)
	s_and_saveexec_b32 s27, s96
	s_cbranch_execz .LBB743_76
; %bb.75:
	global_load_u16 v8, v[5:6], off offset:2304
	s_waitcnt vmcnt(0)
	v_cvt_f32_f16_e32 v35, v8
.LBB743_76:
	s_or_b32 exec_lo, exec_lo, s27
	v_add_nc_u32_e32 v8, 0x4a0, v2
	s_delay_alu instid0(VALU_DEP_1) | instskip(NEXT) | instid1(VALU_DEP_1)
	v_cmp_gt_i32_e64 s27, s74, v8
	s_and_b32 s95, s66, s27
	v_writelane_b32 v80, s27, 4
	s_and_saveexec_b32 s27, s95
	s_cbranch_execz .LBB743_78
; %bb.77:
	global_load_u16 v8, v[5:6], off offset:2368
	s_waitcnt vmcnt(0)
	v_cvt_f32_f16_e32 v34, v8
.LBB743_78:
	s_or_b32 exec_lo, exec_lo, s27
	v_add_nc_u32_e32 v8, 0x4c0, v2
	v_dual_mov_b32 v32, 0xff800000 :: v_dual_mov_b32 v33, 0xff800000
	s_delay_alu instid0(VALU_DEP_2) | instskip(NEXT) | instid1(VALU_DEP_1)
	v_cmp_gt_i32_e64 s27, s74, v8
	s_and_b32 s94, s66, s27
	v_writelane_b32 v80, s27, 5
	s_and_saveexec_b32 s27, s94
	s_cbranch_execz .LBB743_80
; %bb.79:
	global_load_u16 v8, v[5:6], off offset:2432
	s_waitcnt vmcnt(0)
	v_cvt_f32_f16_e32 v33, v8
.LBB743_80:
	s_or_b32 exec_lo, exec_lo, s27
	v_add_nc_u32_e32 v8, 0x4e0, v2
	s_delay_alu instid0(VALU_DEP_1) | instskip(NEXT) | instid1(VALU_DEP_1)
	v_cmp_gt_i32_e64 s27, s74, v8
	s_and_b32 s93, s66, s27
	v_writelane_b32 v80, s27, 6
	s_and_saveexec_b32 s27, s93
	s_cbranch_execz .LBB743_82
; %bb.81:
	global_load_u16 v8, v[5:6], off offset:2496
	s_waitcnt vmcnt(0)
	v_cvt_f32_f16_e32 v32, v8
.LBB743_82:
	s_or_b32 exec_lo, exec_lo, s27
	v_add_nc_u32_e32 v8, 0x500, v2
	v_dual_mov_b32 v30, 0xff800000 :: v_dual_mov_b32 v31, 0xff800000
	s_delay_alu instid0(VALU_DEP_2) | instskip(NEXT) | instid1(VALU_DEP_1)
	v_cmp_gt_i32_e64 s27, s74, v8
	s_and_b32 s92, s66, s27
	v_writelane_b32 v80, s27, 7
	s_and_saveexec_b32 s27, s92
	s_cbranch_execz .LBB743_84
; %bb.83:
	global_load_u16 v8, v[5:6], off offset:2560
	s_waitcnt vmcnt(0)
	v_cvt_f32_f16_e32 v31, v8
.LBB743_84:
	s_or_b32 exec_lo, exec_lo, s27
	v_add_nc_u32_e32 v8, 0x520, v2
	s_delay_alu instid0(VALU_DEP_1) | instskip(NEXT) | instid1(VALU_DEP_1)
	v_cmp_gt_i32_e64 s27, s74, v8
	s_and_b32 s91, s66, s27
	v_writelane_b32 v80, s27, 8
	s_and_saveexec_b32 s27, s91
	s_cbranch_execz .LBB743_86
; %bb.85:
	global_load_u16 v8, v[5:6], off offset:2624
	s_waitcnt vmcnt(0)
	v_cvt_f32_f16_e32 v30, v8
.LBB743_86:
	s_or_b32 exec_lo, exec_lo, s27
	v_add_nc_u32_e32 v8, 0x540, v2
	v_dual_mov_b32 v28, 0xff800000 :: v_dual_mov_b32 v29, 0xff800000
	s_delay_alu instid0(VALU_DEP_2) | instskip(NEXT) | instid1(VALU_DEP_1)
	v_cmp_gt_i32_e64 s27, s74, v8
	s_and_b32 s90, s66, s27
	v_writelane_b32 v80, s27, 9
	s_and_saveexec_b32 s27, s90
	s_cbranch_execz .LBB743_88
; %bb.87:
	global_load_u16 v8, v[5:6], off offset:2688
	s_waitcnt vmcnt(0)
	v_cvt_f32_f16_e32 v29, v8
.LBB743_88:
	s_or_b32 exec_lo, exec_lo, s27
	v_add_nc_u32_e32 v8, 0x560, v2
	s_delay_alu instid0(VALU_DEP_1) | instskip(NEXT) | instid1(VALU_DEP_1)
	v_cmp_gt_i32_e64 s27, s74, v8
	s_and_b32 s89, s66, s27
	v_writelane_b32 v80, s27, 10
	s_and_saveexec_b32 s27, s89
	s_cbranch_execz .LBB743_90
; %bb.89:
	global_load_u16 v8, v[5:6], off offset:2752
	s_waitcnt vmcnt(0)
	v_cvt_f32_f16_e32 v28, v8
.LBB743_90:
	s_or_b32 exec_lo, exec_lo, s27
	v_add_nc_u32_e32 v8, 0x580, v2
	v_dual_mov_b32 v26, 0xff800000 :: v_dual_mov_b32 v27, 0xff800000
	s_delay_alu instid0(VALU_DEP_2) | instskip(NEXT) | instid1(VALU_DEP_1)
	v_cmp_gt_i32_e64 s27, s74, v8
	s_and_b32 s88, s66, s27
	v_writelane_b32 v80, s27, 11
	s_and_saveexec_b32 s27, s88
	s_cbranch_execz .LBB743_92
; %bb.91:
	global_load_u16 v8, v[5:6], off offset:2816
	s_waitcnt vmcnt(0)
	v_cvt_f32_f16_e32 v27, v8
.LBB743_92:
	s_or_b32 exec_lo, exec_lo, s27
	v_add_nc_u32_e32 v8, 0x5a0, v2
	s_delay_alu instid0(VALU_DEP_1) | instskip(NEXT) | instid1(VALU_DEP_1)
	v_cmp_gt_i32_e64 s27, s74, v8
	s_and_b32 s87, s66, s27
	v_writelane_b32 v80, s27, 12
	s_and_saveexec_b32 s27, s87
	s_cbranch_execz .LBB743_94
; %bb.93:
	global_load_u16 v8, v[5:6], off offset:2880
	s_waitcnt vmcnt(0)
	v_cvt_f32_f16_e32 v26, v8
.LBB743_94:
	s_or_b32 exec_lo, exec_lo, s27
	v_add_nc_u32_e32 v8, 0x5c0, v2
	v_dual_mov_b32 v24, 0xff800000 :: v_dual_mov_b32 v25, 0xff800000
	s_delay_alu instid0(VALU_DEP_2) | instskip(NEXT) | instid1(VALU_DEP_1)
	v_cmp_gt_i32_e64 s27, s74, v8
	s_and_b32 s86, s66, s27
	v_writelane_b32 v80, s27, 13
	s_and_saveexec_b32 s27, s86
	s_cbranch_execz .LBB743_96
; %bb.95:
	global_load_u16 v8, v[5:6], off offset:2944
	s_waitcnt vmcnt(0)
	v_cvt_f32_f16_e32 v25, v8
.LBB743_96:
	s_or_b32 exec_lo, exec_lo, s27
	v_add_nc_u32_e32 v8, 0x5e0, v2
	s_delay_alu instid0(VALU_DEP_1) | instskip(NEXT) | instid1(VALU_DEP_1)
	v_cmp_gt_i32_e64 s27, s74, v8
	s_and_b32 s85, s66, s27
	v_writelane_b32 v80, s27, 14
	s_and_saveexec_b32 s27, s85
	s_cbranch_execz .LBB743_98
; %bb.97:
	global_load_u16 v8, v[5:6], off offset:3008
	s_waitcnt vmcnt(0)
	v_cvt_f32_f16_e32 v24, v8
.LBB743_98:
	s_or_b32 exec_lo, exec_lo, s27
	v_add_nc_u32_e32 v8, 0x600, v2
	v_dual_mov_b32 v22, 0xff800000 :: v_dual_mov_b32 v23, 0xff800000
	s_delay_alu instid0(VALU_DEP_2) | instskip(NEXT) | instid1(VALU_DEP_1)
	v_cmp_gt_i32_e64 s27, s74, v8
	s_and_b32 s84, s66, s27
	v_writelane_b32 v80, s27, 15
	s_and_saveexec_b32 s27, s84
	s_cbranch_execz .LBB743_100
; %bb.99:
	global_load_u16 v8, v[5:6], off offset:3072
	s_waitcnt vmcnt(0)
	v_cvt_f32_f16_e32 v23, v8
.LBB743_100:
	s_or_b32 exec_lo, exec_lo, s27
	v_add_nc_u32_e32 v8, 0x620, v2
	s_delay_alu instid0(VALU_DEP_1) | instskip(NEXT) | instid1(VALU_DEP_1)
	v_cmp_gt_i32_e64 s27, s74, v8
	s_and_b32 s83, s66, s27
	v_writelane_b32 v80, s27, 16
	s_and_saveexec_b32 s27, s83
	s_cbranch_execz .LBB743_102
; %bb.101:
	global_load_u16 v8, v[5:6], off offset:3136
	s_waitcnt vmcnt(0)
	v_cvt_f32_f16_e32 v22, v8
.LBB743_102:
	s_or_b32 exec_lo, exec_lo, s27
	v_add_nc_u32_e32 v8, 0x640, v2
	v_dual_mov_b32 v20, 0xff800000 :: v_dual_mov_b32 v21, 0xff800000
	s_delay_alu instid0(VALU_DEP_2) | instskip(NEXT) | instid1(VALU_DEP_1)
	v_cmp_gt_i32_e64 s27, s74, v8
	s_and_b32 s82, s66, s27
	v_writelane_b32 v80, s27, 17
	s_and_saveexec_b32 s27, s82
	s_cbranch_execz .LBB743_104
; %bb.103:
	global_load_u16 v8, v[5:6], off offset:3200
	s_waitcnt vmcnt(0)
	v_cvt_f32_f16_e32 v21, v8
.LBB743_104:
	s_or_b32 exec_lo, exec_lo, s27
	v_add_nc_u32_e32 v8, 0x660, v2
	s_delay_alu instid0(VALU_DEP_1) | instskip(NEXT) | instid1(VALU_DEP_1)
	v_cmp_gt_i32_e64 s27, s74, v8
	s_and_b32 s81, s66, s27
	v_writelane_b32 v80, s27, 18
	s_and_saveexec_b32 s27, s81
	s_cbranch_execz .LBB743_106
; %bb.105:
	global_load_u16 v8, v[5:6], off offset:3264
	s_waitcnt vmcnt(0)
	v_cvt_f32_f16_e32 v20, v8
.LBB743_106:
	s_or_b32 exec_lo, exec_lo, s27
	v_add_nc_u32_e32 v8, 0x680, v2
	v_dual_mov_b32 v18, 0xff800000 :: v_dual_mov_b32 v19, 0xff800000
	s_delay_alu instid0(VALU_DEP_2) | instskip(NEXT) | instid1(VALU_DEP_1)
	v_cmp_gt_i32_e64 s27, s74, v8
	s_and_b32 s80, s66, s27
	v_writelane_b32 v80, s27, 19
	s_and_saveexec_b32 s27, s80
	s_cbranch_execz .LBB743_108
; %bb.107:
	global_load_u16 v8, v[5:6], off offset:3328
	s_waitcnt vmcnt(0)
	v_cvt_f32_f16_e32 v19, v8
.LBB743_108:
	s_or_b32 exec_lo, exec_lo, s27
	v_add_nc_u32_e32 v8, 0x6a0, v2
	s_delay_alu instid0(VALU_DEP_1) | instskip(NEXT) | instid1(VALU_DEP_1)
	v_cmp_gt_i32_e64 s27, s74, v8
	s_and_b32 s79, s66, s27
	v_writelane_b32 v80, s27, 20
	s_and_saveexec_b32 s27, s79
	s_cbranch_execz .LBB743_110
; %bb.109:
	global_load_u16 v8, v[5:6], off offset:3392
	s_waitcnt vmcnt(0)
	v_cvt_f32_f16_e32 v18, v8
.LBB743_110:
	s_or_b32 exec_lo, exec_lo, s27
	v_add_nc_u32_e32 v8, 0x6c0, v2
	v_dual_mov_b32 v16, 0xff800000 :: v_dual_mov_b32 v17, 0xff800000
	s_delay_alu instid0(VALU_DEP_2) | instskip(NEXT) | instid1(VALU_DEP_1)
	v_cmp_gt_i32_e64 s27, s74, v8
	s_and_b32 s78, s66, s27
	v_writelane_b32 v80, s27, 21
	s_and_saveexec_b32 s27, s78
	s_cbranch_execz .LBB743_112
; %bb.111:
	global_load_u16 v8, v[5:6], off offset:3456
	s_waitcnt vmcnt(0)
	v_cvt_f32_f16_e32 v17, v8
.LBB743_112:
	s_or_b32 exec_lo, exec_lo, s27
	v_add_nc_u32_e32 v8, 0x6e0, v2
	s_delay_alu instid0(VALU_DEP_1) | instskip(NEXT) | instid1(VALU_DEP_1)
	v_cmp_gt_i32_e64 s27, s74, v8
	s_and_b32 s77, s66, s27
	v_writelane_b32 v80, s27, 22
	s_and_saveexec_b32 s27, s77
	s_cbranch_execz .LBB743_114
; %bb.113:
	global_load_u16 v8, v[5:6], off offset:3520
	s_waitcnt vmcnt(0)
	v_cvt_f32_f16_e32 v16, v8
.LBB743_114:
	s_or_b32 exec_lo, exec_lo, s27
	v_add_nc_u32_e32 v8, 0x700, v2
	v_dual_mov_b32 v14, 0xff800000 :: v_dual_mov_b32 v15, 0xff800000
	s_delay_alu instid0(VALU_DEP_2) | instskip(NEXT) | instid1(VALU_DEP_1)
	v_cmp_gt_i32_e64 s27, s74, v8
	s_and_b32 s76, s66, s27
	v_writelane_b32 v80, s27, 23
	s_and_saveexec_b32 s27, s76
	s_cbranch_execz .LBB743_116
; %bb.115:
	global_load_u16 v8, v[5:6], off offset:3584
	s_waitcnt vmcnt(0)
	v_cvt_f32_f16_e32 v15, v8
.LBB743_116:
	s_or_b32 exec_lo, exec_lo, s27
	v_add_nc_u32_e32 v8, 0x720, v2
	s_delay_alu instid0(VALU_DEP_1) | instskip(NEXT) | instid1(VALU_DEP_1)
	v_cmp_gt_i32_e64 s27, s74, v8
	s_and_b32 s75, s66, s27
	v_writelane_b32 v80, s27, 24
	s_and_saveexec_b32 s27, s75
	s_cbranch_execz .LBB743_118
; %bb.117:
	global_load_u16 v8, v[5:6], off offset:3648
	s_waitcnt vmcnt(0)
	v_cvt_f32_f16_e32 v14, v8
.LBB743_118:
	s_or_b32 exec_lo, exec_lo, s27
	v_add_nc_u32_e32 v8, 0x740, v2
	v_dual_mov_b32 v12, 0xff800000 :: v_dual_mov_b32 v13, 0xff800000
	s_delay_alu instid0(VALU_DEP_2) | instskip(NEXT) | instid1(VALU_DEP_1)
	v_cmp_gt_i32_e64 s27, s74, v8
	s_and_b32 s73, s66, s27
	v_writelane_b32 v80, s27, 25
	s_and_saveexec_b32 s27, s73
	s_cbranch_execz .LBB743_120
; %bb.119:
	global_load_u16 v8, v[5:6], off offset:3712
	s_waitcnt vmcnt(0)
	v_cvt_f32_f16_e32 v13, v8
.LBB743_120:
	s_or_b32 exec_lo, exec_lo, s27
	v_add_nc_u32_e32 v8, 0x760, v2
	s_delay_alu instid0(VALU_DEP_1) | instskip(NEXT) | instid1(VALU_DEP_1)
	v_cmp_gt_i32_e64 s27, s74, v8
	s_and_b32 s72, s66, s27
	v_writelane_b32 v80, s27, 26
	s_and_saveexec_b32 s27, s72
	s_cbranch_execz .LBB743_122
; %bb.121:
	global_load_u16 v8, v[5:6], off offset:3776
	s_waitcnt vmcnt(0)
	v_cvt_f32_f16_e32 v12, v8
.LBB743_122:
	s_or_b32 exec_lo, exec_lo, s27
	v_add_nc_u32_e32 v8, 0x780, v2
	v_dual_mov_b32 v10, 0xff800000 :: v_dual_mov_b32 v11, 0xff800000
	s_delay_alu instid0(VALU_DEP_2) | instskip(NEXT) | instid1(VALU_DEP_1)
	v_cmp_gt_i32_e64 s27, s74, v8
	s_and_b32 s71, s66, s27
	v_writelane_b32 v80, s27, 27
	s_and_saveexec_b32 s27, s71
	s_cbranch_execz .LBB743_124
; %bb.123:
	global_load_u16 v8, v[5:6], off offset:3840
	s_waitcnt vmcnt(0)
	v_cvt_f32_f16_e32 v11, v8
.LBB743_124:
	s_or_b32 exec_lo, exec_lo, s27
	v_add_nc_u32_e32 v8, 0x7a0, v2
	s_delay_alu instid0(VALU_DEP_1) | instskip(NEXT) | instid1(VALU_DEP_1)
	v_cmp_gt_i32_e64 s27, s74, v8
	s_and_b32 s70, s66, s27
	v_writelane_b32 v80, s27, 28
	s_and_saveexec_b32 s27, s70
	s_cbranch_execz .LBB743_126
; %bb.125:
	global_load_u16 v8, v[5:6], off offset:3904
	s_waitcnt vmcnt(0)
	v_cvt_f32_f16_e32 v10, v8
.LBB743_126:
	s_or_b32 exec_lo, exec_lo, s27
	v_add_nc_u32_e32 v8, 0x7c0, v2
	v_mov_b32_e32 v9, 0xff800000
	s_delay_alu instid0(VALU_DEP_2) | instskip(SKIP_1) | instid1(VALU_DEP_2)
	v_cmp_gt_i32_e64 s27, s74, v8
	v_mov_b32_e32 v8, 0xff800000
	s_and_b32 s67, s66, s27
	v_writelane_b32 v80, s27, 29
	s_and_saveexec_b32 s27, s67
	s_cbranch_execz .LBB743_128
; %bb.127:
	global_load_u16 v9, v[5:6], off offset:3968
	s_waitcnt vmcnt(0)
	v_cvt_f32_f16_e32 v9, v9
.LBB743_128:
	s_or_b32 exec_lo, exec_lo, s27
	v_add_nc_u32_e32 v2, 0x7e0, v2
	s_delay_alu instid0(VALU_DEP_1) | instskip(NEXT) | instid1(VALU_DEP_1)
	v_cmp_gt_i32_e64 s27, s74, v2
	s_and_b32 s66, s66, s27
	v_writelane_b32 v80, s27, 30
	s_and_saveexec_b32 s27, s66
	s_cbranch_execz .LBB743_130
; %bb.129:
	global_load_u16 v2, v[5:6], off offset:4032
	s_waitcnt vmcnt(0)
	v_cvt_f32_f16_e32 v8, v2
.LBB743_130:
	s_or_b32 exec_lo, exec_lo, s27
	s_load_b64 s[0:1], s[0:1], 0x20
	s_waitcnt lgkmcnt(0)
	v_add_co_u32 v2, s0, s0, v3
	s_delay_alu instid0(VALU_DEP_1)
	v_add_co_ci_u32_e64 v3, s0, s1, v4, s0
	s_mov_b32 s1, 0
	s_and_saveexec_b32 s74, s26
	s_cbranch_execnz .LBB743_194
; %bb.131:
	s_or_b32 exec_lo, exec_lo, s74
	v_mov_b32_e32 v4, v71
	s_and_saveexec_b32 s74, s25
	s_cbranch_execnz .LBB743_195
.LBB743_132:
	s_or_b32 exec_lo, exec_lo, s74
	s_and_saveexec_b32 s74, s24
	s_cbranch_execnz .LBB743_198
.LBB743_133:
	s_or_b32 exec_lo, exec_lo, s74
	s_and_saveexec_b32 s74, s23
	s_cbranch_execnz .LBB743_201
.LBB743_134:
	s_or_b32 exec_lo, exec_lo, s74
	s_and_saveexec_b32 s74, s22
	s_cbranch_execnz .LBB743_204
.LBB743_135:
	s_or_b32 exec_lo, exec_lo, s74
	s_and_saveexec_b32 s74, s21
	s_cbranch_execnz .LBB743_207
.LBB743_136:
	s_or_b32 exec_lo, exec_lo, s74
	s_and_saveexec_b32 s74, s20
	s_cbranch_execnz .LBB743_210
.LBB743_137:
	s_or_b32 exec_lo, exec_lo, s74
	s_and_saveexec_b32 s74, s19
	s_cbranch_execnz .LBB743_213
.LBB743_138:
	s_or_b32 exec_lo, exec_lo, s74
	s_and_saveexec_b32 s74, s18
	s_cbranch_execnz .LBB743_216
.LBB743_139:
	s_or_b32 exec_lo, exec_lo, s74
	s_and_saveexec_b32 s74, s17
	s_cbranch_execnz .LBB743_219
.LBB743_140:
	s_or_b32 exec_lo, exec_lo, s74
	s_and_saveexec_b32 s74, s16
	s_cbranch_execnz .LBB743_222
.LBB743_141:
	s_or_b32 exec_lo, exec_lo, s74
	s_and_saveexec_b32 s74, s15
	s_cbranch_execnz .LBB743_225
.LBB743_142:
	s_or_b32 exec_lo, exec_lo, s74
	s_and_saveexec_b32 s74, s14
	s_cbranch_execnz .LBB743_228
.LBB743_143:
	s_or_b32 exec_lo, exec_lo, s74
	s_and_saveexec_b32 s74, s13
	s_cbranch_execnz .LBB743_231
.LBB743_144:
	s_or_b32 exec_lo, exec_lo, s74
	s_and_saveexec_b32 s74, s12
	s_cbranch_execnz .LBB743_234
.LBB743_145:
	s_or_b32 exec_lo, exec_lo, s74
	s_and_saveexec_b32 s74, s11
	s_cbranch_execnz .LBB743_237
.LBB743_146:
	s_or_b32 exec_lo, exec_lo, s74
	s_and_saveexec_b32 s74, s10
	s_cbranch_execnz .LBB743_240
.LBB743_147:
	s_or_b32 exec_lo, exec_lo, s74
	s_and_saveexec_b32 s74, s9
	s_cbranch_execnz .LBB743_243
.LBB743_148:
	s_or_b32 exec_lo, exec_lo, s74
	s_and_saveexec_b32 s74, s8
	s_cbranch_execnz .LBB743_246
.LBB743_149:
	s_or_b32 exec_lo, exec_lo, s74
	s_and_saveexec_b32 s74, s69
	s_cbranch_execnz .LBB743_249
.LBB743_150:
	s_or_b32 exec_lo, exec_lo, s74
	s_and_saveexec_b32 s74, s68
	s_cbranch_execnz .LBB743_252
.LBB743_151:
	s_or_b32 exec_lo, exec_lo, s74
	s_and_saveexec_b32 s74, s7
	s_cbranch_execnz .LBB743_255
.LBB743_152:
	s_or_b32 exec_lo, exec_lo, s74
	s_and_saveexec_b32 s74, s6
	s_cbranch_execnz .LBB743_258
.LBB743_153:
	s_or_b32 exec_lo, exec_lo, s74
	s_and_saveexec_b32 s74, s5
	s_cbranch_execnz .LBB743_261
.LBB743_154:
	s_or_b32 exec_lo, exec_lo, s74
	s_and_saveexec_b32 s74, s4
	s_cbranch_execnz .LBB743_264
.LBB743_155:
	s_or_b32 exec_lo, exec_lo, s74
	s_and_saveexec_b32 s74, s3
	s_cbranch_execnz .LBB743_267
.LBB743_156:
	s_or_b32 exec_lo, exec_lo, s74
	s_and_saveexec_b32 s74, s2
	s_cbranch_execnz .LBB743_270
.LBB743_157:
	s_or_b32 exec_lo, exec_lo, s74
	s_and_saveexec_b32 s74, vcc_hi
	s_cbranch_execnz .LBB743_273
.LBB743_158:
	s_or_b32 exec_lo, exec_lo, s74
	s_and_saveexec_b32 s74, s104
	s_cbranch_execnz .LBB743_276
.LBB743_159:
	s_or_b32 exec_lo, exec_lo, s74
	s_and_saveexec_b32 s74, s103
	s_cbranch_execnz .LBB743_279
.LBB743_160:
	s_or_b32 exec_lo, exec_lo, s74
	s_and_saveexec_b32 s74, s102
	s_cbranch_execnz .LBB743_282
.LBB743_161:
	s_or_b32 exec_lo, exec_lo, s74
	s_and_saveexec_b32 s74, s101
	s_cbranch_execnz .LBB743_285
.LBB743_162:
	s_or_b32 exec_lo, exec_lo, s74
	s_and_saveexec_b32 s74, s100
	s_cbranch_execnz .LBB743_288
.LBB743_163:
	s_or_b32 exec_lo, exec_lo, s74
	s_and_saveexec_b32 s74, s99
	s_cbranch_execnz .LBB743_291
.LBB743_164:
	s_or_b32 exec_lo, exec_lo, s74
	s_and_saveexec_b32 s74, s98
	s_cbranch_execnz .LBB743_294
.LBB743_165:
	s_or_b32 exec_lo, exec_lo, s74
	s_and_saveexec_b32 s74, s97
	s_cbranch_execnz .LBB743_297
.LBB743_166:
	s_or_b32 exec_lo, exec_lo, s74
	s_and_saveexec_b32 s74, s96
	s_cbranch_execnz .LBB743_300
.LBB743_167:
	s_or_b32 exec_lo, exec_lo, s74
	s_and_saveexec_b32 s74, s95
	s_cbranch_execnz .LBB743_303
.LBB743_168:
	s_or_b32 exec_lo, exec_lo, s74
	s_and_saveexec_b32 s74, s94
	s_cbranch_execnz .LBB743_306
.LBB743_169:
	s_or_b32 exec_lo, exec_lo, s74
	s_and_saveexec_b32 s74, s93
	s_cbranch_execnz .LBB743_309
.LBB743_170:
	s_or_b32 exec_lo, exec_lo, s74
	s_and_saveexec_b32 s74, s92
	s_cbranch_execnz .LBB743_312
.LBB743_171:
	s_or_b32 exec_lo, exec_lo, s74
	s_and_saveexec_b32 s74, s91
	s_cbranch_execnz .LBB743_315
.LBB743_172:
	s_or_b32 exec_lo, exec_lo, s74
	s_and_saveexec_b32 s74, s90
	s_cbranch_execnz .LBB743_318
.LBB743_173:
	s_or_b32 exec_lo, exec_lo, s74
	s_and_saveexec_b32 s74, s89
	s_cbranch_execnz .LBB743_321
.LBB743_174:
	s_or_b32 exec_lo, exec_lo, s74
	s_and_saveexec_b32 s74, s88
	s_cbranch_execnz .LBB743_324
.LBB743_175:
	s_or_b32 exec_lo, exec_lo, s74
	s_and_saveexec_b32 s74, s87
	s_cbranch_execnz .LBB743_327
.LBB743_176:
	s_or_b32 exec_lo, exec_lo, s74
	s_and_saveexec_b32 s74, s86
	s_cbranch_execnz .LBB743_330
.LBB743_177:
	s_or_b32 exec_lo, exec_lo, s74
	s_and_saveexec_b32 s74, s85
	s_cbranch_execnz .LBB743_333
.LBB743_178:
	s_or_b32 exec_lo, exec_lo, s74
	s_and_saveexec_b32 s74, s84
	s_cbranch_execnz .LBB743_336
.LBB743_179:
	s_or_b32 exec_lo, exec_lo, s74
	s_and_saveexec_b32 s74, s83
	s_cbranch_execnz .LBB743_339
.LBB743_180:
	s_or_b32 exec_lo, exec_lo, s74
	s_and_saveexec_b32 s74, s82
	s_cbranch_execnz .LBB743_342
.LBB743_181:
	s_or_b32 exec_lo, exec_lo, s74
	s_and_saveexec_b32 s74, s81
	s_cbranch_execnz .LBB743_345
.LBB743_182:
	s_or_b32 exec_lo, exec_lo, s74
	s_and_saveexec_b32 s74, s80
	s_cbranch_execnz .LBB743_348
.LBB743_183:
	s_or_b32 exec_lo, exec_lo, s74
	s_and_saveexec_b32 s74, s79
	s_cbranch_execnz .LBB743_351
.LBB743_184:
	s_or_b32 exec_lo, exec_lo, s74
	s_and_saveexec_b32 s74, s78
	s_cbranch_execnz .LBB743_354
.LBB743_185:
	s_or_b32 exec_lo, exec_lo, s74
	s_and_saveexec_b32 s74, s77
	s_cbranch_execnz .LBB743_357
.LBB743_186:
	s_or_b32 exec_lo, exec_lo, s74
	s_and_saveexec_b32 s74, s76
	s_cbranch_execnz .LBB743_360
.LBB743_187:
	s_or_b32 exec_lo, exec_lo, s74
	s_and_saveexec_b32 s74, s75
	s_cbranch_execnz .LBB743_363
.LBB743_188:
	s_or_b32 exec_lo, exec_lo, s74
	s_and_saveexec_b32 s74, s73
	s_cbranch_execnz .LBB743_366
.LBB743_189:
	s_or_b32 exec_lo, exec_lo, s74
	s_and_saveexec_b32 s74, s72
	s_cbranch_execnz .LBB743_369
.LBB743_190:
	s_or_b32 exec_lo, exec_lo, s74
	s_and_saveexec_b32 s74, s71
	s_cbranch_execnz .LBB743_372
.LBB743_191:
	s_or_b32 exec_lo, exec_lo, s74
	s_and_saveexec_b32 s74, s70
	s_cbranch_execnz .LBB743_375
.LBB743_192:
	s_or_b32 exec_lo, exec_lo, s74
	s_and_saveexec_b32 s74, s67
	s_cbranch_execnz .LBB743_378
.LBB743_193:
	s_or_b32 exec_lo, exec_lo, s74
	s_and_saveexec_b32 s74, s66
	s_cbranch_execnz .LBB743_381
	s_branch .LBB743_384
.LBB743_194:
	global_load_u8 v4, v[2:3], off
	s_waitcnt vmcnt(0)
	v_and_b32_e32 v4, 1, v4
	s_delay_alu instid0(VALU_DEP_1) | instskip(NEXT) | instid1(VALU_DEP_1)
	v_cmp_eq_u32_e64 s0, 1, v4
	s_xor_b32 s0, s0, -1
	s_delay_alu instid0(SALU_CYCLE_1)
	s_and_b32 s1, s0, exec_lo
	s_or_b32 exec_lo, exec_lo, s74
	v_mov_b32_e32 v4, v71
	s_and_saveexec_b32 s74, s25
	s_cbranch_execz .LBB743_132
.LBB743_195:
	global_load_u8 v4, v[2:3], off offset:32
	s_waitcnt vmcnt(0)
	v_and_b32_e32 v4, 1, v4
	s_delay_alu instid0(VALU_DEP_1) | instskip(SKIP_1) | instid1(VALU_DEP_2)
	v_cmp_eq_u32_e64 s0, 1, v4
	v_mov_b32_e32 v4, v71
	s_xor_b32 s28, s0, -1
	s_mov_b32 s0, s1
	s_and_saveexec_b32 s27, s28
; %bb.196:
	v_cmp_gt_f32_e64 s0, v71, v70
	s_delay_alu instid0(VALU_DEP_1) | instskip(NEXT) | instid1(SALU_CYCLE_1)
	s_and_b32 s0, s1, s0
	v_cndmask_b32_e64 v4, v70, v71, s0
	s_or_b32 s0, s1, exec_lo
; %bb.197:
	s_or_b32 exec_lo, exec_lo, s27
	s_delay_alu instid0(SALU_CYCLE_1) | instskip(SKIP_1) | instid1(SALU_CYCLE_1)
	s_and_not1_b32 s1, s1, exec_lo
	s_and_b32 s0, s0, exec_lo
	s_or_b32 s1, s1, s0
	s_or_b32 exec_lo, exec_lo, s74
	s_and_saveexec_b32 s74, s24
	s_cbranch_execz .LBB743_133
.LBB743_198:
	global_load_u8 v5, v[2:3], off offset:64
	s_waitcnt vmcnt(0)
	v_and_b32_e32 v5, 1, v5
	s_delay_alu instid0(VALU_DEP_1) | instskip(NEXT) | instid1(VALU_DEP_1)
	v_cmp_eq_u32_e64 s0, 1, v5
	s_xor_b32 s28, s0, -1
	s_mov_b32 s0, s1
	s_and_saveexec_b32 s27, s28
; %bb.199:
	v_cmp_gt_f32_e64 s0, v4, v69
	s_delay_alu instid0(VALU_DEP_1) | instskip(NEXT) | instid1(SALU_CYCLE_1)
	s_and_b32 s0, s1, s0
	v_cndmask_b32_e64 v4, v69, v4, s0
	s_or_b32 s0, s1, exec_lo
; %bb.200:
	s_or_b32 exec_lo, exec_lo, s27
	s_delay_alu instid0(SALU_CYCLE_1) | instskip(SKIP_1) | instid1(SALU_CYCLE_1)
	s_and_not1_b32 s1, s1, exec_lo
	s_and_b32 s0, s0, exec_lo
	s_or_b32 s1, s1, s0
	s_or_b32 exec_lo, exec_lo, s74
	s_and_saveexec_b32 s74, s23
	s_cbranch_execz .LBB743_134
.LBB743_201:
	global_load_u8 v5, v[2:3], off offset:96
	s_waitcnt vmcnt(0)
	v_and_b32_e32 v5, 1, v5
	s_delay_alu instid0(VALU_DEP_1) | instskip(NEXT) | instid1(VALU_DEP_1)
	v_cmp_eq_u32_e64 s0, 1, v5
	s_xor_b32 s28, s0, -1
	s_mov_b32 s0, s1
	s_and_saveexec_b32 s27, s28
; %bb.202:
	v_cmp_gt_f32_e64 s0, v4, v68
	s_delay_alu instid0(VALU_DEP_1) | instskip(NEXT) | instid1(SALU_CYCLE_1)
	s_and_b32 s0, s1, s0
	v_cndmask_b32_e64 v4, v68, v4, s0
	s_or_b32 s0, s1, exec_lo
; %bb.203:
	s_or_b32 exec_lo, exec_lo, s27
	s_delay_alu instid0(SALU_CYCLE_1) | instskip(SKIP_1) | instid1(SALU_CYCLE_1)
	s_and_not1_b32 s1, s1, exec_lo
	s_and_b32 s0, s0, exec_lo
	s_or_b32 s1, s1, s0
	s_or_b32 exec_lo, exec_lo, s74
	s_and_saveexec_b32 s74, s22
	s_cbranch_execz .LBB743_135
.LBB743_204:
	global_load_u8 v5, v[2:3], off offset:128
	s_waitcnt vmcnt(0)
	v_and_b32_e32 v5, 1, v5
	s_delay_alu instid0(VALU_DEP_1) | instskip(NEXT) | instid1(VALU_DEP_1)
	v_cmp_eq_u32_e64 s0, 1, v5
	s_xor_b32 s28, s0, -1
	s_mov_b32 s0, s1
	s_and_saveexec_b32 s27, s28
; %bb.205:
	v_cmp_gt_f32_e64 s0, v4, v67
	s_delay_alu instid0(VALU_DEP_1) | instskip(NEXT) | instid1(SALU_CYCLE_1)
	s_and_b32 s0, s1, s0
	v_cndmask_b32_e64 v4, v67, v4, s0
	s_or_b32 s0, s1, exec_lo
; %bb.206:
	s_or_b32 exec_lo, exec_lo, s27
	s_delay_alu instid0(SALU_CYCLE_1) | instskip(SKIP_1) | instid1(SALU_CYCLE_1)
	s_and_not1_b32 s1, s1, exec_lo
	s_and_b32 s0, s0, exec_lo
	s_or_b32 s1, s1, s0
	s_or_b32 exec_lo, exec_lo, s74
	s_and_saveexec_b32 s74, s21
	s_cbranch_execz .LBB743_136
.LBB743_207:
	global_load_u8 v5, v[2:3], off offset:160
	s_waitcnt vmcnt(0)
	v_and_b32_e32 v5, 1, v5
	s_delay_alu instid0(VALU_DEP_1) | instskip(NEXT) | instid1(VALU_DEP_1)
	v_cmp_eq_u32_e64 s0, 1, v5
	s_xor_b32 s28, s0, -1
	s_mov_b32 s0, s1
	s_and_saveexec_b32 s27, s28
; %bb.208:
	v_cmp_gt_f32_e64 s0, v4, v66
	s_delay_alu instid0(VALU_DEP_1) | instskip(NEXT) | instid1(SALU_CYCLE_1)
	s_and_b32 s0, s1, s0
	v_cndmask_b32_e64 v4, v66, v4, s0
	s_or_b32 s0, s1, exec_lo
; %bb.209:
	s_or_b32 exec_lo, exec_lo, s27
	s_delay_alu instid0(SALU_CYCLE_1) | instskip(SKIP_1) | instid1(SALU_CYCLE_1)
	s_and_not1_b32 s1, s1, exec_lo
	s_and_b32 s0, s0, exec_lo
	s_or_b32 s1, s1, s0
	s_or_b32 exec_lo, exec_lo, s74
	s_and_saveexec_b32 s74, s20
	s_cbranch_execz .LBB743_137
.LBB743_210:
	global_load_u8 v5, v[2:3], off offset:192
	s_waitcnt vmcnt(0)
	v_and_b32_e32 v5, 1, v5
	s_delay_alu instid0(VALU_DEP_1) | instskip(NEXT) | instid1(VALU_DEP_1)
	v_cmp_eq_u32_e64 s0, 1, v5
	s_xor_b32 s28, s0, -1
	s_mov_b32 s0, s1
	s_and_saveexec_b32 s27, s28
; %bb.211:
	v_cmp_gt_f32_e64 s0, v4, v65
	s_delay_alu instid0(VALU_DEP_1) | instskip(NEXT) | instid1(SALU_CYCLE_1)
	s_and_b32 s0, s1, s0
	v_cndmask_b32_e64 v4, v65, v4, s0
	s_or_b32 s0, s1, exec_lo
; %bb.212:
	s_or_b32 exec_lo, exec_lo, s27
	s_delay_alu instid0(SALU_CYCLE_1) | instskip(SKIP_1) | instid1(SALU_CYCLE_1)
	s_and_not1_b32 s1, s1, exec_lo
	s_and_b32 s0, s0, exec_lo
	s_or_b32 s1, s1, s0
	s_or_b32 exec_lo, exec_lo, s74
	s_and_saveexec_b32 s74, s19
	s_cbranch_execz .LBB743_138
.LBB743_213:
	global_load_u8 v5, v[2:3], off offset:224
	s_waitcnt vmcnt(0)
	v_and_b32_e32 v5, 1, v5
	s_delay_alu instid0(VALU_DEP_1) | instskip(NEXT) | instid1(VALU_DEP_1)
	v_cmp_eq_u32_e64 s0, 1, v5
	s_xor_b32 s28, s0, -1
	s_mov_b32 s0, s1
	s_and_saveexec_b32 s27, s28
; %bb.214:
	v_cmp_gt_f32_e64 s0, v4, v64
	s_delay_alu instid0(VALU_DEP_1) | instskip(NEXT) | instid1(SALU_CYCLE_1)
	s_and_b32 s0, s1, s0
	v_cndmask_b32_e64 v4, v64, v4, s0
	s_or_b32 s0, s1, exec_lo
; %bb.215:
	s_or_b32 exec_lo, exec_lo, s27
	s_delay_alu instid0(SALU_CYCLE_1) | instskip(SKIP_1) | instid1(SALU_CYCLE_1)
	s_and_not1_b32 s1, s1, exec_lo
	s_and_b32 s0, s0, exec_lo
	s_or_b32 s1, s1, s0
	s_or_b32 exec_lo, exec_lo, s74
	s_and_saveexec_b32 s74, s18
	s_cbranch_execz .LBB743_139
.LBB743_216:
	global_load_u8 v5, v[2:3], off offset:256
	s_waitcnt vmcnt(0)
	v_and_b32_e32 v5, 1, v5
	s_delay_alu instid0(VALU_DEP_1) | instskip(NEXT) | instid1(VALU_DEP_1)
	v_cmp_eq_u32_e64 s0, 1, v5
	s_xor_b32 s28, s0, -1
	s_mov_b32 s0, s1
	s_and_saveexec_b32 s27, s28
; %bb.217:
	v_cmp_gt_f32_e64 s0, v4, v63
	s_delay_alu instid0(VALU_DEP_1) | instskip(NEXT) | instid1(SALU_CYCLE_1)
	s_and_b32 s0, s1, s0
	v_cndmask_b32_e64 v4, v63, v4, s0
	s_or_b32 s0, s1, exec_lo
; %bb.218:
	s_or_b32 exec_lo, exec_lo, s27
	s_delay_alu instid0(SALU_CYCLE_1) | instskip(SKIP_1) | instid1(SALU_CYCLE_1)
	s_and_not1_b32 s1, s1, exec_lo
	s_and_b32 s0, s0, exec_lo
	s_or_b32 s1, s1, s0
	s_or_b32 exec_lo, exec_lo, s74
	s_and_saveexec_b32 s74, s17
	s_cbranch_execz .LBB743_140
.LBB743_219:
	global_load_u8 v5, v[2:3], off offset:288
	s_waitcnt vmcnt(0)
	v_and_b32_e32 v5, 1, v5
	s_delay_alu instid0(VALU_DEP_1) | instskip(NEXT) | instid1(VALU_DEP_1)
	v_cmp_eq_u32_e64 s0, 1, v5
	s_xor_b32 s28, s0, -1
	s_mov_b32 s0, s1
	s_and_saveexec_b32 s27, s28
; %bb.220:
	v_cmp_gt_f32_e64 s0, v4, v62
	s_delay_alu instid0(VALU_DEP_1) | instskip(NEXT) | instid1(SALU_CYCLE_1)
	s_and_b32 s0, s1, s0
	v_cndmask_b32_e64 v4, v62, v4, s0
	s_or_b32 s0, s1, exec_lo
; %bb.221:
	s_or_b32 exec_lo, exec_lo, s27
	s_delay_alu instid0(SALU_CYCLE_1) | instskip(SKIP_1) | instid1(SALU_CYCLE_1)
	s_and_not1_b32 s1, s1, exec_lo
	s_and_b32 s0, s0, exec_lo
	s_or_b32 s1, s1, s0
	s_or_b32 exec_lo, exec_lo, s74
	s_and_saveexec_b32 s74, s16
	s_cbranch_execz .LBB743_141
.LBB743_222:
	global_load_u8 v5, v[2:3], off offset:320
	s_waitcnt vmcnt(0)
	v_and_b32_e32 v5, 1, v5
	s_delay_alu instid0(VALU_DEP_1) | instskip(NEXT) | instid1(VALU_DEP_1)
	v_cmp_eq_u32_e64 s0, 1, v5
	s_xor_b32 s28, s0, -1
	s_mov_b32 s0, s1
	s_and_saveexec_b32 s27, s28
; %bb.223:
	v_cmp_gt_f32_e64 s0, v4, v61
	s_delay_alu instid0(VALU_DEP_1) | instskip(NEXT) | instid1(SALU_CYCLE_1)
	s_and_b32 s0, s1, s0
	v_cndmask_b32_e64 v4, v61, v4, s0
	s_or_b32 s0, s1, exec_lo
; %bb.224:
	s_or_b32 exec_lo, exec_lo, s27
	s_delay_alu instid0(SALU_CYCLE_1) | instskip(SKIP_1) | instid1(SALU_CYCLE_1)
	s_and_not1_b32 s1, s1, exec_lo
	s_and_b32 s0, s0, exec_lo
	s_or_b32 s1, s1, s0
	s_or_b32 exec_lo, exec_lo, s74
	s_and_saveexec_b32 s74, s15
	s_cbranch_execz .LBB743_142
.LBB743_225:
	global_load_u8 v5, v[2:3], off offset:352
	s_waitcnt vmcnt(0)
	v_and_b32_e32 v5, 1, v5
	s_delay_alu instid0(VALU_DEP_1) | instskip(NEXT) | instid1(VALU_DEP_1)
	v_cmp_eq_u32_e64 s0, 1, v5
	s_xor_b32 s28, s0, -1
	s_mov_b32 s0, s1
	s_and_saveexec_b32 s27, s28
; %bb.226:
	v_cmp_gt_f32_e64 s0, v4, v60
	s_delay_alu instid0(VALU_DEP_1) | instskip(NEXT) | instid1(SALU_CYCLE_1)
	s_and_b32 s0, s1, s0
	v_cndmask_b32_e64 v4, v60, v4, s0
	s_or_b32 s0, s1, exec_lo
; %bb.227:
	s_or_b32 exec_lo, exec_lo, s27
	s_delay_alu instid0(SALU_CYCLE_1) | instskip(SKIP_1) | instid1(SALU_CYCLE_1)
	s_and_not1_b32 s1, s1, exec_lo
	s_and_b32 s0, s0, exec_lo
	s_or_b32 s1, s1, s0
	s_or_b32 exec_lo, exec_lo, s74
	s_and_saveexec_b32 s74, s14
	s_cbranch_execz .LBB743_143
.LBB743_228:
	global_load_u8 v5, v[2:3], off offset:384
	s_waitcnt vmcnt(0)
	v_and_b32_e32 v5, 1, v5
	s_delay_alu instid0(VALU_DEP_1) | instskip(NEXT) | instid1(VALU_DEP_1)
	v_cmp_eq_u32_e64 s0, 1, v5
	s_xor_b32 s28, s0, -1
	s_mov_b32 s0, s1
	s_and_saveexec_b32 s27, s28
; %bb.229:
	v_cmp_gt_f32_e64 s0, v4, v59
	s_delay_alu instid0(VALU_DEP_1) | instskip(NEXT) | instid1(SALU_CYCLE_1)
	s_and_b32 s0, s1, s0
	v_cndmask_b32_e64 v4, v59, v4, s0
	s_or_b32 s0, s1, exec_lo
; %bb.230:
	s_or_b32 exec_lo, exec_lo, s27
	s_delay_alu instid0(SALU_CYCLE_1) | instskip(SKIP_1) | instid1(SALU_CYCLE_1)
	s_and_not1_b32 s1, s1, exec_lo
	s_and_b32 s0, s0, exec_lo
	s_or_b32 s1, s1, s0
	s_or_b32 exec_lo, exec_lo, s74
	s_and_saveexec_b32 s74, s13
	s_cbranch_execz .LBB743_144
.LBB743_231:
	global_load_u8 v5, v[2:3], off offset:416
	s_waitcnt vmcnt(0)
	v_and_b32_e32 v5, 1, v5
	s_delay_alu instid0(VALU_DEP_1) | instskip(NEXT) | instid1(VALU_DEP_1)
	v_cmp_eq_u32_e64 s0, 1, v5
	s_xor_b32 s28, s0, -1
	s_mov_b32 s0, s1
	s_and_saveexec_b32 s27, s28
; %bb.232:
	v_cmp_gt_f32_e64 s0, v4, v58
	s_delay_alu instid0(VALU_DEP_1) | instskip(NEXT) | instid1(SALU_CYCLE_1)
	s_and_b32 s0, s1, s0
	v_cndmask_b32_e64 v4, v58, v4, s0
	s_or_b32 s0, s1, exec_lo
; %bb.233:
	s_or_b32 exec_lo, exec_lo, s27
	s_delay_alu instid0(SALU_CYCLE_1) | instskip(SKIP_1) | instid1(SALU_CYCLE_1)
	s_and_not1_b32 s1, s1, exec_lo
	s_and_b32 s0, s0, exec_lo
	s_or_b32 s1, s1, s0
	s_or_b32 exec_lo, exec_lo, s74
	s_and_saveexec_b32 s74, s12
	s_cbranch_execz .LBB743_145
.LBB743_234:
	global_load_u8 v5, v[2:3], off offset:448
	s_waitcnt vmcnt(0)
	v_and_b32_e32 v5, 1, v5
	s_delay_alu instid0(VALU_DEP_1) | instskip(NEXT) | instid1(VALU_DEP_1)
	v_cmp_eq_u32_e64 s0, 1, v5
	s_xor_b32 s28, s0, -1
	s_mov_b32 s0, s1
	s_and_saveexec_b32 s27, s28
; %bb.235:
	v_cmp_gt_f32_e64 s0, v4, v57
	s_delay_alu instid0(VALU_DEP_1) | instskip(NEXT) | instid1(SALU_CYCLE_1)
	s_and_b32 s0, s1, s0
	v_cndmask_b32_e64 v4, v57, v4, s0
	s_or_b32 s0, s1, exec_lo
; %bb.236:
	s_or_b32 exec_lo, exec_lo, s27
	s_delay_alu instid0(SALU_CYCLE_1) | instskip(SKIP_1) | instid1(SALU_CYCLE_1)
	s_and_not1_b32 s1, s1, exec_lo
	s_and_b32 s0, s0, exec_lo
	s_or_b32 s1, s1, s0
	s_or_b32 exec_lo, exec_lo, s74
	s_and_saveexec_b32 s74, s11
	s_cbranch_execz .LBB743_146
.LBB743_237:
	global_load_u8 v5, v[2:3], off offset:480
	s_waitcnt vmcnt(0)
	v_and_b32_e32 v5, 1, v5
	s_delay_alu instid0(VALU_DEP_1) | instskip(NEXT) | instid1(VALU_DEP_1)
	v_cmp_eq_u32_e64 s0, 1, v5
	s_xor_b32 s28, s0, -1
	s_mov_b32 s0, s1
	s_and_saveexec_b32 s27, s28
; %bb.238:
	v_cmp_gt_f32_e64 s0, v4, v56
	s_delay_alu instid0(VALU_DEP_1) | instskip(NEXT) | instid1(SALU_CYCLE_1)
	s_and_b32 s0, s1, s0
	v_cndmask_b32_e64 v4, v56, v4, s0
	s_or_b32 s0, s1, exec_lo
; %bb.239:
	s_or_b32 exec_lo, exec_lo, s27
	s_delay_alu instid0(SALU_CYCLE_1) | instskip(SKIP_1) | instid1(SALU_CYCLE_1)
	s_and_not1_b32 s1, s1, exec_lo
	s_and_b32 s0, s0, exec_lo
	s_or_b32 s1, s1, s0
	s_or_b32 exec_lo, exec_lo, s74
	s_and_saveexec_b32 s74, s10
	s_cbranch_execz .LBB743_147
.LBB743_240:
	global_load_u8 v5, v[2:3], off offset:512
	s_waitcnt vmcnt(0)
	v_and_b32_e32 v5, 1, v5
	s_delay_alu instid0(VALU_DEP_1) | instskip(NEXT) | instid1(VALU_DEP_1)
	v_cmp_eq_u32_e64 s0, 1, v5
	s_xor_b32 s28, s0, -1
	s_mov_b32 s0, s1
	s_and_saveexec_b32 s27, s28
; %bb.241:
	v_cmp_gt_f32_e64 s0, v4, v55
	s_delay_alu instid0(VALU_DEP_1) | instskip(NEXT) | instid1(SALU_CYCLE_1)
	s_and_b32 s0, s1, s0
	v_cndmask_b32_e64 v4, v55, v4, s0
	s_or_b32 s0, s1, exec_lo
; %bb.242:
	s_or_b32 exec_lo, exec_lo, s27
	s_delay_alu instid0(SALU_CYCLE_1) | instskip(SKIP_1) | instid1(SALU_CYCLE_1)
	s_and_not1_b32 s1, s1, exec_lo
	s_and_b32 s0, s0, exec_lo
	s_or_b32 s1, s1, s0
	s_or_b32 exec_lo, exec_lo, s74
	s_and_saveexec_b32 s74, s9
	s_cbranch_execz .LBB743_148
.LBB743_243:
	global_load_u8 v5, v[2:3], off offset:544
	s_waitcnt vmcnt(0)
	v_and_b32_e32 v5, 1, v5
	s_delay_alu instid0(VALU_DEP_1) | instskip(NEXT) | instid1(VALU_DEP_1)
	v_cmp_eq_u32_e64 s0, 1, v5
	s_xor_b32 s28, s0, -1
	s_mov_b32 s0, s1
	s_and_saveexec_b32 s27, s28
; %bb.244:
	v_cmp_gt_f32_e64 s0, v4, v54
	s_delay_alu instid0(VALU_DEP_1) | instskip(NEXT) | instid1(SALU_CYCLE_1)
	s_and_b32 s0, s1, s0
	v_cndmask_b32_e64 v4, v54, v4, s0
	s_or_b32 s0, s1, exec_lo
; %bb.245:
	s_or_b32 exec_lo, exec_lo, s27
	s_delay_alu instid0(SALU_CYCLE_1) | instskip(SKIP_1) | instid1(SALU_CYCLE_1)
	s_and_not1_b32 s1, s1, exec_lo
	s_and_b32 s0, s0, exec_lo
	s_or_b32 s1, s1, s0
	s_or_b32 exec_lo, exec_lo, s74
	s_and_saveexec_b32 s74, s8
	s_cbranch_execz .LBB743_149
.LBB743_246:
	global_load_u8 v5, v[2:3], off offset:576
	s_waitcnt vmcnt(0)
	v_and_b32_e32 v5, 1, v5
	s_delay_alu instid0(VALU_DEP_1) | instskip(NEXT) | instid1(VALU_DEP_1)
	v_cmp_eq_u32_e64 s0, 1, v5
	s_xor_b32 s28, s0, -1
	s_mov_b32 s0, s1
	s_and_saveexec_b32 s27, s28
; %bb.247:
	v_cmp_gt_f32_e64 s0, v4, v53
	s_delay_alu instid0(VALU_DEP_1) | instskip(NEXT) | instid1(SALU_CYCLE_1)
	s_and_b32 s0, s1, s0
	v_cndmask_b32_e64 v4, v53, v4, s0
	s_or_b32 s0, s1, exec_lo
; %bb.248:
	s_or_b32 exec_lo, exec_lo, s27
	s_delay_alu instid0(SALU_CYCLE_1) | instskip(SKIP_1) | instid1(SALU_CYCLE_1)
	s_and_not1_b32 s1, s1, exec_lo
	s_and_b32 s0, s0, exec_lo
	s_or_b32 s1, s1, s0
	s_or_b32 exec_lo, exec_lo, s74
	s_and_saveexec_b32 s74, s69
	s_cbranch_execz .LBB743_150
.LBB743_249:
	global_load_u8 v5, v[2:3], off offset:608
	s_waitcnt vmcnt(0)
	v_and_b32_e32 v5, 1, v5
	s_delay_alu instid0(VALU_DEP_1) | instskip(NEXT) | instid1(VALU_DEP_1)
	v_cmp_eq_u32_e64 s0, 1, v5
	s_xor_b32 s28, s0, -1
	s_mov_b32 s0, s1
	s_and_saveexec_b32 s27, s28
; %bb.250:
	v_cmp_gt_f32_e64 s0, v4, v52
	s_delay_alu instid0(VALU_DEP_1) | instskip(NEXT) | instid1(SALU_CYCLE_1)
	s_and_b32 s0, s1, s0
	v_cndmask_b32_e64 v4, v52, v4, s0
	s_or_b32 s0, s1, exec_lo
; %bb.251:
	s_or_b32 exec_lo, exec_lo, s27
	s_delay_alu instid0(SALU_CYCLE_1) | instskip(SKIP_1) | instid1(SALU_CYCLE_1)
	s_and_not1_b32 s1, s1, exec_lo
	s_and_b32 s0, s0, exec_lo
	s_or_b32 s1, s1, s0
	s_or_b32 exec_lo, exec_lo, s74
	s_and_saveexec_b32 s74, s68
	s_cbranch_execz .LBB743_151
.LBB743_252:
	global_load_u8 v5, v[2:3], off offset:640
	s_waitcnt vmcnt(0)
	v_and_b32_e32 v5, 1, v5
	s_delay_alu instid0(VALU_DEP_1) | instskip(NEXT) | instid1(VALU_DEP_1)
	v_cmp_eq_u32_e64 s0, 1, v5
	s_xor_b32 s28, s0, -1
	s_mov_b32 s0, s1
	s_and_saveexec_b32 s27, s28
; %bb.253:
	v_cmp_gt_f32_e64 s0, v4, v51
	s_delay_alu instid0(VALU_DEP_1) | instskip(NEXT) | instid1(SALU_CYCLE_1)
	s_and_b32 s0, s1, s0
	v_cndmask_b32_e64 v4, v51, v4, s0
	s_or_b32 s0, s1, exec_lo
; %bb.254:
	s_or_b32 exec_lo, exec_lo, s27
	s_delay_alu instid0(SALU_CYCLE_1) | instskip(SKIP_1) | instid1(SALU_CYCLE_1)
	s_and_not1_b32 s1, s1, exec_lo
	s_and_b32 s0, s0, exec_lo
	s_or_b32 s1, s1, s0
	s_or_b32 exec_lo, exec_lo, s74
	s_and_saveexec_b32 s74, s7
	s_cbranch_execz .LBB743_152
.LBB743_255:
	global_load_u8 v5, v[2:3], off offset:672
	s_waitcnt vmcnt(0)
	v_and_b32_e32 v5, 1, v5
	s_delay_alu instid0(VALU_DEP_1) | instskip(NEXT) | instid1(VALU_DEP_1)
	v_cmp_eq_u32_e64 s0, 1, v5
	s_xor_b32 s28, s0, -1
	s_mov_b32 s0, s1
	s_and_saveexec_b32 s27, s28
; %bb.256:
	v_cmp_gt_f32_e64 s0, v4, v50
	s_delay_alu instid0(VALU_DEP_1) | instskip(NEXT) | instid1(SALU_CYCLE_1)
	s_and_b32 s0, s1, s0
	v_cndmask_b32_e64 v4, v50, v4, s0
	s_or_b32 s0, s1, exec_lo
; %bb.257:
	s_or_b32 exec_lo, exec_lo, s27
	s_delay_alu instid0(SALU_CYCLE_1) | instskip(SKIP_1) | instid1(SALU_CYCLE_1)
	s_and_not1_b32 s1, s1, exec_lo
	s_and_b32 s0, s0, exec_lo
	s_or_b32 s1, s1, s0
	s_or_b32 exec_lo, exec_lo, s74
	s_and_saveexec_b32 s74, s6
	s_cbranch_execz .LBB743_153
.LBB743_258:
	global_load_u8 v5, v[2:3], off offset:704
	s_waitcnt vmcnt(0)
	v_and_b32_e32 v5, 1, v5
	s_delay_alu instid0(VALU_DEP_1) | instskip(NEXT) | instid1(VALU_DEP_1)
	v_cmp_eq_u32_e64 s0, 1, v5
	s_xor_b32 s28, s0, -1
	s_mov_b32 s0, s1
	s_and_saveexec_b32 s27, s28
; %bb.259:
	v_cmp_gt_f32_e64 s0, v4, v49
	s_delay_alu instid0(VALU_DEP_1) | instskip(NEXT) | instid1(SALU_CYCLE_1)
	s_and_b32 s0, s1, s0
	v_cndmask_b32_e64 v4, v49, v4, s0
	s_or_b32 s0, s1, exec_lo
; %bb.260:
	s_or_b32 exec_lo, exec_lo, s27
	s_delay_alu instid0(SALU_CYCLE_1) | instskip(SKIP_1) | instid1(SALU_CYCLE_1)
	s_and_not1_b32 s1, s1, exec_lo
	s_and_b32 s0, s0, exec_lo
	s_or_b32 s1, s1, s0
	s_or_b32 exec_lo, exec_lo, s74
	s_and_saveexec_b32 s74, s5
	s_cbranch_execz .LBB743_154
.LBB743_261:
	global_load_u8 v5, v[2:3], off offset:736
	s_waitcnt vmcnt(0)
	v_and_b32_e32 v5, 1, v5
	s_delay_alu instid0(VALU_DEP_1) | instskip(NEXT) | instid1(VALU_DEP_1)
	v_cmp_eq_u32_e64 s0, 1, v5
	s_xor_b32 s28, s0, -1
	s_mov_b32 s0, s1
	s_and_saveexec_b32 s27, s28
; %bb.262:
	v_cmp_gt_f32_e64 s0, v4, v48
	s_delay_alu instid0(VALU_DEP_1) | instskip(NEXT) | instid1(SALU_CYCLE_1)
	s_and_b32 s0, s1, s0
	v_cndmask_b32_e64 v4, v48, v4, s0
	s_or_b32 s0, s1, exec_lo
; %bb.263:
	s_or_b32 exec_lo, exec_lo, s27
	s_delay_alu instid0(SALU_CYCLE_1) | instskip(SKIP_1) | instid1(SALU_CYCLE_1)
	s_and_not1_b32 s1, s1, exec_lo
	s_and_b32 s0, s0, exec_lo
	s_or_b32 s1, s1, s0
	s_or_b32 exec_lo, exec_lo, s74
	s_and_saveexec_b32 s74, s4
	s_cbranch_execz .LBB743_155
.LBB743_264:
	global_load_u8 v5, v[2:3], off offset:768
	s_waitcnt vmcnt(0)
	v_and_b32_e32 v5, 1, v5
	s_delay_alu instid0(VALU_DEP_1) | instskip(NEXT) | instid1(VALU_DEP_1)
	v_cmp_eq_u32_e64 s0, 1, v5
	s_xor_b32 s28, s0, -1
	s_mov_b32 s0, s1
	s_and_saveexec_b32 s27, s28
; %bb.265:
	v_cmp_gt_f32_e64 s0, v4, v47
	s_delay_alu instid0(VALU_DEP_1) | instskip(NEXT) | instid1(SALU_CYCLE_1)
	s_and_b32 s0, s1, s0
	v_cndmask_b32_e64 v4, v47, v4, s0
	s_or_b32 s0, s1, exec_lo
; %bb.266:
	s_or_b32 exec_lo, exec_lo, s27
	s_delay_alu instid0(SALU_CYCLE_1) | instskip(SKIP_1) | instid1(SALU_CYCLE_1)
	s_and_not1_b32 s1, s1, exec_lo
	s_and_b32 s0, s0, exec_lo
	s_or_b32 s1, s1, s0
	s_or_b32 exec_lo, exec_lo, s74
	s_and_saveexec_b32 s74, s3
	s_cbranch_execz .LBB743_156
.LBB743_267:
	global_load_u8 v5, v[2:3], off offset:800
	s_waitcnt vmcnt(0)
	v_and_b32_e32 v5, 1, v5
	s_delay_alu instid0(VALU_DEP_1) | instskip(NEXT) | instid1(VALU_DEP_1)
	v_cmp_eq_u32_e64 s0, 1, v5
	s_xor_b32 s28, s0, -1
	s_mov_b32 s0, s1
	s_and_saveexec_b32 s27, s28
; %bb.268:
	v_cmp_gt_f32_e64 s0, v4, v46
	s_delay_alu instid0(VALU_DEP_1) | instskip(NEXT) | instid1(SALU_CYCLE_1)
	s_and_b32 s0, s1, s0
	v_cndmask_b32_e64 v4, v46, v4, s0
	s_or_b32 s0, s1, exec_lo
; %bb.269:
	s_or_b32 exec_lo, exec_lo, s27
	s_delay_alu instid0(SALU_CYCLE_1) | instskip(SKIP_1) | instid1(SALU_CYCLE_1)
	s_and_not1_b32 s1, s1, exec_lo
	s_and_b32 s0, s0, exec_lo
	s_or_b32 s1, s1, s0
	s_or_b32 exec_lo, exec_lo, s74
	s_and_saveexec_b32 s74, s2
	s_cbranch_execz .LBB743_157
.LBB743_270:
	global_load_u8 v5, v[2:3], off offset:832
	s_waitcnt vmcnt(0)
	v_and_b32_e32 v5, 1, v5
	s_delay_alu instid0(VALU_DEP_1) | instskip(NEXT) | instid1(VALU_DEP_1)
	v_cmp_eq_u32_e64 s0, 1, v5
	s_xor_b32 s28, s0, -1
	s_mov_b32 s0, s1
	s_and_saveexec_b32 s27, s28
; %bb.271:
	v_cmp_gt_f32_e64 s0, v4, v45
	s_delay_alu instid0(VALU_DEP_1) | instskip(NEXT) | instid1(SALU_CYCLE_1)
	s_and_b32 s0, s1, s0
	v_cndmask_b32_e64 v4, v45, v4, s0
	s_or_b32 s0, s1, exec_lo
; %bb.272:
	s_or_b32 exec_lo, exec_lo, s27
	s_delay_alu instid0(SALU_CYCLE_1) | instskip(SKIP_1) | instid1(SALU_CYCLE_1)
	s_and_not1_b32 s1, s1, exec_lo
	s_and_b32 s0, s0, exec_lo
	s_or_b32 s1, s1, s0
	s_or_b32 exec_lo, exec_lo, s74
	s_and_saveexec_b32 s74, vcc_hi
	s_cbranch_execz .LBB743_158
.LBB743_273:
	global_load_u8 v5, v[2:3], off offset:864
	s_waitcnt vmcnt(0)
	v_and_b32_e32 v5, 1, v5
	s_delay_alu instid0(VALU_DEP_1) | instskip(NEXT) | instid1(VALU_DEP_1)
	v_cmp_eq_u32_e64 s0, 1, v5
	s_xor_b32 s28, s0, -1
	s_mov_b32 s0, s1
	s_and_saveexec_b32 s27, s28
; %bb.274:
	v_cmp_gt_f32_e64 s0, v4, v44
	s_delay_alu instid0(VALU_DEP_1) | instskip(NEXT) | instid1(SALU_CYCLE_1)
	s_and_b32 s0, s1, s0
	v_cndmask_b32_e64 v4, v44, v4, s0
	s_or_b32 s0, s1, exec_lo
; %bb.275:
	s_or_b32 exec_lo, exec_lo, s27
	s_delay_alu instid0(SALU_CYCLE_1) | instskip(SKIP_1) | instid1(SALU_CYCLE_1)
	s_and_not1_b32 s1, s1, exec_lo
	s_and_b32 s0, s0, exec_lo
	s_or_b32 s1, s1, s0
	s_or_b32 exec_lo, exec_lo, s74
	s_and_saveexec_b32 s74, s104
	s_cbranch_execz .LBB743_159
.LBB743_276:
	global_load_u8 v5, v[2:3], off offset:896
	s_waitcnt vmcnt(0)
	v_and_b32_e32 v5, 1, v5
	s_delay_alu instid0(VALU_DEP_1) | instskip(NEXT) | instid1(VALU_DEP_1)
	v_cmp_eq_u32_e64 s0, 1, v5
	s_xor_b32 s28, s0, -1
	s_mov_b32 s0, s1
	s_and_saveexec_b32 s27, s28
; %bb.277:
	v_cmp_gt_f32_e64 s0, v4, v43
	s_delay_alu instid0(VALU_DEP_1) | instskip(NEXT) | instid1(SALU_CYCLE_1)
	s_and_b32 s0, s1, s0
	v_cndmask_b32_e64 v4, v43, v4, s0
	s_or_b32 s0, s1, exec_lo
; %bb.278:
	s_or_b32 exec_lo, exec_lo, s27
	s_delay_alu instid0(SALU_CYCLE_1) | instskip(SKIP_1) | instid1(SALU_CYCLE_1)
	s_and_not1_b32 s1, s1, exec_lo
	s_and_b32 s0, s0, exec_lo
	s_or_b32 s1, s1, s0
	s_or_b32 exec_lo, exec_lo, s74
	s_and_saveexec_b32 s74, s103
	s_cbranch_execz .LBB743_160
.LBB743_279:
	global_load_u8 v5, v[2:3], off offset:928
	s_waitcnt vmcnt(0)
	v_and_b32_e32 v5, 1, v5
	s_delay_alu instid0(VALU_DEP_1) | instskip(NEXT) | instid1(VALU_DEP_1)
	v_cmp_eq_u32_e64 s0, 1, v5
	s_xor_b32 s28, s0, -1
	s_mov_b32 s0, s1
	s_and_saveexec_b32 s27, s28
; %bb.280:
	v_cmp_gt_f32_e64 s0, v4, v42
	s_delay_alu instid0(VALU_DEP_1) | instskip(NEXT) | instid1(SALU_CYCLE_1)
	s_and_b32 s0, s1, s0
	v_cndmask_b32_e64 v4, v42, v4, s0
	s_or_b32 s0, s1, exec_lo
; %bb.281:
	s_or_b32 exec_lo, exec_lo, s27
	s_delay_alu instid0(SALU_CYCLE_1) | instskip(SKIP_1) | instid1(SALU_CYCLE_1)
	s_and_not1_b32 s1, s1, exec_lo
	s_and_b32 s0, s0, exec_lo
	s_or_b32 s1, s1, s0
	s_or_b32 exec_lo, exec_lo, s74
	s_and_saveexec_b32 s74, s102
	s_cbranch_execz .LBB743_161
.LBB743_282:
	global_load_u8 v5, v[2:3], off offset:960
	s_waitcnt vmcnt(0)
	v_and_b32_e32 v5, 1, v5
	s_delay_alu instid0(VALU_DEP_1) | instskip(NEXT) | instid1(VALU_DEP_1)
	v_cmp_eq_u32_e64 s0, 1, v5
	s_xor_b32 s28, s0, -1
	s_mov_b32 s0, s1
	s_and_saveexec_b32 s27, s28
; %bb.283:
	v_cmp_gt_f32_e64 s0, v4, v41
	s_delay_alu instid0(VALU_DEP_1) | instskip(NEXT) | instid1(SALU_CYCLE_1)
	s_and_b32 s0, s1, s0
	v_cndmask_b32_e64 v4, v41, v4, s0
	s_or_b32 s0, s1, exec_lo
; %bb.284:
	s_or_b32 exec_lo, exec_lo, s27
	s_delay_alu instid0(SALU_CYCLE_1) | instskip(SKIP_1) | instid1(SALU_CYCLE_1)
	s_and_not1_b32 s1, s1, exec_lo
	s_and_b32 s0, s0, exec_lo
	s_or_b32 s1, s1, s0
	s_or_b32 exec_lo, exec_lo, s74
	s_and_saveexec_b32 s74, s101
	s_cbranch_execz .LBB743_162
.LBB743_285:
	global_load_u8 v5, v[2:3], off offset:992
	s_waitcnt vmcnt(0)
	v_and_b32_e32 v5, 1, v5
	s_delay_alu instid0(VALU_DEP_1) | instskip(NEXT) | instid1(VALU_DEP_1)
	v_cmp_eq_u32_e64 s0, 1, v5
	s_xor_b32 s28, s0, -1
	s_mov_b32 s0, s1
	s_and_saveexec_b32 s27, s28
; %bb.286:
	v_cmp_gt_f32_e64 s0, v4, v40
	s_delay_alu instid0(VALU_DEP_1) | instskip(NEXT) | instid1(SALU_CYCLE_1)
	s_and_b32 s0, s1, s0
	v_cndmask_b32_e64 v4, v40, v4, s0
	s_or_b32 s0, s1, exec_lo
; %bb.287:
	s_or_b32 exec_lo, exec_lo, s27
	s_delay_alu instid0(SALU_CYCLE_1) | instskip(SKIP_1) | instid1(SALU_CYCLE_1)
	s_and_not1_b32 s1, s1, exec_lo
	s_and_b32 s0, s0, exec_lo
	s_or_b32 s1, s1, s0
	s_or_b32 exec_lo, exec_lo, s74
	s_and_saveexec_b32 s74, s100
	s_cbranch_execz .LBB743_163
.LBB743_288:
	global_load_u8 v5, v[2:3], off offset:1024
	s_waitcnt vmcnt(0)
	v_and_b32_e32 v5, 1, v5
	s_delay_alu instid0(VALU_DEP_1) | instskip(NEXT) | instid1(VALU_DEP_1)
	v_cmp_eq_u32_e64 s0, 1, v5
	s_xor_b32 s28, s0, -1
	s_mov_b32 s0, s1
	s_and_saveexec_b32 s27, s28
; %bb.289:
	v_cmp_gt_f32_e64 s0, v4, v39
	s_delay_alu instid0(VALU_DEP_1) | instskip(NEXT) | instid1(SALU_CYCLE_1)
	s_and_b32 s0, s1, s0
	v_cndmask_b32_e64 v4, v39, v4, s0
	s_or_b32 s0, s1, exec_lo
; %bb.290:
	s_or_b32 exec_lo, exec_lo, s27
	s_delay_alu instid0(SALU_CYCLE_1) | instskip(SKIP_1) | instid1(SALU_CYCLE_1)
	s_and_not1_b32 s1, s1, exec_lo
	s_and_b32 s0, s0, exec_lo
	s_or_b32 s1, s1, s0
	s_or_b32 exec_lo, exec_lo, s74
	s_and_saveexec_b32 s74, s99
	s_cbranch_execz .LBB743_164
.LBB743_291:
	global_load_u8 v5, v[2:3], off offset:1056
	s_waitcnt vmcnt(0)
	v_and_b32_e32 v5, 1, v5
	s_delay_alu instid0(VALU_DEP_1) | instskip(NEXT) | instid1(VALU_DEP_1)
	v_cmp_eq_u32_e64 s0, 1, v5
	s_xor_b32 s28, s0, -1
	s_mov_b32 s0, s1
	s_and_saveexec_b32 s27, s28
; %bb.292:
	v_cmp_gt_f32_e64 s0, v4, v38
	s_delay_alu instid0(VALU_DEP_1) | instskip(NEXT) | instid1(SALU_CYCLE_1)
	s_and_b32 s0, s1, s0
	v_cndmask_b32_e64 v4, v38, v4, s0
	s_or_b32 s0, s1, exec_lo
; %bb.293:
	s_or_b32 exec_lo, exec_lo, s27
	s_delay_alu instid0(SALU_CYCLE_1) | instskip(SKIP_1) | instid1(SALU_CYCLE_1)
	s_and_not1_b32 s1, s1, exec_lo
	s_and_b32 s0, s0, exec_lo
	s_or_b32 s1, s1, s0
	s_or_b32 exec_lo, exec_lo, s74
	s_and_saveexec_b32 s74, s98
	s_cbranch_execz .LBB743_165
.LBB743_294:
	global_load_u8 v5, v[2:3], off offset:1088
	s_waitcnt vmcnt(0)
	v_and_b32_e32 v5, 1, v5
	s_delay_alu instid0(VALU_DEP_1) | instskip(NEXT) | instid1(VALU_DEP_1)
	v_cmp_eq_u32_e64 s0, 1, v5
	s_xor_b32 s28, s0, -1
	s_mov_b32 s0, s1
	s_and_saveexec_b32 s27, s28
; %bb.295:
	v_cmp_gt_f32_e64 s0, v4, v37
	s_delay_alu instid0(VALU_DEP_1) | instskip(NEXT) | instid1(SALU_CYCLE_1)
	s_and_b32 s0, s1, s0
	v_cndmask_b32_e64 v4, v37, v4, s0
	s_or_b32 s0, s1, exec_lo
; %bb.296:
	s_or_b32 exec_lo, exec_lo, s27
	s_delay_alu instid0(SALU_CYCLE_1) | instskip(SKIP_1) | instid1(SALU_CYCLE_1)
	s_and_not1_b32 s1, s1, exec_lo
	s_and_b32 s0, s0, exec_lo
	s_or_b32 s1, s1, s0
	s_or_b32 exec_lo, exec_lo, s74
	s_and_saveexec_b32 s74, s97
	s_cbranch_execz .LBB743_166
.LBB743_297:
	global_load_u8 v5, v[2:3], off offset:1120
	s_waitcnt vmcnt(0)
	v_and_b32_e32 v5, 1, v5
	s_delay_alu instid0(VALU_DEP_1) | instskip(NEXT) | instid1(VALU_DEP_1)
	v_cmp_eq_u32_e64 s0, 1, v5
	s_xor_b32 s28, s0, -1
	s_mov_b32 s0, s1
	s_and_saveexec_b32 s27, s28
; %bb.298:
	v_cmp_gt_f32_e64 s0, v4, v36
	s_delay_alu instid0(VALU_DEP_1) | instskip(NEXT) | instid1(SALU_CYCLE_1)
	s_and_b32 s0, s1, s0
	v_cndmask_b32_e64 v4, v36, v4, s0
	s_or_b32 s0, s1, exec_lo
; %bb.299:
	s_or_b32 exec_lo, exec_lo, s27
	s_delay_alu instid0(SALU_CYCLE_1) | instskip(SKIP_1) | instid1(SALU_CYCLE_1)
	s_and_not1_b32 s1, s1, exec_lo
	s_and_b32 s0, s0, exec_lo
	s_or_b32 s1, s1, s0
	s_or_b32 exec_lo, exec_lo, s74
	s_and_saveexec_b32 s74, s96
	s_cbranch_execz .LBB743_167
.LBB743_300:
	global_load_u8 v5, v[2:3], off offset:1152
	s_waitcnt vmcnt(0)
	v_and_b32_e32 v5, 1, v5
	s_delay_alu instid0(VALU_DEP_1) | instskip(NEXT) | instid1(VALU_DEP_1)
	v_cmp_eq_u32_e64 s0, 1, v5
	s_xor_b32 s28, s0, -1
	s_mov_b32 s0, s1
	s_and_saveexec_b32 s27, s28
; %bb.301:
	v_cmp_gt_f32_e64 s0, v4, v35
	s_delay_alu instid0(VALU_DEP_1) | instskip(NEXT) | instid1(SALU_CYCLE_1)
	s_and_b32 s0, s1, s0
	v_cndmask_b32_e64 v4, v35, v4, s0
	s_or_b32 s0, s1, exec_lo
; %bb.302:
	s_or_b32 exec_lo, exec_lo, s27
	s_delay_alu instid0(SALU_CYCLE_1) | instskip(SKIP_1) | instid1(SALU_CYCLE_1)
	s_and_not1_b32 s1, s1, exec_lo
	s_and_b32 s0, s0, exec_lo
	s_or_b32 s1, s1, s0
	s_or_b32 exec_lo, exec_lo, s74
	s_and_saveexec_b32 s74, s95
	s_cbranch_execz .LBB743_168
.LBB743_303:
	global_load_u8 v5, v[2:3], off offset:1184
	s_waitcnt vmcnt(0)
	v_and_b32_e32 v5, 1, v5
	s_delay_alu instid0(VALU_DEP_1) | instskip(NEXT) | instid1(VALU_DEP_1)
	v_cmp_eq_u32_e64 s0, 1, v5
	s_xor_b32 s28, s0, -1
	s_mov_b32 s0, s1
	s_and_saveexec_b32 s27, s28
; %bb.304:
	v_cmp_gt_f32_e64 s0, v4, v34
	s_delay_alu instid0(VALU_DEP_1) | instskip(NEXT) | instid1(SALU_CYCLE_1)
	s_and_b32 s0, s1, s0
	v_cndmask_b32_e64 v4, v34, v4, s0
	s_or_b32 s0, s1, exec_lo
; %bb.305:
	s_or_b32 exec_lo, exec_lo, s27
	s_delay_alu instid0(SALU_CYCLE_1) | instskip(SKIP_1) | instid1(SALU_CYCLE_1)
	s_and_not1_b32 s1, s1, exec_lo
	s_and_b32 s0, s0, exec_lo
	s_or_b32 s1, s1, s0
	s_or_b32 exec_lo, exec_lo, s74
	s_and_saveexec_b32 s74, s94
	s_cbranch_execz .LBB743_169
.LBB743_306:
	global_load_u8 v5, v[2:3], off offset:1216
	s_waitcnt vmcnt(0)
	v_and_b32_e32 v5, 1, v5
	s_delay_alu instid0(VALU_DEP_1) | instskip(NEXT) | instid1(VALU_DEP_1)
	v_cmp_eq_u32_e64 s0, 1, v5
	s_xor_b32 s28, s0, -1
	s_mov_b32 s0, s1
	s_and_saveexec_b32 s27, s28
; %bb.307:
	v_cmp_gt_f32_e64 s0, v4, v33
	s_delay_alu instid0(VALU_DEP_1) | instskip(NEXT) | instid1(SALU_CYCLE_1)
	s_and_b32 s0, s1, s0
	v_cndmask_b32_e64 v4, v33, v4, s0
	s_or_b32 s0, s1, exec_lo
; %bb.308:
	s_or_b32 exec_lo, exec_lo, s27
	s_delay_alu instid0(SALU_CYCLE_1) | instskip(SKIP_1) | instid1(SALU_CYCLE_1)
	s_and_not1_b32 s1, s1, exec_lo
	s_and_b32 s0, s0, exec_lo
	s_or_b32 s1, s1, s0
	s_or_b32 exec_lo, exec_lo, s74
	s_and_saveexec_b32 s74, s93
	s_cbranch_execz .LBB743_170
.LBB743_309:
	global_load_u8 v5, v[2:3], off offset:1248
	s_waitcnt vmcnt(0)
	v_and_b32_e32 v5, 1, v5
	s_delay_alu instid0(VALU_DEP_1) | instskip(NEXT) | instid1(VALU_DEP_1)
	v_cmp_eq_u32_e64 s0, 1, v5
	s_xor_b32 s28, s0, -1
	s_mov_b32 s0, s1
	s_and_saveexec_b32 s27, s28
; %bb.310:
	v_cmp_gt_f32_e64 s0, v4, v32
	s_delay_alu instid0(VALU_DEP_1) | instskip(NEXT) | instid1(SALU_CYCLE_1)
	s_and_b32 s0, s1, s0
	v_cndmask_b32_e64 v4, v32, v4, s0
	s_or_b32 s0, s1, exec_lo
; %bb.311:
	s_or_b32 exec_lo, exec_lo, s27
	s_delay_alu instid0(SALU_CYCLE_1) | instskip(SKIP_1) | instid1(SALU_CYCLE_1)
	s_and_not1_b32 s1, s1, exec_lo
	s_and_b32 s0, s0, exec_lo
	s_or_b32 s1, s1, s0
	s_or_b32 exec_lo, exec_lo, s74
	s_and_saveexec_b32 s74, s92
	s_cbranch_execz .LBB743_171
.LBB743_312:
	global_load_u8 v5, v[2:3], off offset:1280
	s_waitcnt vmcnt(0)
	v_and_b32_e32 v5, 1, v5
	s_delay_alu instid0(VALU_DEP_1) | instskip(NEXT) | instid1(VALU_DEP_1)
	v_cmp_eq_u32_e64 s0, 1, v5
	s_xor_b32 s28, s0, -1
	s_mov_b32 s0, s1
	s_and_saveexec_b32 s27, s28
; %bb.313:
	v_cmp_gt_f32_e64 s0, v4, v31
	s_delay_alu instid0(VALU_DEP_1) | instskip(NEXT) | instid1(SALU_CYCLE_1)
	s_and_b32 s0, s1, s0
	v_cndmask_b32_e64 v4, v31, v4, s0
	s_or_b32 s0, s1, exec_lo
; %bb.314:
	s_or_b32 exec_lo, exec_lo, s27
	s_delay_alu instid0(SALU_CYCLE_1) | instskip(SKIP_1) | instid1(SALU_CYCLE_1)
	s_and_not1_b32 s1, s1, exec_lo
	s_and_b32 s0, s0, exec_lo
	s_or_b32 s1, s1, s0
	s_or_b32 exec_lo, exec_lo, s74
	s_and_saveexec_b32 s74, s91
	s_cbranch_execz .LBB743_172
.LBB743_315:
	global_load_u8 v5, v[2:3], off offset:1312
	s_waitcnt vmcnt(0)
	v_and_b32_e32 v5, 1, v5
	s_delay_alu instid0(VALU_DEP_1) | instskip(NEXT) | instid1(VALU_DEP_1)
	v_cmp_eq_u32_e64 s0, 1, v5
	s_xor_b32 s28, s0, -1
	s_mov_b32 s0, s1
	s_and_saveexec_b32 s27, s28
; %bb.316:
	v_cmp_gt_f32_e64 s0, v4, v30
	s_delay_alu instid0(VALU_DEP_1) | instskip(NEXT) | instid1(SALU_CYCLE_1)
	s_and_b32 s0, s1, s0
	v_cndmask_b32_e64 v4, v30, v4, s0
	s_or_b32 s0, s1, exec_lo
; %bb.317:
	s_or_b32 exec_lo, exec_lo, s27
	s_delay_alu instid0(SALU_CYCLE_1) | instskip(SKIP_1) | instid1(SALU_CYCLE_1)
	s_and_not1_b32 s1, s1, exec_lo
	s_and_b32 s0, s0, exec_lo
	s_or_b32 s1, s1, s0
	s_or_b32 exec_lo, exec_lo, s74
	s_and_saveexec_b32 s74, s90
	s_cbranch_execz .LBB743_173
.LBB743_318:
	global_load_u8 v5, v[2:3], off offset:1344
	s_waitcnt vmcnt(0)
	v_and_b32_e32 v5, 1, v5
	s_delay_alu instid0(VALU_DEP_1) | instskip(NEXT) | instid1(VALU_DEP_1)
	v_cmp_eq_u32_e64 s0, 1, v5
	s_xor_b32 s28, s0, -1
	s_mov_b32 s0, s1
	s_and_saveexec_b32 s27, s28
; %bb.319:
	v_cmp_gt_f32_e64 s0, v4, v29
	s_delay_alu instid0(VALU_DEP_1) | instskip(NEXT) | instid1(SALU_CYCLE_1)
	s_and_b32 s0, s1, s0
	v_cndmask_b32_e64 v4, v29, v4, s0
	s_or_b32 s0, s1, exec_lo
; %bb.320:
	s_or_b32 exec_lo, exec_lo, s27
	s_delay_alu instid0(SALU_CYCLE_1) | instskip(SKIP_1) | instid1(SALU_CYCLE_1)
	s_and_not1_b32 s1, s1, exec_lo
	s_and_b32 s0, s0, exec_lo
	s_or_b32 s1, s1, s0
	s_or_b32 exec_lo, exec_lo, s74
	s_and_saveexec_b32 s74, s89
	s_cbranch_execz .LBB743_174
.LBB743_321:
	global_load_u8 v5, v[2:3], off offset:1376
	s_waitcnt vmcnt(0)
	v_and_b32_e32 v5, 1, v5
	s_delay_alu instid0(VALU_DEP_1) | instskip(NEXT) | instid1(VALU_DEP_1)
	v_cmp_eq_u32_e64 s0, 1, v5
	s_xor_b32 s28, s0, -1
	s_mov_b32 s0, s1
	s_and_saveexec_b32 s27, s28
; %bb.322:
	v_cmp_gt_f32_e64 s0, v4, v28
	s_delay_alu instid0(VALU_DEP_1) | instskip(NEXT) | instid1(SALU_CYCLE_1)
	s_and_b32 s0, s1, s0
	v_cndmask_b32_e64 v4, v28, v4, s0
	s_or_b32 s0, s1, exec_lo
; %bb.323:
	s_or_b32 exec_lo, exec_lo, s27
	s_delay_alu instid0(SALU_CYCLE_1) | instskip(SKIP_1) | instid1(SALU_CYCLE_1)
	s_and_not1_b32 s1, s1, exec_lo
	s_and_b32 s0, s0, exec_lo
	s_or_b32 s1, s1, s0
	s_or_b32 exec_lo, exec_lo, s74
	s_and_saveexec_b32 s74, s88
	s_cbranch_execz .LBB743_175
.LBB743_324:
	global_load_u8 v5, v[2:3], off offset:1408
	s_waitcnt vmcnt(0)
	v_and_b32_e32 v5, 1, v5
	s_delay_alu instid0(VALU_DEP_1) | instskip(NEXT) | instid1(VALU_DEP_1)
	v_cmp_eq_u32_e64 s0, 1, v5
	s_xor_b32 s28, s0, -1
	s_mov_b32 s0, s1
	s_and_saveexec_b32 s27, s28
; %bb.325:
	v_cmp_gt_f32_e64 s0, v4, v27
	s_delay_alu instid0(VALU_DEP_1) | instskip(NEXT) | instid1(SALU_CYCLE_1)
	s_and_b32 s0, s1, s0
	v_cndmask_b32_e64 v4, v27, v4, s0
	s_or_b32 s0, s1, exec_lo
; %bb.326:
	s_or_b32 exec_lo, exec_lo, s27
	s_delay_alu instid0(SALU_CYCLE_1) | instskip(SKIP_1) | instid1(SALU_CYCLE_1)
	s_and_not1_b32 s1, s1, exec_lo
	s_and_b32 s0, s0, exec_lo
	s_or_b32 s1, s1, s0
	s_or_b32 exec_lo, exec_lo, s74
	s_and_saveexec_b32 s74, s87
	s_cbranch_execz .LBB743_176
.LBB743_327:
	global_load_u8 v5, v[2:3], off offset:1440
	s_waitcnt vmcnt(0)
	v_and_b32_e32 v5, 1, v5
	s_delay_alu instid0(VALU_DEP_1) | instskip(NEXT) | instid1(VALU_DEP_1)
	v_cmp_eq_u32_e64 s0, 1, v5
	s_xor_b32 s28, s0, -1
	s_mov_b32 s0, s1
	s_and_saveexec_b32 s27, s28
; %bb.328:
	v_cmp_gt_f32_e64 s0, v4, v26
	s_delay_alu instid0(VALU_DEP_1) | instskip(NEXT) | instid1(SALU_CYCLE_1)
	s_and_b32 s0, s1, s0
	v_cndmask_b32_e64 v4, v26, v4, s0
	s_or_b32 s0, s1, exec_lo
; %bb.329:
	s_or_b32 exec_lo, exec_lo, s27
	s_delay_alu instid0(SALU_CYCLE_1) | instskip(SKIP_1) | instid1(SALU_CYCLE_1)
	s_and_not1_b32 s1, s1, exec_lo
	s_and_b32 s0, s0, exec_lo
	s_or_b32 s1, s1, s0
	s_or_b32 exec_lo, exec_lo, s74
	s_and_saveexec_b32 s74, s86
	s_cbranch_execz .LBB743_177
.LBB743_330:
	global_load_u8 v5, v[2:3], off offset:1472
	s_waitcnt vmcnt(0)
	v_and_b32_e32 v5, 1, v5
	s_delay_alu instid0(VALU_DEP_1) | instskip(NEXT) | instid1(VALU_DEP_1)
	v_cmp_eq_u32_e64 s0, 1, v5
	s_xor_b32 s28, s0, -1
	s_mov_b32 s0, s1
	s_and_saveexec_b32 s27, s28
; %bb.331:
	v_cmp_gt_f32_e64 s0, v4, v25
	s_delay_alu instid0(VALU_DEP_1) | instskip(NEXT) | instid1(SALU_CYCLE_1)
	s_and_b32 s0, s1, s0
	v_cndmask_b32_e64 v4, v25, v4, s0
	s_or_b32 s0, s1, exec_lo
; %bb.332:
	s_or_b32 exec_lo, exec_lo, s27
	s_delay_alu instid0(SALU_CYCLE_1) | instskip(SKIP_1) | instid1(SALU_CYCLE_1)
	s_and_not1_b32 s1, s1, exec_lo
	s_and_b32 s0, s0, exec_lo
	s_or_b32 s1, s1, s0
	s_or_b32 exec_lo, exec_lo, s74
	s_and_saveexec_b32 s74, s85
	s_cbranch_execz .LBB743_178
.LBB743_333:
	global_load_u8 v5, v[2:3], off offset:1504
	s_waitcnt vmcnt(0)
	v_and_b32_e32 v5, 1, v5
	s_delay_alu instid0(VALU_DEP_1) | instskip(NEXT) | instid1(VALU_DEP_1)
	v_cmp_eq_u32_e64 s0, 1, v5
	s_xor_b32 s28, s0, -1
	s_mov_b32 s0, s1
	s_and_saveexec_b32 s27, s28
; %bb.334:
	v_cmp_gt_f32_e64 s0, v4, v24
	s_delay_alu instid0(VALU_DEP_1) | instskip(NEXT) | instid1(SALU_CYCLE_1)
	s_and_b32 s0, s1, s0
	v_cndmask_b32_e64 v4, v24, v4, s0
	s_or_b32 s0, s1, exec_lo
; %bb.335:
	s_or_b32 exec_lo, exec_lo, s27
	s_delay_alu instid0(SALU_CYCLE_1) | instskip(SKIP_1) | instid1(SALU_CYCLE_1)
	s_and_not1_b32 s1, s1, exec_lo
	s_and_b32 s0, s0, exec_lo
	s_or_b32 s1, s1, s0
	s_or_b32 exec_lo, exec_lo, s74
	s_and_saveexec_b32 s74, s84
	s_cbranch_execz .LBB743_179
.LBB743_336:
	global_load_u8 v5, v[2:3], off offset:1536
	s_waitcnt vmcnt(0)
	v_and_b32_e32 v5, 1, v5
	s_delay_alu instid0(VALU_DEP_1) | instskip(NEXT) | instid1(VALU_DEP_1)
	v_cmp_eq_u32_e64 s0, 1, v5
	s_xor_b32 s28, s0, -1
	s_mov_b32 s0, s1
	s_and_saveexec_b32 s27, s28
; %bb.337:
	v_cmp_gt_f32_e64 s0, v4, v23
	s_delay_alu instid0(VALU_DEP_1) | instskip(NEXT) | instid1(SALU_CYCLE_1)
	s_and_b32 s0, s1, s0
	v_cndmask_b32_e64 v4, v23, v4, s0
	s_or_b32 s0, s1, exec_lo
; %bb.338:
	s_or_b32 exec_lo, exec_lo, s27
	s_delay_alu instid0(SALU_CYCLE_1) | instskip(SKIP_1) | instid1(SALU_CYCLE_1)
	s_and_not1_b32 s1, s1, exec_lo
	s_and_b32 s0, s0, exec_lo
	s_or_b32 s1, s1, s0
	s_or_b32 exec_lo, exec_lo, s74
	s_and_saveexec_b32 s74, s83
	s_cbranch_execz .LBB743_180
.LBB743_339:
	global_load_u8 v5, v[2:3], off offset:1568
	s_waitcnt vmcnt(0)
	v_and_b32_e32 v5, 1, v5
	s_delay_alu instid0(VALU_DEP_1) | instskip(NEXT) | instid1(VALU_DEP_1)
	v_cmp_eq_u32_e64 s0, 1, v5
	s_xor_b32 s28, s0, -1
	s_mov_b32 s0, s1
	s_and_saveexec_b32 s27, s28
; %bb.340:
	v_cmp_gt_f32_e64 s0, v4, v22
	s_delay_alu instid0(VALU_DEP_1) | instskip(NEXT) | instid1(SALU_CYCLE_1)
	s_and_b32 s0, s1, s0
	v_cndmask_b32_e64 v4, v22, v4, s0
	s_or_b32 s0, s1, exec_lo
; %bb.341:
	s_or_b32 exec_lo, exec_lo, s27
	s_delay_alu instid0(SALU_CYCLE_1) | instskip(SKIP_1) | instid1(SALU_CYCLE_1)
	s_and_not1_b32 s1, s1, exec_lo
	s_and_b32 s0, s0, exec_lo
	s_or_b32 s1, s1, s0
	s_or_b32 exec_lo, exec_lo, s74
	s_and_saveexec_b32 s74, s82
	s_cbranch_execz .LBB743_181
.LBB743_342:
	global_load_u8 v5, v[2:3], off offset:1600
	s_waitcnt vmcnt(0)
	v_and_b32_e32 v5, 1, v5
	s_delay_alu instid0(VALU_DEP_1) | instskip(NEXT) | instid1(VALU_DEP_1)
	v_cmp_eq_u32_e64 s0, 1, v5
	s_xor_b32 s28, s0, -1
	s_mov_b32 s0, s1
	s_and_saveexec_b32 s27, s28
; %bb.343:
	v_cmp_gt_f32_e64 s0, v4, v21
	s_delay_alu instid0(VALU_DEP_1) | instskip(NEXT) | instid1(SALU_CYCLE_1)
	s_and_b32 s0, s1, s0
	v_cndmask_b32_e64 v4, v21, v4, s0
	s_or_b32 s0, s1, exec_lo
; %bb.344:
	s_or_b32 exec_lo, exec_lo, s27
	s_delay_alu instid0(SALU_CYCLE_1) | instskip(SKIP_1) | instid1(SALU_CYCLE_1)
	s_and_not1_b32 s1, s1, exec_lo
	s_and_b32 s0, s0, exec_lo
	s_or_b32 s1, s1, s0
	s_or_b32 exec_lo, exec_lo, s74
	s_and_saveexec_b32 s74, s81
	s_cbranch_execz .LBB743_182
.LBB743_345:
	global_load_u8 v5, v[2:3], off offset:1632
	s_waitcnt vmcnt(0)
	v_and_b32_e32 v5, 1, v5
	s_delay_alu instid0(VALU_DEP_1) | instskip(NEXT) | instid1(VALU_DEP_1)
	v_cmp_eq_u32_e64 s0, 1, v5
	s_xor_b32 s28, s0, -1
	s_mov_b32 s0, s1
	s_and_saveexec_b32 s27, s28
; %bb.346:
	v_cmp_gt_f32_e64 s0, v4, v20
	s_delay_alu instid0(VALU_DEP_1) | instskip(NEXT) | instid1(SALU_CYCLE_1)
	s_and_b32 s0, s1, s0
	v_cndmask_b32_e64 v4, v20, v4, s0
	s_or_b32 s0, s1, exec_lo
; %bb.347:
	s_or_b32 exec_lo, exec_lo, s27
	s_delay_alu instid0(SALU_CYCLE_1) | instskip(SKIP_1) | instid1(SALU_CYCLE_1)
	s_and_not1_b32 s1, s1, exec_lo
	s_and_b32 s0, s0, exec_lo
	s_or_b32 s1, s1, s0
	s_or_b32 exec_lo, exec_lo, s74
	s_and_saveexec_b32 s74, s80
	s_cbranch_execz .LBB743_183
.LBB743_348:
	global_load_u8 v5, v[2:3], off offset:1664
	s_waitcnt vmcnt(0)
	v_and_b32_e32 v5, 1, v5
	s_delay_alu instid0(VALU_DEP_1) | instskip(NEXT) | instid1(VALU_DEP_1)
	v_cmp_eq_u32_e64 s0, 1, v5
	s_xor_b32 s28, s0, -1
	s_mov_b32 s0, s1
	s_and_saveexec_b32 s27, s28
; %bb.349:
	v_cmp_gt_f32_e64 s0, v4, v19
	s_delay_alu instid0(VALU_DEP_1) | instskip(NEXT) | instid1(SALU_CYCLE_1)
	s_and_b32 s0, s1, s0
	v_cndmask_b32_e64 v4, v19, v4, s0
	s_or_b32 s0, s1, exec_lo
; %bb.350:
	s_or_b32 exec_lo, exec_lo, s27
	s_delay_alu instid0(SALU_CYCLE_1) | instskip(SKIP_1) | instid1(SALU_CYCLE_1)
	s_and_not1_b32 s1, s1, exec_lo
	s_and_b32 s0, s0, exec_lo
	s_or_b32 s1, s1, s0
	s_or_b32 exec_lo, exec_lo, s74
	s_and_saveexec_b32 s74, s79
	s_cbranch_execz .LBB743_184
.LBB743_351:
	global_load_u8 v5, v[2:3], off offset:1696
	s_waitcnt vmcnt(0)
	v_and_b32_e32 v5, 1, v5
	s_delay_alu instid0(VALU_DEP_1) | instskip(NEXT) | instid1(VALU_DEP_1)
	v_cmp_eq_u32_e64 s0, 1, v5
	s_xor_b32 s28, s0, -1
	s_mov_b32 s0, s1
	s_and_saveexec_b32 s27, s28
; %bb.352:
	v_cmp_gt_f32_e64 s0, v4, v18
	s_delay_alu instid0(VALU_DEP_1) | instskip(NEXT) | instid1(SALU_CYCLE_1)
	s_and_b32 s0, s1, s0
	v_cndmask_b32_e64 v4, v18, v4, s0
	s_or_b32 s0, s1, exec_lo
; %bb.353:
	s_or_b32 exec_lo, exec_lo, s27
	s_delay_alu instid0(SALU_CYCLE_1) | instskip(SKIP_1) | instid1(SALU_CYCLE_1)
	s_and_not1_b32 s1, s1, exec_lo
	s_and_b32 s0, s0, exec_lo
	s_or_b32 s1, s1, s0
	s_or_b32 exec_lo, exec_lo, s74
	s_and_saveexec_b32 s74, s78
	s_cbranch_execz .LBB743_185
.LBB743_354:
	global_load_u8 v5, v[2:3], off offset:1728
	s_waitcnt vmcnt(0)
	v_and_b32_e32 v5, 1, v5
	s_delay_alu instid0(VALU_DEP_1) | instskip(NEXT) | instid1(VALU_DEP_1)
	v_cmp_eq_u32_e64 s0, 1, v5
	s_xor_b32 s28, s0, -1
	s_mov_b32 s0, s1
	s_and_saveexec_b32 s27, s28
; %bb.355:
	v_cmp_gt_f32_e64 s0, v4, v17
	s_delay_alu instid0(VALU_DEP_1) | instskip(NEXT) | instid1(SALU_CYCLE_1)
	s_and_b32 s0, s1, s0
	v_cndmask_b32_e64 v4, v17, v4, s0
	s_or_b32 s0, s1, exec_lo
; %bb.356:
	s_or_b32 exec_lo, exec_lo, s27
	s_delay_alu instid0(SALU_CYCLE_1) | instskip(SKIP_1) | instid1(SALU_CYCLE_1)
	s_and_not1_b32 s1, s1, exec_lo
	s_and_b32 s0, s0, exec_lo
	s_or_b32 s1, s1, s0
	s_or_b32 exec_lo, exec_lo, s74
	s_and_saveexec_b32 s74, s77
	s_cbranch_execz .LBB743_186
.LBB743_357:
	global_load_u8 v5, v[2:3], off offset:1760
	s_waitcnt vmcnt(0)
	v_and_b32_e32 v5, 1, v5
	s_delay_alu instid0(VALU_DEP_1) | instskip(NEXT) | instid1(VALU_DEP_1)
	v_cmp_eq_u32_e64 s0, 1, v5
	s_xor_b32 s28, s0, -1
	s_mov_b32 s0, s1
	s_and_saveexec_b32 s27, s28
; %bb.358:
	v_cmp_gt_f32_e64 s0, v4, v16
	s_delay_alu instid0(VALU_DEP_1) | instskip(NEXT) | instid1(SALU_CYCLE_1)
	s_and_b32 s0, s1, s0
	v_cndmask_b32_e64 v4, v16, v4, s0
	s_or_b32 s0, s1, exec_lo
; %bb.359:
	s_or_b32 exec_lo, exec_lo, s27
	s_delay_alu instid0(SALU_CYCLE_1) | instskip(SKIP_1) | instid1(SALU_CYCLE_1)
	s_and_not1_b32 s1, s1, exec_lo
	s_and_b32 s0, s0, exec_lo
	s_or_b32 s1, s1, s0
	s_or_b32 exec_lo, exec_lo, s74
	s_and_saveexec_b32 s74, s76
	s_cbranch_execz .LBB743_187
.LBB743_360:
	global_load_u8 v5, v[2:3], off offset:1792
	s_waitcnt vmcnt(0)
	v_and_b32_e32 v5, 1, v5
	s_delay_alu instid0(VALU_DEP_1) | instskip(NEXT) | instid1(VALU_DEP_1)
	v_cmp_eq_u32_e64 s0, 1, v5
	s_xor_b32 s28, s0, -1
	s_mov_b32 s0, s1
	s_and_saveexec_b32 s27, s28
; %bb.361:
	v_cmp_gt_f32_e64 s0, v4, v15
	s_delay_alu instid0(VALU_DEP_1) | instskip(NEXT) | instid1(SALU_CYCLE_1)
	s_and_b32 s0, s1, s0
	v_cndmask_b32_e64 v4, v15, v4, s0
	s_or_b32 s0, s1, exec_lo
; %bb.362:
	s_or_b32 exec_lo, exec_lo, s27
	s_delay_alu instid0(SALU_CYCLE_1) | instskip(SKIP_1) | instid1(SALU_CYCLE_1)
	s_and_not1_b32 s1, s1, exec_lo
	s_and_b32 s0, s0, exec_lo
	s_or_b32 s1, s1, s0
	s_or_b32 exec_lo, exec_lo, s74
	s_and_saveexec_b32 s74, s75
	s_cbranch_execz .LBB743_188
.LBB743_363:
	global_load_u8 v5, v[2:3], off offset:1824
	s_waitcnt vmcnt(0)
	v_and_b32_e32 v5, 1, v5
	s_delay_alu instid0(VALU_DEP_1) | instskip(NEXT) | instid1(VALU_DEP_1)
	v_cmp_eq_u32_e64 s0, 1, v5
	s_xor_b32 s28, s0, -1
	s_mov_b32 s0, s1
	s_and_saveexec_b32 s27, s28
; %bb.364:
	v_cmp_gt_f32_e64 s0, v4, v14
	s_delay_alu instid0(VALU_DEP_1) | instskip(NEXT) | instid1(SALU_CYCLE_1)
	s_and_b32 s0, s1, s0
	v_cndmask_b32_e64 v4, v14, v4, s0
	s_or_b32 s0, s1, exec_lo
; %bb.365:
	s_or_b32 exec_lo, exec_lo, s27
	s_delay_alu instid0(SALU_CYCLE_1) | instskip(SKIP_1) | instid1(SALU_CYCLE_1)
	s_and_not1_b32 s1, s1, exec_lo
	s_and_b32 s0, s0, exec_lo
	s_or_b32 s1, s1, s0
	s_or_b32 exec_lo, exec_lo, s74
	s_and_saveexec_b32 s74, s73
	s_cbranch_execz .LBB743_189
.LBB743_366:
	global_load_u8 v5, v[2:3], off offset:1856
	s_waitcnt vmcnt(0)
	v_and_b32_e32 v5, 1, v5
	s_delay_alu instid0(VALU_DEP_1) | instskip(NEXT) | instid1(VALU_DEP_1)
	v_cmp_eq_u32_e64 s0, 1, v5
	s_xor_b32 s28, s0, -1
	s_mov_b32 s0, s1
	s_and_saveexec_b32 s27, s28
; %bb.367:
	v_cmp_gt_f32_e64 s0, v4, v13
	s_delay_alu instid0(VALU_DEP_1) | instskip(NEXT) | instid1(SALU_CYCLE_1)
	s_and_b32 s0, s1, s0
	v_cndmask_b32_e64 v4, v13, v4, s0
	s_or_b32 s0, s1, exec_lo
; %bb.368:
	s_or_b32 exec_lo, exec_lo, s27
	s_delay_alu instid0(SALU_CYCLE_1) | instskip(SKIP_1) | instid1(SALU_CYCLE_1)
	s_and_not1_b32 s1, s1, exec_lo
	s_and_b32 s0, s0, exec_lo
	s_or_b32 s1, s1, s0
	s_or_b32 exec_lo, exec_lo, s74
	s_and_saveexec_b32 s74, s72
	s_cbranch_execz .LBB743_190
.LBB743_369:
	global_load_u8 v5, v[2:3], off offset:1888
	s_waitcnt vmcnt(0)
	v_and_b32_e32 v5, 1, v5
	s_delay_alu instid0(VALU_DEP_1) | instskip(NEXT) | instid1(VALU_DEP_1)
	v_cmp_eq_u32_e64 s0, 1, v5
	s_xor_b32 s28, s0, -1
	s_mov_b32 s0, s1
	s_and_saveexec_b32 s27, s28
; %bb.370:
	v_cmp_gt_f32_e64 s0, v4, v12
	s_delay_alu instid0(VALU_DEP_1) | instskip(NEXT) | instid1(SALU_CYCLE_1)
	s_and_b32 s0, s1, s0
	v_cndmask_b32_e64 v4, v12, v4, s0
	s_or_b32 s0, s1, exec_lo
; %bb.371:
	s_or_b32 exec_lo, exec_lo, s27
	s_delay_alu instid0(SALU_CYCLE_1) | instskip(SKIP_1) | instid1(SALU_CYCLE_1)
	s_and_not1_b32 s1, s1, exec_lo
	s_and_b32 s0, s0, exec_lo
	s_or_b32 s1, s1, s0
	s_or_b32 exec_lo, exec_lo, s74
	s_and_saveexec_b32 s74, s71
	s_cbranch_execz .LBB743_191
.LBB743_372:
	global_load_u8 v5, v[2:3], off offset:1920
	s_waitcnt vmcnt(0)
	v_and_b32_e32 v5, 1, v5
	s_delay_alu instid0(VALU_DEP_1) | instskip(NEXT) | instid1(VALU_DEP_1)
	v_cmp_eq_u32_e64 s0, 1, v5
	s_xor_b32 s28, s0, -1
	s_mov_b32 s0, s1
	s_and_saveexec_b32 s27, s28
; %bb.373:
	v_cmp_gt_f32_e64 s0, v4, v11
	s_delay_alu instid0(VALU_DEP_1) | instskip(NEXT) | instid1(SALU_CYCLE_1)
	s_and_b32 s0, s1, s0
	v_cndmask_b32_e64 v4, v11, v4, s0
	s_or_b32 s0, s1, exec_lo
; %bb.374:
	s_or_b32 exec_lo, exec_lo, s27
	s_delay_alu instid0(SALU_CYCLE_1) | instskip(SKIP_1) | instid1(SALU_CYCLE_1)
	s_and_not1_b32 s1, s1, exec_lo
	s_and_b32 s0, s0, exec_lo
	s_or_b32 s1, s1, s0
	s_or_b32 exec_lo, exec_lo, s74
	s_and_saveexec_b32 s74, s70
	s_cbranch_execz .LBB743_192
.LBB743_375:
	global_load_u8 v5, v[2:3], off offset:1952
	s_waitcnt vmcnt(0)
	v_and_b32_e32 v5, 1, v5
	s_delay_alu instid0(VALU_DEP_1) | instskip(NEXT) | instid1(VALU_DEP_1)
	v_cmp_eq_u32_e64 s0, 1, v5
	s_xor_b32 s28, s0, -1
	s_mov_b32 s0, s1
	s_and_saveexec_b32 s27, s28
; %bb.376:
	v_cmp_gt_f32_e64 s0, v4, v10
	s_delay_alu instid0(VALU_DEP_1) | instskip(NEXT) | instid1(SALU_CYCLE_1)
	s_and_b32 s0, s1, s0
	v_cndmask_b32_e64 v4, v10, v4, s0
	s_or_b32 s0, s1, exec_lo
; %bb.377:
	s_or_b32 exec_lo, exec_lo, s27
	s_delay_alu instid0(SALU_CYCLE_1) | instskip(SKIP_1) | instid1(SALU_CYCLE_1)
	s_and_not1_b32 s1, s1, exec_lo
	s_and_b32 s0, s0, exec_lo
	s_or_b32 s1, s1, s0
	s_or_b32 exec_lo, exec_lo, s74
	s_and_saveexec_b32 s74, s67
	s_cbranch_execz .LBB743_193
.LBB743_378:
	global_load_u8 v5, v[2:3], off offset:1984
	s_waitcnt vmcnt(0)
	v_and_b32_e32 v5, 1, v5
	s_delay_alu instid0(VALU_DEP_1) | instskip(NEXT) | instid1(VALU_DEP_1)
	v_cmp_eq_u32_e64 s0, 1, v5
	s_xor_b32 s28, s0, -1
	s_mov_b32 s0, s1
	s_and_saveexec_b32 s27, s28
; %bb.379:
	v_cmp_gt_f32_e64 s0, v4, v9
	s_delay_alu instid0(VALU_DEP_1) | instskip(NEXT) | instid1(SALU_CYCLE_1)
	s_and_b32 s0, s1, s0
	v_cndmask_b32_e64 v4, v9, v4, s0
	s_or_b32 s0, s1, exec_lo
; %bb.380:
	s_or_b32 exec_lo, exec_lo, s27
	s_delay_alu instid0(SALU_CYCLE_1) | instskip(SKIP_1) | instid1(SALU_CYCLE_1)
	s_and_not1_b32 s1, s1, exec_lo
	s_and_b32 s0, s0, exec_lo
	s_or_b32 s1, s1, s0
	s_or_b32 exec_lo, exec_lo, s74
	s_and_saveexec_b32 s74, s66
	s_cbranch_execz .LBB743_384
.LBB743_381:
	global_load_u8 v5, v[2:3], off offset:2016
	s_waitcnt vmcnt(0)
	v_and_b32_e32 v5, 1, v5
	s_delay_alu instid0(VALU_DEP_1) | instskip(NEXT) | instid1(VALU_DEP_1)
	v_cmp_eq_u32_e64 s0, 1, v5
	s_xor_b32 s28, s0, -1
	s_mov_b32 s0, s1
	s_and_saveexec_b32 s27, s28
; %bb.382:
	v_cmp_gt_f32_e64 s0, v4, v8
	s_delay_alu instid0(VALU_DEP_1) | instskip(NEXT) | instid1(SALU_CYCLE_1)
	s_and_b32 s0, s1, s0
	v_cndmask_b32_e64 v4, v8, v4, s0
	s_or_b32 s0, s1, exec_lo
; %bb.383:
	s_or_b32 exec_lo, exec_lo, s27
	s_delay_alu instid0(SALU_CYCLE_1) | instskip(SKIP_1) | instid1(SALU_CYCLE_1)
	s_and_not1_b32 s1, s1, exec_lo
	s_and_b32 s0, s0, exec_lo
	s_or_b32 s1, s1, s0
.LBB743_384:
	s_or_b32 exec_lo, exec_lo, s74
	v_mbcnt_lo_u32_b32 v6, -1, 0
	v_cndmask_b32_e64 v4, 0xff800000, v4, s1
	s_delay_alu instid0(VALU_DEP_2) | instskip(SKIP_2) | instid1(VALU_DEP_3)
	v_xor_b32_e32 v5, 16, v6
	v_xor_b32_e32 v72, 8, v6
	;; [unrolled: 1-line block ×3, first 2 shown]
	v_cmp_gt_i32_e64 s0, 32, v5
	s_delay_alu instid0(VALU_DEP_1) | instskip(NEXT) | instid1(VALU_DEP_4)
	v_cndmask_b32_e64 v5, v6, v5, s0
	v_cmp_gt_i32_e64 s0, 32, v72
	s_delay_alu instid0(VALU_DEP_2) | instskip(NEXT) | instid1(VALU_DEP_2)
	v_lshlrev_b32_e32 v5, 2, v5
	v_cndmask_b32_e64 v72, v6, v72, s0
	ds_bpermute_b32 v73, v5, v4
	v_lshlrev_b32_e32 v72, 2, v72
	s_waitcnt lgkmcnt(0)
	v_cmp_lt_f32_e64 s0, v4, v73
	s_delay_alu instid0(VALU_DEP_1) | instskip(SKIP_3) | instid1(VALU_DEP_1)
	v_cndmask_b32_e64 v4, v4, v73, s0
	v_xor_b32_e32 v73, 4, v6
	ds_bpermute_b32 v74, v72, v4
	v_cmp_gt_i32_e64 s0, 32, v73
	v_cndmask_b32_e64 v73, v6, v73, s0
	s_delay_alu instid0(VALU_DEP_1) | instskip(SKIP_2) | instid1(VALU_DEP_1)
	v_lshlrev_b32_e32 v73, 2, v73
	s_waitcnt lgkmcnt(0)
	v_cmp_lt_f32_e64 s0, v4, v74
	v_cndmask_b32_e64 v4, v4, v74, s0
	v_xor_b32_e32 v74, 2, v6
	ds_bpermute_b32 v75, v73, v4
	v_cmp_gt_i32_e64 s0, 32, v74
	s_delay_alu instid0(VALU_DEP_1) | instskip(NEXT) | instid1(VALU_DEP_1)
	v_cndmask_b32_e64 v74, v6, v74, s0
	v_lshlrev_b32_e32 v74, 2, v74
	s_waitcnt lgkmcnt(0)
	v_cmp_lt_f32_e64 s0, v4, v75
	s_delay_alu instid0(VALU_DEP_1) | instskip(SKIP_3) | instid1(VALU_DEP_1)
	v_cndmask_b32_e64 v4, v4, v75, s0
	v_cmp_gt_i32_e64 s0, 32, v76
	ds_bpermute_b32 v75, v74, v4
	v_cndmask_b32_e64 v6, v6, v76, s0
	v_lshlrev_b32_e32 v76, 2, v6
	s_waitcnt lgkmcnt(0)
	v_cmp_lt_f32_e64 s0, v4, v75
	s_delay_alu instid0(VALU_DEP_1) | instskip(SKIP_4) | instid1(VALU_DEP_1)
	v_cndmask_b32_e64 v6, v4, v75, s0
	v_mov_b32_e32 v4, 0
	ds_bpermute_b32 v75, v76, v6
	s_waitcnt lgkmcnt(0)
	v_cmp_lt_f32_e64 s0, v6, v75
	v_cndmask_b32_e64 v77, v6, v75, s0
	v_mov_b32_e32 v75, 0
	s_and_saveexec_b32 s1, s26
	s_cbranch_execz .LBB743_388
; %bb.385:
	global_load_u8 v6, v[2:3], off
	s_waitcnt vmcnt(0)
	v_dual_mov_b32 v75, 0 :: v_dual_and_b32 v6, 1, v6
	s_delay_alu instid0(VALU_DEP_1) | instskip(NEXT) | instid1(VALU_DEP_1)
	v_cmp_eq_u32_e64 s0, 1, v6
	s_xor_b32 s0, s0, -1
	s_delay_alu instid0(SALU_CYCLE_1)
	s_and_saveexec_b32 s26, s0
	s_cbranch_execz .LBB743_387
; %bb.386:
	v_sub_f32_e32 v6, v71, v77
	s_delay_alu instid0(VALU_DEP_1) | instskip(SKIP_1) | instid1(VALU_DEP_2)
	v_mul_f32_e32 v71, 0x3fb8aa3b, v6
	v_cmp_ngt_f32_e64 s0, 0xc2ce8ed0, v6
	v_fma_f32 v75, 0x3fb8aa3b, v6, -v71
	v_rndne_f32_e32 v78, v71
	s_delay_alu instid0(VALU_DEP_2) | instskip(NEXT) | instid1(VALU_DEP_2)
	v_fmamk_f32 v75, v6, 0x32a5705f, v75
	v_sub_f32_e32 v71, v71, v78
	s_delay_alu instid0(VALU_DEP_1) | instskip(SKIP_1) | instid1(VALU_DEP_2)
	v_add_f32_e32 v71, v71, v75
	v_cvt_i32_f32_e32 v75, v78
	v_exp_f32_e32 v71, v71
	s_waitcnt_depctr 0xfff
	v_ldexp_f32 v71, v71, v75
	s_delay_alu instid0(VALU_DEP_1) | instskip(SKIP_1) | instid1(VALU_DEP_1)
	v_cndmask_b32_e64 v71, 0, v71, s0
	v_cmp_nlt_f32_e64 s0, 0x42b17218, v6
	v_cndmask_b32_e64 v75, 0x7f800000, v71, s0
.LBB743_387:
	s_or_b32 exec_lo, exec_lo, s26
.LBB743_388:
	s_delay_alu instid0(SALU_CYCLE_1) | instskip(NEXT) | instid1(VALU_DEP_1)
	s_or_b32 exec_lo, exec_lo, s1
	v_mov_b32_e32 v71, v75
	s_and_saveexec_b32 s1, s25
	s_cbranch_execz .LBB743_392
; %bb.389:
	global_load_u8 v4, v[2:3], off offset:32
	s_waitcnt vmcnt(0)
	v_dual_mov_b32 v71, v75 :: v_dual_and_b32 v4, 1, v4
	s_delay_alu instid0(VALU_DEP_1) | instskip(SKIP_1) | instid1(VALU_DEP_2)
	v_cmp_eq_u32_e64 s0, 1, v4
	v_mov_b32_e32 v4, 0
	s_xor_b32 s0, s0, -1
	s_delay_alu instid0(SALU_CYCLE_1)
	s_and_saveexec_b32 s25, s0
	s_cbranch_execz .LBB743_391
; %bb.390:
	v_sub_f32_e32 v4, v70, v77
	s_delay_alu instid0(VALU_DEP_1) | instskip(SKIP_1) | instid1(VALU_DEP_2)
	v_mul_f32_e32 v6, 0x3fb8aa3b, v4
	v_cmp_ngt_f32_e64 s0, 0xc2ce8ed0, v4
	v_fma_f32 v70, 0x3fb8aa3b, v4, -v6
	v_rndne_f32_e32 v71, v6
	s_delay_alu instid0(VALU_DEP_2) | instskip(NEXT) | instid1(VALU_DEP_2)
	v_fmamk_f32 v70, v4, 0x32a5705f, v70
	v_sub_f32_e32 v6, v6, v71
	s_delay_alu instid0(VALU_DEP_1) | instskip(SKIP_1) | instid1(VALU_DEP_2)
	v_add_f32_e32 v6, v6, v70
	v_cvt_i32_f32_e32 v70, v71
	v_exp_f32_e32 v6, v6
	s_waitcnt_depctr 0xfff
	v_ldexp_f32 v6, v6, v70
	s_delay_alu instid0(VALU_DEP_1) | instskip(SKIP_1) | instid1(VALU_DEP_1)
	v_cndmask_b32_e64 v6, 0, v6, s0
	v_cmp_nlt_f32_e64 s0, 0x42b17218, v4
	v_cndmask_b32_e64 v4, 0x7f800000, v6, s0
	s_delay_alu instid0(VALU_DEP_1)
	v_add_f32_e32 v71, v75, v4
.LBB743_391:
	s_or_b32 exec_lo, exec_lo, s25
.LBB743_392:
	s_delay_alu instid0(SALU_CYCLE_1)
	s_or_b32 exec_lo, exec_lo, s1
	v_mov_b32_e32 v6, 0
	v_mov_b32_e32 v70, 0
	s_and_saveexec_b32 s1, s24
	s_cbranch_execz .LBB743_396
; %bb.393:
	global_load_u8 v70, v[2:3], off offset:64
	s_waitcnt vmcnt(0)
	v_and_b32_e32 v70, 1, v70
	s_delay_alu instid0(VALU_DEP_1) | instskip(SKIP_1) | instid1(VALU_DEP_2)
	v_cmp_eq_u32_e64 s0, 1, v70
	v_mov_b32_e32 v70, 0
	s_xor_b32 s0, s0, -1
	s_delay_alu instid0(SALU_CYCLE_1)
	s_and_saveexec_b32 s24, s0
	s_cbranch_execz .LBB743_395
; %bb.394:
	v_sub_f32_e32 v69, v69, v77
	s_delay_alu instid0(VALU_DEP_1) | instskip(NEXT) | instid1(VALU_DEP_1)
	v_mul_f32_e32 v70, 0x3fb8aa3b, v69
	v_fma_f32 v78, 0x3fb8aa3b, v69, -v70
	v_rndne_f32_e32 v79, v70
	s_delay_alu instid0(VALU_DEP_1) | instskip(NEXT) | instid1(VALU_DEP_3)
	v_sub_f32_e32 v70, v70, v79
	v_fmamk_f32 v78, v69, 0x32a5705f, v78
	v_cmp_ngt_f32_e64 s0, 0xc2ce8ed0, v69
	s_delay_alu instid0(VALU_DEP_2) | instskip(SKIP_1) | instid1(VALU_DEP_2)
	v_add_f32_e32 v70, v70, v78
	v_cvt_i32_f32_e32 v78, v79
	v_exp_f32_e32 v70, v70
	s_waitcnt_depctr 0xfff
	v_ldexp_f32 v70, v70, v78
	s_delay_alu instid0(VALU_DEP_1) | instskip(SKIP_1) | instid1(VALU_DEP_1)
	v_cndmask_b32_e64 v70, 0, v70, s0
	v_cmp_nlt_f32_e64 s0, 0x42b17218, v69
	v_cndmask_b32_e64 v70, 0x7f800000, v70, s0
	s_delay_alu instid0(VALU_DEP_1)
	v_add_f32_e32 v71, v71, v70
.LBB743_395:
	s_or_b32 exec_lo, exec_lo, s24
.LBB743_396:
	s_delay_alu instid0(SALU_CYCLE_1)
	s_or_b32 exec_lo, exec_lo, s1
	s_and_saveexec_b32 s1, s23
	s_cbranch_execz .LBB743_400
; %bb.397:
	global_load_u8 v6, v[2:3], off offset:96
	s_waitcnt vmcnt(0)
	v_and_b32_e32 v6, 1, v6
	s_delay_alu instid0(VALU_DEP_1) | instskip(SKIP_1) | instid1(VALU_DEP_2)
	v_cmp_eq_u32_e64 s0, 1, v6
	v_mov_b32_e32 v6, 0
	s_xor_b32 s0, s0, -1
	s_delay_alu instid0(SALU_CYCLE_1)
	s_and_saveexec_b32 s23, s0
	s_cbranch_execz .LBB743_399
; %bb.398:
	v_sub_f32_e32 v6, v68, v77
	s_delay_alu instid0(VALU_DEP_1) | instskip(SKIP_1) | instid1(VALU_DEP_2)
	v_mul_f32_e32 v68, 0x3fb8aa3b, v6
	v_cmp_ngt_f32_e64 s0, 0xc2ce8ed0, v6
	v_fma_f32 v69, 0x3fb8aa3b, v6, -v68
	v_rndne_f32_e32 v78, v68
	s_delay_alu instid0(VALU_DEP_1) | instskip(NEXT) | instid1(VALU_DEP_1)
	v_dual_fmamk_f32 v69, v6, 0x32a5705f, v69 :: v_dual_sub_f32 v68, v68, v78
	v_add_f32_e32 v68, v68, v69
	v_cvt_i32_f32_e32 v69, v78
	s_delay_alu instid0(VALU_DEP_2) | instskip(SKIP_2) | instid1(VALU_DEP_1)
	v_exp_f32_e32 v68, v68
	s_waitcnt_depctr 0xfff
	v_ldexp_f32 v68, v68, v69
	v_cndmask_b32_e64 v68, 0, v68, s0
	v_cmp_nlt_f32_e64 s0, 0x42b17218, v6
	s_delay_alu instid0(VALU_DEP_1) | instskip(NEXT) | instid1(VALU_DEP_1)
	v_cndmask_b32_e64 v6, 0x7f800000, v68, s0
	v_add_f32_e32 v71, v71, v6
.LBB743_399:
	s_or_b32 exec_lo, exec_lo, s23
.LBB743_400:
	s_delay_alu instid0(SALU_CYCLE_1)
	s_or_b32 exec_lo, exec_lo, s1
	v_dual_mov_b32 v68, 0 :: v_dual_mov_b32 v69, 0
	s_and_saveexec_b32 s1, s22
	s_cbranch_execz .LBB743_404
; %bb.401:
	global_load_u8 v69, v[2:3], off offset:128
	s_waitcnt vmcnt(0)
	v_and_b32_e32 v69, 1, v69
	s_delay_alu instid0(VALU_DEP_1) | instskip(SKIP_1) | instid1(VALU_DEP_2)
	v_cmp_eq_u32_e64 s0, 1, v69
	v_mov_b32_e32 v69, 0
	s_xor_b32 s0, s0, -1
	s_delay_alu instid0(SALU_CYCLE_1)
	s_and_saveexec_b32 s22, s0
	s_cbranch_execz .LBB743_403
; %bb.402:
	v_sub_f32_e32 v67, v67, v77
	s_delay_alu instid0(VALU_DEP_1) | instskip(SKIP_1) | instid1(VALU_DEP_2)
	v_mul_f32_e32 v69, 0x3fb8aa3b, v67
	v_cmp_ngt_f32_e64 s0, 0xc2ce8ed0, v67
	v_fma_f32 v78, 0x3fb8aa3b, v67, -v69
	v_rndne_f32_e32 v79, v69
	s_delay_alu instid0(VALU_DEP_1) | instskip(NEXT) | instid1(VALU_DEP_1)
	v_dual_fmamk_f32 v78, v67, 0x32a5705f, v78 :: v_dual_sub_f32 v69, v69, v79
	v_add_f32_e32 v69, v69, v78
	v_cvt_i32_f32_e32 v78, v79
	s_delay_alu instid0(VALU_DEP_2) | instskip(SKIP_2) | instid1(VALU_DEP_1)
	v_exp_f32_e32 v69, v69
	s_waitcnt_depctr 0xfff
	v_ldexp_f32 v69, v69, v78
	v_cndmask_b32_e64 v69, 0, v69, s0
	v_cmp_nlt_f32_e64 s0, 0x42b17218, v67
	s_delay_alu instid0(VALU_DEP_1) | instskip(NEXT) | instid1(VALU_DEP_1)
	v_cndmask_b32_e64 v69, 0x7f800000, v69, s0
	v_add_f32_e32 v71, v71, v69
.LBB743_403:
	s_or_b32 exec_lo, exec_lo, s22
.LBB743_404:
	s_delay_alu instid0(SALU_CYCLE_1)
	s_or_b32 exec_lo, exec_lo, s1
	s_and_saveexec_b32 s1, s21
	s_cbranch_execz .LBB743_408
; %bb.405:
	global_load_u8 v67, v[2:3], off offset:160
	s_waitcnt vmcnt(0)
	v_dual_mov_b32 v68, 0 :: v_dual_and_b32 v67, 1, v67
	s_delay_alu instid0(VALU_DEP_1) | instskip(NEXT) | instid1(VALU_DEP_1)
	v_cmp_eq_u32_e64 s0, 1, v67
	s_xor_b32 s0, s0, -1
	s_delay_alu instid0(SALU_CYCLE_1)
	s_and_saveexec_b32 s21, s0
	s_cbranch_execz .LBB743_407
; %bb.406:
	v_sub_f32_e32 v66, v66, v77
	s_delay_alu instid0(VALU_DEP_1) | instskip(NEXT) | instid1(VALU_DEP_1)
	v_mul_f32_e32 v67, 0x3fb8aa3b, v66
	v_fma_f32 v68, 0x3fb8aa3b, v66, -v67
	v_rndne_f32_e32 v78, v67
	s_delay_alu instid0(VALU_DEP_1) | instskip(SKIP_1) | instid1(VALU_DEP_2)
	v_dual_sub_f32 v67, v67, v78 :: v_dual_fmamk_f32 v68, v66, 0x32a5705f, v68
	v_cmp_ngt_f32_e64 s0, 0xc2ce8ed0, v66
	v_add_f32_e32 v67, v67, v68
	v_cvt_i32_f32_e32 v68, v78
	s_delay_alu instid0(VALU_DEP_2) | instskip(SKIP_2) | instid1(VALU_DEP_1)
	v_exp_f32_e32 v67, v67
	s_waitcnt_depctr 0xfff
	v_ldexp_f32 v67, v67, v68
	v_cndmask_b32_e64 v67, 0, v67, s0
	v_cmp_nlt_f32_e64 s0, 0x42b17218, v66
	s_delay_alu instid0(VALU_DEP_1) | instskip(NEXT) | instid1(VALU_DEP_1)
	v_cndmask_b32_e64 v68, 0x7f800000, v67, s0
	v_add_f32_e32 v71, v71, v68
.LBB743_407:
	s_or_b32 exec_lo, exec_lo, s21
.LBB743_408:
	s_delay_alu instid0(SALU_CYCLE_1)
	s_or_b32 exec_lo, exec_lo, s1
	v_dual_mov_b32 v66, 0 :: v_dual_mov_b32 v67, 0
	s_and_saveexec_b32 s1, s20
	s_cbranch_execz .LBB743_412
; %bb.409:
	global_load_u8 v67, v[2:3], off offset:192
	s_waitcnt vmcnt(0)
	v_and_b32_e32 v67, 1, v67
	s_delay_alu instid0(VALU_DEP_1) | instskip(SKIP_1) | instid1(VALU_DEP_2)
	v_cmp_eq_u32_e64 s0, 1, v67
	v_mov_b32_e32 v67, 0
	s_xor_b32 s0, s0, -1
	s_delay_alu instid0(SALU_CYCLE_1)
	s_and_saveexec_b32 s20, s0
	s_cbranch_execz .LBB743_411
; %bb.410:
	v_sub_f32_e32 v65, v65, v77
	s_delay_alu instid0(VALU_DEP_1) | instskip(SKIP_1) | instid1(VALU_DEP_2)
	v_mul_f32_e32 v67, 0x3fb8aa3b, v65
	v_cmp_ngt_f32_e64 s0, 0xc2ce8ed0, v65
	v_fma_f32 v78, 0x3fb8aa3b, v65, -v67
	v_rndne_f32_e32 v79, v67
	s_delay_alu instid0(VALU_DEP_1) | instskip(NEXT) | instid1(VALU_DEP_1)
	v_dual_fmamk_f32 v78, v65, 0x32a5705f, v78 :: v_dual_sub_f32 v67, v67, v79
	v_add_f32_e32 v67, v67, v78
	v_cvt_i32_f32_e32 v78, v79
	s_delay_alu instid0(VALU_DEP_2) | instskip(SKIP_2) | instid1(VALU_DEP_1)
	v_exp_f32_e32 v67, v67
	s_waitcnt_depctr 0xfff
	v_ldexp_f32 v67, v67, v78
	v_cndmask_b32_e64 v67, 0, v67, s0
	v_cmp_nlt_f32_e64 s0, 0x42b17218, v65
	s_delay_alu instid0(VALU_DEP_1) | instskip(NEXT) | instid1(VALU_DEP_1)
	v_cndmask_b32_e64 v67, 0x7f800000, v67, s0
	v_add_f32_e32 v71, v71, v67
.LBB743_411:
	s_or_b32 exec_lo, exec_lo, s20
.LBB743_412:
	s_delay_alu instid0(SALU_CYCLE_1)
	s_or_b32 exec_lo, exec_lo, s1
	s_and_saveexec_b32 s1, s19
	s_cbranch_execz .LBB743_416
; %bb.413:
	global_load_u8 v65, v[2:3], off offset:224
	s_waitcnt vmcnt(0)
	v_dual_mov_b32 v66, 0 :: v_dual_and_b32 v65, 1, v65
	s_delay_alu instid0(VALU_DEP_1) | instskip(NEXT) | instid1(VALU_DEP_1)
	v_cmp_eq_u32_e64 s0, 1, v65
	s_xor_b32 s0, s0, -1
	s_delay_alu instid0(SALU_CYCLE_1)
	s_and_saveexec_b32 s19, s0
	s_cbranch_execz .LBB743_415
; %bb.414:
	v_sub_f32_e32 v64, v64, v77
	s_delay_alu instid0(VALU_DEP_1) | instskip(NEXT) | instid1(VALU_DEP_1)
	v_mul_f32_e32 v65, 0x3fb8aa3b, v64
	v_fma_f32 v66, 0x3fb8aa3b, v64, -v65
	v_rndne_f32_e32 v78, v65
	s_delay_alu instid0(VALU_DEP_1) | instskip(SKIP_1) | instid1(VALU_DEP_2)
	v_dual_sub_f32 v65, v65, v78 :: v_dual_fmamk_f32 v66, v64, 0x32a5705f, v66
	v_cmp_ngt_f32_e64 s0, 0xc2ce8ed0, v64
	v_add_f32_e32 v65, v65, v66
	v_cvt_i32_f32_e32 v66, v78
	s_delay_alu instid0(VALU_DEP_2) | instskip(SKIP_2) | instid1(VALU_DEP_1)
	v_exp_f32_e32 v65, v65
	s_waitcnt_depctr 0xfff
	v_ldexp_f32 v65, v65, v66
	v_cndmask_b32_e64 v65, 0, v65, s0
	v_cmp_nlt_f32_e64 s0, 0x42b17218, v64
	s_delay_alu instid0(VALU_DEP_1) | instskip(NEXT) | instid1(VALU_DEP_1)
	v_cndmask_b32_e64 v66, 0x7f800000, v65, s0
	v_add_f32_e32 v71, v71, v66
.LBB743_415:
	s_or_b32 exec_lo, exec_lo, s19
.LBB743_416:
	s_delay_alu instid0(SALU_CYCLE_1)
	s_or_b32 exec_lo, exec_lo, s1
	v_dual_mov_b32 v64, 0 :: v_dual_mov_b32 v65, 0
	s_and_saveexec_b32 s1, s18
	s_cbranch_execz .LBB743_420
; %bb.417:
	global_load_u8 v65, v[2:3], off offset:256
	s_waitcnt vmcnt(0)
	v_and_b32_e32 v65, 1, v65
	s_delay_alu instid0(VALU_DEP_1) | instskip(SKIP_1) | instid1(VALU_DEP_2)
	v_cmp_eq_u32_e64 s0, 1, v65
	v_mov_b32_e32 v65, 0
	s_xor_b32 s0, s0, -1
	s_delay_alu instid0(SALU_CYCLE_1)
	s_and_saveexec_b32 s18, s0
	s_cbranch_execz .LBB743_419
; %bb.418:
	v_sub_f32_e32 v63, v63, v77
	s_delay_alu instid0(VALU_DEP_1) | instskip(SKIP_1) | instid1(VALU_DEP_2)
	v_mul_f32_e32 v65, 0x3fb8aa3b, v63
	v_cmp_ngt_f32_e64 s0, 0xc2ce8ed0, v63
	v_fma_f32 v78, 0x3fb8aa3b, v63, -v65
	v_rndne_f32_e32 v79, v65
	s_delay_alu instid0(VALU_DEP_1) | instskip(NEXT) | instid1(VALU_DEP_1)
	v_dual_fmamk_f32 v78, v63, 0x32a5705f, v78 :: v_dual_sub_f32 v65, v65, v79
	v_add_f32_e32 v65, v65, v78
	v_cvt_i32_f32_e32 v78, v79
	s_delay_alu instid0(VALU_DEP_2) | instskip(SKIP_2) | instid1(VALU_DEP_1)
	v_exp_f32_e32 v65, v65
	s_waitcnt_depctr 0xfff
	v_ldexp_f32 v65, v65, v78
	v_cndmask_b32_e64 v65, 0, v65, s0
	v_cmp_nlt_f32_e64 s0, 0x42b17218, v63
	s_delay_alu instid0(VALU_DEP_1) | instskip(NEXT) | instid1(VALU_DEP_1)
	v_cndmask_b32_e64 v65, 0x7f800000, v65, s0
	v_add_f32_e32 v71, v71, v65
.LBB743_419:
	s_or_b32 exec_lo, exec_lo, s18
.LBB743_420:
	s_delay_alu instid0(SALU_CYCLE_1)
	s_or_b32 exec_lo, exec_lo, s1
	s_and_saveexec_b32 s1, s17
	s_cbranch_execz .LBB743_424
; %bb.421:
	global_load_u8 v63, v[2:3], off offset:288
	s_waitcnt vmcnt(0)
	v_dual_mov_b32 v64, 0 :: v_dual_and_b32 v63, 1, v63
	s_delay_alu instid0(VALU_DEP_1) | instskip(NEXT) | instid1(VALU_DEP_1)
	v_cmp_eq_u32_e64 s0, 1, v63
	s_xor_b32 s0, s0, -1
	s_delay_alu instid0(SALU_CYCLE_1)
	s_and_saveexec_b32 s17, s0
	s_cbranch_execz .LBB743_423
; %bb.422:
	v_sub_f32_e32 v62, v62, v77
	s_delay_alu instid0(VALU_DEP_1) | instskip(NEXT) | instid1(VALU_DEP_1)
	v_mul_f32_e32 v63, 0x3fb8aa3b, v62
	v_fma_f32 v64, 0x3fb8aa3b, v62, -v63
	v_rndne_f32_e32 v78, v63
	s_delay_alu instid0(VALU_DEP_1) | instskip(SKIP_1) | instid1(VALU_DEP_2)
	v_dual_sub_f32 v63, v63, v78 :: v_dual_fmamk_f32 v64, v62, 0x32a5705f, v64
	v_cmp_ngt_f32_e64 s0, 0xc2ce8ed0, v62
	v_add_f32_e32 v63, v63, v64
	v_cvt_i32_f32_e32 v64, v78
	s_delay_alu instid0(VALU_DEP_2) | instskip(SKIP_2) | instid1(VALU_DEP_1)
	v_exp_f32_e32 v63, v63
	s_waitcnt_depctr 0xfff
	v_ldexp_f32 v63, v63, v64
	v_cndmask_b32_e64 v63, 0, v63, s0
	v_cmp_nlt_f32_e64 s0, 0x42b17218, v62
	s_delay_alu instid0(VALU_DEP_1) | instskip(NEXT) | instid1(VALU_DEP_1)
	v_cndmask_b32_e64 v64, 0x7f800000, v63, s0
	v_add_f32_e32 v71, v71, v64
.LBB743_423:
	s_or_b32 exec_lo, exec_lo, s17
.LBB743_424:
	s_delay_alu instid0(SALU_CYCLE_1)
	s_or_b32 exec_lo, exec_lo, s1
	v_dual_mov_b32 v62, 0 :: v_dual_mov_b32 v63, 0
	s_and_saveexec_b32 s1, s16
	s_cbranch_execz .LBB743_428
; %bb.425:
	global_load_u8 v63, v[2:3], off offset:320
	s_waitcnt vmcnt(0)
	v_and_b32_e32 v63, 1, v63
	s_delay_alu instid0(VALU_DEP_1) | instskip(SKIP_1) | instid1(VALU_DEP_2)
	v_cmp_eq_u32_e64 s0, 1, v63
	v_mov_b32_e32 v63, 0
	s_xor_b32 s0, s0, -1
	s_delay_alu instid0(SALU_CYCLE_1)
	s_and_saveexec_b32 s16, s0
	s_cbranch_execz .LBB743_427
; %bb.426:
	v_sub_f32_e32 v61, v61, v77
	s_delay_alu instid0(VALU_DEP_1) | instskip(SKIP_1) | instid1(VALU_DEP_2)
	v_mul_f32_e32 v63, 0x3fb8aa3b, v61
	v_cmp_ngt_f32_e64 s0, 0xc2ce8ed0, v61
	v_fma_f32 v78, 0x3fb8aa3b, v61, -v63
	v_rndne_f32_e32 v79, v63
	s_delay_alu instid0(VALU_DEP_1) | instskip(NEXT) | instid1(VALU_DEP_1)
	v_dual_fmamk_f32 v78, v61, 0x32a5705f, v78 :: v_dual_sub_f32 v63, v63, v79
	v_add_f32_e32 v63, v63, v78
	v_cvt_i32_f32_e32 v78, v79
	s_delay_alu instid0(VALU_DEP_2) | instskip(SKIP_2) | instid1(VALU_DEP_1)
	v_exp_f32_e32 v63, v63
	s_waitcnt_depctr 0xfff
	v_ldexp_f32 v63, v63, v78
	v_cndmask_b32_e64 v63, 0, v63, s0
	v_cmp_nlt_f32_e64 s0, 0x42b17218, v61
	s_delay_alu instid0(VALU_DEP_1) | instskip(NEXT) | instid1(VALU_DEP_1)
	v_cndmask_b32_e64 v63, 0x7f800000, v63, s0
	v_add_f32_e32 v71, v71, v63
.LBB743_427:
	s_or_b32 exec_lo, exec_lo, s16
.LBB743_428:
	s_delay_alu instid0(SALU_CYCLE_1)
	s_or_b32 exec_lo, exec_lo, s1
	s_and_saveexec_b32 s1, s15
	s_cbranch_execz .LBB743_432
; %bb.429:
	global_load_u8 v61, v[2:3], off offset:352
	s_waitcnt vmcnt(0)
	v_dual_mov_b32 v62, 0 :: v_dual_and_b32 v61, 1, v61
	s_delay_alu instid0(VALU_DEP_1) | instskip(NEXT) | instid1(VALU_DEP_1)
	v_cmp_eq_u32_e64 s0, 1, v61
	s_xor_b32 s0, s0, -1
	s_delay_alu instid0(SALU_CYCLE_1)
	s_and_saveexec_b32 s15, s0
	s_cbranch_execz .LBB743_431
; %bb.430:
	v_sub_f32_e32 v60, v60, v77
	s_delay_alu instid0(VALU_DEP_1) | instskip(NEXT) | instid1(VALU_DEP_1)
	v_mul_f32_e32 v61, 0x3fb8aa3b, v60
	v_fma_f32 v62, 0x3fb8aa3b, v60, -v61
	v_rndne_f32_e32 v78, v61
	s_delay_alu instid0(VALU_DEP_1) | instskip(SKIP_1) | instid1(VALU_DEP_2)
	v_dual_sub_f32 v61, v61, v78 :: v_dual_fmamk_f32 v62, v60, 0x32a5705f, v62
	v_cmp_ngt_f32_e64 s0, 0xc2ce8ed0, v60
	v_add_f32_e32 v61, v61, v62
	v_cvt_i32_f32_e32 v62, v78
	s_delay_alu instid0(VALU_DEP_2) | instskip(SKIP_2) | instid1(VALU_DEP_1)
	v_exp_f32_e32 v61, v61
	s_waitcnt_depctr 0xfff
	v_ldexp_f32 v61, v61, v62
	v_cndmask_b32_e64 v61, 0, v61, s0
	v_cmp_nlt_f32_e64 s0, 0x42b17218, v60
	s_delay_alu instid0(VALU_DEP_1) | instskip(NEXT) | instid1(VALU_DEP_1)
	v_cndmask_b32_e64 v62, 0x7f800000, v61, s0
	v_add_f32_e32 v71, v71, v62
.LBB743_431:
	s_or_b32 exec_lo, exec_lo, s15
.LBB743_432:
	s_delay_alu instid0(SALU_CYCLE_1)
	s_or_b32 exec_lo, exec_lo, s1
	v_dual_mov_b32 v60, 0 :: v_dual_mov_b32 v61, 0
	s_and_saveexec_b32 s1, s14
	s_cbranch_execz .LBB743_436
; %bb.433:
	global_load_u8 v61, v[2:3], off offset:384
	s_waitcnt vmcnt(0)
	v_and_b32_e32 v61, 1, v61
	s_delay_alu instid0(VALU_DEP_1) | instskip(SKIP_1) | instid1(VALU_DEP_2)
	v_cmp_eq_u32_e64 s0, 1, v61
	v_mov_b32_e32 v61, 0
	s_xor_b32 s0, s0, -1
	s_delay_alu instid0(SALU_CYCLE_1)
	s_and_saveexec_b32 s14, s0
	s_cbranch_execz .LBB743_435
; %bb.434:
	v_sub_f32_e32 v59, v59, v77
	s_delay_alu instid0(VALU_DEP_1) | instskip(SKIP_1) | instid1(VALU_DEP_2)
	v_mul_f32_e32 v61, 0x3fb8aa3b, v59
	v_cmp_ngt_f32_e64 s0, 0xc2ce8ed0, v59
	v_fma_f32 v78, 0x3fb8aa3b, v59, -v61
	v_rndne_f32_e32 v79, v61
	s_delay_alu instid0(VALU_DEP_1) | instskip(NEXT) | instid1(VALU_DEP_1)
	v_dual_fmamk_f32 v78, v59, 0x32a5705f, v78 :: v_dual_sub_f32 v61, v61, v79
	v_add_f32_e32 v61, v61, v78
	v_cvt_i32_f32_e32 v78, v79
	s_delay_alu instid0(VALU_DEP_2) | instskip(SKIP_2) | instid1(VALU_DEP_1)
	v_exp_f32_e32 v61, v61
	s_waitcnt_depctr 0xfff
	v_ldexp_f32 v61, v61, v78
	v_cndmask_b32_e64 v61, 0, v61, s0
	v_cmp_nlt_f32_e64 s0, 0x42b17218, v59
	s_delay_alu instid0(VALU_DEP_1) | instskip(NEXT) | instid1(VALU_DEP_1)
	v_cndmask_b32_e64 v61, 0x7f800000, v61, s0
	v_add_f32_e32 v71, v71, v61
.LBB743_435:
	s_or_b32 exec_lo, exec_lo, s14
.LBB743_436:
	s_delay_alu instid0(SALU_CYCLE_1)
	s_or_b32 exec_lo, exec_lo, s1
	s_and_saveexec_b32 s1, s13
	s_cbranch_execz .LBB743_440
; %bb.437:
	global_load_u8 v59, v[2:3], off offset:416
	s_waitcnt vmcnt(0)
	v_dual_mov_b32 v60, 0 :: v_dual_and_b32 v59, 1, v59
	s_delay_alu instid0(VALU_DEP_1) | instskip(NEXT) | instid1(VALU_DEP_1)
	v_cmp_eq_u32_e64 s0, 1, v59
	s_xor_b32 s0, s0, -1
	s_delay_alu instid0(SALU_CYCLE_1)
	s_and_saveexec_b32 s13, s0
	s_cbranch_execz .LBB743_439
; %bb.438:
	v_sub_f32_e32 v58, v58, v77
	s_delay_alu instid0(VALU_DEP_1) | instskip(NEXT) | instid1(VALU_DEP_1)
	v_mul_f32_e32 v59, 0x3fb8aa3b, v58
	v_fma_f32 v60, 0x3fb8aa3b, v58, -v59
	v_rndne_f32_e32 v78, v59
	s_delay_alu instid0(VALU_DEP_1) | instskip(SKIP_1) | instid1(VALU_DEP_2)
	v_dual_sub_f32 v59, v59, v78 :: v_dual_fmamk_f32 v60, v58, 0x32a5705f, v60
	v_cmp_ngt_f32_e64 s0, 0xc2ce8ed0, v58
	v_add_f32_e32 v59, v59, v60
	v_cvt_i32_f32_e32 v60, v78
	s_delay_alu instid0(VALU_DEP_2) | instskip(SKIP_2) | instid1(VALU_DEP_1)
	v_exp_f32_e32 v59, v59
	s_waitcnt_depctr 0xfff
	v_ldexp_f32 v59, v59, v60
	v_cndmask_b32_e64 v59, 0, v59, s0
	v_cmp_nlt_f32_e64 s0, 0x42b17218, v58
	s_delay_alu instid0(VALU_DEP_1) | instskip(NEXT) | instid1(VALU_DEP_1)
	v_cndmask_b32_e64 v60, 0x7f800000, v59, s0
	v_add_f32_e32 v71, v71, v60
.LBB743_439:
	s_or_b32 exec_lo, exec_lo, s13
.LBB743_440:
	s_delay_alu instid0(SALU_CYCLE_1)
	s_or_b32 exec_lo, exec_lo, s1
	v_dual_mov_b32 v58, 0 :: v_dual_mov_b32 v59, 0
	s_and_saveexec_b32 s1, s12
	s_cbranch_execz .LBB743_444
; %bb.441:
	global_load_u8 v59, v[2:3], off offset:448
	s_waitcnt vmcnt(0)
	v_and_b32_e32 v59, 1, v59
	s_delay_alu instid0(VALU_DEP_1) | instskip(SKIP_1) | instid1(VALU_DEP_2)
	v_cmp_eq_u32_e64 s0, 1, v59
	v_mov_b32_e32 v59, 0
	s_xor_b32 s0, s0, -1
	s_delay_alu instid0(SALU_CYCLE_1)
	s_and_saveexec_b32 s12, s0
	s_cbranch_execz .LBB743_443
; %bb.442:
	v_sub_f32_e32 v57, v57, v77
	s_delay_alu instid0(VALU_DEP_1) | instskip(SKIP_1) | instid1(VALU_DEP_2)
	v_mul_f32_e32 v59, 0x3fb8aa3b, v57
	v_cmp_ngt_f32_e64 s0, 0xc2ce8ed0, v57
	v_fma_f32 v78, 0x3fb8aa3b, v57, -v59
	v_rndne_f32_e32 v79, v59
	s_delay_alu instid0(VALU_DEP_1) | instskip(NEXT) | instid1(VALU_DEP_1)
	v_dual_fmamk_f32 v78, v57, 0x32a5705f, v78 :: v_dual_sub_f32 v59, v59, v79
	v_add_f32_e32 v59, v59, v78
	v_cvt_i32_f32_e32 v78, v79
	s_delay_alu instid0(VALU_DEP_2) | instskip(SKIP_2) | instid1(VALU_DEP_1)
	v_exp_f32_e32 v59, v59
	s_waitcnt_depctr 0xfff
	v_ldexp_f32 v59, v59, v78
	v_cndmask_b32_e64 v59, 0, v59, s0
	v_cmp_nlt_f32_e64 s0, 0x42b17218, v57
	s_delay_alu instid0(VALU_DEP_1) | instskip(NEXT) | instid1(VALU_DEP_1)
	v_cndmask_b32_e64 v59, 0x7f800000, v59, s0
	v_add_f32_e32 v71, v71, v59
.LBB743_443:
	s_or_b32 exec_lo, exec_lo, s12
.LBB743_444:
	s_delay_alu instid0(SALU_CYCLE_1)
	s_or_b32 exec_lo, exec_lo, s1
	s_and_saveexec_b32 s1, s11
	s_cbranch_execz .LBB743_448
; %bb.445:
	global_load_u8 v57, v[2:3], off offset:480
	s_waitcnt vmcnt(0)
	v_dual_mov_b32 v58, 0 :: v_dual_and_b32 v57, 1, v57
	s_delay_alu instid0(VALU_DEP_1) | instskip(NEXT) | instid1(VALU_DEP_1)
	v_cmp_eq_u32_e64 s0, 1, v57
	s_xor_b32 s0, s0, -1
	s_delay_alu instid0(SALU_CYCLE_1)
	s_and_saveexec_b32 s11, s0
	s_cbranch_execz .LBB743_447
; %bb.446:
	v_sub_f32_e32 v56, v56, v77
	s_delay_alu instid0(VALU_DEP_1) | instskip(NEXT) | instid1(VALU_DEP_1)
	v_mul_f32_e32 v57, 0x3fb8aa3b, v56
	v_fma_f32 v58, 0x3fb8aa3b, v56, -v57
	v_rndne_f32_e32 v78, v57
	s_delay_alu instid0(VALU_DEP_1) | instskip(SKIP_1) | instid1(VALU_DEP_2)
	v_dual_sub_f32 v57, v57, v78 :: v_dual_fmamk_f32 v58, v56, 0x32a5705f, v58
	v_cmp_ngt_f32_e64 s0, 0xc2ce8ed0, v56
	v_add_f32_e32 v57, v57, v58
	v_cvt_i32_f32_e32 v58, v78
	s_delay_alu instid0(VALU_DEP_2) | instskip(SKIP_2) | instid1(VALU_DEP_1)
	v_exp_f32_e32 v57, v57
	s_waitcnt_depctr 0xfff
	v_ldexp_f32 v57, v57, v58
	v_cndmask_b32_e64 v57, 0, v57, s0
	v_cmp_nlt_f32_e64 s0, 0x42b17218, v56
	s_delay_alu instid0(VALU_DEP_1) | instskip(NEXT) | instid1(VALU_DEP_1)
	v_cndmask_b32_e64 v58, 0x7f800000, v57, s0
	v_add_f32_e32 v71, v71, v58
.LBB743_447:
	s_or_b32 exec_lo, exec_lo, s11
.LBB743_448:
	s_delay_alu instid0(SALU_CYCLE_1)
	s_or_b32 exec_lo, exec_lo, s1
	v_dual_mov_b32 v56, 0 :: v_dual_mov_b32 v57, 0
	s_and_saveexec_b32 s1, s10
	s_cbranch_execz .LBB743_452
; %bb.449:
	global_load_u8 v57, v[2:3], off offset:512
	s_waitcnt vmcnt(0)
	v_and_b32_e32 v57, 1, v57
	s_delay_alu instid0(VALU_DEP_1) | instskip(SKIP_1) | instid1(VALU_DEP_2)
	v_cmp_eq_u32_e64 s0, 1, v57
	v_mov_b32_e32 v57, 0
	s_xor_b32 s0, s0, -1
	s_delay_alu instid0(SALU_CYCLE_1)
	s_and_saveexec_b32 s10, s0
	s_cbranch_execz .LBB743_451
; %bb.450:
	v_sub_f32_e32 v55, v55, v77
	s_delay_alu instid0(VALU_DEP_1) | instskip(SKIP_1) | instid1(VALU_DEP_2)
	v_mul_f32_e32 v57, 0x3fb8aa3b, v55
	v_cmp_ngt_f32_e64 s0, 0xc2ce8ed0, v55
	v_fma_f32 v78, 0x3fb8aa3b, v55, -v57
	v_rndne_f32_e32 v79, v57
	s_delay_alu instid0(VALU_DEP_1) | instskip(NEXT) | instid1(VALU_DEP_1)
	v_dual_fmamk_f32 v78, v55, 0x32a5705f, v78 :: v_dual_sub_f32 v57, v57, v79
	v_add_f32_e32 v57, v57, v78
	v_cvt_i32_f32_e32 v78, v79
	s_delay_alu instid0(VALU_DEP_2) | instskip(SKIP_2) | instid1(VALU_DEP_1)
	v_exp_f32_e32 v57, v57
	s_waitcnt_depctr 0xfff
	v_ldexp_f32 v57, v57, v78
	v_cndmask_b32_e64 v57, 0, v57, s0
	v_cmp_nlt_f32_e64 s0, 0x42b17218, v55
	s_delay_alu instid0(VALU_DEP_1) | instskip(NEXT) | instid1(VALU_DEP_1)
	v_cndmask_b32_e64 v57, 0x7f800000, v57, s0
	v_add_f32_e32 v71, v71, v57
.LBB743_451:
	s_or_b32 exec_lo, exec_lo, s10
.LBB743_452:
	s_delay_alu instid0(SALU_CYCLE_1)
	s_or_b32 exec_lo, exec_lo, s1
	s_and_saveexec_b32 s1, s9
	s_cbranch_execz .LBB743_456
; %bb.453:
	global_load_u8 v55, v[2:3], off offset:544
	s_waitcnt vmcnt(0)
	v_dual_mov_b32 v56, 0 :: v_dual_and_b32 v55, 1, v55
	s_delay_alu instid0(VALU_DEP_1) | instskip(NEXT) | instid1(VALU_DEP_1)
	v_cmp_eq_u32_e64 s0, 1, v55
	s_xor_b32 s0, s0, -1
	s_delay_alu instid0(SALU_CYCLE_1)
	s_and_saveexec_b32 s9, s0
	s_cbranch_execz .LBB743_455
; %bb.454:
	v_sub_f32_e32 v54, v54, v77
	s_delay_alu instid0(VALU_DEP_1) | instskip(NEXT) | instid1(VALU_DEP_1)
	v_mul_f32_e32 v55, 0x3fb8aa3b, v54
	v_fma_f32 v56, 0x3fb8aa3b, v54, -v55
	v_rndne_f32_e32 v78, v55
	s_delay_alu instid0(VALU_DEP_1) | instskip(SKIP_1) | instid1(VALU_DEP_2)
	v_dual_sub_f32 v55, v55, v78 :: v_dual_fmamk_f32 v56, v54, 0x32a5705f, v56
	v_cmp_ngt_f32_e64 s0, 0xc2ce8ed0, v54
	v_add_f32_e32 v55, v55, v56
	v_cvt_i32_f32_e32 v56, v78
	s_delay_alu instid0(VALU_DEP_2) | instskip(SKIP_2) | instid1(VALU_DEP_1)
	v_exp_f32_e32 v55, v55
	s_waitcnt_depctr 0xfff
	v_ldexp_f32 v55, v55, v56
	v_cndmask_b32_e64 v55, 0, v55, s0
	v_cmp_nlt_f32_e64 s0, 0x42b17218, v54
	s_delay_alu instid0(VALU_DEP_1) | instskip(NEXT) | instid1(VALU_DEP_1)
	v_cndmask_b32_e64 v56, 0x7f800000, v55, s0
	v_add_f32_e32 v71, v71, v56
.LBB743_455:
	s_or_b32 exec_lo, exec_lo, s9
.LBB743_456:
	s_delay_alu instid0(SALU_CYCLE_1)
	s_or_b32 exec_lo, exec_lo, s1
	v_dual_mov_b32 v54, 0 :: v_dual_mov_b32 v55, 0
	s_and_saveexec_b32 s1, s8
	s_cbranch_execz .LBB743_460
; %bb.457:
	global_load_u8 v55, v[2:3], off offset:576
	s_waitcnt vmcnt(0)
	v_and_b32_e32 v55, 1, v55
	s_delay_alu instid0(VALU_DEP_1) | instskip(SKIP_1) | instid1(VALU_DEP_2)
	v_cmp_eq_u32_e64 s0, 1, v55
	v_mov_b32_e32 v55, 0
	s_xor_b32 s0, s0, -1
	s_delay_alu instid0(SALU_CYCLE_1)
	s_and_saveexec_b32 s8, s0
	s_cbranch_execz .LBB743_459
; %bb.458:
	v_sub_f32_e32 v53, v53, v77
	s_delay_alu instid0(VALU_DEP_1) | instskip(SKIP_1) | instid1(VALU_DEP_2)
	v_mul_f32_e32 v55, 0x3fb8aa3b, v53
	v_cmp_ngt_f32_e64 s0, 0xc2ce8ed0, v53
	v_fma_f32 v78, 0x3fb8aa3b, v53, -v55
	v_rndne_f32_e32 v79, v55
	s_delay_alu instid0(VALU_DEP_1) | instskip(NEXT) | instid1(VALU_DEP_1)
	v_dual_fmamk_f32 v78, v53, 0x32a5705f, v78 :: v_dual_sub_f32 v55, v55, v79
	v_add_f32_e32 v55, v55, v78
	v_cvt_i32_f32_e32 v78, v79
	s_delay_alu instid0(VALU_DEP_2) | instskip(SKIP_2) | instid1(VALU_DEP_1)
	v_exp_f32_e32 v55, v55
	s_waitcnt_depctr 0xfff
	v_ldexp_f32 v55, v55, v78
	v_cndmask_b32_e64 v55, 0, v55, s0
	v_cmp_nlt_f32_e64 s0, 0x42b17218, v53
	s_delay_alu instid0(VALU_DEP_1) | instskip(NEXT) | instid1(VALU_DEP_1)
	v_cndmask_b32_e64 v55, 0x7f800000, v55, s0
	v_add_f32_e32 v71, v71, v55
.LBB743_459:
	s_or_b32 exec_lo, exec_lo, s8
.LBB743_460:
	s_delay_alu instid0(SALU_CYCLE_1)
	s_or_b32 exec_lo, exec_lo, s1
	s_and_saveexec_b32 s1, s69
	s_cbranch_execz .LBB743_464
; %bb.461:
	global_load_u8 v53, v[2:3], off offset:608
	s_waitcnt vmcnt(0)
	v_dual_mov_b32 v54, 0 :: v_dual_and_b32 v53, 1, v53
	s_delay_alu instid0(VALU_DEP_1) | instskip(NEXT) | instid1(VALU_DEP_1)
	v_cmp_eq_u32_e64 s0, 1, v53
	s_xor_b32 s0, s0, -1
	s_delay_alu instid0(SALU_CYCLE_1)
	s_and_saveexec_b32 s8, s0
	s_cbranch_execz .LBB743_463
; %bb.462:
	v_sub_f32_e32 v52, v52, v77
	s_delay_alu instid0(VALU_DEP_1) | instskip(NEXT) | instid1(VALU_DEP_1)
	v_mul_f32_e32 v53, 0x3fb8aa3b, v52
	v_fma_f32 v54, 0x3fb8aa3b, v52, -v53
	v_rndne_f32_e32 v78, v53
	s_delay_alu instid0(VALU_DEP_1) | instskip(SKIP_1) | instid1(VALU_DEP_2)
	v_dual_sub_f32 v53, v53, v78 :: v_dual_fmamk_f32 v54, v52, 0x32a5705f, v54
	v_cmp_ngt_f32_e64 s0, 0xc2ce8ed0, v52
	v_add_f32_e32 v53, v53, v54
	v_cvt_i32_f32_e32 v54, v78
	s_delay_alu instid0(VALU_DEP_2) | instskip(SKIP_2) | instid1(VALU_DEP_1)
	v_exp_f32_e32 v53, v53
	s_waitcnt_depctr 0xfff
	v_ldexp_f32 v53, v53, v54
	v_cndmask_b32_e64 v53, 0, v53, s0
	v_cmp_nlt_f32_e64 s0, 0x42b17218, v52
	s_delay_alu instid0(VALU_DEP_1) | instskip(NEXT) | instid1(VALU_DEP_1)
	v_cndmask_b32_e64 v54, 0x7f800000, v53, s0
	v_add_f32_e32 v71, v71, v54
.LBB743_463:
	s_or_b32 exec_lo, exec_lo, s8
.LBB743_464:
	s_delay_alu instid0(SALU_CYCLE_1)
	s_or_b32 exec_lo, exec_lo, s1
	v_dual_mov_b32 v52, 0 :: v_dual_mov_b32 v53, 0
	s_and_saveexec_b32 s1, s68
	s_cbranch_execz .LBB743_468
; %bb.465:
	global_load_u8 v53, v[2:3], off offset:640
	s_waitcnt vmcnt(0)
	v_and_b32_e32 v53, 1, v53
	s_delay_alu instid0(VALU_DEP_1) | instskip(SKIP_1) | instid1(VALU_DEP_2)
	v_cmp_eq_u32_e64 s0, 1, v53
	v_mov_b32_e32 v53, 0
	s_xor_b32 s0, s0, -1
	s_delay_alu instid0(SALU_CYCLE_1)
	s_and_saveexec_b32 s8, s0
	s_cbranch_execz .LBB743_467
; %bb.466:
	v_sub_f32_e32 v51, v51, v77
	s_delay_alu instid0(VALU_DEP_1) | instskip(SKIP_1) | instid1(VALU_DEP_2)
	v_mul_f32_e32 v53, 0x3fb8aa3b, v51
	v_cmp_ngt_f32_e64 s0, 0xc2ce8ed0, v51
	v_fma_f32 v78, 0x3fb8aa3b, v51, -v53
	v_rndne_f32_e32 v79, v53
	s_delay_alu instid0(VALU_DEP_1) | instskip(NEXT) | instid1(VALU_DEP_1)
	v_dual_fmamk_f32 v78, v51, 0x32a5705f, v78 :: v_dual_sub_f32 v53, v53, v79
	v_add_f32_e32 v53, v53, v78
	v_cvt_i32_f32_e32 v78, v79
	s_delay_alu instid0(VALU_DEP_2) | instskip(SKIP_2) | instid1(VALU_DEP_1)
	v_exp_f32_e32 v53, v53
	s_waitcnt_depctr 0xfff
	v_ldexp_f32 v53, v53, v78
	v_cndmask_b32_e64 v53, 0, v53, s0
	v_cmp_nlt_f32_e64 s0, 0x42b17218, v51
	s_delay_alu instid0(VALU_DEP_1) | instskip(NEXT) | instid1(VALU_DEP_1)
	v_cndmask_b32_e64 v53, 0x7f800000, v53, s0
	v_add_f32_e32 v71, v71, v53
.LBB743_467:
	s_or_b32 exec_lo, exec_lo, s8
.LBB743_468:
	s_delay_alu instid0(SALU_CYCLE_1)
	s_or_b32 exec_lo, exec_lo, s1
	s_and_saveexec_b32 s1, s7
	s_cbranch_execz .LBB743_472
; %bb.469:
	global_load_u8 v51, v[2:3], off offset:672
	s_waitcnt vmcnt(0)
	v_dual_mov_b32 v52, 0 :: v_dual_and_b32 v51, 1, v51
	s_delay_alu instid0(VALU_DEP_1) | instskip(NEXT) | instid1(VALU_DEP_1)
	v_cmp_eq_u32_e64 s0, 1, v51
	s_xor_b32 s0, s0, -1
	s_delay_alu instid0(SALU_CYCLE_1)
	s_and_saveexec_b32 s7, s0
	s_cbranch_execz .LBB743_471
; %bb.470:
	v_sub_f32_e32 v50, v50, v77
	s_delay_alu instid0(VALU_DEP_1) | instskip(NEXT) | instid1(VALU_DEP_1)
	v_mul_f32_e32 v51, 0x3fb8aa3b, v50
	v_fma_f32 v52, 0x3fb8aa3b, v50, -v51
	v_rndne_f32_e32 v78, v51
	s_delay_alu instid0(VALU_DEP_1) | instskip(SKIP_1) | instid1(VALU_DEP_2)
	v_dual_sub_f32 v51, v51, v78 :: v_dual_fmamk_f32 v52, v50, 0x32a5705f, v52
	v_cmp_ngt_f32_e64 s0, 0xc2ce8ed0, v50
	v_add_f32_e32 v51, v51, v52
	v_cvt_i32_f32_e32 v52, v78
	s_delay_alu instid0(VALU_DEP_2) | instskip(SKIP_2) | instid1(VALU_DEP_1)
	v_exp_f32_e32 v51, v51
	s_waitcnt_depctr 0xfff
	v_ldexp_f32 v51, v51, v52
	v_cndmask_b32_e64 v51, 0, v51, s0
	v_cmp_nlt_f32_e64 s0, 0x42b17218, v50
	s_delay_alu instid0(VALU_DEP_1) | instskip(NEXT) | instid1(VALU_DEP_1)
	v_cndmask_b32_e64 v52, 0x7f800000, v51, s0
	v_add_f32_e32 v71, v71, v52
.LBB743_471:
	s_or_b32 exec_lo, exec_lo, s7
.LBB743_472:
	s_delay_alu instid0(SALU_CYCLE_1)
	s_or_b32 exec_lo, exec_lo, s1
	v_dual_mov_b32 v50, 0 :: v_dual_mov_b32 v51, 0
	s_and_saveexec_b32 s1, s6
	s_cbranch_execz .LBB743_476
; %bb.473:
	global_load_u8 v51, v[2:3], off offset:704
	s_waitcnt vmcnt(0)
	v_and_b32_e32 v51, 1, v51
	s_delay_alu instid0(VALU_DEP_1) | instskip(SKIP_1) | instid1(VALU_DEP_2)
	v_cmp_eq_u32_e64 s0, 1, v51
	v_mov_b32_e32 v51, 0
	s_xor_b32 s0, s0, -1
	s_delay_alu instid0(SALU_CYCLE_1)
	s_and_saveexec_b32 s6, s0
	s_cbranch_execz .LBB743_475
; %bb.474:
	v_sub_f32_e32 v49, v49, v77
	s_delay_alu instid0(VALU_DEP_1) | instskip(SKIP_1) | instid1(VALU_DEP_2)
	v_mul_f32_e32 v51, 0x3fb8aa3b, v49
	v_cmp_ngt_f32_e64 s0, 0xc2ce8ed0, v49
	v_fma_f32 v78, 0x3fb8aa3b, v49, -v51
	v_rndne_f32_e32 v79, v51
	s_delay_alu instid0(VALU_DEP_1) | instskip(NEXT) | instid1(VALU_DEP_1)
	v_dual_fmamk_f32 v78, v49, 0x32a5705f, v78 :: v_dual_sub_f32 v51, v51, v79
	v_add_f32_e32 v51, v51, v78
	v_cvt_i32_f32_e32 v78, v79
	s_delay_alu instid0(VALU_DEP_2) | instskip(SKIP_2) | instid1(VALU_DEP_1)
	v_exp_f32_e32 v51, v51
	s_waitcnt_depctr 0xfff
	v_ldexp_f32 v51, v51, v78
	v_cndmask_b32_e64 v51, 0, v51, s0
	v_cmp_nlt_f32_e64 s0, 0x42b17218, v49
	s_delay_alu instid0(VALU_DEP_1) | instskip(NEXT) | instid1(VALU_DEP_1)
	v_cndmask_b32_e64 v51, 0x7f800000, v51, s0
	v_add_f32_e32 v71, v71, v51
.LBB743_475:
	s_or_b32 exec_lo, exec_lo, s6
.LBB743_476:
	s_delay_alu instid0(SALU_CYCLE_1)
	s_or_b32 exec_lo, exec_lo, s1
	s_and_saveexec_b32 s1, s5
	s_cbranch_execz .LBB743_480
; %bb.477:
	global_load_u8 v49, v[2:3], off offset:736
	s_waitcnt vmcnt(0)
	v_dual_mov_b32 v50, 0 :: v_dual_and_b32 v49, 1, v49
	s_delay_alu instid0(VALU_DEP_1) | instskip(NEXT) | instid1(VALU_DEP_1)
	v_cmp_eq_u32_e64 s0, 1, v49
	s_xor_b32 s0, s0, -1
	s_delay_alu instid0(SALU_CYCLE_1)
	s_and_saveexec_b32 s5, s0
	s_cbranch_execz .LBB743_479
; %bb.478:
	v_sub_f32_e32 v48, v48, v77
	s_delay_alu instid0(VALU_DEP_1) | instskip(NEXT) | instid1(VALU_DEP_1)
	v_mul_f32_e32 v49, 0x3fb8aa3b, v48
	v_fma_f32 v50, 0x3fb8aa3b, v48, -v49
	v_rndne_f32_e32 v78, v49
	s_delay_alu instid0(VALU_DEP_1) | instskip(SKIP_1) | instid1(VALU_DEP_2)
	v_dual_sub_f32 v49, v49, v78 :: v_dual_fmamk_f32 v50, v48, 0x32a5705f, v50
	v_cmp_ngt_f32_e64 s0, 0xc2ce8ed0, v48
	v_add_f32_e32 v49, v49, v50
	v_cvt_i32_f32_e32 v50, v78
	s_delay_alu instid0(VALU_DEP_2) | instskip(SKIP_2) | instid1(VALU_DEP_1)
	v_exp_f32_e32 v49, v49
	s_waitcnt_depctr 0xfff
	v_ldexp_f32 v49, v49, v50
	v_cndmask_b32_e64 v49, 0, v49, s0
	v_cmp_nlt_f32_e64 s0, 0x42b17218, v48
	s_delay_alu instid0(VALU_DEP_1) | instskip(NEXT) | instid1(VALU_DEP_1)
	v_cndmask_b32_e64 v50, 0x7f800000, v49, s0
	v_add_f32_e32 v71, v71, v50
.LBB743_479:
	s_or_b32 exec_lo, exec_lo, s5
.LBB743_480:
	s_delay_alu instid0(SALU_CYCLE_1)
	s_or_b32 exec_lo, exec_lo, s1
	v_dual_mov_b32 v48, 0 :: v_dual_mov_b32 v49, 0
	s_and_saveexec_b32 s1, s4
	s_cbranch_execz .LBB743_484
; %bb.481:
	global_load_u8 v49, v[2:3], off offset:768
	s_waitcnt vmcnt(0)
	v_and_b32_e32 v49, 1, v49
	s_delay_alu instid0(VALU_DEP_1) | instskip(SKIP_1) | instid1(VALU_DEP_2)
	v_cmp_eq_u32_e64 s0, 1, v49
	v_mov_b32_e32 v49, 0
	s_xor_b32 s0, s0, -1
	s_delay_alu instid0(SALU_CYCLE_1)
	s_and_saveexec_b32 s4, s0
	s_cbranch_execz .LBB743_483
; %bb.482:
	v_sub_f32_e32 v47, v47, v77
	s_delay_alu instid0(VALU_DEP_1) | instskip(SKIP_1) | instid1(VALU_DEP_2)
	v_mul_f32_e32 v49, 0x3fb8aa3b, v47
	v_cmp_ngt_f32_e64 s0, 0xc2ce8ed0, v47
	v_fma_f32 v78, 0x3fb8aa3b, v47, -v49
	v_rndne_f32_e32 v79, v49
	s_delay_alu instid0(VALU_DEP_1) | instskip(NEXT) | instid1(VALU_DEP_1)
	v_dual_fmamk_f32 v78, v47, 0x32a5705f, v78 :: v_dual_sub_f32 v49, v49, v79
	v_add_f32_e32 v49, v49, v78
	v_cvt_i32_f32_e32 v78, v79
	s_delay_alu instid0(VALU_DEP_2) | instskip(SKIP_2) | instid1(VALU_DEP_1)
	v_exp_f32_e32 v49, v49
	s_waitcnt_depctr 0xfff
	v_ldexp_f32 v49, v49, v78
	v_cndmask_b32_e64 v49, 0, v49, s0
	v_cmp_nlt_f32_e64 s0, 0x42b17218, v47
	s_delay_alu instid0(VALU_DEP_1) | instskip(NEXT) | instid1(VALU_DEP_1)
	v_cndmask_b32_e64 v49, 0x7f800000, v49, s0
	v_add_f32_e32 v71, v71, v49
.LBB743_483:
	s_or_b32 exec_lo, exec_lo, s4
.LBB743_484:
	s_delay_alu instid0(SALU_CYCLE_1)
	s_or_b32 exec_lo, exec_lo, s1
	s_and_saveexec_b32 s1, s3
	s_cbranch_execz .LBB743_488
; %bb.485:
	global_load_u8 v47, v[2:3], off offset:800
	s_waitcnt vmcnt(0)
	v_dual_mov_b32 v48, 0 :: v_dual_and_b32 v47, 1, v47
	s_delay_alu instid0(VALU_DEP_1) | instskip(NEXT) | instid1(VALU_DEP_1)
	v_cmp_eq_u32_e64 s0, 1, v47
	s_xor_b32 s0, s0, -1
	s_delay_alu instid0(SALU_CYCLE_1)
	s_and_saveexec_b32 s3, s0
	s_cbranch_execz .LBB743_487
; %bb.486:
	v_sub_f32_e32 v46, v46, v77
	s_delay_alu instid0(VALU_DEP_1) | instskip(NEXT) | instid1(VALU_DEP_1)
	v_mul_f32_e32 v47, 0x3fb8aa3b, v46
	v_fma_f32 v48, 0x3fb8aa3b, v46, -v47
	v_rndne_f32_e32 v78, v47
	s_delay_alu instid0(VALU_DEP_1) | instskip(SKIP_1) | instid1(VALU_DEP_2)
	v_dual_sub_f32 v47, v47, v78 :: v_dual_fmamk_f32 v48, v46, 0x32a5705f, v48
	v_cmp_ngt_f32_e64 s0, 0xc2ce8ed0, v46
	v_add_f32_e32 v47, v47, v48
	v_cvt_i32_f32_e32 v48, v78
	s_delay_alu instid0(VALU_DEP_2) | instskip(SKIP_2) | instid1(VALU_DEP_1)
	v_exp_f32_e32 v47, v47
	s_waitcnt_depctr 0xfff
	v_ldexp_f32 v47, v47, v48
	v_cndmask_b32_e64 v47, 0, v47, s0
	v_cmp_nlt_f32_e64 s0, 0x42b17218, v46
	s_delay_alu instid0(VALU_DEP_1) | instskip(NEXT) | instid1(VALU_DEP_1)
	v_cndmask_b32_e64 v48, 0x7f800000, v47, s0
	v_add_f32_e32 v71, v71, v48
.LBB743_487:
	s_or_b32 exec_lo, exec_lo, s3
.LBB743_488:
	s_delay_alu instid0(SALU_CYCLE_1)
	s_or_b32 exec_lo, exec_lo, s1
	v_dual_mov_b32 v46, 0 :: v_dual_mov_b32 v47, 0
	s_and_saveexec_b32 s1, s2
	s_cbranch_execz .LBB743_492
; %bb.489:
	global_load_u8 v47, v[2:3], off offset:832
	s_waitcnt vmcnt(0)
	v_and_b32_e32 v47, 1, v47
	s_delay_alu instid0(VALU_DEP_1) | instskip(SKIP_1) | instid1(VALU_DEP_2)
	v_cmp_eq_u32_e64 s0, 1, v47
	v_mov_b32_e32 v47, 0
	s_xor_b32 s0, s0, -1
	s_delay_alu instid0(SALU_CYCLE_1)
	s_and_saveexec_b32 s2, s0
	s_cbranch_execz .LBB743_491
; %bb.490:
	v_sub_f32_e32 v45, v45, v77
	s_delay_alu instid0(VALU_DEP_1) | instskip(SKIP_1) | instid1(VALU_DEP_2)
	v_mul_f32_e32 v47, 0x3fb8aa3b, v45
	v_cmp_ngt_f32_e64 s0, 0xc2ce8ed0, v45
	v_fma_f32 v78, 0x3fb8aa3b, v45, -v47
	v_rndne_f32_e32 v79, v47
	s_delay_alu instid0(VALU_DEP_1) | instskip(NEXT) | instid1(VALU_DEP_1)
	v_dual_fmamk_f32 v78, v45, 0x32a5705f, v78 :: v_dual_sub_f32 v47, v47, v79
	v_add_f32_e32 v47, v47, v78
	v_cvt_i32_f32_e32 v78, v79
	s_delay_alu instid0(VALU_DEP_2) | instskip(SKIP_2) | instid1(VALU_DEP_1)
	v_exp_f32_e32 v47, v47
	s_waitcnt_depctr 0xfff
	v_ldexp_f32 v47, v47, v78
	v_cndmask_b32_e64 v47, 0, v47, s0
	v_cmp_nlt_f32_e64 s0, 0x42b17218, v45
	s_delay_alu instid0(VALU_DEP_1) | instskip(NEXT) | instid1(VALU_DEP_1)
	v_cndmask_b32_e64 v47, 0x7f800000, v47, s0
	v_add_f32_e32 v71, v71, v47
.LBB743_491:
	s_or_b32 exec_lo, exec_lo, s2
.LBB743_492:
	s_delay_alu instid0(SALU_CYCLE_1)
	s_or_b32 exec_lo, exec_lo, s1
	s_and_saveexec_b32 s1, vcc_hi
	s_cbranch_execz .LBB743_496
; %bb.493:
	global_load_u8 v45, v[2:3], off offset:864
	s_waitcnt vmcnt(0)
	v_dual_mov_b32 v46, 0 :: v_dual_and_b32 v45, 1, v45
	s_delay_alu instid0(VALU_DEP_1) | instskip(NEXT) | instid1(VALU_DEP_1)
	v_cmp_eq_u32_e64 s0, 1, v45
	s_xor_b32 s0, s0, -1
	s_delay_alu instid0(SALU_CYCLE_1)
	s_and_saveexec_b32 s2, s0
	s_cbranch_execz .LBB743_495
; %bb.494:
	v_sub_f32_e32 v44, v44, v77
	s_delay_alu instid0(VALU_DEP_1) | instskip(NEXT) | instid1(VALU_DEP_1)
	v_mul_f32_e32 v45, 0x3fb8aa3b, v44
	v_fma_f32 v46, 0x3fb8aa3b, v44, -v45
	v_rndne_f32_e32 v78, v45
	s_delay_alu instid0(VALU_DEP_1) | instskip(SKIP_1) | instid1(VALU_DEP_2)
	v_dual_sub_f32 v45, v45, v78 :: v_dual_fmamk_f32 v46, v44, 0x32a5705f, v46
	v_cmp_ngt_f32_e64 s0, 0xc2ce8ed0, v44
	v_add_f32_e32 v45, v45, v46
	v_cvt_i32_f32_e32 v46, v78
	s_delay_alu instid0(VALU_DEP_2) | instskip(SKIP_2) | instid1(VALU_DEP_1)
	v_exp_f32_e32 v45, v45
	s_waitcnt_depctr 0xfff
	v_ldexp_f32 v45, v45, v46
	v_cndmask_b32_e64 v45, 0, v45, s0
	v_cmp_nlt_f32_e64 s0, 0x42b17218, v44
	s_delay_alu instid0(VALU_DEP_1) | instskip(NEXT) | instid1(VALU_DEP_1)
	v_cndmask_b32_e64 v46, 0x7f800000, v45, s0
	v_add_f32_e32 v71, v71, v46
.LBB743_495:
	s_or_b32 exec_lo, exec_lo, s2
.LBB743_496:
	s_delay_alu instid0(SALU_CYCLE_1)
	s_or_b32 exec_lo, exec_lo, s1
	v_dual_mov_b32 v44, 0 :: v_dual_mov_b32 v45, 0
	s_and_saveexec_b32 s1, s104
	s_cbranch_execz .LBB743_500
; %bb.497:
	global_load_u8 v45, v[2:3], off offset:896
	s_waitcnt vmcnt(0)
	v_and_b32_e32 v45, 1, v45
	s_delay_alu instid0(VALU_DEP_1) | instskip(SKIP_1) | instid1(VALU_DEP_2)
	v_cmp_eq_u32_e64 s0, 1, v45
	v_mov_b32_e32 v45, 0
	s_xor_b32 s0, s0, -1
	s_delay_alu instid0(SALU_CYCLE_1)
	s_and_saveexec_b32 s2, s0
	s_cbranch_execz .LBB743_499
; %bb.498:
	v_sub_f32_e32 v43, v43, v77
	s_delay_alu instid0(VALU_DEP_1) | instskip(SKIP_1) | instid1(VALU_DEP_2)
	v_mul_f32_e32 v45, 0x3fb8aa3b, v43
	v_cmp_ngt_f32_e64 s0, 0xc2ce8ed0, v43
	v_fma_f32 v78, 0x3fb8aa3b, v43, -v45
	v_rndne_f32_e32 v79, v45
	s_delay_alu instid0(VALU_DEP_1) | instskip(NEXT) | instid1(VALU_DEP_1)
	v_dual_fmamk_f32 v78, v43, 0x32a5705f, v78 :: v_dual_sub_f32 v45, v45, v79
	v_add_f32_e32 v45, v45, v78
	v_cvt_i32_f32_e32 v78, v79
	s_delay_alu instid0(VALU_DEP_2) | instskip(SKIP_2) | instid1(VALU_DEP_1)
	v_exp_f32_e32 v45, v45
	s_waitcnt_depctr 0xfff
	v_ldexp_f32 v45, v45, v78
	v_cndmask_b32_e64 v45, 0, v45, s0
	v_cmp_nlt_f32_e64 s0, 0x42b17218, v43
	s_delay_alu instid0(VALU_DEP_1) | instskip(NEXT) | instid1(VALU_DEP_1)
	v_cndmask_b32_e64 v45, 0x7f800000, v45, s0
	v_add_f32_e32 v71, v71, v45
.LBB743_499:
	s_or_b32 exec_lo, exec_lo, s2
.LBB743_500:
	s_delay_alu instid0(SALU_CYCLE_1)
	s_or_b32 exec_lo, exec_lo, s1
	s_and_saveexec_b32 s1, s103
	s_cbranch_execz .LBB743_504
; %bb.501:
	global_load_u8 v43, v[2:3], off offset:928
	s_waitcnt vmcnt(0)
	v_dual_mov_b32 v44, 0 :: v_dual_and_b32 v43, 1, v43
	s_delay_alu instid0(VALU_DEP_1) | instskip(NEXT) | instid1(VALU_DEP_1)
	v_cmp_eq_u32_e64 s0, 1, v43
	s_xor_b32 s0, s0, -1
	s_delay_alu instid0(SALU_CYCLE_1)
	s_and_saveexec_b32 s2, s0
	s_cbranch_execz .LBB743_503
; %bb.502:
	v_sub_f32_e32 v42, v42, v77
	s_delay_alu instid0(VALU_DEP_1) | instskip(NEXT) | instid1(VALU_DEP_1)
	v_mul_f32_e32 v43, 0x3fb8aa3b, v42
	v_fma_f32 v44, 0x3fb8aa3b, v42, -v43
	v_rndne_f32_e32 v78, v43
	s_delay_alu instid0(VALU_DEP_1) | instskip(SKIP_1) | instid1(VALU_DEP_2)
	v_dual_sub_f32 v43, v43, v78 :: v_dual_fmamk_f32 v44, v42, 0x32a5705f, v44
	v_cmp_ngt_f32_e64 s0, 0xc2ce8ed0, v42
	v_add_f32_e32 v43, v43, v44
	v_cvt_i32_f32_e32 v44, v78
	s_delay_alu instid0(VALU_DEP_2) | instskip(SKIP_2) | instid1(VALU_DEP_1)
	v_exp_f32_e32 v43, v43
	s_waitcnt_depctr 0xfff
	v_ldexp_f32 v43, v43, v44
	v_cndmask_b32_e64 v43, 0, v43, s0
	v_cmp_nlt_f32_e64 s0, 0x42b17218, v42
	s_delay_alu instid0(VALU_DEP_1) | instskip(NEXT) | instid1(VALU_DEP_1)
	v_cndmask_b32_e64 v44, 0x7f800000, v43, s0
	v_add_f32_e32 v71, v71, v44
.LBB743_503:
	s_or_b32 exec_lo, exec_lo, s2
.LBB743_504:
	s_delay_alu instid0(SALU_CYCLE_1)
	s_or_b32 exec_lo, exec_lo, s1
	v_dual_mov_b32 v42, 0 :: v_dual_mov_b32 v43, 0
	s_and_saveexec_b32 s1, s102
	s_cbranch_execz .LBB743_508
; %bb.505:
	global_load_u8 v43, v[2:3], off offset:960
	s_waitcnt vmcnt(0)
	v_and_b32_e32 v43, 1, v43
	s_delay_alu instid0(VALU_DEP_1) | instskip(SKIP_1) | instid1(VALU_DEP_2)
	v_cmp_eq_u32_e64 s0, 1, v43
	v_mov_b32_e32 v43, 0
	s_xor_b32 s0, s0, -1
	s_delay_alu instid0(SALU_CYCLE_1)
	s_and_saveexec_b32 s2, s0
	s_cbranch_execz .LBB743_507
; %bb.506:
	v_sub_f32_e32 v41, v41, v77
	s_delay_alu instid0(VALU_DEP_1) | instskip(SKIP_1) | instid1(VALU_DEP_2)
	v_mul_f32_e32 v43, 0x3fb8aa3b, v41
	v_cmp_ngt_f32_e64 s0, 0xc2ce8ed0, v41
	v_fma_f32 v78, 0x3fb8aa3b, v41, -v43
	v_rndne_f32_e32 v79, v43
	s_delay_alu instid0(VALU_DEP_1) | instskip(NEXT) | instid1(VALU_DEP_1)
	v_dual_fmamk_f32 v78, v41, 0x32a5705f, v78 :: v_dual_sub_f32 v43, v43, v79
	v_add_f32_e32 v43, v43, v78
	v_cvt_i32_f32_e32 v78, v79
	s_delay_alu instid0(VALU_DEP_2) | instskip(SKIP_2) | instid1(VALU_DEP_1)
	v_exp_f32_e32 v43, v43
	s_waitcnt_depctr 0xfff
	v_ldexp_f32 v43, v43, v78
	v_cndmask_b32_e64 v43, 0, v43, s0
	v_cmp_nlt_f32_e64 s0, 0x42b17218, v41
	s_delay_alu instid0(VALU_DEP_1) | instskip(NEXT) | instid1(VALU_DEP_1)
	v_cndmask_b32_e64 v43, 0x7f800000, v43, s0
	v_add_f32_e32 v71, v71, v43
.LBB743_507:
	s_or_b32 exec_lo, exec_lo, s2
.LBB743_508:
	s_delay_alu instid0(SALU_CYCLE_1)
	s_or_b32 exec_lo, exec_lo, s1
	s_and_saveexec_b32 s1, s101
	s_cbranch_execz .LBB743_512
; %bb.509:
	global_load_u8 v41, v[2:3], off offset:992
	s_waitcnt vmcnt(0)
	v_dual_mov_b32 v42, 0 :: v_dual_and_b32 v41, 1, v41
	s_delay_alu instid0(VALU_DEP_1) | instskip(NEXT) | instid1(VALU_DEP_1)
	v_cmp_eq_u32_e64 s0, 1, v41
	s_xor_b32 s0, s0, -1
	s_delay_alu instid0(SALU_CYCLE_1)
	s_and_saveexec_b32 s2, s0
	s_cbranch_execz .LBB743_511
; %bb.510:
	v_sub_f32_e32 v40, v40, v77
	s_delay_alu instid0(VALU_DEP_1) | instskip(NEXT) | instid1(VALU_DEP_1)
	v_mul_f32_e32 v41, 0x3fb8aa3b, v40
	v_fma_f32 v42, 0x3fb8aa3b, v40, -v41
	v_rndne_f32_e32 v78, v41
	s_delay_alu instid0(VALU_DEP_1) | instskip(SKIP_1) | instid1(VALU_DEP_2)
	v_dual_sub_f32 v41, v41, v78 :: v_dual_fmamk_f32 v42, v40, 0x32a5705f, v42
	v_cmp_ngt_f32_e64 s0, 0xc2ce8ed0, v40
	v_add_f32_e32 v41, v41, v42
	v_cvt_i32_f32_e32 v42, v78
	s_delay_alu instid0(VALU_DEP_2) | instskip(SKIP_2) | instid1(VALU_DEP_1)
	v_exp_f32_e32 v41, v41
	s_waitcnt_depctr 0xfff
	v_ldexp_f32 v41, v41, v42
	v_cndmask_b32_e64 v41, 0, v41, s0
	v_cmp_nlt_f32_e64 s0, 0x42b17218, v40
	s_delay_alu instid0(VALU_DEP_1) | instskip(NEXT) | instid1(VALU_DEP_1)
	v_cndmask_b32_e64 v42, 0x7f800000, v41, s0
	v_add_f32_e32 v71, v71, v42
.LBB743_511:
	s_or_b32 exec_lo, exec_lo, s2
.LBB743_512:
	s_delay_alu instid0(SALU_CYCLE_1)
	s_or_b32 exec_lo, exec_lo, s1
	v_dual_mov_b32 v40, 0 :: v_dual_mov_b32 v41, 0
	s_and_saveexec_b32 s1, s100
	s_cbranch_execz .LBB743_516
; %bb.513:
	global_load_u8 v41, v[2:3], off offset:1024
	s_waitcnt vmcnt(0)
	v_and_b32_e32 v41, 1, v41
	s_delay_alu instid0(VALU_DEP_1) | instskip(SKIP_1) | instid1(VALU_DEP_2)
	v_cmp_eq_u32_e64 s0, 1, v41
	v_mov_b32_e32 v41, 0
	s_xor_b32 s0, s0, -1
	s_delay_alu instid0(SALU_CYCLE_1)
	s_and_saveexec_b32 s2, s0
	s_cbranch_execz .LBB743_515
; %bb.514:
	v_sub_f32_e32 v39, v39, v77
	s_delay_alu instid0(VALU_DEP_1) | instskip(SKIP_1) | instid1(VALU_DEP_2)
	v_mul_f32_e32 v41, 0x3fb8aa3b, v39
	v_cmp_ngt_f32_e64 s0, 0xc2ce8ed0, v39
	v_fma_f32 v78, 0x3fb8aa3b, v39, -v41
	v_rndne_f32_e32 v79, v41
	s_delay_alu instid0(VALU_DEP_1) | instskip(NEXT) | instid1(VALU_DEP_1)
	v_dual_fmamk_f32 v78, v39, 0x32a5705f, v78 :: v_dual_sub_f32 v41, v41, v79
	v_add_f32_e32 v41, v41, v78
	v_cvt_i32_f32_e32 v78, v79
	s_delay_alu instid0(VALU_DEP_2) | instskip(SKIP_2) | instid1(VALU_DEP_1)
	v_exp_f32_e32 v41, v41
	s_waitcnt_depctr 0xfff
	v_ldexp_f32 v41, v41, v78
	v_cndmask_b32_e64 v41, 0, v41, s0
	v_cmp_nlt_f32_e64 s0, 0x42b17218, v39
	s_delay_alu instid0(VALU_DEP_1) | instskip(NEXT) | instid1(VALU_DEP_1)
	v_cndmask_b32_e64 v41, 0x7f800000, v41, s0
	v_add_f32_e32 v71, v71, v41
.LBB743_515:
	s_or_b32 exec_lo, exec_lo, s2
.LBB743_516:
	s_delay_alu instid0(SALU_CYCLE_1)
	s_or_b32 exec_lo, exec_lo, s1
	s_and_saveexec_b32 s1, s99
	s_cbranch_execz .LBB743_520
; %bb.517:
	global_load_u8 v39, v[2:3], off offset:1056
	s_waitcnt vmcnt(0)
	v_dual_mov_b32 v40, 0 :: v_dual_and_b32 v39, 1, v39
	s_delay_alu instid0(VALU_DEP_1) | instskip(NEXT) | instid1(VALU_DEP_1)
	v_cmp_eq_u32_e64 s0, 1, v39
	s_xor_b32 s0, s0, -1
	s_delay_alu instid0(SALU_CYCLE_1)
	s_and_saveexec_b32 s2, s0
	s_cbranch_execz .LBB743_519
; %bb.518:
	v_sub_f32_e32 v38, v38, v77
	s_delay_alu instid0(VALU_DEP_1) | instskip(NEXT) | instid1(VALU_DEP_1)
	v_mul_f32_e32 v39, 0x3fb8aa3b, v38
	v_fma_f32 v40, 0x3fb8aa3b, v38, -v39
	v_rndne_f32_e32 v78, v39
	s_delay_alu instid0(VALU_DEP_1) | instskip(SKIP_1) | instid1(VALU_DEP_2)
	v_dual_sub_f32 v39, v39, v78 :: v_dual_fmamk_f32 v40, v38, 0x32a5705f, v40
	v_cmp_ngt_f32_e64 s0, 0xc2ce8ed0, v38
	v_add_f32_e32 v39, v39, v40
	v_cvt_i32_f32_e32 v40, v78
	s_delay_alu instid0(VALU_DEP_2) | instskip(SKIP_2) | instid1(VALU_DEP_1)
	v_exp_f32_e32 v39, v39
	s_waitcnt_depctr 0xfff
	v_ldexp_f32 v39, v39, v40
	v_cndmask_b32_e64 v39, 0, v39, s0
	v_cmp_nlt_f32_e64 s0, 0x42b17218, v38
	s_delay_alu instid0(VALU_DEP_1) | instskip(NEXT) | instid1(VALU_DEP_1)
	v_cndmask_b32_e64 v40, 0x7f800000, v39, s0
	v_add_f32_e32 v71, v71, v40
.LBB743_519:
	s_or_b32 exec_lo, exec_lo, s2
.LBB743_520:
	s_delay_alu instid0(SALU_CYCLE_1)
	s_or_b32 exec_lo, exec_lo, s1
	v_dual_mov_b32 v38, 0 :: v_dual_mov_b32 v39, 0
	s_and_saveexec_b32 s1, s98
	s_cbranch_execz .LBB743_524
; %bb.521:
	global_load_u8 v39, v[2:3], off offset:1088
	s_waitcnt vmcnt(0)
	v_and_b32_e32 v39, 1, v39
	s_delay_alu instid0(VALU_DEP_1) | instskip(SKIP_1) | instid1(VALU_DEP_2)
	v_cmp_eq_u32_e64 s0, 1, v39
	v_mov_b32_e32 v39, 0
	s_xor_b32 s0, s0, -1
	s_delay_alu instid0(SALU_CYCLE_1)
	s_and_saveexec_b32 s2, s0
	s_cbranch_execz .LBB743_523
; %bb.522:
	v_sub_f32_e32 v37, v37, v77
	s_delay_alu instid0(VALU_DEP_1) | instskip(SKIP_1) | instid1(VALU_DEP_2)
	v_mul_f32_e32 v39, 0x3fb8aa3b, v37
	v_cmp_ngt_f32_e64 s0, 0xc2ce8ed0, v37
	v_fma_f32 v78, 0x3fb8aa3b, v37, -v39
	v_rndne_f32_e32 v79, v39
	s_delay_alu instid0(VALU_DEP_1) | instskip(NEXT) | instid1(VALU_DEP_1)
	v_dual_fmamk_f32 v78, v37, 0x32a5705f, v78 :: v_dual_sub_f32 v39, v39, v79
	v_add_f32_e32 v39, v39, v78
	v_cvt_i32_f32_e32 v78, v79
	s_delay_alu instid0(VALU_DEP_2) | instskip(SKIP_2) | instid1(VALU_DEP_1)
	v_exp_f32_e32 v39, v39
	s_waitcnt_depctr 0xfff
	v_ldexp_f32 v39, v39, v78
	v_cndmask_b32_e64 v39, 0, v39, s0
	v_cmp_nlt_f32_e64 s0, 0x42b17218, v37
	s_delay_alu instid0(VALU_DEP_1) | instskip(NEXT) | instid1(VALU_DEP_1)
	v_cndmask_b32_e64 v39, 0x7f800000, v39, s0
	v_add_f32_e32 v71, v71, v39
.LBB743_523:
	s_or_b32 exec_lo, exec_lo, s2
.LBB743_524:
	s_delay_alu instid0(SALU_CYCLE_1)
	s_or_b32 exec_lo, exec_lo, s1
	s_and_saveexec_b32 s1, s97
	s_cbranch_execz .LBB743_528
; %bb.525:
	global_load_u8 v37, v[2:3], off offset:1120
	s_waitcnt vmcnt(0)
	v_dual_mov_b32 v38, 0 :: v_dual_and_b32 v37, 1, v37
	s_delay_alu instid0(VALU_DEP_1) | instskip(NEXT) | instid1(VALU_DEP_1)
	v_cmp_eq_u32_e64 s0, 1, v37
	s_xor_b32 s0, s0, -1
	s_delay_alu instid0(SALU_CYCLE_1)
	s_and_saveexec_b32 s2, s0
	s_cbranch_execz .LBB743_527
; %bb.526:
	v_sub_f32_e32 v36, v36, v77
	s_delay_alu instid0(VALU_DEP_1) | instskip(NEXT) | instid1(VALU_DEP_1)
	v_mul_f32_e32 v37, 0x3fb8aa3b, v36
	v_fma_f32 v38, 0x3fb8aa3b, v36, -v37
	v_rndne_f32_e32 v78, v37
	s_delay_alu instid0(VALU_DEP_1) | instskip(SKIP_1) | instid1(VALU_DEP_2)
	v_dual_sub_f32 v37, v37, v78 :: v_dual_fmamk_f32 v38, v36, 0x32a5705f, v38
	v_cmp_ngt_f32_e64 s0, 0xc2ce8ed0, v36
	v_add_f32_e32 v37, v37, v38
	v_cvt_i32_f32_e32 v38, v78
	s_delay_alu instid0(VALU_DEP_2) | instskip(SKIP_2) | instid1(VALU_DEP_1)
	v_exp_f32_e32 v37, v37
	s_waitcnt_depctr 0xfff
	v_ldexp_f32 v37, v37, v38
	v_cndmask_b32_e64 v37, 0, v37, s0
	v_cmp_nlt_f32_e64 s0, 0x42b17218, v36
	s_delay_alu instid0(VALU_DEP_1) | instskip(NEXT) | instid1(VALU_DEP_1)
	v_cndmask_b32_e64 v38, 0x7f800000, v37, s0
	v_add_f32_e32 v71, v71, v38
.LBB743_527:
	s_or_b32 exec_lo, exec_lo, s2
.LBB743_528:
	s_delay_alu instid0(SALU_CYCLE_1)
	s_or_b32 exec_lo, exec_lo, s1
	v_dual_mov_b32 v36, 0 :: v_dual_mov_b32 v37, 0
	s_and_saveexec_b32 s1, s96
	s_cbranch_execz .LBB743_532
; %bb.529:
	global_load_u8 v37, v[2:3], off offset:1152
	s_waitcnt vmcnt(0)
	v_and_b32_e32 v37, 1, v37
	s_delay_alu instid0(VALU_DEP_1) | instskip(SKIP_1) | instid1(VALU_DEP_2)
	v_cmp_eq_u32_e64 s0, 1, v37
	v_mov_b32_e32 v37, 0
	s_xor_b32 s0, s0, -1
	s_delay_alu instid0(SALU_CYCLE_1)
	s_and_saveexec_b32 s2, s0
	s_cbranch_execz .LBB743_531
; %bb.530:
	v_sub_f32_e32 v35, v35, v77
	s_delay_alu instid0(VALU_DEP_1) | instskip(SKIP_1) | instid1(VALU_DEP_2)
	v_mul_f32_e32 v37, 0x3fb8aa3b, v35
	v_cmp_ngt_f32_e64 s0, 0xc2ce8ed0, v35
	v_fma_f32 v78, 0x3fb8aa3b, v35, -v37
	v_rndne_f32_e32 v79, v37
	s_delay_alu instid0(VALU_DEP_1) | instskip(NEXT) | instid1(VALU_DEP_1)
	v_dual_fmamk_f32 v78, v35, 0x32a5705f, v78 :: v_dual_sub_f32 v37, v37, v79
	v_add_f32_e32 v37, v37, v78
	v_cvt_i32_f32_e32 v78, v79
	s_delay_alu instid0(VALU_DEP_2) | instskip(SKIP_2) | instid1(VALU_DEP_1)
	v_exp_f32_e32 v37, v37
	s_waitcnt_depctr 0xfff
	v_ldexp_f32 v37, v37, v78
	v_cndmask_b32_e64 v37, 0, v37, s0
	v_cmp_nlt_f32_e64 s0, 0x42b17218, v35
	s_delay_alu instid0(VALU_DEP_1) | instskip(NEXT) | instid1(VALU_DEP_1)
	v_cndmask_b32_e64 v37, 0x7f800000, v37, s0
	v_add_f32_e32 v71, v71, v37
.LBB743_531:
	s_or_b32 exec_lo, exec_lo, s2
.LBB743_532:
	s_delay_alu instid0(SALU_CYCLE_1)
	s_or_b32 exec_lo, exec_lo, s1
	s_and_saveexec_b32 s1, s95
	s_cbranch_execz .LBB743_536
; %bb.533:
	global_load_u8 v35, v[2:3], off offset:1184
	s_waitcnt vmcnt(0)
	v_dual_mov_b32 v36, 0 :: v_dual_and_b32 v35, 1, v35
	s_delay_alu instid0(VALU_DEP_1) | instskip(NEXT) | instid1(VALU_DEP_1)
	v_cmp_eq_u32_e64 s0, 1, v35
	s_xor_b32 s0, s0, -1
	s_delay_alu instid0(SALU_CYCLE_1)
	s_and_saveexec_b32 s2, s0
	s_cbranch_execz .LBB743_535
; %bb.534:
	v_sub_f32_e32 v34, v34, v77
	s_delay_alu instid0(VALU_DEP_1) | instskip(NEXT) | instid1(VALU_DEP_1)
	v_mul_f32_e32 v35, 0x3fb8aa3b, v34
	v_fma_f32 v36, 0x3fb8aa3b, v34, -v35
	v_rndne_f32_e32 v78, v35
	s_delay_alu instid0(VALU_DEP_1) | instskip(SKIP_1) | instid1(VALU_DEP_2)
	v_dual_sub_f32 v35, v35, v78 :: v_dual_fmamk_f32 v36, v34, 0x32a5705f, v36
	v_cmp_ngt_f32_e64 s0, 0xc2ce8ed0, v34
	v_add_f32_e32 v35, v35, v36
	v_cvt_i32_f32_e32 v36, v78
	s_delay_alu instid0(VALU_DEP_2) | instskip(SKIP_2) | instid1(VALU_DEP_1)
	v_exp_f32_e32 v35, v35
	s_waitcnt_depctr 0xfff
	v_ldexp_f32 v35, v35, v36
	v_cndmask_b32_e64 v35, 0, v35, s0
	v_cmp_nlt_f32_e64 s0, 0x42b17218, v34
	s_delay_alu instid0(VALU_DEP_1) | instskip(NEXT) | instid1(VALU_DEP_1)
	v_cndmask_b32_e64 v36, 0x7f800000, v35, s0
	v_add_f32_e32 v71, v71, v36
.LBB743_535:
	s_or_b32 exec_lo, exec_lo, s2
.LBB743_536:
	s_delay_alu instid0(SALU_CYCLE_1)
	s_or_b32 exec_lo, exec_lo, s1
	v_dual_mov_b32 v34, 0 :: v_dual_mov_b32 v35, 0
	s_and_saveexec_b32 s1, s94
	s_cbranch_execz .LBB743_540
; %bb.537:
	global_load_u8 v35, v[2:3], off offset:1216
	s_waitcnt vmcnt(0)
	v_and_b32_e32 v35, 1, v35
	s_delay_alu instid0(VALU_DEP_1) | instskip(SKIP_1) | instid1(VALU_DEP_2)
	v_cmp_eq_u32_e64 s0, 1, v35
	v_mov_b32_e32 v35, 0
	s_xor_b32 s0, s0, -1
	s_delay_alu instid0(SALU_CYCLE_1)
	s_and_saveexec_b32 s2, s0
	s_cbranch_execz .LBB743_539
; %bb.538:
	v_sub_f32_e32 v33, v33, v77
	s_delay_alu instid0(VALU_DEP_1) | instskip(SKIP_1) | instid1(VALU_DEP_2)
	v_mul_f32_e32 v35, 0x3fb8aa3b, v33
	v_cmp_ngt_f32_e64 s0, 0xc2ce8ed0, v33
	v_fma_f32 v78, 0x3fb8aa3b, v33, -v35
	v_rndne_f32_e32 v79, v35
	s_delay_alu instid0(VALU_DEP_1) | instskip(NEXT) | instid1(VALU_DEP_1)
	v_dual_fmamk_f32 v78, v33, 0x32a5705f, v78 :: v_dual_sub_f32 v35, v35, v79
	v_add_f32_e32 v35, v35, v78
	v_cvt_i32_f32_e32 v78, v79
	s_delay_alu instid0(VALU_DEP_2) | instskip(SKIP_2) | instid1(VALU_DEP_1)
	v_exp_f32_e32 v35, v35
	s_waitcnt_depctr 0xfff
	v_ldexp_f32 v35, v35, v78
	v_cndmask_b32_e64 v35, 0, v35, s0
	v_cmp_nlt_f32_e64 s0, 0x42b17218, v33
	s_delay_alu instid0(VALU_DEP_1) | instskip(NEXT) | instid1(VALU_DEP_1)
	v_cndmask_b32_e64 v35, 0x7f800000, v35, s0
	v_add_f32_e32 v71, v71, v35
.LBB743_539:
	s_or_b32 exec_lo, exec_lo, s2
.LBB743_540:
	s_delay_alu instid0(SALU_CYCLE_1)
	s_or_b32 exec_lo, exec_lo, s1
	s_and_saveexec_b32 s1, s93
	s_cbranch_execz .LBB743_544
; %bb.541:
	global_load_u8 v33, v[2:3], off offset:1248
	s_waitcnt vmcnt(0)
	v_dual_mov_b32 v34, 0 :: v_dual_and_b32 v33, 1, v33
	s_delay_alu instid0(VALU_DEP_1) | instskip(NEXT) | instid1(VALU_DEP_1)
	v_cmp_eq_u32_e64 s0, 1, v33
	s_xor_b32 s0, s0, -1
	s_delay_alu instid0(SALU_CYCLE_1)
	s_and_saveexec_b32 s2, s0
	s_cbranch_execz .LBB743_543
; %bb.542:
	v_sub_f32_e32 v32, v32, v77
	s_delay_alu instid0(VALU_DEP_1) | instskip(NEXT) | instid1(VALU_DEP_1)
	v_mul_f32_e32 v33, 0x3fb8aa3b, v32
	v_fma_f32 v34, 0x3fb8aa3b, v32, -v33
	v_rndne_f32_e32 v78, v33
	s_delay_alu instid0(VALU_DEP_1) | instskip(SKIP_1) | instid1(VALU_DEP_2)
	v_dual_sub_f32 v33, v33, v78 :: v_dual_fmamk_f32 v34, v32, 0x32a5705f, v34
	v_cmp_ngt_f32_e64 s0, 0xc2ce8ed0, v32
	v_add_f32_e32 v33, v33, v34
	v_cvt_i32_f32_e32 v34, v78
	s_delay_alu instid0(VALU_DEP_2) | instskip(SKIP_2) | instid1(VALU_DEP_1)
	v_exp_f32_e32 v33, v33
	s_waitcnt_depctr 0xfff
	v_ldexp_f32 v33, v33, v34
	v_cndmask_b32_e64 v33, 0, v33, s0
	v_cmp_nlt_f32_e64 s0, 0x42b17218, v32
	s_delay_alu instid0(VALU_DEP_1) | instskip(NEXT) | instid1(VALU_DEP_1)
	v_cndmask_b32_e64 v34, 0x7f800000, v33, s0
	v_add_f32_e32 v71, v71, v34
.LBB743_543:
	s_or_b32 exec_lo, exec_lo, s2
.LBB743_544:
	s_delay_alu instid0(SALU_CYCLE_1)
	s_or_b32 exec_lo, exec_lo, s1
	v_dual_mov_b32 v32, 0 :: v_dual_mov_b32 v33, 0
	s_and_saveexec_b32 s1, s92
	s_cbranch_execz .LBB743_548
; %bb.545:
	global_load_u8 v33, v[2:3], off offset:1280
	s_waitcnt vmcnt(0)
	v_and_b32_e32 v33, 1, v33
	s_delay_alu instid0(VALU_DEP_1) | instskip(SKIP_1) | instid1(VALU_DEP_2)
	v_cmp_eq_u32_e64 s0, 1, v33
	v_mov_b32_e32 v33, 0
	s_xor_b32 s0, s0, -1
	s_delay_alu instid0(SALU_CYCLE_1)
	s_and_saveexec_b32 s2, s0
	s_cbranch_execz .LBB743_547
; %bb.546:
	v_sub_f32_e32 v31, v31, v77
	s_delay_alu instid0(VALU_DEP_1) | instskip(SKIP_1) | instid1(VALU_DEP_2)
	v_mul_f32_e32 v33, 0x3fb8aa3b, v31
	v_cmp_ngt_f32_e64 s0, 0xc2ce8ed0, v31
	v_fma_f32 v78, 0x3fb8aa3b, v31, -v33
	v_rndne_f32_e32 v79, v33
	s_delay_alu instid0(VALU_DEP_1) | instskip(NEXT) | instid1(VALU_DEP_1)
	v_dual_fmamk_f32 v78, v31, 0x32a5705f, v78 :: v_dual_sub_f32 v33, v33, v79
	v_add_f32_e32 v33, v33, v78
	v_cvt_i32_f32_e32 v78, v79
	s_delay_alu instid0(VALU_DEP_2) | instskip(SKIP_2) | instid1(VALU_DEP_1)
	v_exp_f32_e32 v33, v33
	s_waitcnt_depctr 0xfff
	v_ldexp_f32 v33, v33, v78
	v_cndmask_b32_e64 v33, 0, v33, s0
	v_cmp_nlt_f32_e64 s0, 0x42b17218, v31
	s_delay_alu instid0(VALU_DEP_1) | instskip(NEXT) | instid1(VALU_DEP_1)
	v_cndmask_b32_e64 v33, 0x7f800000, v33, s0
	v_add_f32_e32 v71, v71, v33
.LBB743_547:
	s_or_b32 exec_lo, exec_lo, s2
.LBB743_548:
	s_delay_alu instid0(SALU_CYCLE_1)
	s_or_b32 exec_lo, exec_lo, s1
	s_and_saveexec_b32 s1, s91
	s_cbranch_execz .LBB743_552
; %bb.549:
	global_load_u8 v31, v[2:3], off offset:1312
	s_waitcnt vmcnt(0)
	v_dual_mov_b32 v32, 0 :: v_dual_and_b32 v31, 1, v31
	s_delay_alu instid0(VALU_DEP_1) | instskip(NEXT) | instid1(VALU_DEP_1)
	v_cmp_eq_u32_e64 s0, 1, v31
	s_xor_b32 s0, s0, -1
	s_delay_alu instid0(SALU_CYCLE_1)
	s_and_saveexec_b32 s2, s0
	s_cbranch_execz .LBB743_551
; %bb.550:
	v_sub_f32_e32 v30, v30, v77
	s_delay_alu instid0(VALU_DEP_1) | instskip(NEXT) | instid1(VALU_DEP_1)
	v_mul_f32_e32 v31, 0x3fb8aa3b, v30
	v_fma_f32 v32, 0x3fb8aa3b, v30, -v31
	v_rndne_f32_e32 v78, v31
	s_delay_alu instid0(VALU_DEP_1) | instskip(SKIP_1) | instid1(VALU_DEP_2)
	v_dual_sub_f32 v31, v31, v78 :: v_dual_fmamk_f32 v32, v30, 0x32a5705f, v32
	v_cmp_ngt_f32_e64 s0, 0xc2ce8ed0, v30
	v_add_f32_e32 v31, v31, v32
	v_cvt_i32_f32_e32 v32, v78
	s_delay_alu instid0(VALU_DEP_2) | instskip(SKIP_2) | instid1(VALU_DEP_1)
	v_exp_f32_e32 v31, v31
	s_waitcnt_depctr 0xfff
	v_ldexp_f32 v31, v31, v32
	v_cndmask_b32_e64 v31, 0, v31, s0
	v_cmp_nlt_f32_e64 s0, 0x42b17218, v30
	s_delay_alu instid0(VALU_DEP_1) | instskip(NEXT) | instid1(VALU_DEP_1)
	v_cndmask_b32_e64 v32, 0x7f800000, v31, s0
	v_add_f32_e32 v71, v71, v32
.LBB743_551:
	s_or_b32 exec_lo, exec_lo, s2
.LBB743_552:
	s_delay_alu instid0(SALU_CYCLE_1)
	s_or_b32 exec_lo, exec_lo, s1
	v_dual_mov_b32 v30, 0 :: v_dual_mov_b32 v31, 0
	s_and_saveexec_b32 s1, s90
	s_cbranch_execz .LBB743_556
; %bb.553:
	global_load_u8 v31, v[2:3], off offset:1344
	s_waitcnt vmcnt(0)
	v_and_b32_e32 v31, 1, v31
	s_delay_alu instid0(VALU_DEP_1) | instskip(SKIP_1) | instid1(VALU_DEP_2)
	v_cmp_eq_u32_e64 s0, 1, v31
	v_mov_b32_e32 v31, 0
	s_xor_b32 s0, s0, -1
	s_delay_alu instid0(SALU_CYCLE_1)
	s_and_saveexec_b32 s2, s0
	s_cbranch_execz .LBB743_555
; %bb.554:
	v_sub_f32_e32 v29, v29, v77
	s_delay_alu instid0(VALU_DEP_1) | instskip(SKIP_1) | instid1(VALU_DEP_2)
	v_mul_f32_e32 v31, 0x3fb8aa3b, v29
	v_cmp_ngt_f32_e64 s0, 0xc2ce8ed0, v29
	v_fma_f32 v78, 0x3fb8aa3b, v29, -v31
	v_rndne_f32_e32 v79, v31
	s_delay_alu instid0(VALU_DEP_1) | instskip(NEXT) | instid1(VALU_DEP_1)
	v_dual_fmamk_f32 v78, v29, 0x32a5705f, v78 :: v_dual_sub_f32 v31, v31, v79
	v_add_f32_e32 v31, v31, v78
	v_cvt_i32_f32_e32 v78, v79
	s_delay_alu instid0(VALU_DEP_2) | instskip(SKIP_2) | instid1(VALU_DEP_1)
	v_exp_f32_e32 v31, v31
	s_waitcnt_depctr 0xfff
	v_ldexp_f32 v31, v31, v78
	v_cndmask_b32_e64 v31, 0, v31, s0
	v_cmp_nlt_f32_e64 s0, 0x42b17218, v29
	s_delay_alu instid0(VALU_DEP_1) | instskip(NEXT) | instid1(VALU_DEP_1)
	v_cndmask_b32_e64 v31, 0x7f800000, v31, s0
	v_add_f32_e32 v71, v71, v31
.LBB743_555:
	s_or_b32 exec_lo, exec_lo, s2
.LBB743_556:
	s_delay_alu instid0(SALU_CYCLE_1)
	s_or_b32 exec_lo, exec_lo, s1
	s_and_saveexec_b32 s1, s89
	s_cbranch_execz .LBB743_560
; %bb.557:
	global_load_u8 v29, v[2:3], off offset:1376
	s_waitcnt vmcnt(0)
	v_dual_mov_b32 v30, 0 :: v_dual_and_b32 v29, 1, v29
	s_delay_alu instid0(VALU_DEP_1) | instskip(NEXT) | instid1(VALU_DEP_1)
	v_cmp_eq_u32_e64 s0, 1, v29
	s_xor_b32 s0, s0, -1
	s_delay_alu instid0(SALU_CYCLE_1)
	s_and_saveexec_b32 s2, s0
	s_cbranch_execz .LBB743_559
; %bb.558:
	v_sub_f32_e32 v28, v28, v77
	s_delay_alu instid0(VALU_DEP_1) | instskip(NEXT) | instid1(VALU_DEP_1)
	v_mul_f32_e32 v29, 0x3fb8aa3b, v28
	v_fma_f32 v30, 0x3fb8aa3b, v28, -v29
	v_rndne_f32_e32 v78, v29
	s_delay_alu instid0(VALU_DEP_1) | instskip(SKIP_1) | instid1(VALU_DEP_2)
	v_dual_sub_f32 v29, v29, v78 :: v_dual_fmamk_f32 v30, v28, 0x32a5705f, v30
	v_cmp_ngt_f32_e64 s0, 0xc2ce8ed0, v28
	v_add_f32_e32 v29, v29, v30
	v_cvt_i32_f32_e32 v30, v78
	s_delay_alu instid0(VALU_DEP_2) | instskip(SKIP_2) | instid1(VALU_DEP_1)
	v_exp_f32_e32 v29, v29
	s_waitcnt_depctr 0xfff
	v_ldexp_f32 v29, v29, v30
	v_cndmask_b32_e64 v29, 0, v29, s0
	v_cmp_nlt_f32_e64 s0, 0x42b17218, v28
	s_delay_alu instid0(VALU_DEP_1) | instskip(NEXT) | instid1(VALU_DEP_1)
	v_cndmask_b32_e64 v30, 0x7f800000, v29, s0
	v_add_f32_e32 v71, v71, v30
.LBB743_559:
	s_or_b32 exec_lo, exec_lo, s2
.LBB743_560:
	s_delay_alu instid0(SALU_CYCLE_1)
	s_or_b32 exec_lo, exec_lo, s1
	v_dual_mov_b32 v28, 0 :: v_dual_mov_b32 v29, 0
	s_and_saveexec_b32 s1, s88
	s_cbranch_execz .LBB743_564
; %bb.561:
	global_load_u8 v29, v[2:3], off offset:1408
	s_waitcnt vmcnt(0)
	v_and_b32_e32 v29, 1, v29
	s_delay_alu instid0(VALU_DEP_1) | instskip(SKIP_1) | instid1(VALU_DEP_2)
	v_cmp_eq_u32_e64 s0, 1, v29
	v_mov_b32_e32 v29, 0
	s_xor_b32 s0, s0, -1
	s_delay_alu instid0(SALU_CYCLE_1)
	s_and_saveexec_b32 s2, s0
	s_cbranch_execz .LBB743_563
; %bb.562:
	v_sub_f32_e32 v27, v27, v77
	s_delay_alu instid0(VALU_DEP_1) | instskip(SKIP_1) | instid1(VALU_DEP_2)
	v_mul_f32_e32 v29, 0x3fb8aa3b, v27
	v_cmp_ngt_f32_e64 s0, 0xc2ce8ed0, v27
	v_fma_f32 v78, 0x3fb8aa3b, v27, -v29
	v_rndne_f32_e32 v79, v29
	s_delay_alu instid0(VALU_DEP_1) | instskip(NEXT) | instid1(VALU_DEP_1)
	v_dual_fmamk_f32 v78, v27, 0x32a5705f, v78 :: v_dual_sub_f32 v29, v29, v79
	v_add_f32_e32 v29, v29, v78
	v_cvt_i32_f32_e32 v78, v79
	s_delay_alu instid0(VALU_DEP_2) | instskip(SKIP_2) | instid1(VALU_DEP_1)
	v_exp_f32_e32 v29, v29
	s_waitcnt_depctr 0xfff
	v_ldexp_f32 v29, v29, v78
	v_cndmask_b32_e64 v29, 0, v29, s0
	v_cmp_nlt_f32_e64 s0, 0x42b17218, v27
	s_delay_alu instid0(VALU_DEP_1) | instskip(NEXT) | instid1(VALU_DEP_1)
	v_cndmask_b32_e64 v29, 0x7f800000, v29, s0
	v_add_f32_e32 v71, v71, v29
.LBB743_563:
	s_or_b32 exec_lo, exec_lo, s2
.LBB743_564:
	s_delay_alu instid0(SALU_CYCLE_1)
	s_or_b32 exec_lo, exec_lo, s1
	s_and_saveexec_b32 s1, s87
	s_cbranch_execz .LBB743_568
; %bb.565:
	global_load_u8 v27, v[2:3], off offset:1440
	s_waitcnt vmcnt(0)
	v_dual_mov_b32 v28, 0 :: v_dual_and_b32 v27, 1, v27
	s_delay_alu instid0(VALU_DEP_1) | instskip(NEXT) | instid1(VALU_DEP_1)
	v_cmp_eq_u32_e64 s0, 1, v27
	s_xor_b32 s0, s0, -1
	s_delay_alu instid0(SALU_CYCLE_1)
	s_and_saveexec_b32 s2, s0
	s_cbranch_execz .LBB743_567
; %bb.566:
	v_sub_f32_e32 v26, v26, v77
	s_delay_alu instid0(VALU_DEP_1) | instskip(NEXT) | instid1(VALU_DEP_1)
	v_mul_f32_e32 v27, 0x3fb8aa3b, v26
	v_fma_f32 v28, 0x3fb8aa3b, v26, -v27
	v_rndne_f32_e32 v78, v27
	s_delay_alu instid0(VALU_DEP_1) | instskip(SKIP_1) | instid1(VALU_DEP_2)
	v_dual_sub_f32 v27, v27, v78 :: v_dual_fmamk_f32 v28, v26, 0x32a5705f, v28
	v_cmp_ngt_f32_e64 s0, 0xc2ce8ed0, v26
	v_add_f32_e32 v27, v27, v28
	v_cvt_i32_f32_e32 v28, v78
	s_delay_alu instid0(VALU_DEP_2) | instskip(SKIP_2) | instid1(VALU_DEP_1)
	v_exp_f32_e32 v27, v27
	s_waitcnt_depctr 0xfff
	v_ldexp_f32 v27, v27, v28
	v_cndmask_b32_e64 v27, 0, v27, s0
	v_cmp_nlt_f32_e64 s0, 0x42b17218, v26
	s_delay_alu instid0(VALU_DEP_1) | instskip(NEXT) | instid1(VALU_DEP_1)
	v_cndmask_b32_e64 v28, 0x7f800000, v27, s0
	v_add_f32_e32 v71, v71, v28
.LBB743_567:
	s_or_b32 exec_lo, exec_lo, s2
.LBB743_568:
	s_delay_alu instid0(SALU_CYCLE_1)
	s_or_b32 exec_lo, exec_lo, s1
	v_dual_mov_b32 v26, 0 :: v_dual_mov_b32 v27, 0
	s_and_saveexec_b32 s1, s86
	s_cbranch_execz .LBB743_572
; %bb.569:
	global_load_u8 v27, v[2:3], off offset:1472
	s_waitcnt vmcnt(0)
	v_and_b32_e32 v27, 1, v27
	s_delay_alu instid0(VALU_DEP_1) | instskip(SKIP_1) | instid1(VALU_DEP_2)
	v_cmp_eq_u32_e64 s0, 1, v27
	v_mov_b32_e32 v27, 0
	s_xor_b32 s0, s0, -1
	s_delay_alu instid0(SALU_CYCLE_1)
	s_and_saveexec_b32 s2, s0
	s_cbranch_execz .LBB743_571
; %bb.570:
	v_sub_f32_e32 v25, v25, v77
	s_delay_alu instid0(VALU_DEP_1) | instskip(SKIP_1) | instid1(VALU_DEP_2)
	v_mul_f32_e32 v27, 0x3fb8aa3b, v25
	v_cmp_ngt_f32_e64 s0, 0xc2ce8ed0, v25
	v_fma_f32 v78, 0x3fb8aa3b, v25, -v27
	v_rndne_f32_e32 v79, v27
	s_delay_alu instid0(VALU_DEP_1) | instskip(NEXT) | instid1(VALU_DEP_1)
	v_dual_fmamk_f32 v78, v25, 0x32a5705f, v78 :: v_dual_sub_f32 v27, v27, v79
	v_add_f32_e32 v27, v27, v78
	v_cvt_i32_f32_e32 v78, v79
	s_delay_alu instid0(VALU_DEP_2) | instskip(SKIP_2) | instid1(VALU_DEP_1)
	v_exp_f32_e32 v27, v27
	s_waitcnt_depctr 0xfff
	v_ldexp_f32 v27, v27, v78
	v_cndmask_b32_e64 v27, 0, v27, s0
	v_cmp_nlt_f32_e64 s0, 0x42b17218, v25
	s_delay_alu instid0(VALU_DEP_1) | instskip(NEXT) | instid1(VALU_DEP_1)
	v_cndmask_b32_e64 v27, 0x7f800000, v27, s0
	v_add_f32_e32 v71, v71, v27
.LBB743_571:
	s_or_b32 exec_lo, exec_lo, s2
.LBB743_572:
	s_delay_alu instid0(SALU_CYCLE_1)
	s_or_b32 exec_lo, exec_lo, s1
	s_and_saveexec_b32 s1, s85
	s_cbranch_execz .LBB743_576
; %bb.573:
	global_load_u8 v25, v[2:3], off offset:1504
	s_waitcnt vmcnt(0)
	v_dual_mov_b32 v26, 0 :: v_dual_and_b32 v25, 1, v25
	s_delay_alu instid0(VALU_DEP_1) | instskip(NEXT) | instid1(VALU_DEP_1)
	v_cmp_eq_u32_e64 s0, 1, v25
	s_xor_b32 s0, s0, -1
	s_delay_alu instid0(SALU_CYCLE_1)
	s_and_saveexec_b32 s2, s0
	s_cbranch_execz .LBB743_575
; %bb.574:
	v_sub_f32_e32 v24, v24, v77
	s_delay_alu instid0(VALU_DEP_1) | instskip(NEXT) | instid1(VALU_DEP_1)
	v_mul_f32_e32 v25, 0x3fb8aa3b, v24
	v_fma_f32 v26, 0x3fb8aa3b, v24, -v25
	v_rndne_f32_e32 v78, v25
	s_delay_alu instid0(VALU_DEP_1) | instskip(SKIP_1) | instid1(VALU_DEP_2)
	v_dual_sub_f32 v25, v25, v78 :: v_dual_fmamk_f32 v26, v24, 0x32a5705f, v26
	v_cmp_ngt_f32_e64 s0, 0xc2ce8ed0, v24
	v_add_f32_e32 v25, v25, v26
	v_cvt_i32_f32_e32 v26, v78
	s_delay_alu instid0(VALU_DEP_2) | instskip(SKIP_2) | instid1(VALU_DEP_1)
	v_exp_f32_e32 v25, v25
	s_waitcnt_depctr 0xfff
	v_ldexp_f32 v25, v25, v26
	v_cndmask_b32_e64 v25, 0, v25, s0
	v_cmp_nlt_f32_e64 s0, 0x42b17218, v24
	s_delay_alu instid0(VALU_DEP_1) | instskip(NEXT) | instid1(VALU_DEP_1)
	v_cndmask_b32_e64 v26, 0x7f800000, v25, s0
	v_add_f32_e32 v71, v71, v26
.LBB743_575:
	s_or_b32 exec_lo, exec_lo, s2
.LBB743_576:
	s_delay_alu instid0(SALU_CYCLE_1)
	s_or_b32 exec_lo, exec_lo, s1
	v_dual_mov_b32 v24, 0 :: v_dual_mov_b32 v25, 0
	s_and_saveexec_b32 s1, s84
	s_cbranch_execz .LBB743_580
; %bb.577:
	global_load_u8 v25, v[2:3], off offset:1536
	s_waitcnt vmcnt(0)
	v_and_b32_e32 v25, 1, v25
	s_delay_alu instid0(VALU_DEP_1) | instskip(SKIP_1) | instid1(VALU_DEP_2)
	v_cmp_eq_u32_e64 s0, 1, v25
	v_mov_b32_e32 v25, 0
	s_xor_b32 s0, s0, -1
	s_delay_alu instid0(SALU_CYCLE_1)
	s_and_saveexec_b32 s2, s0
	s_cbranch_execz .LBB743_579
; %bb.578:
	v_sub_f32_e32 v23, v23, v77
	s_delay_alu instid0(VALU_DEP_1) | instskip(SKIP_1) | instid1(VALU_DEP_2)
	v_mul_f32_e32 v25, 0x3fb8aa3b, v23
	v_cmp_ngt_f32_e64 s0, 0xc2ce8ed0, v23
	v_fma_f32 v78, 0x3fb8aa3b, v23, -v25
	v_rndne_f32_e32 v79, v25
	s_delay_alu instid0(VALU_DEP_1) | instskip(NEXT) | instid1(VALU_DEP_1)
	v_dual_fmamk_f32 v78, v23, 0x32a5705f, v78 :: v_dual_sub_f32 v25, v25, v79
	v_add_f32_e32 v25, v25, v78
	v_cvt_i32_f32_e32 v78, v79
	s_delay_alu instid0(VALU_DEP_2) | instskip(SKIP_2) | instid1(VALU_DEP_1)
	v_exp_f32_e32 v25, v25
	s_waitcnt_depctr 0xfff
	v_ldexp_f32 v25, v25, v78
	v_cndmask_b32_e64 v25, 0, v25, s0
	v_cmp_nlt_f32_e64 s0, 0x42b17218, v23
	s_delay_alu instid0(VALU_DEP_1) | instskip(NEXT) | instid1(VALU_DEP_1)
	v_cndmask_b32_e64 v25, 0x7f800000, v25, s0
	v_add_f32_e32 v71, v71, v25
.LBB743_579:
	s_or_b32 exec_lo, exec_lo, s2
.LBB743_580:
	s_delay_alu instid0(SALU_CYCLE_1)
	s_or_b32 exec_lo, exec_lo, s1
	s_and_saveexec_b32 s1, s83
	s_cbranch_execz .LBB743_584
; %bb.581:
	global_load_u8 v23, v[2:3], off offset:1568
	s_waitcnt vmcnt(0)
	v_dual_mov_b32 v24, 0 :: v_dual_and_b32 v23, 1, v23
	s_delay_alu instid0(VALU_DEP_1) | instskip(NEXT) | instid1(VALU_DEP_1)
	v_cmp_eq_u32_e64 s0, 1, v23
	s_xor_b32 s0, s0, -1
	s_delay_alu instid0(SALU_CYCLE_1)
	s_and_saveexec_b32 s2, s0
	s_cbranch_execz .LBB743_583
; %bb.582:
	v_sub_f32_e32 v22, v22, v77
	s_delay_alu instid0(VALU_DEP_1) | instskip(NEXT) | instid1(VALU_DEP_1)
	v_mul_f32_e32 v23, 0x3fb8aa3b, v22
	v_fma_f32 v24, 0x3fb8aa3b, v22, -v23
	v_rndne_f32_e32 v78, v23
	s_delay_alu instid0(VALU_DEP_1) | instskip(SKIP_1) | instid1(VALU_DEP_2)
	v_dual_sub_f32 v23, v23, v78 :: v_dual_fmamk_f32 v24, v22, 0x32a5705f, v24
	v_cmp_ngt_f32_e64 s0, 0xc2ce8ed0, v22
	v_add_f32_e32 v23, v23, v24
	v_cvt_i32_f32_e32 v24, v78
	s_delay_alu instid0(VALU_DEP_2) | instskip(SKIP_2) | instid1(VALU_DEP_1)
	v_exp_f32_e32 v23, v23
	s_waitcnt_depctr 0xfff
	v_ldexp_f32 v23, v23, v24
	v_cndmask_b32_e64 v23, 0, v23, s0
	v_cmp_nlt_f32_e64 s0, 0x42b17218, v22
	s_delay_alu instid0(VALU_DEP_1) | instskip(NEXT) | instid1(VALU_DEP_1)
	v_cndmask_b32_e64 v24, 0x7f800000, v23, s0
	v_add_f32_e32 v71, v71, v24
.LBB743_583:
	s_or_b32 exec_lo, exec_lo, s2
.LBB743_584:
	s_delay_alu instid0(SALU_CYCLE_1)
	s_or_b32 exec_lo, exec_lo, s1
	v_dual_mov_b32 v22, 0 :: v_dual_mov_b32 v23, 0
	s_and_saveexec_b32 s1, s82
	s_cbranch_execz .LBB743_588
; %bb.585:
	global_load_u8 v23, v[2:3], off offset:1600
	s_waitcnt vmcnt(0)
	v_and_b32_e32 v23, 1, v23
	s_delay_alu instid0(VALU_DEP_1) | instskip(SKIP_1) | instid1(VALU_DEP_2)
	v_cmp_eq_u32_e64 s0, 1, v23
	v_mov_b32_e32 v23, 0
	s_xor_b32 s0, s0, -1
	s_delay_alu instid0(SALU_CYCLE_1)
	s_and_saveexec_b32 s2, s0
	s_cbranch_execz .LBB743_587
; %bb.586:
	v_sub_f32_e32 v21, v21, v77
	s_delay_alu instid0(VALU_DEP_1) | instskip(SKIP_1) | instid1(VALU_DEP_2)
	v_mul_f32_e32 v23, 0x3fb8aa3b, v21
	v_cmp_ngt_f32_e64 s0, 0xc2ce8ed0, v21
	v_fma_f32 v78, 0x3fb8aa3b, v21, -v23
	v_rndne_f32_e32 v79, v23
	s_delay_alu instid0(VALU_DEP_1) | instskip(NEXT) | instid1(VALU_DEP_1)
	v_dual_fmamk_f32 v78, v21, 0x32a5705f, v78 :: v_dual_sub_f32 v23, v23, v79
	v_add_f32_e32 v23, v23, v78
	v_cvt_i32_f32_e32 v78, v79
	s_delay_alu instid0(VALU_DEP_2) | instskip(SKIP_2) | instid1(VALU_DEP_1)
	v_exp_f32_e32 v23, v23
	s_waitcnt_depctr 0xfff
	v_ldexp_f32 v23, v23, v78
	v_cndmask_b32_e64 v23, 0, v23, s0
	v_cmp_nlt_f32_e64 s0, 0x42b17218, v21
	s_delay_alu instid0(VALU_DEP_1) | instskip(NEXT) | instid1(VALU_DEP_1)
	v_cndmask_b32_e64 v23, 0x7f800000, v23, s0
	v_add_f32_e32 v71, v71, v23
.LBB743_587:
	s_or_b32 exec_lo, exec_lo, s2
.LBB743_588:
	s_delay_alu instid0(SALU_CYCLE_1)
	s_or_b32 exec_lo, exec_lo, s1
	s_and_saveexec_b32 s1, s81
	s_cbranch_execz .LBB743_592
; %bb.589:
	global_load_u8 v21, v[2:3], off offset:1632
	s_waitcnt vmcnt(0)
	v_dual_mov_b32 v22, 0 :: v_dual_and_b32 v21, 1, v21
	s_delay_alu instid0(VALU_DEP_1) | instskip(NEXT) | instid1(VALU_DEP_1)
	v_cmp_eq_u32_e64 s0, 1, v21
	s_xor_b32 s0, s0, -1
	s_delay_alu instid0(SALU_CYCLE_1)
	s_and_saveexec_b32 s2, s0
	s_cbranch_execz .LBB743_591
; %bb.590:
	v_sub_f32_e32 v20, v20, v77
	s_delay_alu instid0(VALU_DEP_1) | instskip(NEXT) | instid1(VALU_DEP_1)
	v_mul_f32_e32 v21, 0x3fb8aa3b, v20
	v_fma_f32 v22, 0x3fb8aa3b, v20, -v21
	v_rndne_f32_e32 v78, v21
	s_delay_alu instid0(VALU_DEP_1) | instskip(SKIP_1) | instid1(VALU_DEP_2)
	v_dual_sub_f32 v21, v21, v78 :: v_dual_fmamk_f32 v22, v20, 0x32a5705f, v22
	v_cmp_ngt_f32_e64 s0, 0xc2ce8ed0, v20
	v_add_f32_e32 v21, v21, v22
	v_cvt_i32_f32_e32 v22, v78
	s_delay_alu instid0(VALU_DEP_2) | instskip(SKIP_2) | instid1(VALU_DEP_1)
	v_exp_f32_e32 v21, v21
	s_waitcnt_depctr 0xfff
	v_ldexp_f32 v21, v21, v22
	v_cndmask_b32_e64 v21, 0, v21, s0
	v_cmp_nlt_f32_e64 s0, 0x42b17218, v20
	s_delay_alu instid0(VALU_DEP_1) | instskip(NEXT) | instid1(VALU_DEP_1)
	v_cndmask_b32_e64 v22, 0x7f800000, v21, s0
	v_add_f32_e32 v71, v71, v22
.LBB743_591:
	s_or_b32 exec_lo, exec_lo, s2
.LBB743_592:
	s_delay_alu instid0(SALU_CYCLE_1)
	s_or_b32 exec_lo, exec_lo, s1
	v_dual_mov_b32 v20, 0 :: v_dual_mov_b32 v21, 0
	s_and_saveexec_b32 s1, s80
	s_cbranch_execz .LBB743_596
; %bb.593:
	global_load_u8 v21, v[2:3], off offset:1664
	s_waitcnt vmcnt(0)
	v_and_b32_e32 v21, 1, v21
	s_delay_alu instid0(VALU_DEP_1) | instskip(SKIP_1) | instid1(VALU_DEP_2)
	v_cmp_eq_u32_e64 s0, 1, v21
	v_mov_b32_e32 v21, 0
	s_xor_b32 s0, s0, -1
	s_delay_alu instid0(SALU_CYCLE_1)
	s_and_saveexec_b32 s2, s0
	s_cbranch_execz .LBB743_595
; %bb.594:
	v_sub_f32_e32 v19, v19, v77
	s_delay_alu instid0(VALU_DEP_1) | instskip(SKIP_1) | instid1(VALU_DEP_2)
	v_mul_f32_e32 v21, 0x3fb8aa3b, v19
	v_cmp_ngt_f32_e64 s0, 0xc2ce8ed0, v19
	v_fma_f32 v78, 0x3fb8aa3b, v19, -v21
	v_rndne_f32_e32 v79, v21
	s_delay_alu instid0(VALU_DEP_1) | instskip(NEXT) | instid1(VALU_DEP_1)
	v_dual_fmamk_f32 v78, v19, 0x32a5705f, v78 :: v_dual_sub_f32 v21, v21, v79
	v_add_f32_e32 v21, v21, v78
	v_cvt_i32_f32_e32 v78, v79
	s_delay_alu instid0(VALU_DEP_2) | instskip(SKIP_2) | instid1(VALU_DEP_1)
	v_exp_f32_e32 v21, v21
	s_waitcnt_depctr 0xfff
	v_ldexp_f32 v21, v21, v78
	v_cndmask_b32_e64 v21, 0, v21, s0
	v_cmp_nlt_f32_e64 s0, 0x42b17218, v19
	s_delay_alu instid0(VALU_DEP_1) | instskip(NEXT) | instid1(VALU_DEP_1)
	v_cndmask_b32_e64 v21, 0x7f800000, v21, s0
	v_add_f32_e32 v71, v71, v21
.LBB743_595:
	s_or_b32 exec_lo, exec_lo, s2
.LBB743_596:
	s_delay_alu instid0(SALU_CYCLE_1)
	s_or_b32 exec_lo, exec_lo, s1
	s_and_saveexec_b32 s1, s79
	s_cbranch_execz .LBB743_600
; %bb.597:
	global_load_u8 v19, v[2:3], off offset:1696
	s_waitcnt vmcnt(0)
	v_dual_mov_b32 v20, 0 :: v_dual_and_b32 v19, 1, v19
	s_delay_alu instid0(VALU_DEP_1) | instskip(NEXT) | instid1(VALU_DEP_1)
	v_cmp_eq_u32_e64 s0, 1, v19
	s_xor_b32 s0, s0, -1
	s_delay_alu instid0(SALU_CYCLE_1)
	s_and_saveexec_b32 s2, s0
	s_cbranch_execz .LBB743_599
; %bb.598:
	v_sub_f32_e32 v18, v18, v77
	s_delay_alu instid0(VALU_DEP_1) | instskip(NEXT) | instid1(VALU_DEP_1)
	v_mul_f32_e32 v19, 0x3fb8aa3b, v18
	v_fma_f32 v20, 0x3fb8aa3b, v18, -v19
	v_rndne_f32_e32 v78, v19
	s_delay_alu instid0(VALU_DEP_1) | instskip(SKIP_1) | instid1(VALU_DEP_2)
	v_dual_sub_f32 v19, v19, v78 :: v_dual_fmamk_f32 v20, v18, 0x32a5705f, v20
	v_cmp_ngt_f32_e64 s0, 0xc2ce8ed0, v18
	v_add_f32_e32 v19, v19, v20
	v_cvt_i32_f32_e32 v20, v78
	s_delay_alu instid0(VALU_DEP_2) | instskip(SKIP_2) | instid1(VALU_DEP_1)
	v_exp_f32_e32 v19, v19
	s_waitcnt_depctr 0xfff
	v_ldexp_f32 v19, v19, v20
	v_cndmask_b32_e64 v19, 0, v19, s0
	v_cmp_nlt_f32_e64 s0, 0x42b17218, v18
	s_delay_alu instid0(VALU_DEP_1) | instskip(NEXT) | instid1(VALU_DEP_1)
	v_cndmask_b32_e64 v20, 0x7f800000, v19, s0
	v_add_f32_e32 v71, v71, v20
.LBB743_599:
	s_or_b32 exec_lo, exec_lo, s2
.LBB743_600:
	s_delay_alu instid0(SALU_CYCLE_1)
	s_or_b32 exec_lo, exec_lo, s1
	v_dual_mov_b32 v18, 0 :: v_dual_mov_b32 v19, 0
	s_and_saveexec_b32 s1, s78
	s_cbranch_execz .LBB743_604
; %bb.601:
	global_load_u8 v19, v[2:3], off offset:1728
	s_waitcnt vmcnt(0)
	v_and_b32_e32 v19, 1, v19
	s_delay_alu instid0(VALU_DEP_1) | instskip(SKIP_1) | instid1(VALU_DEP_2)
	v_cmp_eq_u32_e64 s0, 1, v19
	v_mov_b32_e32 v19, 0
	s_xor_b32 s0, s0, -1
	s_delay_alu instid0(SALU_CYCLE_1)
	s_and_saveexec_b32 s2, s0
	s_cbranch_execz .LBB743_603
; %bb.602:
	v_sub_f32_e32 v17, v17, v77
	s_delay_alu instid0(VALU_DEP_1) | instskip(SKIP_1) | instid1(VALU_DEP_2)
	v_mul_f32_e32 v19, 0x3fb8aa3b, v17
	v_cmp_ngt_f32_e64 s0, 0xc2ce8ed0, v17
	v_fma_f32 v78, 0x3fb8aa3b, v17, -v19
	v_rndne_f32_e32 v79, v19
	s_delay_alu instid0(VALU_DEP_1) | instskip(NEXT) | instid1(VALU_DEP_1)
	v_dual_fmamk_f32 v78, v17, 0x32a5705f, v78 :: v_dual_sub_f32 v19, v19, v79
	v_add_f32_e32 v19, v19, v78
	v_cvt_i32_f32_e32 v78, v79
	s_delay_alu instid0(VALU_DEP_2) | instskip(SKIP_2) | instid1(VALU_DEP_1)
	v_exp_f32_e32 v19, v19
	s_waitcnt_depctr 0xfff
	v_ldexp_f32 v19, v19, v78
	v_cndmask_b32_e64 v19, 0, v19, s0
	v_cmp_nlt_f32_e64 s0, 0x42b17218, v17
	s_delay_alu instid0(VALU_DEP_1) | instskip(NEXT) | instid1(VALU_DEP_1)
	v_cndmask_b32_e64 v19, 0x7f800000, v19, s0
	v_add_f32_e32 v71, v71, v19
.LBB743_603:
	s_or_b32 exec_lo, exec_lo, s2
.LBB743_604:
	s_delay_alu instid0(SALU_CYCLE_1)
	s_or_b32 exec_lo, exec_lo, s1
	s_and_saveexec_b32 s1, s77
	s_cbranch_execz .LBB743_608
; %bb.605:
	global_load_u8 v17, v[2:3], off offset:1760
	s_waitcnt vmcnt(0)
	v_dual_mov_b32 v18, 0 :: v_dual_and_b32 v17, 1, v17
	s_delay_alu instid0(VALU_DEP_1) | instskip(NEXT) | instid1(VALU_DEP_1)
	v_cmp_eq_u32_e64 s0, 1, v17
	s_xor_b32 s0, s0, -1
	s_delay_alu instid0(SALU_CYCLE_1)
	s_and_saveexec_b32 s2, s0
	s_cbranch_execz .LBB743_607
; %bb.606:
	v_sub_f32_e32 v16, v16, v77
	s_delay_alu instid0(VALU_DEP_1) | instskip(NEXT) | instid1(VALU_DEP_1)
	v_mul_f32_e32 v17, 0x3fb8aa3b, v16
	v_fma_f32 v18, 0x3fb8aa3b, v16, -v17
	v_rndne_f32_e32 v78, v17
	s_delay_alu instid0(VALU_DEP_1) | instskip(SKIP_1) | instid1(VALU_DEP_2)
	v_dual_sub_f32 v17, v17, v78 :: v_dual_fmamk_f32 v18, v16, 0x32a5705f, v18
	v_cmp_ngt_f32_e64 s0, 0xc2ce8ed0, v16
	v_add_f32_e32 v17, v17, v18
	v_cvt_i32_f32_e32 v18, v78
	s_delay_alu instid0(VALU_DEP_2) | instskip(SKIP_2) | instid1(VALU_DEP_1)
	v_exp_f32_e32 v17, v17
	s_waitcnt_depctr 0xfff
	v_ldexp_f32 v17, v17, v18
	v_cndmask_b32_e64 v17, 0, v17, s0
	v_cmp_nlt_f32_e64 s0, 0x42b17218, v16
	s_delay_alu instid0(VALU_DEP_1) | instskip(NEXT) | instid1(VALU_DEP_1)
	v_cndmask_b32_e64 v18, 0x7f800000, v17, s0
	v_add_f32_e32 v71, v71, v18
.LBB743_607:
	s_or_b32 exec_lo, exec_lo, s2
.LBB743_608:
	s_delay_alu instid0(SALU_CYCLE_1)
	s_or_b32 exec_lo, exec_lo, s1
	v_dual_mov_b32 v16, 0 :: v_dual_mov_b32 v17, 0
	s_and_saveexec_b32 s1, s76
	s_cbranch_execz .LBB743_612
; %bb.609:
	global_load_u8 v17, v[2:3], off offset:1792
	s_waitcnt vmcnt(0)
	v_and_b32_e32 v17, 1, v17
	s_delay_alu instid0(VALU_DEP_1) | instskip(SKIP_1) | instid1(VALU_DEP_2)
	v_cmp_eq_u32_e64 s0, 1, v17
	v_mov_b32_e32 v17, 0
	s_xor_b32 s0, s0, -1
	s_delay_alu instid0(SALU_CYCLE_1)
	s_and_saveexec_b32 s2, s0
	s_cbranch_execz .LBB743_611
; %bb.610:
	v_sub_f32_e32 v15, v15, v77
	s_delay_alu instid0(VALU_DEP_1) | instskip(SKIP_1) | instid1(VALU_DEP_2)
	v_mul_f32_e32 v17, 0x3fb8aa3b, v15
	v_cmp_ngt_f32_e64 s0, 0xc2ce8ed0, v15
	v_fma_f32 v78, 0x3fb8aa3b, v15, -v17
	v_rndne_f32_e32 v79, v17
	s_delay_alu instid0(VALU_DEP_1) | instskip(NEXT) | instid1(VALU_DEP_1)
	v_dual_fmamk_f32 v78, v15, 0x32a5705f, v78 :: v_dual_sub_f32 v17, v17, v79
	v_add_f32_e32 v17, v17, v78
	v_cvt_i32_f32_e32 v78, v79
	s_delay_alu instid0(VALU_DEP_2) | instskip(SKIP_2) | instid1(VALU_DEP_1)
	v_exp_f32_e32 v17, v17
	s_waitcnt_depctr 0xfff
	v_ldexp_f32 v17, v17, v78
	v_cndmask_b32_e64 v17, 0, v17, s0
	v_cmp_nlt_f32_e64 s0, 0x42b17218, v15
	s_delay_alu instid0(VALU_DEP_1) | instskip(NEXT) | instid1(VALU_DEP_1)
	v_cndmask_b32_e64 v17, 0x7f800000, v17, s0
	v_add_f32_e32 v71, v71, v17
.LBB743_611:
	s_or_b32 exec_lo, exec_lo, s2
.LBB743_612:
	s_delay_alu instid0(SALU_CYCLE_1)
	s_or_b32 exec_lo, exec_lo, s1
	s_and_saveexec_b32 s1, s75
	s_cbranch_execz .LBB743_616
; %bb.613:
	global_load_u8 v15, v[2:3], off offset:1824
	s_waitcnt vmcnt(0)
	v_dual_mov_b32 v16, 0 :: v_dual_and_b32 v15, 1, v15
	s_delay_alu instid0(VALU_DEP_1) | instskip(NEXT) | instid1(VALU_DEP_1)
	v_cmp_eq_u32_e64 s0, 1, v15
	s_xor_b32 s0, s0, -1
	s_delay_alu instid0(SALU_CYCLE_1)
	s_and_saveexec_b32 s2, s0
	s_cbranch_execz .LBB743_615
; %bb.614:
	v_sub_f32_e32 v14, v14, v77
	s_delay_alu instid0(VALU_DEP_1) | instskip(NEXT) | instid1(VALU_DEP_1)
	v_mul_f32_e32 v15, 0x3fb8aa3b, v14
	v_fma_f32 v16, 0x3fb8aa3b, v14, -v15
	v_rndne_f32_e32 v78, v15
	s_delay_alu instid0(VALU_DEP_1) | instskip(SKIP_1) | instid1(VALU_DEP_2)
	v_dual_sub_f32 v15, v15, v78 :: v_dual_fmamk_f32 v16, v14, 0x32a5705f, v16
	v_cmp_ngt_f32_e64 s0, 0xc2ce8ed0, v14
	v_add_f32_e32 v15, v15, v16
	v_cvt_i32_f32_e32 v16, v78
	s_delay_alu instid0(VALU_DEP_2) | instskip(SKIP_2) | instid1(VALU_DEP_1)
	v_exp_f32_e32 v15, v15
	s_waitcnt_depctr 0xfff
	v_ldexp_f32 v15, v15, v16
	v_cndmask_b32_e64 v15, 0, v15, s0
	v_cmp_nlt_f32_e64 s0, 0x42b17218, v14
	s_delay_alu instid0(VALU_DEP_1) | instskip(NEXT) | instid1(VALU_DEP_1)
	v_cndmask_b32_e64 v16, 0x7f800000, v15, s0
	v_add_f32_e32 v71, v71, v16
.LBB743_615:
	s_or_b32 exec_lo, exec_lo, s2
.LBB743_616:
	s_delay_alu instid0(SALU_CYCLE_1)
	s_or_b32 exec_lo, exec_lo, s1
	v_dual_mov_b32 v14, 0 :: v_dual_mov_b32 v15, 0
	s_and_saveexec_b32 s1, s73
	s_cbranch_execz .LBB743_620
; %bb.617:
	global_load_u8 v15, v[2:3], off offset:1856
	s_waitcnt vmcnt(0)
	v_and_b32_e32 v15, 1, v15
	s_delay_alu instid0(VALU_DEP_1) | instskip(SKIP_1) | instid1(VALU_DEP_2)
	v_cmp_eq_u32_e64 s0, 1, v15
	v_mov_b32_e32 v15, 0
	s_xor_b32 s0, s0, -1
	s_delay_alu instid0(SALU_CYCLE_1)
	s_and_saveexec_b32 s2, s0
	s_cbranch_execz .LBB743_619
; %bb.618:
	v_sub_f32_e32 v13, v13, v77
	s_delay_alu instid0(VALU_DEP_1) | instskip(SKIP_1) | instid1(VALU_DEP_2)
	v_mul_f32_e32 v15, 0x3fb8aa3b, v13
	v_cmp_ngt_f32_e64 s0, 0xc2ce8ed0, v13
	v_fma_f32 v78, 0x3fb8aa3b, v13, -v15
	v_rndne_f32_e32 v79, v15
	s_delay_alu instid0(VALU_DEP_1) | instskip(NEXT) | instid1(VALU_DEP_1)
	v_dual_fmamk_f32 v78, v13, 0x32a5705f, v78 :: v_dual_sub_f32 v15, v15, v79
	v_add_f32_e32 v15, v15, v78
	v_cvt_i32_f32_e32 v78, v79
	s_delay_alu instid0(VALU_DEP_2) | instskip(SKIP_2) | instid1(VALU_DEP_1)
	v_exp_f32_e32 v15, v15
	s_waitcnt_depctr 0xfff
	v_ldexp_f32 v15, v15, v78
	v_cndmask_b32_e64 v15, 0, v15, s0
	v_cmp_nlt_f32_e64 s0, 0x42b17218, v13
	s_delay_alu instid0(VALU_DEP_1) | instskip(NEXT) | instid1(VALU_DEP_1)
	v_cndmask_b32_e64 v15, 0x7f800000, v15, s0
	v_add_f32_e32 v71, v71, v15
.LBB743_619:
	s_or_b32 exec_lo, exec_lo, s2
.LBB743_620:
	s_delay_alu instid0(SALU_CYCLE_1)
	s_or_b32 exec_lo, exec_lo, s1
	s_and_saveexec_b32 s1, s72
	s_cbranch_execz .LBB743_624
; %bb.621:
	global_load_u8 v13, v[2:3], off offset:1888
	s_waitcnt vmcnt(0)
	v_dual_mov_b32 v14, 0 :: v_dual_and_b32 v13, 1, v13
	s_delay_alu instid0(VALU_DEP_1) | instskip(NEXT) | instid1(VALU_DEP_1)
	v_cmp_eq_u32_e64 s0, 1, v13
	s_xor_b32 s0, s0, -1
	s_delay_alu instid0(SALU_CYCLE_1)
	s_and_saveexec_b32 s2, s0
	s_cbranch_execz .LBB743_623
; %bb.622:
	v_sub_f32_e32 v12, v12, v77
	s_delay_alu instid0(VALU_DEP_1) | instskip(NEXT) | instid1(VALU_DEP_1)
	v_mul_f32_e32 v13, 0x3fb8aa3b, v12
	v_fma_f32 v14, 0x3fb8aa3b, v12, -v13
	v_rndne_f32_e32 v78, v13
	s_delay_alu instid0(VALU_DEP_1) | instskip(SKIP_1) | instid1(VALU_DEP_2)
	v_dual_sub_f32 v13, v13, v78 :: v_dual_fmamk_f32 v14, v12, 0x32a5705f, v14
	v_cmp_ngt_f32_e64 s0, 0xc2ce8ed0, v12
	v_add_f32_e32 v13, v13, v14
	v_cvt_i32_f32_e32 v14, v78
	s_delay_alu instid0(VALU_DEP_2) | instskip(SKIP_2) | instid1(VALU_DEP_1)
	v_exp_f32_e32 v13, v13
	s_waitcnt_depctr 0xfff
	v_ldexp_f32 v13, v13, v14
	v_cndmask_b32_e64 v13, 0, v13, s0
	v_cmp_nlt_f32_e64 s0, 0x42b17218, v12
	s_delay_alu instid0(VALU_DEP_1) | instskip(NEXT) | instid1(VALU_DEP_1)
	v_cndmask_b32_e64 v14, 0x7f800000, v13, s0
	v_add_f32_e32 v71, v71, v14
.LBB743_623:
	s_or_b32 exec_lo, exec_lo, s2
.LBB743_624:
	s_delay_alu instid0(SALU_CYCLE_1)
	s_or_b32 exec_lo, exec_lo, s1
	v_dual_mov_b32 v12, 0 :: v_dual_mov_b32 v13, 0
	s_and_saveexec_b32 s1, s71
	s_cbranch_execz .LBB743_628
; %bb.625:
	global_load_u8 v13, v[2:3], off offset:1920
	s_waitcnt vmcnt(0)
	v_and_b32_e32 v13, 1, v13
	s_delay_alu instid0(VALU_DEP_1) | instskip(SKIP_1) | instid1(VALU_DEP_2)
	v_cmp_eq_u32_e64 s0, 1, v13
	v_mov_b32_e32 v13, 0
	s_xor_b32 s0, s0, -1
	s_delay_alu instid0(SALU_CYCLE_1)
	s_and_saveexec_b32 s2, s0
	s_cbranch_execz .LBB743_627
; %bb.626:
	v_sub_f32_e32 v11, v11, v77
	s_delay_alu instid0(VALU_DEP_1) | instskip(SKIP_1) | instid1(VALU_DEP_2)
	v_mul_f32_e32 v13, 0x3fb8aa3b, v11
	v_cmp_ngt_f32_e64 s0, 0xc2ce8ed0, v11
	v_fma_f32 v78, 0x3fb8aa3b, v11, -v13
	v_rndne_f32_e32 v79, v13
	s_delay_alu instid0(VALU_DEP_1) | instskip(NEXT) | instid1(VALU_DEP_1)
	v_dual_fmamk_f32 v78, v11, 0x32a5705f, v78 :: v_dual_sub_f32 v13, v13, v79
	v_add_f32_e32 v13, v13, v78
	v_cvt_i32_f32_e32 v78, v79
	s_delay_alu instid0(VALU_DEP_2) | instskip(SKIP_2) | instid1(VALU_DEP_1)
	v_exp_f32_e32 v13, v13
	s_waitcnt_depctr 0xfff
	v_ldexp_f32 v13, v13, v78
	v_cndmask_b32_e64 v13, 0, v13, s0
	v_cmp_nlt_f32_e64 s0, 0x42b17218, v11
	s_delay_alu instid0(VALU_DEP_1) | instskip(NEXT) | instid1(VALU_DEP_1)
	v_cndmask_b32_e64 v13, 0x7f800000, v13, s0
	v_add_f32_e32 v71, v71, v13
.LBB743_627:
	s_or_b32 exec_lo, exec_lo, s2
.LBB743_628:
	s_delay_alu instid0(SALU_CYCLE_1)
	s_or_b32 exec_lo, exec_lo, s1
	s_and_saveexec_b32 s1, s70
	s_cbranch_execz .LBB743_632
; %bb.629:
	global_load_u8 v11, v[2:3], off offset:1952
	s_waitcnt vmcnt(0)
	v_dual_mov_b32 v12, 0 :: v_dual_and_b32 v11, 1, v11
	s_delay_alu instid0(VALU_DEP_1) | instskip(NEXT) | instid1(VALU_DEP_1)
	v_cmp_eq_u32_e64 s0, 1, v11
	s_xor_b32 s0, s0, -1
	s_delay_alu instid0(SALU_CYCLE_1)
	s_and_saveexec_b32 s2, s0
	s_cbranch_execz .LBB743_631
; %bb.630:
	v_sub_f32_e32 v10, v10, v77
	s_delay_alu instid0(VALU_DEP_1) | instskip(NEXT) | instid1(VALU_DEP_1)
	v_mul_f32_e32 v11, 0x3fb8aa3b, v10
	v_fma_f32 v12, 0x3fb8aa3b, v10, -v11
	v_rndne_f32_e32 v78, v11
	s_delay_alu instid0(VALU_DEP_1) | instskip(SKIP_1) | instid1(VALU_DEP_2)
	v_dual_sub_f32 v11, v11, v78 :: v_dual_fmamk_f32 v12, v10, 0x32a5705f, v12
	v_cmp_ngt_f32_e64 s0, 0xc2ce8ed0, v10
	v_add_f32_e32 v11, v11, v12
	v_cvt_i32_f32_e32 v12, v78
	s_delay_alu instid0(VALU_DEP_2) | instskip(SKIP_2) | instid1(VALU_DEP_1)
	v_exp_f32_e32 v11, v11
	s_waitcnt_depctr 0xfff
	v_ldexp_f32 v11, v11, v12
	v_cndmask_b32_e64 v11, 0, v11, s0
	v_cmp_nlt_f32_e64 s0, 0x42b17218, v10
	s_delay_alu instid0(VALU_DEP_1) | instskip(NEXT) | instid1(VALU_DEP_1)
	v_cndmask_b32_e64 v12, 0x7f800000, v11, s0
	v_add_f32_e32 v71, v71, v12
.LBB743_631:
	s_or_b32 exec_lo, exec_lo, s2
.LBB743_632:
	s_delay_alu instid0(SALU_CYCLE_1)
	s_or_b32 exec_lo, exec_lo, s1
	v_dual_mov_b32 v10, 0 :: v_dual_mov_b32 v11, 0
	s_and_saveexec_b32 s1, s67
	s_cbranch_execz .LBB743_636
; %bb.633:
	global_load_u8 v11, v[2:3], off offset:1984
	s_waitcnt vmcnt(0)
	v_and_b32_e32 v11, 1, v11
	s_delay_alu instid0(VALU_DEP_1) | instskip(SKIP_1) | instid1(VALU_DEP_2)
	v_cmp_eq_u32_e64 s0, 1, v11
	v_mov_b32_e32 v11, 0
	s_xor_b32 s0, s0, -1
	s_delay_alu instid0(SALU_CYCLE_1)
	s_and_saveexec_b32 s2, s0
	s_cbranch_execz .LBB743_635
; %bb.634:
	v_sub_f32_e32 v9, v9, v77
	s_delay_alu instid0(VALU_DEP_1) | instskip(SKIP_1) | instid1(VALU_DEP_2)
	v_mul_f32_e32 v11, 0x3fb8aa3b, v9
	v_cmp_ngt_f32_e64 s0, 0xc2ce8ed0, v9
	v_fma_f32 v78, 0x3fb8aa3b, v9, -v11
	v_rndne_f32_e32 v79, v11
	s_delay_alu instid0(VALU_DEP_1) | instskip(NEXT) | instid1(VALU_DEP_1)
	v_dual_fmamk_f32 v78, v9, 0x32a5705f, v78 :: v_dual_sub_f32 v11, v11, v79
	v_add_f32_e32 v11, v11, v78
	v_cvt_i32_f32_e32 v78, v79
	s_delay_alu instid0(VALU_DEP_2) | instskip(SKIP_2) | instid1(VALU_DEP_1)
	v_exp_f32_e32 v11, v11
	s_waitcnt_depctr 0xfff
	v_ldexp_f32 v11, v11, v78
	v_cndmask_b32_e64 v11, 0, v11, s0
	v_cmp_nlt_f32_e64 s0, 0x42b17218, v9
	s_delay_alu instid0(VALU_DEP_1) | instskip(NEXT) | instid1(VALU_DEP_1)
	v_cndmask_b32_e64 v11, 0x7f800000, v11, s0
	v_add_f32_e32 v71, v71, v11
.LBB743_635:
	s_or_b32 exec_lo, exec_lo, s2
.LBB743_636:
	s_delay_alu instid0(SALU_CYCLE_1)
	s_or_b32 exec_lo, exec_lo, s1
	s_and_saveexec_b32 s1, s66
	s_cbranch_execz .LBB743_640
; %bb.637:
	global_load_u8 v2, v[2:3], off offset:2016
	v_mov_b32_e32 v10, 0
	s_waitcnt vmcnt(0)
	v_and_b32_e32 v2, 1, v2
	s_delay_alu instid0(VALU_DEP_1) | instskip(NEXT) | instid1(VALU_DEP_1)
	v_cmp_eq_u32_e64 s0, 1, v2
	s_xor_b32 s0, s0, -1
	s_delay_alu instid0(SALU_CYCLE_1)
	s_and_saveexec_b32 s2, s0
	s_cbranch_execz .LBB743_639
; %bb.638:
	v_sub_f32_e32 v2, v8, v77
	s_delay_alu instid0(VALU_DEP_1) | instskip(NEXT) | instid1(VALU_DEP_1)
	v_mul_f32_e32 v3, 0x3fb8aa3b, v2
	v_fma_f32 v8, 0x3fb8aa3b, v2, -v3
	v_rndne_f32_e32 v9, v3
	s_delay_alu instid0(VALU_DEP_1) | instskip(NEXT) | instid1(VALU_DEP_1)
	v_dual_fmamk_f32 v8, v2, 0x32a5705f, v8 :: v_dual_sub_f32 v3, v3, v9
	v_add_f32_e32 v3, v3, v8
	v_cvt_i32_f32_e32 v8, v9
	v_cmp_ngt_f32_e64 s0, 0xc2ce8ed0, v2
	s_delay_alu instid0(VALU_DEP_3) | instskip(SKIP_2) | instid1(VALU_DEP_1)
	v_exp_f32_e32 v3, v3
	s_waitcnt_depctr 0xfff
	v_ldexp_f32 v3, v3, v8
	v_cndmask_b32_e64 v3, 0, v3, s0
	v_cmp_nlt_f32_e64 s0, 0x42b17218, v2
	s_delay_alu instid0(VALU_DEP_1) | instskip(NEXT) | instid1(VALU_DEP_1)
	v_cndmask_b32_e64 v10, 0x7f800000, v3, s0
	v_add_f32_e32 v71, v71, v10
.LBB743_639:
	s_or_b32 exec_lo, exec_lo, s2
.LBB743_640:
	s_delay_alu instid0(SALU_CYCLE_1)
	s_or_b32 exec_lo, exec_lo, s1
	ds_bpermute_b32 v2, v5, v71
	s_mov_b32 s1, exec_lo
	s_waitcnt lgkmcnt(0)
	v_add_f32_e32 v2, v71, v2
	ds_bpermute_b32 v3, v72, v2
	s_waitcnt lgkmcnt(0)
	v_add_f32_e32 v2, v2, v3
	ds_bpermute_b32 v3, v73, v2
	;; [unrolled: 3-line block ×4, first 2 shown]
	v_cmpx_lt_i32_e32 0, v7
	s_cbranch_execz .LBB743_834
; %bb.641:
	s_and_b32 exec_lo, exec_lo, vcc_lo
	s_cbranch_execz .LBB743_834
; %bb.642:
	s_waitcnt lgkmcnt(0)
	v_dual_add_f32 v2, v2, v3 :: v_dual_mov_b32 v3, 0x7e00
	s_delay_alu instid0(VALU_DEP_1) | instskip(NEXT) | instid1(VALU_DEP_1)
	v_cmp_neq_f32_e64 s0, 0, v2
	s_and_saveexec_b32 s1, s0
	s_cbranch_execz .LBB743_644
; %bb.643:
	v_div_scale_f32 v3, null, v2, v2, v75
	s_delay_alu instid0(VALU_DEP_1) | instskip(SKIP_2) | instid1(VALU_DEP_1)
	v_rcp_f32_e32 v5, v3
	s_waitcnt_depctr 0xfff
	v_fma_f32 v7, -v3, v5, 1.0
	v_fmac_f32_e32 v5, v7, v5
	v_div_scale_f32 v7, vcc_lo, v75, v2, v75
	s_delay_alu instid0(VALU_DEP_1) | instskip(NEXT) | instid1(VALU_DEP_1)
	v_mul_f32_e32 v8, v7, v5
	v_fma_f32 v9, -v3, v8, v7
	s_delay_alu instid0(VALU_DEP_1) | instskip(NEXT) | instid1(VALU_DEP_1)
	v_fmac_f32_e32 v8, v9, v5
	v_fma_f32 v3, -v3, v8, v7
	s_delay_alu instid0(VALU_DEP_1) | instskip(NEXT) | instid1(VALU_DEP_1)
	v_div_fmas_f32 v3, v3, v5, v8
	v_div_fixup_f32 v3, v3, v2, v75
	s_delay_alu instid0(VALU_DEP_1)
	v_cvt_f16_f32_e32 v3, v3
.LBB743_644:
	s_or_b32 exec_lo, exec_lo, s1
	v_readlane_b32 s4, v80, 0
	v_readlane_b32 s5, v80, 1
	;; [unrolled: 1-line block ×4, first 2 shown]
	s_delay_alu instid0(VALU_DEP_4) | instskip(NEXT) | instid1(VALU_DEP_4)
	v_add_co_u32 v0, vcc_lo, s4, v0
	v_add_co_ci_u32_e32 v1, vcc_lo, s5, v1, vcc_lo
	global_store_b16 v[0:1], v3, off
	s_and_b32 exec_lo, exec_lo, s65
	s_cbranch_execz .LBB743_834
; %bb.645:
	v_mov_b32_e32 v3, 0x7e00
	s_and_saveexec_b32 s1, s0
	s_cbranch_execz .LBB743_647
; %bb.646:
	v_div_scale_f32 v3, null, v2, v2, v4
	s_delay_alu instid0(VALU_DEP_1) | instskip(SKIP_2) | instid1(VALU_DEP_1)
	v_rcp_f32_e32 v5, v3
	s_waitcnt_depctr 0xfff
	v_fma_f32 v7, -v3, v5, 1.0
	v_fmac_f32_e32 v5, v7, v5
	v_div_scale_f32 v7, vcc_lo, v4, v2, v4
	s_delay_alu instid0(VALU_DEP_1) | instskip(NEXT) | instid1(VALU_DEP_1)
	v_mul_f32_e32 v8, v7, v5
	v_fma_f32 v9, -v3, v8, v7
	s_delay_alu instid0(VALU_DEP_1) | instskip(NEXT) | instid1(VALU_DEP_1)
	v_fmac_f32_e32 v8, v9, v5
	v_fma_f32 v3, -v3, v8, v7
	s_delay_alu instid0(VALU_DEP_1) | instskip(NEXT) | instid1(VALU_DEP_1)
	v_div_fmas_f32 v3, v3, v5, v8
	v_div_fixup_f32 v3, v3, v2, v4
	s_delay_alu instid0(VALU_DEP_1)
	v_cvt_f16_f32_e32 v3, v3
.LBB743_647:
	s_or_b32 exec_lo, exec_lo, s1
	global_store_b16 v[0:1], v3, off offset:64
	s_and_b32 exec_lo, exec_lo, s64
	s_cbranch_execz .LBB743_834
; %bb.648:
	v_mov_b32_e32 v3, 0x7e00
	s_and_saveexec_b32 s1, s0
	s_cbranch_execz .LBB743_650
; %bb.649:
	v_div_scale_f32 v3, null, v2, v2, v70
	s_delay_alu instid0(VALU_DEP_1) | instskip(SKIP_2) | instid1(VALU_DEP_1)
	v_rcp_f32_e32 v4, v3
	s_waitcnt_depctr 0xfff
	v_fma_f32 v5, -v3, v4, 1.0
	v_fmac_f32_e32 v4, v5, v4
	v_div_scale_f32 v5, vcc_lo, v70, v2, v70
	s_delay_alu instid0(VALU_DEP_1) | instskip(NEXT) | instid1(VALU_DEP_1)
	v_mul_f32_e32 v7, v5, v4
	v_fma_f32 v8, -v3, v7, v5
	s_delay_alu instid0(VALU_DEP_1) | instskip(NEXT) | instid1(VALU_DEP_1)
	v_fmac_f32_e32 v7, v8, v4
	v_fma_f32 v3, -v3, v7, v5
	s_delay_alu instid0(VALU_DEP_1) | instskip(NEXT) | instid1(VALU_DEP_1)
	v_div_fmas_f32 v3, v3, v4, v7
	v_div_fixup_f32 v3, v3, v2, v70
	s_delay_alu instid0(VALU_DEP_1)
	v_cvt_f16_f32_e32 v3, v3
.LBB743_650:
	s_or_b32 exec_lo, exec_lo, s1
	global_store_b16 v[0:1], v3, off offset:128
	;; [unrolled: 28-line block ×35, first 2 shown]
	s_and_b32 exec_lo, exec_lo, s29
	s_cbranch_execz .LBB743_834
; %bb.750:
	v_mov_b32_e32 v3, 0x7e00
	s_and_saveexec_b32 s1, s0
	s_cbranch_execz .LBB743_752
; %bb.751:
	v_div_scale_f32 v3, null, v2, v2, v37
	s_delay_alu instid0(VALU_DEP_1) | instskip(SKIP_2) | instid1(VALU_DEP_1)
	v_rcp_f32_e32 v4, v3
	s_waitcnt_depctr 0xfff
	v_fma_f32 v5, -v3, v4, 1.0
	v_fmac_f32_e32 v4, v5, v4
	v_div_scale_f32 v5, vcc_lo, v37, v2, v37
	s_delay_alu instid0(VALU_DEP_1) | instskip(NEXT) | instid1(VALU_DEP_1)
	v_mul_f32_e32 v6, v5, v4
	v_fma_f32 v7, -v3, v6, v5
	s_delay_alu instid0(VALU_DEP_1) | instskip(NEXT) | instid1(VALU_DEP_1)
	v_fmac_f32_e32 v6, v7, v4
	v_fma_f32 v3, -v3, v6, v5
	s_delay_alu instid0(VALU_DEP_1) | instskip(NEXT) | instid1(VALU_DEP_1)
	v_div_fmas_f32 v3, v3, v4, v6
	v_div_fixup_f32 v3, v3, v2, v37
	s_delay_alu instid0(VALU_DEP_1)
	v_cvt_f16_f32_e32 v3, v3
.LBB743_752:
	s_or_b32 exec_lo, exec_lo, s1
	v_readlane_b32 s1, v80, 4
	global_store_b16 v[0:1], v3, off offset:2304
	s_and_b32 exec_lo, exec_lo, s1
	s_cbranch_execz .LBB743_834
; %bb.753:
	v_mov_b32_e32 v3, 0x7e00
	s_and_saveexec_b32 s1, s0
	s_cbranch_execz .LBB743_755
; %bb.754:
	v_div_scale_f32 v3, null, v2, v2, v36
	s_delay_alu instid0(VALU_DEP_1) | instskip(SKIP_2) | instid1(VALU_DEP_1)
	v_rcp_f32_e32 v4, v3
	s_waitcnt_depctr 0xfff
	v_fma_f32 v5, -v3, v4, 1.0
	v_fmac_f32_e32 v4, v5, v4
	v_div_scale_f32 v5, vcc_lo, v36, v2, v36
	s_delay_alu instid0(VALU_DEP_1) | instskip(NEXT) | instid1(VALU_DEP_1)
	v_mul_f32_e32 v6, v5, v4
	v_fma_f32 v7, -v3, v6, v5
	s_delay_alu instid0(VALU_DEP_1) | instskip(NEXT) | instid1(VALU_DEP_1)
	v_fmac_f32_e32 v6, v7, v4
	v_fma_f32 v3, -v3, v6, v5
	s_delay_alu instid0(VALU_DEP_1) | instskip(NEXT) | instid1(VALU_DEP_1)
	v_div_fmas_f32 v3, v3, v4, v6
	v_div_fixup_f32 v3, v3, v2, v36
	s_delay_alu instid0(VALU_DEP_1)
	v_cvt_f16_f32_e32 v3, v3
.LBB743_755:
	s_or_b32 exec_lo, exec_lo, s1
	v_readlane_b32 s1, v80, 5
	global_store_b16 v[0:1], v3, off offset:2368
	;; [unrolled: 29-line block ×27, first 2 shown]
	s_and_b32 exec_lo, exec_lo, s1
	s_cbranch_execz .LBB743_834
; %bb.831:
	v_mov_b32_e32 v3, 0x7e00
	s_and_saveexec_b32 s1, s0
	s_cbranch_execz .LBB743_833
; %bb.832:
	v_div_scale_f32 v3, null, v2, v2, v10
	s_delay_alu instid0(VALU_DEP_1) | instskip(SKIP_2) | instid1(VALU_DEP_1)
	v_rcp_f32_e32 v4, v3
	s_waitcnt_depctr 0xfff
	v_fma_f32 v5, -v3, v4, 1.0
	v_fmac_f32_e32 v4, v5, v4
	v_div_scale_f32 v5, vcc_lo, v10, v2, v10
	s_delay_alu instid0(VALU_DEP_1) | instskip(NEXT) | instid1(VALU_DEP_1)
	v_mul_f32_e32 v6, v5, v4
	v_fma_f32 v7, -v3, v6, v5
	s_delay_alu instid0(VALU_DEP_1) | instskip(NEXT) | instid1(VALU_DEP_1)
	v_fmac_f32_e32 v6, v7, v4
	v_fma_f32 v3, -v3, v6, v5
	s_delay_alu instid0(VALU_DEP_1) | instskip(NEXT) | instid1(VALU_DEP_1)
	v_div_fmas_f32 v3, v3, v4, v6
	v_div_fixup_f32 v2, v3, v2, v10
	s_delay_alu instid0(VALU_DEP_1)
	v_cvt_f16_f32_e32 v3, v2
.LBB743_833:
	s_or_b32 exec_lo, exec_lo, s1
	global_store_b16 v[0:1], v3, off offset:4032
.LBB743_834:
	s_nop 0
	s_sendmsg sendmsg(MSG_DEALLOC_VGPRS)
	s_endpgm
	.section	.rodata,"a",@progbits
	.p2align	6, 0x0
	.amdhsa_kernel _ZN12_GLOBAL__N_120softmax_warp_forwardIN3c104HalfES2_fLi11ELb0ELb1ELi32EEEvPT0_PKT_iiiPKbib
		.amdhsa_group_segment_fixed_size 0
		.amdhsa_private_segment_fixed_size 0
		.amdhsa_kernarg_size 304
		.amdhsa_user_sgpr_count 15
		.amdhsa_user_sgpr_dispatch_ptr 0
		.amdhsa_user_sgpr_queue_ptr 0
		.amdhsa_user_sgpr_kernarg_segment_ptr 1
		.amdhsa_user_sgpr_dispatch_id 0
		.amdhsa_user_sgpr_private_segment_size 0
		.amdhsa_wavefront_size32 1
		.amdhsa_uses_dynamic_stack 0
		.amdhsa_enable_private_segment 0
		.amdhsa_system_sgpr_workgroup_id_x 1
		.amdhsa_system_sgpr_workgroup_id_y 0
		.amdhsa_system_sgpr_workgroup_id_z 0
		.amdhsa_system_sgpr_workgroup_info 0
		.amdhsa_system_vgpr_workitem_id 1
		.amdhsa_next_free_vgpr 81
		.amdhsa_next_free_sgpr 105
		.amdhsa_reserve_vcc 1
		.amdhsa_float_round_mode_32 0
		.amdhsa_float_round_mode_16_64 0
		.amdhsa_float_denorm_mode_32 3
		.amdhsa_float_denorm_mode_16_64 3
		.amdhsa_dx10_clamp 1
		.amdhsa_ieee_mode 1
		.amdhsa_fp16_overflow 0
		.amdhsa_workgroup_processor_mode 1
		.amdhsa_memory_ordered 1
		.amdhsa_forward_progress 0
		.amdhsa_shared_vgpr_count 0
		.amdhsa_exception_fp_ieee_invalid_op 0
		.amdhsa_exception_fp_denorm_src 0
		.amdhsa_exception_fp_ieee_div_zero 0
		.amdhsa_exception_fp_ieee_overflow 0
		.amdhsa_exception_fp_ieee_underflow 0
		.amdhsa_exception_fp_ieee_inexact 0
		.amdhsa_exception_int_div_zero 0
	.end_amdhsa_kernel
	.section	.text._ZN12_GLOBAL__N_120softmax_warp_forwardIN3c104HalfES2_fLi11ELb0ELb1ELi32EEEvPT0_PKT_iiiPKbib,"axG",@progbits,_ZN12_GLOBAL__N_120softmax_warp_forwardIN3c104HalfES2_fLi11ELb0ELb1ELi32EEEvPT0_PKT_iiiPKbib,comdat
.Lfunc_end743:
	.size	_ZN12_GLOBAL__N_120softmax_warp_forwardIN3c104HalfES2_fLi11ELb0ELb1ELi32EEEvPT0_PKT_iiiPKbib, .Lfunc_end743-_ZN12_GLOBAL__N_120softmax_warp_forwardIN3c104HalfES2_fLi11ELb0ELb1ELi32EEEvPT0_PKT_iiiPKbib
                                        ; -- End function
	.section	.AMDGPU.csdata,"",@progbits
; Kernel info:
; codeLenInByte = 33796
; NumSgprs: 107
; NumVgprs: 81
; ScratchSize: 0
; MemoryBound: 0
; FloatMode: 240
; IeeeMode: 1
; LDSByteSize: 0 bytes/workgroup (compile time only)
; SGPRBlocks: 13
; VGPRBlocks: 10
; NumSGPRsForWavesPerEU: 107
; NumVGPRsForWavesPerEU: 81
; Occupancy: 16
; WaveLimiterHint : 0
; COMPUTE_PGM_RSRC2:SCRATCH_EN: 0
; COMPUTE_PGM_RSRC2:USER_SGPR: 15
; COMPUTE_PGM_RSRC2:TRAP_HANDLER: 0
; COMPUTE_PGM_RSRC2:TGID_X_EN: 1
; COMPUTE_PGM_RSRC2:TGID_Y_EN: 0
; COMPUTE_PGM_RSRC2:TGID_Z_EN: 0
; COMPUTE_PGM_RSRC2:TIDIG_COMP_CNT: 1
	.section	.text._ZN12_GLOBAL__N_120softmax_warp_forwardIN3c108BFloat16ES2_fLi0ELb0ELb1ELi64EEEvPT0_PKT_iiiPKbib,"axG",@progbits,_ZN12_GLOBAL__N_120softmax_warp_forwardIN3c108BFloat16ES2_fLi0ELb0ELb1ELi64EEEvPT0_PKT_iiiPKbib,comdat
	.globl	_ZN12_GLOBAL__N_120softmax_warp_forwardIN3c108BFloat16ES2_fLi0ELb0ELb1ELi64EEEvPT0_PKT_iiiPKbib ; -- Begin function _ZN12_GLOBAL__N_120softmax_warp_forwardIN3c108BFloat16ES2_fLi0ELb0ELb1ELi64EEEvPT0_PKT_iiiPKbib
	.p2align	8
	.type	_ZN12_GLOBAL__N_120softmax_warp_forwardIN3c108BFloat16ES2_fLi0ELb0ELb1ELi64EEEvPT0_PKT_iiiPKbib,@function
_ZN12_GLOBAL__N_120softmax_warp_forwardIN3c108BFloat16ES2_fLi0ELb0ELb1ELi64EEEvPT0_PKT_iiiPKbib: ; @_ZN12_GLOBAL__N_120softmax_warp_forwardIN3c108BFloat16ES2_fLi0ELb0ELb1ELi64EEEvPT0_PKT_iiiPKbib
; %bb.0:
	s_clause 0x2
	s_load_b64 s[2:3], s[0:1], 0x28
	s_load_b32 s8, s[0:1], 0x3c
	s_load_b128 s[4:7], s[0:1], 0x10
	v_bfe_u32 v1, v0, 10, 10
	v_and_b32_e32 v4, 0x3ff, v0
	s_waitcnt lgkmcnt(0)
	s_bitcmp1_b32 s3, 0
	s_cselect_b32 s12, -1, 0
	s_lshr_b32 s7, s8, 16
	s_bitcmp0_b32 s3, 0
	s_mul_i32 s15, s15, s7
	s_delay_alu instid0(SALU_CYCLE_1) | instskip(NEXT) | instid1(VALU_DEP_1)
	v_add_lshl_u32 v5, s15, v1, 1
	v_mul_lo_u32 v6, v5, s5
	s_delay_alu instid0(VALU_DEP_1) | instskip(NEXT) | instid1(VALU_DEP_1)
	v_add_nc_u32_e32 v0, v6, v4
	v_ashrrev_i32_e32 v1, 31, v0
	s_delay_alu instid0(VALU_DEP_1)
	v_dual_mov_b32 v3, v1 :: v_dual_mov_b32 v2, v0
	s_cbranch_scc1 .LBB744_2
; %bb.1:
	s_abs_i32 s3, s2
	v_sub_nc_u32_e32 v7, 0, v6
	v_cvt_f32_u32_e32 v2, s3
	s_sub_i32 s7, 0, s3
	s_delay_alu instid0(VALU_DEP_2) | instskip(NEXT) | instid1(VALU_DEP_2)
	v_max_i32_e32 v7, v6, v7
	v_rcp_iflag_f32_e32 v2, v2
	v_xor_b32_e32 v6, s2, v6
	s_delay_alu instid0(VALU_DEP_1) | instskip(SKIP_2) | instid1(VALU_DEP_1)
	v_ashrrev_i32_e32 v6, 31, v6
	s_waitcnt_depctr 0xfff
	v_mul_f32_e32 v2, 0x4f7ffffe, v2
	v_cvt_u32_f32_e32 v2, v2
	s_delay_alu instid0(VALU_DEP_1) | instskip(NEXT) | instid1(VALU_DEP_1)
	v_mul_lo_u32 v3, s7, v2
	v_mul_hi_u32 v3, v2, v3
	s_delay_alu instid0(VALU_DEP_1) | instskip(NEXT) | instid1(VALU_DEP_1)
	v_add_nc_u32_e32 v2, v2, v3
	v_mul_hi_u32 v2, v7, v2
	s_delay_alu instid0(VALU_DEP_1) | instskip(NEXT) | instid1(VALU_DEP_1)
	v_mul_lo_u32 v3, v2, s3
	v_sub_nc_u32_e32 v3, v7, v3
	v_add_nc_u32_e32 v7, 1, v2
	s_delay_alu instid0(VALU_DEP_2) | instskip(SKIP_1) | instid1(VALU_DEP_2)
	v_subrev_nc_u32_e32 v8, s3, v3
	v_cmp_le_u32_e32 vcc_lo, s3, v3
	v_dual_cndmask_b32 v3, v3, v8 :: v_dual_cndmask_b32 v2, v2, v7
	s_delay_alu instid0(VALU_DEP_1) | instskip(NEXT) | instid1(VALU_DEP_2)
	v_cmp_le_u32_e32 vcc_lo, s3, v3
	v_add_nc_u32_e32 v7, 1, v2
	s_delay_alu instid0(VALU_DEP_1) | instskip(NEXT) | instid1(VALU_DEP_1)
	v_cndmask_b32_e32 v2, v2, v7, vcc_lo
	v_xor_b32_e32 v2, v2, v6
	s_delay_alu instid0(VALU_DEP_1) | instskip(NEXT) | instid1(VALU_DEP_1)
	v_sub_nc_u32_e32 v6, v2, v6
	v_mad_u64_u32 v[2:3], null, v6, s5, v[4:5]
	s_delay_alu instid0(VALU_DEP_1)
	v_ashrrev_i32_e32 v3, 31, v2
.LBB744_2:
	s_load_b128 s[8:11], s[0:1], 0x0
	v_lshlrev_b64 v[0:1], 1, v[0:1]
	v_sub_nc_u32_e32 v6, s4, v5
	v_cmp_gt_i32_e64 s2, s6, v4
	v_mov_b32_e32 v7, 0xff800000
	v_mov_b32_e32 v9, 0xff800000
	s_delay_alu instid0(VALU_DEP_4) | instskip(SKIP_2) | instid1(VALU_DEP_1)
	v_cmp_lt_i32_e32 vcc_lo, 0, v6
	s_waitcnt lgkmcnt(0)
	v_add_co_u32 v4, s3, s10, v0
	v_add_co_ci_u32_e64 v5, s3, s11, v1, s3
	s_and_b32 s11, s2, vcc_lo
	s_delay_alu instid0(SALU_CYCLE_1)
	s_and_saveexec_b32 s3, s11
	s_cbranch_execz .LBB744_4
; %bb.3:
	global_load_u16 v8, v[4:5], off
	s_waitcnt vmcnt(0)
	v_lshlrev_b32_e32 v9, 16, v8
.LBB744_4:
	s_or_b32 exec_lo, exec_lo, s3
	v_cmp_lt_i32_e64 s3, 1, v6
	s_delay_alu instid0(VALU_DEP_1) | instskip(NEXT) | instid1(SALU_CYCLE_1)
	s_and_b32 s10, s2, s3
	s_and_saveexec_b32 s4, s10
	s_cbranch_execz .LBB744_6
; %bb.5:
	s_mov_b32 s7, 0
	s_delay_alu instid0(SALU_CYCLE_1) | instskip(NEXT) | instid1(SALU_CYCLE_1)
	s_lshl_b64 s[14:15], s[6:7], 1
	v_add_co_u32 v4, s3, v4, s14
	s_delay_alu instid0(VALU_DEP_1)
	v_add_co_ci_u32_e64 v5, s3, s15, v5, s3
	global_load_u16 v4, v[4:5], off
	s_waitcnt vmcnt(0)
	v_lshlrev_b32_e32 v7, 16, v4
.LBB744_6:
	s_or_b32 exec_lo, exec_lo, s4
	s_load_b64 s[0:1], s[0:1], 0x20
	s_waitcnt lgkmcnt(0)
	v_add_co_u32 v4, s0, s0, v2
	s_delay_alu instid0(VALU_DEP_1)
	v_add_co_ci_u32_e64 v5, s0, s1, v3, s0
	v_mov_b32_e32 v2, 0xff800000
	s_and_saveexec_b32 s1, s11
	s_cbranch_execz .LBB744_8
; %bb.7:
	global_load_u8 v2, v[4:5], off
	s_waitcnt vmcnt(0)
	v_and_b32_e32 v2, 1, v2
	s_delay_alu instid0(VALU_DEP_1) | instskip(NEXT) | instid1(VALU_DEP_1)
	v_cmp_eq_u32_e64 s0, 1, v2
	v_cndmask_b32_e64 v2, v9, 0xff800000, s0
.LBB744_8:
	s_or_b32 exec_lo, exec_lo, s1
	s_mov_b32 s4, 0
	s_mov_b32 s0, 0
	s_and_saveexec_b32 s1, s10
	s_cbranch_execz .LBB744_10
; %bb.9:
	s_and_b32 s0, s12, exec_lo
	s_cselect_b32 s0, 0, s6
	s_cselect_b32 s3, 0, 0
	v_add_co_u32 v10, s0, v4, s0
	s_delay_alu instid0(VALU_DEP_1) | instskip(SKIP_3) | instid1(VALU_DEP_1)
	v_add_co_ci_u32_e64 v11, s0, s3, v5, s0
	global_load_u8 v3, v[10:11], off
	s_waitcnt vmcnt(0)
	v_and_b32_e32 v3, 1, v3
	v_cmp_eq_u32_e64 s0, 1, v3
	s_delay_alu instid0(VALU_DEP_1) | instskip(NEXT) | instid1(SALU_CYCLE_1)
	s_xor_b32 s0, s0, -1
	s_and_b32 s0, s0, exec_lo
.LBB744_10:
	s_or_b32 exec_lo, exec_lo, s1
	s_mov_b32 s5, s4
	v_cndmask_b32_e64 v12, v2, v2, s0
	v_mov_b32_e32 v2, s4
	v_cndmask_b32_e64 v11, 0xff800000, v7, s0
	v_dual_mov_b32 v8, 0 :: v_dual_mov_b32 v3, s5
	v_mov_b32_e32 v10, 0
	s_and_saveexec_b32 s1, s11
	s_cbranch_execnz .LBB744_14
; %bb.11:
	s_or_b32 exec_lo, exec_lo, s1
	s_and_saveexec_b32 s1, s10
	s_cbranch_execnz .LBB744_17
.LBB744_12:
	s_or_b32 exec_lo, exec_lo, s1
	s_and_saveexec_b32 s0, vcc_lo
	s_cbranch_execnz .LBB744_20
.LBB744_13:
	s_nop 0
	s_sendmsg sendmsg(MSG_DEALLOC_VGPRS)
	s_endpgm
.LBB744_14:
	global_load_u8 v2, v[4:5], off
	s_mov_b32 s5, s4
	v_mov_b32_e32 v10, 0
	s_waitcnt vmcnt(0)
	v_and_b32_e32 v2, 1, v2
	s_delay_alu instid0(VALU_DEP_1) | instskip(SKIP_1) | instid1(VALU_DEP_2)
	v_cmp_eq_u32_e64 s0, 1, v2
	v_dual_mov_b32 v2, s4 :: v_dual_mov_b32 v3, s5
	s_xor_b32 s0, s0, -1
	s_delay_alu instid0(SALU_CYCLE_1)
	s_and_saveexec_b32 s3, s0
	s_cbranch_execz .LBB744_16
; %bb.15:
	v_sub_f32_e32 v2, v9, v12
	s_delay_alu instid0(VALU_DEP_1) | instskip(NEXT) | instid1(VALU_DEP_1)
	v_mul_f32_e32 v3, 0x3fb8aa3b, v2
	v_fma_f32 v9, 0x3fb8aa3b, v2, -v3
	v_rndne_f32_e32 v10, v3
	s_delay_alu instid0(VALU_DEP_1) | instskip(NEXT) | instid1(VALU_DEP_3)
	v_sub_f32_e32 v3, v3, v10
	v_fmamk_f32 v9, v2, 0x32a5705f, v9
	v_cmp_ngt_f32_e64 s0, 0xc2ce8ed0, v2
	s_delay_alu instid0(VALU_DEP_2) | instskip(SKIP_1) | instid1(VALU_DEP_2)
	v_add_f32_e32 v3, v3, v9
	v_cvt_i32_f32_e32 v9, v10
	v_exp_f32_e32 v3, v3
	s_waitcnt_depctr 0xfff
	v_ldexp_f32 v3, v3, v9
	s_delay_alu instid0(VALU_DEP_1) | instskip(SKIP_1) | instid1(VALU_DEP_1)
	v_cndmask_b32_e64 v3, 0, v3, s0
	v_cmp_nlt_f32_e64 s0, 0x42b17218, v2
	v_cndmask_b32_e64 v2, 0x7f800000, v3, s0
	s_delay_alu instid0(VALU_DEP_1)
	v_dual_mov_b32 v3, 0 :: v_dual_mov_b32 v10, v2
.LBB744_16:
	s_or_b32 exec_lo, exec_lo, s3
	s_delay_alu instid0(SALU_CYCLE_1)
	s_or_b32 exec_lo, exec_lo, s1
	s_and_saveexec_b32 s1, s10
	s_cbranch_execz .LBB744_12
.LBB744_17:
	s_and_b32 s0, s12, exec_lo
	s_cselect_b32 s0, 0, s6
	s_cselect_b32 s3, 0, 0
	v_add_co_u32 v4, s0, v4, s0
	s_delay_alu instid0(VALU_DEP_1) | instskip(SKIP_4) | instid1(VALU_DEP_1)
	v_add_co_ci_u32_e64 v5, s0, s3, v5, s0
	v_mov_b32_e32 v8, 0
	global_load_u8 v4, v[4:5], off
	s_waitcnt vmcnt(0)
	v_and_b32_e32 v4, 1, v4
	v_cmp_eq_u32_e64 s0, 1, v4
	s_delay_alu instid0(VALU_DEP_1) | instskip(NEXT) | instid1(SALU_CYCLE_1)
	s_xor_b32 s0, s0, -1
	s_and_saveexec_b32 s3, s0
	s_cbranch_execz .LBB744_19
; %bb.18:
	v_sub_f32_e32 v4, v7, v11
	s_delay_alu instid0(VALU_DEP_1) | instskip(NEXT) | instid1(VALU_DEP_1)
	v_mul_f32_e32 v5, 0x3fb8aa3b, v4
	v_fma_f32 v7, 0x3fb8aa3b, v4, -v5
	v_rndne_f32_e32 v8, v5
	s_delay_alu instid0(VALU_DEP_1) | instskip(NEXT) | instid1(VALU_DEP_3)
	v_sub_f32_e32 v5, v5, v8
	v_fmamk_f32 v7, v4, 0x32a5705f, v7
	v_cmp_ngt_f32_e64 s0, 0xc2ce8ed0, v4
	s_delay_alu instid0(VALU_DEP_2) | instskip(SKIP_1) | instid1(VALU_DEP_2)
	v_add_f32_e32 v5, v5, v7
	v_cvt_i32_f32_e32 v7, v8
	v_exp_f32_e32 v5, v5
	s_waitcnt_depctr 0xfff
	v_ldexp_f32 v5, v5, v7
	s_delay_alu instid0(VALU_DEP_1) | instskip(SKIP_1) | instid1(VALU_DEP_1)
	v_cndmask_b32_e64 v5, 0, v5, s0
	v_cmp_nlt_f32_e64 s0, 0x42b17218, v4
	v_cndmask_b32_e64 v8, 0x7f800000, v5, s0
	s_delay_alu instid0(VALU_DEP_1)
	v_add_f32_e32 v3, v3, v8
.LBB744_19:
	s_or_b32 exec_lo, exec_lo, s3
	s_delay_alu instid0(SALU_CYCLE_1)
	s_or_b32 exec_lo, exec_lo, s1
	s_and_saveexec_b32 s0, vcc_lo
	s_cbranch_execz .LBB744_13
.LBB744_20:
	v_add_co_u32 v0, vcc_lo, s8, v0
	v_add_co_ci_u32_e32 v1, vcc_lo, s9, v1, vcc_lo
	s_and_saveexec_b32 s0, s2
	s_cbranch_execz .LBB744_24
; %bb.21:
	v_mov_b32_e32 v4, 0x7fc0
	s_mov_b32 s1, exec_lo
	v_cmpx_neq_f32_e32 0, v2
	s_cbranch_execz .LBB744_23
; %bb.22:
	v_div_scale_f32 v4, null, v2, v2, v10
	s_delay_alu instid0(VALU_DEP_1) | instskip(SKIP_2) | instid1(VALU_DEP_1)
	v_rcp_f32_e32 v5, v4
	s_waitcnt_depctr 0xfff
	v_fma_f32 v7, -v4, v5, 1.0
	v_fmac_f32_e32 v5, v7, v5
	v_div_scale_f32 v7, vcc_lo, v10, v2, v10
	s_delay_alu instid0(VALU_DEP_1) | instskip(NEXT) | instid1(VALU_DEP_1)
	v_mul_f32_e32 v9, v7, v5
	v_fma_f32 v11, -v4, v9, v7
	s_delay_alu instid0(VALU_DEP_1) | instskip(NEXT) | instid1(VALU_DEP_1)
	v_fmac_f32_e32 v9, v11, v5
	v_fma_f32 v4, -v4, v9, v7
	s_delay_alu instid0(VALU_DEP_1) | instskip(NEXT) | instid1(VALU_DEP_1)
	v_div_fmas_f32 v4, v4, v5, v9
	v_div_fixup_f32 v2, v4, v2, v10
	s_delay_alu instid0(VALU_DEP_1) | instskip(SKIP_1) | instid1(VALU_DEP_2)
	v_bfe_u32 v4, v2, 16, 1
	v_cmp_o_f32_e32 vcc_lo, v2, v2
	v_add3_u32 v4, v2, v4, 0x7fff
	s_delay_alu instid0(VALU_DEP_1) | instskip(NEXT) | instid1(VALU_DEP_1)
	v_lshrrev_b32_e32 v4, 16, v4
	v_cndmask_b32_e32 v4, 0x7fc0, v4, vcc_lo
.LBB744_23:
	s_or_b32 exec_lo, exec_lo, s1
	global_store_b16 v[0:1], v4, off
.LBB744_24:
	s_or_b32 exec_lo, exec_lo, s0
	v_cmp_ne_u32_e32 vcc_lo, 1, v6
	s_and_b32 exec_lo, exec_lo, vcc_lo
	s_cbranch_execz .LBB744_13
; %bb.25:
	s_and_b32 exec_lo, exec_lo, s2
	s_cbranch_execz .LBB744_13
; %bb.26:
	v_div_scale_f32 v2, null, v3, v3, v8
	v_div_scale_f32 v6, vcc_lo, v8, v3, v8
	s_mov_b32 s7, 0
	s_delay_alu instid0(VALU_DEP_2) | instskip(SKIP_1) | instid1(SALU_CYCLE_1)
	v_rcp_f32_e32 v4, v2
	s_lshl_b64 s[2:3], s[6:7], 1
	v_add_co_u32 v0, s1, v0, s2
	s_delay_alu instid0(VALU_DEP_1) | instskip(SKIP_2) | instid1(VALU_DEP_1)
	v_add_co_ci_u32_e64 v1, s1, s3, v1, s1
	s_waitcnt_depctr 0xfff
	v_fma_f32 v5, -v2, v4, 1.0
	v_fmac_f32_e32 v4, v5, v4
	s_delay_alu instid0(VALU_DEP_1) | instskip(NEXT) | instid1(VALU_DEP_1)
	v_mul_f32_e32 v5, v6, v4
	v_fma_f32 v7, -v2, v5, v6
	s_delay_alu instid0(VALU_DEP_1) | instskip(NEXT) | instid1(VALU_DEP_1)
	v_fmac_f32_e32 v5, v7, v4
	v_fma_f32 v2, -v2, v5, v6
	s_delay_alu instid0(VALU_DEP_1) | instskip(SKIP_1) | instid1(VALU_DEP_2)
	v_div_fmas_f32 v2, v2, v4, v5
	v_cmp_eq_f32_e32 vcc_lo, 0, v3
	v_div_fixup_f32 v2, v2, v3, v8
	s_delay_alu instid0(VALU_DEP_1) | instskip(SKIP_1) | instid1(VALU_DEP_2)
	v_bfe_u32 v4, v2, 16, 1
	v_cmp_u_f32_e64 s0, v2, v2
	v_add3_u32 v4, v2, v4, 0x7fff
	s_delay_alu instid0(VALU_DEP_2) | instskip(NEXT) | instid1(VALU_DEP_1)
	s_or_b32 s0, vcc_lo, s0
	v_lshrrev_b32_e32 v2, 16, v4
	s_delay_alu instid0(VALU_DEP_1)
	v_cndmask_b32_e64 v2, v2, 0x7fc0, s0
	global_store_b16 v[0:1], v2, off
	s_nop 0
	s_sendmsg sendmsg(MSG_DEALLOC_VGPRS)
	s_endpgm
	.section	.rodata,"a",@progbits
	.p2align	6, 0x0
	.amdhsa_kernel _ZN12_GLOBAL__N_120softmax_warp_forwardIN3c108BFloat16ES2_fLi0ELb0ELb1ELi64EEEvPT0_PKT_iiiPKbib
		.amdhsa_group_segment_fixed_size 0
		.amdhsa_private_segment_fixed_size 0
		.amdhsa_kernarg_size 304
		.amdhsa_user_sgpr_count 15
		.amdhsa_user_sgpr_dispatch_ptr 0
		.amdhsa_user_sgpr_queue_ptr 0
		.amdhsa_user_sgpr_kernarg_segment_ptr 1
		.amdhsa_user_sgpr_dispatch_id 0
		.amdhsa_user_sgpr_private_segment_size 0
		.amdhsa_wavefront_size32 1
		.amdhsa_uses_dynamic_stack 0
		.amdhsa_enable_private_segment 0
		.amdhsa_system_sgpr_workgroup_id_x 1
		.amdhsa_system_sgpr_workgroup_id_y 0
		.amdhsa_system_sgpr_workgroup_id_z 0
		.amdhsa_system_sgpr_workgroup_info 0
		.amdhsa_system_vgpr_workitem_id 1
		.amdhsa_next_free_vgpr 13
		.amdhsa_next_free_sgpr 16
		.amdhsa_reserve_vcc 1
		.amdhsa_float_round_mode_32 0
		.amdhsa_float_round_mode_16_64 0
		.amdhsa_float_denorm_mode_32 3
		.amdhsa_float_denorm_mode_16_64 3
		.amdhsa_dx10_clamp 1
		.amdhsa_ieee_mode 1
		.amdhsa_fp16_overflow 0
		.amdhsa_workgroup_processor_mode 1
		.amdhsa_memory_ordered 1
		.amdhsa_forward_progress 0
		.amdhsa_shared_vgpr_count 0
		.amdhsa_exception_fp_ieee_invalid_op 0
		.amdhsa_exception_fp_denorm_src 0
		.amdhsa_exception_fp_ieee_div_zero 0
		.amdhsa_exception_fp_ieee_overflow 0
		.amdhsa_exception_fp_ieee_underflow 0
		.amdhsa_exception_fp_ieee_inexact 0
		.amdhsa_exception_int_div_zero 0
	.end_amdhsa_kernel
	.section	.text._ZN12_GLOBAL__N_120softmax_warp_forwardIN3c108BFloat16ES2_fLi0ELb0ELb1ELi64EEEvPT0_PKT_iiiPKbib,"axG",@progbits,_ZN12_GLOBAL__N_120softmax_warp_forwardIN3c108BFloat16ES2_fLi0ELb0ELb1ELi64EEEvPT0_PKT_iiiPKbib,comdat
.Lfunc_end744:
	.size	_ZN12_GLOBAL__N_120softmax_warp_forwardIN3c108BFloat16ES2_fLi0ELb0ELb1ELi64EEEvPT0_PKT_iiiPKbib, .Lfunc_end744-_ZN12_GLOBAL__N_120softmax_warp_forwardIN3c108BFloat16ES2_fLi0ELb0ELb1ELi64EEEvPT0_PKT_iiiPKbib
                                        ; -- End function
	.section	.AMDGPU.csdata,"",@progbits
; Kernel info:
; codeLenInByte = 1604
; NumSgprs: 18
; NumVgprs: 13
; ScratchSize: 0
; MemoryBound: 0
; FloatMode: 240
; IeeeMode: 1
; LDSByteSize: 0 bytes/workgroup (compile time only)
; SGPRBlocks: 2
; VGPRBlocks: 1
; NumSGPRsForWavesPerEU: 18
; NumVGPRsForWavesPerEU: 13
; Occupancy: 16
; WaveLimiterHint : 0
; COMPUTE_PGM_RSRC2:SCRATCH_EN: 0
; COMPUTE_PGM_RSRC2:USER_SGPR: 15
; COMPUTE_PGM_RSRC2:TRAP_HANDLER: 0
; COMPUTE_PGM_RSRC2:TGID_X_EN: 1
; COMPUTE_PGM_RSRC2:TGID_Y_EN: 0
; COMPUTE_PGM_RSRC2:TGID_Z_EN: 0
; COMPUTE_PGM_RSRC2:TIDIG_COMP_CNT: 1
	.section	.text._ZN12_GLOBAL__N_120softmax_warp_forwardIN3c108BFloat16ES2_fLi0ELb0ELb1ELi32EEEvPT0_PKT_iiiPKbib,"axG",@progbits,_ZN12_GLOBAL__N_120softmax_warp_forwardIN3c108BFloat16ES2_fLi0ELb0ELb1ELi32EEEvPT0_PKT_iiiPKbib,comdat
	.globl	_ZN12_GLOBAL__N_120softmax_warp_forwardIN3c108BFloat16ES2_fLi0ELb0ELb1ELi32EEEvPT0_PKT_iiiPKbib ; -- Begin function _ZN12_GLOBAL__N_120softmax_warp_forwardIN3c108BFloat16ES2_fLi0ELb0ELb1ELi32EEEvPT0_PKT_iiiPKbib
	.p2align	8
	.type	_ZN12_GLOBAL__N_120softmax_warp_forwardIN3c108BFloat16ES2_fLi0ELb0ELb1ELi32EEEvPT0_PKT_iiiPKbib,@function
_ZN12_GLOBAL__N_120softmax_warp_forwardIN3c108BFloat16ES2_fLi0ELb0ELb1ELi32EEEvPT0_PKT_iiiPKbib: ; @_ZN12_GLOBAL__N_120softmax_warp_forwardIN3c108BFloat16ES2_fLi0ELb0ELb1ELi32EEEvPT0_PKT_iiiPKbib
; %bb.0:
	s_clause 0x2
	s_load_b64 s[2:3], s[0:1], 0x28
	s_load_b32 s8, s[0:1], 0x3c
	s_load_b128 s[4:7], s[0:1], 0x10
	v_bfe_u32 v1, v0, 10, 10
	v_and_b32_e32 v4, 0x3ff, v0
	s_waitcnt lgkmcnt(0)
	s_bitcmp1_b32 s3, 0
	s_cselect_b32 s12, -1, 0
	s_lshr_b32 s7, s8, 16
	s_bitcmp0_b32 s3, 0
	s_mul_i32 s15, s15, s7
	s_delay_alu instid0(SALU_CYCLE_1) | instskip(NEXT) | instid1(VALU_DEP_1)
	v_add_lshl_u32 v5, s15, v1, 1
	v_mul_lo_u32 v6, v5, s5
	s_delay_alu instid0(VALU_DEP_1) | instskip(NEXT) | instid1(VALU_DEP_1)
	v_add_nc_u32_e32 v0, v6, v4
	v_ashrrev_i32_e32 v1, 31, v0
	s_delay_alu instid0(VALU_DEP_1)
	v_dual_mov_b32 v3, v1 :: v_dual_mov_b32 v2, v0
	s_cbranch_scc1 .LBB745_2
; %bb.1:
	s_abs_i32 s3, s2
	v_sub_nc_u32_e32 v7, 0, v6
	v_cvt_f32_u32_e32 v2, s3
	s_sub_i32 s7, 0, s3
	s_delay_alu instid0(VALU_DEP_2) | instskip(NEXT) | instid1(VALU_DEP_2)
	v_max_i32_e32 v7, v6, v7
	v_rcp_iflag_f32_e32 v2, v2
	v_xor_b32_e32 v6, s2, v6
	s_delay_alu instid0(VALU_DEP_1) | instskip(SKIP_2) | instid1(VALU_DEP_1)
	v_ashrrev_i32_e32 v6, 31, v6
	s_waitcnt_depctr 0xfff
	v_mul_f32_e32 v2, 0x4f7ffffe, v2
	v_cvt_u32_f32_e32 v2, v2
	s_delay_alu instid0(VALU_DEP_1) | instskip(NEXT) | instid1(VALU_DEP_1)
	v_mul_lo_u32 v3, s7, v2
	v_mul_hi_u32 v3, v2, v3
	s_delay_alu instid0(VALU_DEP_1) | instskip(NEXT) | instid1(VALU_DEP_1)
	v_add_nc_u32_e32 v2, v2, v3
	v_mul_hi_u32 v2, v7, v2
	s_delay_alu instid0(VALU_DEP_1) | instskip(NEXT) | instid1(VALU_DEP_1)
	v_mul_lo_u32 v3, v2, s3
	v_sub_nc_u32_e32 v3, v7, v3
	v_add_nc_u32_e32 v7, 1, v2
	s_delay_alu instid0(VALU_DEP_2) | instskip(SKIP_1) | instid1(VALU_DEP_2)
	v_subrev_nc_u32_e32 v8, s3, v3
	v_cmp_le_u32_e32 vcc_lo, s3, v3
	v_dual_cndmask_b32 v3, v3, v8 :: v_dual_cndmask_b32 v2, v2, v7
	s_delay_alu instid0(VALU_DEP_1) | instskip(NEXT) | instid1(VALU_DEP_2)
	v_cmp_le_u32_e32 vcc_lo, s3, v3
	v_add_nc_u32_e32 v7, 1, v2
	s_delay_alu instid0(VALU_DEP_1) | instskip(NEXT) | instid1(VALU_DEP_1)
	v_cndmask_b32_e32 v2, v2, v7, vcc_lo
	v_xor_b32_e32 v2, v2, v6
	s_delay_alu instid0(VALU_DEP_1) | instskip(NEXT) | instid1(VALU_DEP_1)
	v_sub_nc_u32_e32 v6, v2, v6
	v_mad_u64_u32 v[2:3], null, v6, s5, v[4:5]
	s_delay_alu instid0(VALU_DEP_1)
	v_ashrrev_i32_e32 v3, 31, v2
.LBB745_2:
	s_load_b128 s[8:11], s[0:1], 0x0
	v_lshlrev_b64 v[0:1], 1, v[0:1]
	v_sub_nc_u32_e32 v6, s4, v5
	v_cmp_gt_i32_e64 s2, s6, v4
	v_mov_b32_e32 v7, 0xff800000
	v_mov_b32_e32 v9, 0xff800000
	s_delay_alu instid0(VALU_DEP_4) | instskip(SKIP_2) | instid1(VALU_DEP_1)
	v_cmp_lt_i32_e32 vcc_lo, 0, v6
	s_waitcnt lgkmcnt(0)
	v_add_co_u32 v4, s3, s10, v0
	v_add_co_ci_u32_e64 v5, s3, s11, v1, s3
	s_and_b32 s11, s2, vcc_lo
	s_delay_alu instid0(SALU_CYCLE_1)
	s_and_saveexec_b32 s3, s11
	s_cbranch_execz .LBB745_4
; %bb.3:
	global_load_u16 v8, v[4:5], off
	s_waitcnt vmcnt(0)
	v_lshlrev_b32_e32 v9, 16, v8
.LBB745_4:
	s_or_b32 exec_lo, exec_lo, s3
	v_cmp_lt_i32_e64 s3, 1, v6
	s_delay_alu instid0(VALU_DEP_1) | instskip(NEXT) | instid1(SALU_CYCLE_1)
	s_and_b32 s10, s2, s3
	s_and_saveexec_b32 s4, s10
	s_cbranch_execz .LBB745_6
; %bb.5:
	s_mov_b32 s7, 0
	s_delay_alu instid0(SALU_CYCLE_1) | instskip(NEXT) | instid1(SALU_CYCLE_1)
	s_lshl_b64 s[14:15], s[6:7], 1
	v_add_co_u32 v4, s3, v4, s14
	s_delay_alu instid0(VALU_DEP_1)
	v_add_co_ci_u32_e64 v5, s3, s15, v5, s3
	global_load_u16 v4, v[4:5], off
	s_waitcnt vmcnt(0)
	v_lshlrev_b32_e32 v7, 16, v4
.LBB745_6:
	s_or_b32 exec_lo, exec_lo, s4
	s_load_b64 s[0:1], s[0:1], 0x20
	s_waitcnt lgkmcnt(0)
	v_add_co_u32 v4, s0, s0, v2
	s_delay_alu instid0(VALU_DEP_1)
	v_add_co_ci_u32_e64 v5, s0, s1, v3, s0
	v_mov_b32_e32 v2, 0xff800000
	s_and_saveexec_b32 s1, s11
	s_cbranch_execz .LBB745_8
; %bb.7:
	global_load_u8 v2, v[4:5], off
	s_waitcnt vmcnt(0)
	v_and_b32_e32 v2, 1, v2
	s_delay_alu instid0(VALU_DEP_1) | instskip(NEXT) | instid1(VALU_DEP_1)
	v_cmp_eq_u32_e64 s0, 1, v2
	v_cndmask_b32_e64 v2, v9, 0xff800000, s0
.LBB745_8:
	s_or_b32 exec_lo, exec_lo, s1
	s_mov_b32 s4, 0
	s_mov_b32 s0, 0
	s_and_saveexec_b32 s1, s10
	s_cbranch_execz .LBB745_10
; %bb.9:
	s_and_b32 s0, s12, exec_lo
	s_cselect_b32 s0, 0, s6
	s_cselect_b32 s3, 0, 0
	v_add_co_u32 v10, s0, v4, s0
	s_delay_alu instid0(VALU_DEP_1) | instskip(SKIP_3) | instid1(VALU_DEP_1)
	v_add_co_ci_u32_e64 v11, s0, s3, v5, s0
	global_load_u8 v3, v[10:11], off
	s_waitcnt vmcnt(0)
	v_and_b32_e32 v3, 1, v3
	v_cmp_eq_u32_e64 s0, 1, v3
	s_delay_alu instid0(VALU_DEP_1) | instskip(NEXT) | instid1(SALU_CYCLE_1)
	s_xor_b32 s0, s0, -1
	s_and_b32 s0, s0, exec_lo
.LBB745_10:
	s_or_b32 exec_lo, exec_lo, s1
	s_mov_b32 s5, s4
	v_cndmask_b32_e64 v12, v2, v2, s0
	v_mov_b32_e32 v2, s4
	v_cndmask_b32_e64 v11, 0xff800000, v7, s0
	v_dual_mov_b32 v8, 0 :: v_dual_mov_b32 v3, s5
	v_mov_b32_e32 v10, 0
	s_and_saveexec_b32 s1, s11
	s_cbranch_execnz .LBB745_14
; %bb.11:
	s_or_b32 exec_lo, exec_lo, s1
	s_and_saveexec_b32 s1, s10
	s_cbranch_execnz .LBB745_17
.LBB745_12:
	s_or_b32 exec_lo, exec_lo, s1
	s_and_saveexec_b32 s0, vcc_lo
	s_cbranch_execnz .LBB745_20
.LBB745_13:
	s_nop 0
	s_sendmsg sendmsg(MSG_DEALLOC_VGPRS)
	s_endpgm
.LBB745_14:
	global_load_u8 v2, v[4:5], off
	s_mov_b32 s5, s4
	v_mov_b32_e32 v10, 0
	s_waitcnt vmcnt(0)
	v_and_b32_e32 v2, 1, v2
	s_delay_alu instid0(VALU_DEP_1) | instskip(SKIP_1) | instid1(VALU_DEP_2)
	v_cmp_eq_u32_e64 s0, 1, v2
	v_dual_mov_b32 v2, s4 :: v_dual_mov_b32 v3, s5
	s_xor_b32 s0, s0, -1
	s_delay_alu instid0(SALU_CYCLE_1)
	s_and_saveexec_b32 s3, s0
	s_cbranch_execz .LBB745_16
; %bb.15:
	v_sub_f32_e32 v2, v9, v12
	s_delay_alu instid0(VALU_DEP_1) | instskip(NEXT) | instid1(VALU_DEP_1)
	v_mul_f32_e32 v3, 0x3fb8aa3b, v2
	v_fma_f32 v9, 0x3fb8aa3b, v2, -v3
	v_rndne_f32_e32 v10, v3
	s_delay_alu instid0(VALU_DEP_1) | instskip(NEXT) | instid1(VALU_DEP_3)
	v_sub_f32_e32 v3, v3, v10
	v_fmamk_f32 v9, v2, 0x32a5705f, v9
	v_cmp_ngt_f32_e64 s0, 0xc2ce8ed0, v2
	s_delay_alu instid0(VALU_DEP_2) | instskip(SKIP_1) | instid1(VALU_DEP_2)
	v_add_f32_e32 v3, v3, v9
	v_cvt_i32_f32_e32 v9, v10
	v_exp_f32_e32 v3, v3
	s_waitcnt_depctr 0xfff
	v_ldexp_f32 v3, v3, v9
	s_delay_alu instid0(VALU_DEP_1) | instskip(SKIP_1) | instid1(VALU_DEP_1)
	v_cndmask_b32_e64 v3, 0, v3, s0
	v_cmp_nlt_f32_e64 s0, 0x42b17218, v2
	v_cndmask_b32_e64 v2, 0x7f800000, v3, s0
	s_delay_alu instid0(VALU_DEP_1)
	v_dual_mov_b32 v3, 0 :: v_dual_mov_b32 v10, v2
.LBB745_16:
	s_or_b32 exec_lo, exec_lo, s3
	s_delay_alu instid0(SALU_CYCLE_1)
	s_or_b32 exec_lo, exec_lo, s1
	s_and_saveexec_b32 s1, s10
	s_cbranch_execz .LBB745_12
.LBB745_17:
	s_and_b32 s0, s12, exec_lo
	s_cselect_b32 s0, 0, s6
	s_cselect_b32 s3, 0, 0
	v_add_co_u32 v4, s0, v4, s0
	s_delay_alu instid0(VALU_DEP_1) | instskip(SKIP_4) | instid1(VALU_DEP_1)
	v_add_co_ci_u32_e64 v5, s0, s3, v5, s0
	v_mov_b32_e32 v8, 0
	global_load_u8 v4, v[4:5], off
	s_waitcnt vmcnt(0)
	v_and_b32_e32 v4, 1, v4
	v_cmp_eq_u32_e64 s0, 1, v4
	s_delay_alu instid0(VALU_DEP_1) | instskip(NEXT) | instid1(SALU_CYCLE_1)
	s_xor_b32 s0, s0, -1
	s_and_saveexec_b32 s3, s0
	s_cbranch_execz .LBB745_19
; %bb.18:
	v_sub_f32_e32 v4, v7, v11
	s_delay_alu instid0(VALU_DEP_1) | instskip(NEXT) | instid1(VALU_DEP_1)
	v_mul_f32_e32 v5, 0x3fb8aa3b, v4
	v_fma_f32 v7, 0x3fb8aa3b, v4, -v5
	v_rndne_f32_e32 v8, v5
	s_delay_alu instid0(VALU_DEP_1) | instskip(NEXT) | instid1(VALU_DEP_3)
	v_sub_f32_e32 v5, v5, v8
	v_fmamk_f32 v7, v4, 0x32a5705f, v7
	v_cmp_ngt_f32_e64 s0, 0xc2ce8ed0, v4
	s_delay_alu instid0(VALU_DEP_2) | instskip(SKIP_1) | instid1(VALU_DEP_2)
	v_add_f32_e32 v5, v5, v7
	v_cvt_i32_f32_e32 v7, v8
	v_exp_f32_e32 v5, v5
	s_waitcnt_depctr 0xfff
	v_ldexp_f32 v5, v5, v7
	s_delay_alu instid0(VALU_DEP_1) | instskip(SKIP_1) | instid1(VALU_DEP_1)
	v_cndmask_b32_e64 v5, 0, v5, s0
	v_cmp_nlt_f32_e64 s0, 0x42b17218, v4
	v_cndmask_b32_e64 v8, 0x7f800000, v5, s0
	s_delay_alu instid0(VALU_DEP_1)
	v_add_f32_e32 v3, v3, v8
.LBB745_19:
	s_or_b32 exec_lo, exec_lo, s3
	s_delay_alu instid0(SALU_CYCLE_1)
	s_or_b32 exec_lo, exec_lo, s1
	s_and_saveexec_b32 s0, vcc_lo
	s_cbranch_execz .LBB745_13
.LBB745_20:
	v_add_co_u32 v0, vcc_lo, s8, v0
	v_add_co_ci_u32_e32 v1, vcc_lo, s9, v1, vcc_lo
	s_and_saveexec_b32 s0, s2
	s_cbranch_execz .LBB745_24
; %bb.21:
	v_mov_b32_e32 v4, 0x7fc0
	s_mov_b32 s1, exec_lo
	v_cmpx_neq_f32_e32 0, v2
	s_cbranch_execz .LBB745_23
; %bb.22:
	v_div_scale_f32 v4, null, v2, v2, v10
	s_delay_alu instid0(VALU_DEP_1) | instskip(SKIP_2) | instid1(VALU_DEP_1)
	v_rcp_f32_e32 v5, v4
	s_waitcnt_depctr 0xfff
	v_fma_f32 v7, -v4, v5, 1.0
	v_fmac_f32_e32 v5, v7, v5
	v_div_scale_f32 v7, vcc_lo, v10, v2, v10
	s_delay_alu instid0(VALU_DEP_1) | instskip(NEXT) | instid1(VALU_DEP_1)
	v_mul_f32_e32 v9, v7, v5
	v_fma_f32 v11, -v4, v9, v7
	s_delay_alu instid0(VALU_DEP_1) | instskip(NEXT) | instid1(VALU_DEP_1)
	v_fmac_f32_e32 v9, v11, v5
	v_fma_f32 v4, -v4, v9, v7
	s_delay_alu instid0(VALU_DEP_1) | instskip(NEXT) | instid1(VALU_DEP_1)
	v_div_fmas_f32 v4, v4, v5, v9
	v_div_fixup_f32 v2, v4, v2, v10
	s_delay_alu instid0(VALU_DEP_1) | instskip(SKIP_1) | instid1(VALU_DEP_2)
	v_bfe_u32 v4, v2, 16, 1
	v_cmp_o_f32_e32 vcc_lo, v2, v2
	v_add3_u32 v4, v2, v4, 0x7fff
	s_delay_alu instid0(VALU_DEP_1) | instskip(NEXT) | instid1(VALU_DEP_1)
	v_lshrrev_b32_e32 v4, 16, v4
	v_cndmask_b32_e32 v4, 0x7fc0, v4, vcc_lo
.LBB745_23:
	s_or_b32 exec_lo, exec_lo, s1
	global_store_b16 v[0:1], v4, off
.LBB745_24:
	s_or_b32 exec_lo, exec_lo, s0
	v_cmp_ne_u32_e32 vcc_lo, 1, v6
	s_and_b32 exec_lo, exec_lo, vcc_lo
	s_cbranch_execz .LBB745_13
; %bb.25:
	s_and_b32 exec_lo, exec_lo, s2
	s_cbranch_execz .LBB745_13
; %bb.26:
	v_div_scale_f32 v2, null, v3, v3, v8
	v_div_scale_f32 v6, vcc_lo, v8, v3, v8
	s_mov_b32 s7, 0
	s_delay_alu instid0(VALU_DEP_2) | instskip(SKIP_1) | instid1(SALU_CYCLE_1)
	v_rcp_f32_e32 v4, v2
	s_lshl_b64 s[2:3], s[6:7], 1
	v_add_co_u32 v0, s1, v0, s2
	s_delay_alu instid0(VALU_DEP_1) | instskip(SKIP_2) | instid1(VALU_DEP_1)
	v_add_co_ci_u32_e64 v1, s1, s3, v1, s1
	s_waitcnt_depctr 0xfff
	v_fma_f32 v5, -v2, v4, 1.0
	v_fmac_f32_e32 v4, v5, v4
	s_delay_alu instid0(VALU_DEP_1) | instskip(NEXT) | instid1(VALU_DEP_1)
	v_mul_f32_e32 v5, v6, v4
	v_fma_f32 v7, -v2, v5, v6
	s_delay_alu instid0(VALU_DEP_1) | instskip(NEXT) | instid1(VALU_DEP_1)
	v_fmac_f32_e32 v5, v7, v4
	v_fma_f32 v2, -v2, v5, v6
	s_delay_alu instid0(VALU_DEP_1) | instskip(SKIP_1) | instid1(VALU_DEP_2)
	v_div_fmas_f32 v2, v2, v4, v5
	v_cmp_eq_f32_e32 vcc_lo, 0, v3
	v_div_fixup_f32 v2, v2, v3, v8
	s_delay_alu instid0(VALU_DEP_1) | instskip(SKIP_1) | instid1(VALU_DEP_2)
	v_bfe_u32 v4, v2, 16, 1
	v_cmp_u_f32_e64 s0, v2, v2
	v_add3_u32 v4, v2, v4, 0x7fff
	s_delay_alu instid0(VALU_DEP_2) | instskip(NEXT) | instid1(VALU_DEP_1)
	s_or_b32 s0, vcc_lo, s0
	v_lshrrev_b32_e32 v2, 16, v4
	s_delay_alu instid0(VALU_DEP_1)
	v_cndmask_b32_e64 v2, v2, 0x7fc0, s0
	global_store_b16 v[0:1], v2, off
	s_nop 0
	s_sendmsg sendmsg(MSG_DEALLOC_VGPRS)
	s_endpgm
	.section	.rodata,"a",@progbits
	.p2align	6, 0x0
	.amdhsa_kernel _ZN12_GLOBAL__N_120softmax_warp_forwardIN3c108BFloat16ES2_fLi0ELb0ELb1ELi32EEEvPT0_PKT_iiiPKbib
		.amdhsa_group_segment_fixed_size 0
		.amdhsa_private_segment_fixed_size 0
		.amdhsa_kernarg_size 304
		.amdhsa_user_sgpr_count 15
		.amdhsa_user_sgpr_dispatch_ptr 0
		.amdhsa_user_sgpr_queue_ptr 0
		.amdhsa_user_sgpr_kernarg_segment_ptr 1
		.amdhsa_user_sgpr_dispatch_id 0
		.amdhsa_user_sgpr_private_segment_size 0
		.amdhsa_wavefront_size32 1
		.amdhsa_uses_dynamic_stack 0
		.amdhsa_enable_private_segment 0
		.amdhsa_system_sgpr_workgroup_id_x 1
		.amdhsa_system_sgpr_workgroup_id_y 0
		.amdhsa_system_sgpr_workgroup_id_z 0
		.amdhsa_system_sgpr_workgroup_info 0
		.amdhsa_system_vgpr_workitem_id 1
		.amdhsa_next_free_vgpr 13
		.amdhsa_next_free_sgpr 16
		.amdhsa_reserve_vcc 1
		.amdhsa_float_round_mode_32 0
		.amdhsa_float_round_mode_16_64 0
		.amdhsa_float_denorm_mode_32 3
		.amdhsa_float_denorm_mode_16_64 3
		.amdhsa_dx10_clamp 1
		.amdhsa_ieee_mode 1
		.amdhsa_fp16_overflow 0
		.amdhsa_workgroup_processor_mode 1
		.amdhsa_memory_ordered 1
		.amdhsa_forward_progress 0
		.amdhsa_shared_vgpr_count 0
		.amdhsa_exception_fp_ieee_invalid_op 0
		.amdhsa_exception_fp_denorm_src 0
		.amdhsa_exception_fp_ieee_div_zero 0
		.amdhsa_exception_fp_ieee_overflow 0
		.amdhsa_exception_fp_ieee_underflow 0
		.amdhsa_exception_fp_ieee_inexact 0
		.amdhsa_exception_int_div_zero 0
	.end_amdhsa_kernel
	.section	.text._ZN12_GLOBAL__N_120softmax_warp_forwardIN3c108BFloat16ES2_fLi0ELb0ELb1ELi32EEEvPT0_PKT_iiiPKbib,"axG",@progbits,_ZN12_GLOBAL__N_120softmax_warp_forwardIN3c108BFloat16ES2_fLi0ELb0ELb1ELi32EEEvPT0_PKT_iiiPKbib,comdat
.Lfunc_end745:
	.size	_ZN12_GLOBAL__N_120softmax_warp_forwardIN3c108BFloat16ES2_fLi0ELb0ELb1ELi32EEEvPT0_PKT_iiiPKbib, .Lfunc_end745-_ZN12_GLOBAL__N_120softmax_warp_forwardIN3c108BFloat16ES2_fLi0ELb0ELb1ELi32EEEvPT0_PKT_iiiPKbib
                                        ; -- End function
	.section	.AMDGPU.csdata,"",@progbits
; Kernel info:
; codeLenInByte = 1604
; NumSgprs: 18
; NumVgprs: 13
; ScratchSize: 0
; MemoryBound: 0
; FloatMode: 240
; IeeeMode: 1
; LDSByteSize: 0 bytes/workgroup (compile time only)
; SGPRBlocks: 2
; VGPRBlocks: 1
; NumSGPRsForWavesPerEU: 18
; NumVGPRsForWavesPerEU: 13
; Occupancy: 16
; WaveLimiterHint : 0
; COMPUTE_PGM_RSRC2:SCRATCH_EN: 0
; COMPUTE_PGM_RSRC2:USER_SGPR: 15
; COMPUTE_PGM_RSRC2:TRAP_HANDLER: 0
; COMPUTE_PGM_RSRC2:TGID_X_EN: 1
; COMPUTE_PGM_RSRC2:TGID_Y_EN: 0
; COMPUTE_PGM_RSRC2:TGID_Z_EN: 0
; COMPUTE_PGM_RSRC2:TIDIG_COMP_CNT: 1
	.section	.text._ZN12_GLOBAL__N_120softmax_warp_forwardIN3c108BFloat16ES2_fLi1ELb0ELb1ELi64EEEvPT0_PKT_iiiPKbib,"axG",@progbits,_ZN12_GLOBAL__N_120softmax_warp_forwardIN3c108BFloat16ES2_fLi1ELb0ELb1ELi64EEEvPT0_PKT_iiiPKbib,comdat
	.globl	_ZN12_GLOBAL__N_120softmax_warp_forwardIN3c108BFloat16ES2_fLi1ELb0ELb1ELi64EEEvPT0_PKT_iiiPKbib ; -- Begin function _ZN12_GLOBAL__N_120softmax_warp_forwardIN3c108BFloat16ES2_fLi1ELb0ELb1ELi64EEEvPT0_PKT_iiiPKbib
	.p2align	8
	.type	_ZN12_GLOBAL__N_120softmax_warp_forwardIN3c108BFloat16ES2_fLi1ELb0ELb1ELi64EEEvPT0_PKT_iiiPKbib,@function
_ZN12_GLOBAL__N_120softmax_warp_forwardIN3c108BFloat16ES2_fLi1ELb0ELb1ELi64EEEvPT0_PKT_iiiPKbib: ; @_ZN12_GLOBAL__N_120softmax_warp_forwardIN3c108BFloat16ES2_fLi1ELb0ELb1ELi64EEEvPT0_PKT_iiiPKbib
; %bb.0:
	s_clause 0x2
	s_load_b64 s[2:3], s[0:1], 0x28
	s_load_b32 s8, s[0:1], 0x3c
	s_load_b128 s[4:7], s[0:1], 0x10
	v_bfe_u32 v1, v0, 10, 10
	v_and_b32_e32 v4, 0x3ff, v0
	s_waitcnt lgkmcnt(0)
	s_bitcmp1_b32 s3, 0
	s_cselect_b32 s12, -1, 0
	s_lshr_b32 s7, s8, 16
	s_bitcmp0_b32 s3, 0
	s_mul_i32 s15, s15, s7
	s_delay_alu instid0(SALU_CYCLE_1) | instskip(NEXT) | instid1(VALU_DEP_1)
	v_add_lshl_u32 v5, s15, v1, 1
	v_mul_lo_u32 v6, v5, s5
	s_delay_alu instid0(VALU_DEP_1) | instskip(NEXT) | instid1(VALU_DEP_1)
	v_add_nc_u32_e32 v0, v6, v4
	v_ashrrev_i32_e32 v1, 31, v0
	s_delay_alu instid0(VALU_DEP_1)
	v_dual_mov_b32 v3, v1 :: v_dual_mov_b32 v2, v0
	s_cbranch_scc1 .LBB746_2
; %bb.1:
	s_abs_i32 s3, s2
	v_sub_nc_u32_e32 v7, 0, v6
	v_cvt_f32_u32_e32 v2, s3
	s_sub_i32 s7, 0, s3
	s_delay_alu instid0(VALU_DEP_2) | instskip(NEXT) | instid1(VALU_DEP_2)
	v_max_i32_e32 v7, v6, v7
	v_rcp_iflag_f32_e32 v2, v2
	v_xor_b32_e32 v6, s2, v6
	s_delay_alu instid0(VALU_DEP_1) | instskip(SKIP_2) | instid1(VALU_DEP_1)
	v_ashrrev_i32_e32 v6, 31, v6
	s_waitcnt_depctr 0xfff
	v_mul_f32_e32 v2, 0x4f7ffffe, v2
	v_cvt_u32_f32_e32 v2, v2
	s_delay_alu instid0(VALU_DEP_1) | instskip(NEXT) | instid1(VALU_DEP_1)
	v_mul_lo_u32 v3, s7, v2
	v_mul_hi_u32 v3, v2, v3
	s_delay_alu instid0(VALU_DEP_1) | instskip(NEXT) | instid1(VALU_DEP_1)
	v_add_nc_u32_e32 v2, v2, v3
	v_mul_hi_u32 v2, v7, v2
	s_delay_alu instid0(VALU_DEP_1) | instskip(NEXT) | instid1(VALU_DEP_1)
	v_mul_lo_u32 v3, v2, s3
	v_sub_nc_u32_e32 v3, v7, v3
	v_add_nc_u32_e32 v7, 1, v2
	s_delay_alu instid0(VALU_DEP_2) | instskip(SKIP_1) | instid1(VALU_DEP_2)
	v_subrev_nc_u32_e32 v8, s3, v3
	v_cmp_le_u32_e32 vcc_lo, s3, v3
	v_dual_cndmask_b32 v3, v3, v8 :: v_dual_cndmask_b32 v2, v2, v7
	s_delay_alu instid0(VALU_DEP_1) | instskip(NEXT) | instid1(VALU_DEP_2)
	v_cmp_le_u32_e32 vcc_lo, s3, v3
	v_add_nc_u32_e32 v7, 1, v2
	s_delay_alu instid0(VALU_DEP_1) | instskip(NEXT) | instid1(VALU_DEP_1)
	v_cndmask_b32_e32 v2, v2, v7, vcc_lo
	v_xor_b32_e32 v2, v2, v6
	s_delay_alu instid0(VALU_DEP_1) | instskip(NEXT) | instid1(VALU_DEP_1)
	v_sub_nc_u32_e32 v6, v2, v6
	v_mad_u64_u32 v[2:3], null, v6, s5, v[4:5]
	s_delay_alu instid0(VALU_DEP_1)
	v_ashrrev_i32_e32 v3, 31, v2
.LBB746_2:
	s_load_b128 s[8:11], s[0:1], 0x0
	v_lshlrev_b64 v[0:1], 1, v[0:1]
	v_sub_nc_u32_e32 v6, s4, v5
	v_cmp_gt_i32_e64 s2, s6, v4
	v_mov_b32_e32 v7, 0xff800000
	v_mov_b32_e32 v9, 0xff800000
	s_delay_alu instid0(VALU_DEP_4) | instskip(SKIP_2) | instid1(VALU_DEP_1)
	v_cmp_lt_i32_e32 vcc_lo, 0, v6
	s_waitcnt lgkmcnt(0)
	v_add_co_u32 v4, s3, s10, v0
	v_add_co_ci_u32_e64 v5, s3, s11, v1, s3
	s_and_b32 s11, s2, vcc_lo
	s_delay_alu instid0(SALU_CYCLE_1)
	s_and_saveexec_b32 s3, s11
	s_cbranch_execz .LBB746_4
; %bb.3:
	global_load_u16 v8, v[4:5], off
	s_waitcnt vmcnt(0)
	v_lshlrev_b32_e32 v9, 16, v8
.LBB746_4:
	s_or_b32 exec_lo, exec_lo, s3
	v_cmp_lt_i32_e64 s3, 1, v6
	s_delay_alu instid0(VALU_DEP_1) | instskip(NEXT) | instid1(SALU_CYCLE_1)
	s_and_b32 s10, s2, s3
	s_and_saveexec_b32 s4, s10
	s_cbranch_execz .LBB746_6
; %bb.5:
	s_mov_b32 s7, 0
	s_delay_alu instid0(SALU_CYCLE_1) | instskip(NEXT) | instid1(SALU_CYCLE_1)
	s_lshl_b64 s[14:15], s[6:7], 1
	v_add_co_u32 v4, s3, v4, s14
	s_delay_alu instid0(VALU_DEP_1)
	v_add_co_ci_u32_e64 v5, s3, s15, v5, s3
	global_load_u16 v4, v[4:5], off
	s_waitcnt vmcnt(0)
	v_lshlrev_b32_e32 v7, 16, v4
.LBB746_6:
	s_or_b32 exec_lo, exec_lo, s4
	s_load_b64 s[0:1], s[0:1], 0x20
	s_waitcnt lgkmcnt(0)
	v_add_co_u32 v4, s0, s0, v2
	s_delay_alu instid0(VALU_DEP_1)
	v_add_co_ci_u32_e64 v5, s0, s1, v3, s0
	v_mov_b32_e32 v2, 0xff800000
	s_and_saveexec_b32 s1, s11
	s_cbranch_execz .LBB746_8
; %bb.7:
	global_load_u8 v2, v[4:5], off
	s_waitcnt vmcnt(0)
	v_and_b32_e32 v2, 1, v2
	s_delay_alu instid0(VALU_DEP_1) | instskip(NEXT) | instid1(VALU_DEP_1)
	v_cmp_eq_u32_e64 s0, 1, v2
	v_cndmask_b32_e64 v2, v9, 0xff800000, s0
.LBB746_8:
	s_or_b32 exec_lo, exec_lo, s1
	s_mov_b32 s4, 0
	s_mov_b32 s1, 0
	s_and_saveexec_b32 s3, s10
	s_cbranch_execz .LBB746_10
; %bb.9:
	s_and_b32 s0, s12, exec_lo
	s_cselect_b32 s0, 0, s6
	s_cselect_b32 s1, 0, 0
	v_add_co_u32 v10, s0, v4, s0
	s_delay_alu instid0(VALU_DEP_1) | instskip(SKIP_3) | instid1(VALU_DEP_1)
	v_add_co_ci_u32_e64 v11, s0, s1, v5, s0
	global_load_u8 v3, v[10:11], off
	s_waitcnt vmcnt(0)
	v_and_b32_e32 v3, 1, v3
	v_cmp_eq_u32_e64 s0, 1, v3
	s_delay_alu instid0(VALU_DEP_1) | instskip(NEXT) | instid1(SALU_CYCLE_1)
	s_xor_b32 s0, s0, -1
	s_and_b32 s1, s0, exec_lo
.LBB746_10:
	s_or_b32 exec_lo, exec_lo, s3
	v_mbcnt_lo_u32_b32 v3, -1, 0
	s_mov_b32 s5, s4
	v_cndmask_b32_e64 v14, v2, v2, s1
	v_cndmask_b32_e64 v12, 0xff800000, v7, s1
	s_delay_alu instid0(VALU_DEP_3) | instskip(SKIP_1) | instid1(VALU_DEP_2)
	v_dual_mov_b32 v11, 0 :: v_dual_and_b32 v8, 30, v3
	v_xor_b32_e32 v10, 1, v3
	v_add_nc_u32_e32 v8, 2, v8
	s_delay_alu instid0(VALU_DEP_1) | instskip(SKIP_1) | instid1(VALU_DEP_2)
	v_cmp_lt_i32_e64 s0, v10, v8
	v_mov_b32_e32 v8, 0
	v_cndmask_b32_e64 v3, v3, v10, s0
	s_delay_alu instid0(VALU_DEP_1)
	v_lshlrev_b32_e32 v10, 2, v3
	v_dual_mov_b32 v2, s4 :: v_dual_mov_b32 v3, s5
	ds_bpermute_b32 v15, v10, v14
	ds_bpermute_b32 v13, v10, v12
	s_and_saveexec_b32 s1, s11
	s_cbranch_execz .LBB746_14
; %bb.11:
	global_load_u8 v2, v[4:5], off
	s_mov_b32 s5, s4
	s_waitcnt vmcnt(0)
	v_dual_mov_b32 v11, 0 :: v_dual_and_b32 v2, 1, v2
	s_delay_alu instid0(VALU_DEP_1) | instskip(SKIP_1) | instid1(VALU_DEP_2)
	v_cmp_eq_u32_e64 s0, 1, v2
	v_dual_mov_b32 v2, s4 :: v_dual_mov_b32 v3, s5
	s_xor_b32 s0, s0, -1
	s_delay_alu instid0(SALU_CYCLE_1)
	s_and_saveexec_b32 s3, s0
	s_cbranch_execz .LBB746_13
; %bb.12:
	s_waitcnt lgkmcnt(1)
	v_cmp_lt_f32_e64 s0, v14, v15
	s_delay_alu instid0(VALU_DEP_1) | instskip(NEXT) | instid1(VALU_DEP_1)
	v_cndmask_b32_e64 v2, v14, v15, s0
	v_sub_f32_e32 v2, v9, v2
	s_delay_alu instid0(VALU_DEP_1) | instskip(NEXT) | instid1(VALU_DEP_1)
	v_mul_f32_e32 v3, 0x3fb8aa3b, v2
	v_fma_f32 v9, 0x3fb8aa3b, v2, -v3
	v_rndne_f32_e32 v11, v3
	s_delay_alu instid0(VALU_DEP_1) | instskip(NEXT) | instid1(VALU_DEP_3)
	v_sub_f32_e32 v3, v3, v11
	v_fmamk_f32 v9, v2, 0x32a5705f, v9
	v_cmp_ngt_f32_e64 s0, 0xc2ce8ed0, v2
	s_delay_alu instid0(VALU_DEP_2) | instskip(SKIP_1) | instid1(VALU_DEP_2)
	v_add_f32_e32 v3, v3, v9
	v_cvt_i32_f32_e32 v9, v11
	v_exp_f32_e32 v3, v3
	s_waitcnt_depctr 0xfff
	v_ldexp_f32 v3, v3, v9
	s_delay_alu instid0(VALU_DEP_1) | instskip(SKIP_1) | instid1(VALU_DEP_1)
	v_cndmask_b32_e64 v3, 0, v3, s0
	v_cmp_nlt_f32_e64 s0, 0x42b17218, v2
	v_cndmask_b32_e64 v2, 0x7f800000, v3, s0
	v_mov_b32_e32 v3, 0
	s_delay_alu instid0(VALU_DEP_2)
	v_mov_b32_e32 v11, v2
.LBB746_13:
	s_or_b32 exec_lo, exec_lo, s3
.LBB746_14:
	s_delay_alu instid0(SALU_CYCLE_1)
	s_or_b32 exec_lo, exec_lo, s1
	s_and_saveexec_b32 s1, s10
	s_cbranch_execz .LBB746_18
; %bb.15:
	s_and_b32 s0, s12, exec_lo
	s_cselect_b32 s0, 0, s6
	s_cselect_b32 s3, 0, 0
	v_add_co_u32 v4, s0, v4, s0
	s_delay_alu instid0(VALU_DEP_1) | instskip(SKIP_4) | instid1(VALU_DEP_1)
	v_add_co_ci_u32_e64 v5, s0, s3, v5, s0
	v_mov_b32_e32 v8, 0
	global_load_u8 v4, v[4:5], off
	s_waitcnt vmcnt(0)
	v_and_b32_e32 v4, 1, v4
	v_cmp_eq_u32_e64 s0, 1, v4
	s_delay_alu instid0(VALU_DEP_1) | instskip(NEXT) | instid1(SALU_CYCLE_1)
	s_xor_b32 s0, s0, -1
	s_and_saveexec_b32 s3, s0
	s_cbranch_execz .LBB746_17
; %bb.16:
	s_waitcnt lgkmcnt(0)
	v_cmp_lt_f32_e64 s0, v12, v13
	s_delay_alu instid0(VALU_DEP_1) | instskip(NEXT) | instid1(VALU_DEP_1)
	v_cndmask_b32_e64 v4, v12, v13, s0
	v_sub_f32_e32 v4, v7, v4
	s_delay_alu instid0(VALU_DEP_1) | instskip(NEXT) | instid1(VALU_DEP_1)
	v_mul_f32_e32 v5, 0x3fb8aa3b, v4
	v_fma_f32 v7, 0x3fb8aa3b, v4, -v5
	v_rndne_f32_e32 v8, v5
	s_delay_alu instid0(VALU_DEP_2) | instskip(NEXT) | instid1(VALU_DEP_2)
	v_fmamk_f32 v7, v4, 0x32a5705f, v7
	v_sub_f32_e32 v5, v5, v8
	s_delay_alu instid0(VALU_DEP_1) | instskip(SKIP_2) | instid1(VALU_DEP_3)
	v_add_f32_e32 v5, v5, v7
	v_cvt_i32_f32_e32 v7, v8
	v_cmp_ngt_f32_e64 s0, 0xc2ce8ed0, v4
	v_exp_f32_e32 v5, v5
	s_waitcnt_depctr 0xfff
	v_ldexp_f32 v5, v5, v7
	s_delay_alu instid0(VALU_DEP_1) | instskip(SKIP_1) | instid1(VALU_DEP_1)
	v_cndmask_b32_e64 v5, 0, v5, s0
	v_cmp_nlt_f32_e64 s0, 0x42b17218, v4
	v_cndmask_b32_e64 v8, 0x7f800000, v5, s0
	s_delay_alu instid0(VALU_DEP_1)
	v_add_f32_e32 v3, v3, v8
.LBB746_17:
	s_or_b32 exec_lo, exec_lo, s3
.LBB746_18:
	s_delay_alu instid0(SALU_CYCLE_1)
	s_or_b32 exec_lo, exec_lo, s1
	ds_bpermute_b32 v5, v10, v2
	ds_bpermute_b32 v4, v10, v3
	s_and_saveexec_b32 s0, vcc_lo
	s_cbranch_execz .LBB746_26
; %bb.19:
	v_add_co_u32 v0, vcc_lo, s8, v0
	v_add_co_ci_u32_e32 v1, vcc_lo, s9, v1, vcc_lo
	s_and_saveexec_b32 s0, s2
	s_cbranch_execz .LBB746_23
; %bb.20:
	s_waitcnt lgkmcnt(1)
	v_dual_add_f32 v2, v2, v5 :: v_dual_mov_b32 v5, 0x7fc0
	s_mov_b32 s1, exec_lo
	s_delay_alu instid0(VALU_DEP_1)
	v_cmpx_neq_f32_e32 0, v2
	s_cbranch_execz .LBB746_22
; %bb.21:
	v_div_scale_f32 v5, null, v2, v2, v11
	s_delay_alu instid0(VALU_DEP_1) | instskip(SKIP_2) | instid1(VALU_DEP_1)
	v_rcp_f32_e32 v7, v5
	s_waitcnt_depctr 0xfff
	v_fma_f32 v9, -v5, v7, 1.0
	v_fmac_f32_e32 v7, v9, v7
	v_div_scale_f32 v9, vcc_lo, v11, v2, v11
	s_delay_alu instid0(VALU_DEP_1) | instskip(NEXT) | instid1(VALU_DEP_1)
	v_mul_f32_e32 v10, v9, v7
	v_fma_f32 v12, -v5, v10, v9
	s_delay_alu instid0(VALU_DEP_1) | instskip(NEXT) | instid1(VALU_DEP_1)
	v_fmac_f32_e32 v10, v12, v7
	v_fma_f32 v5, -v5, v10, v9
	s_delay_alu instid0(VALU_DEP_1) | instskip(NEXT) | instid1(VALU_DEP_1)
	v_div_fmas_f32 v5, v5, v7, v10
	v_div_fixup_f32 v2, v5, v2, v11
	s_delay_alu instid0(VALU_DEP_1) | instskip(SKIP_1) | instid1(VALU_DEP_2)
	v_bfe_u32 v5, v2, 16, 1
	v_cmp_o_f32_e32 vcc_lo, v2, v2
	v_add3_u32 v5, v2, v5, 0x7fff
	s_delay_alu instid0(VALU_DEP_1) | instskip(NEXT) | instid1(VALU_DEP_1)
	v_lshrrev_b32_e32 v5, 16, v5
	v_cndmask_b32_e32 v5, 0x7fc0, v5, vcc_lo
.LBB746_22:
	s_or_b32 exec_lo, exec_lo, s1
	global_store_b16 v[0:1], v5, off
.LBB746_23:
	s_or_b32 exec_lo, exec_lo, s0
	v_cmp_ne_u32_e32 vcc_lo, 1, v6
	s_and_b32 exec_lo, exec_lo, vcc_lo
	s_cbranch_execz .LBB746_26
; %bb.24:
	s_and_b32 exec_lo, exec_lo, s2
	s_cbranch_execz .LBB746_26
; %bb.25:
	s_waitcnt lgkmcnt(0)
	v_add_f32_e32 v2, v3, v4
	s_mov_b32 s7, 0
	s_delay_alu instid0(SALU_CYCLE_1) | instskip(NEXT) | instid1(SALU_CYCLE_1)
	s_lshl_b64 s[2:3], s[6:7], 1
	v_add_co_u32 v0, s1, v0, s2
	s_delay_alu instid0(VALU_DEP_2) | instskip(SKIP_2) | instid1(VALU_DEP_3)
	v_div_scale_f32 v3, null, v2, v2, v8
	v_div_scale_f32 v6, vcc_lo, v8, v2, v8
	v_add_co_ci_u32_e64 v1, s1, s3, v1, s1
	v_rcp_f32_e32 v4, v3
	s_waitcnt_depctr 0xfff
	v_fma_f32 v5, -v3, v4, 1.0
	s_delay_alu instid0(VALU_DEP_1) | instskip(NEXT) | instid1(VALU_DEP_1)
	v_fmac_f32_e32 v4, v5, v4
	v_mul_f32_e32 v5, v6, v4
	s_delay_alu instid0(VALU_DEP_1) | instskip(NEXT) | instid1(VALU_DEP_1)
	v_fma_f32 v7, -v3, v5, v6
	v_fmac_f32_e32 v5, v7, v4
	s_delay_alu instid0(VALU_DEP_1) | instskip(NEXT) | instid1(VALU_DEP_1)
	v_fma_f32 v3, -v3, v5, v6
	v_div_fmas_f32 v3, v3, v4, v5
	v_cmp_eq_f32_e32 vcc_lo, 0, v2
	s_delay_alu instid0(VALU_DEP_2) | instskip(NEXT) | instid1(VALU_DEP_1)
	v_div_fixup_f32 v3, v3, v2, v8
	v_bfe_u32 v4, v3, 16, 1
	v_cmp_u_f32_e64 s0, v3, v3
	s_delay_alu instid0(VALU_DEP_2) | instskip(NEXT) | instid1(VALU_DEP_2)
	v_add3_u32 v4, v3, v4, 0x7fff
	s_or_b32 s0, vcc_lo, s0
	s_delay_alu instid0(VALU_DEP_1) | instskip(NEXT) | instid1(VALU_DEP_1)
	v_lshrrev_b32_e32 v2, 16, v4
	v_cndmask_b32_e64 v2, v2, 0x7fc0, s0
	global_store_b16 v[0:1], v2, off
.LBB746_26:
	s_nop 0
	s_sendmsg sendmsg(MSG_DEALLOC_VGPRS)
	s_endpgm
	.section	.rodata,"a",@progbits
	.p2align	6, 0x0
	.amdhsa_kernel _ZN12_GLOBAL__N_120softmax_warp_forwardIN3c108BFloat16ES2_fLi1ELb0ELb1ELi64EEEvPT0_PKT_iiiPKbib
		.amdhsa_group_segment_fixed_size 0
		.amdhsa_private_segment_fixed_size 0
		.amdhsa_kernarg_size 304
		.amdhsa_user_sgpr_count 15
		.amdhsa_user_sgpr_dispatch_ptr 0
		.amdhsa_user_sgpr_queue_ptr 0
		.amdhsa_user_sgpr_kernarg_segment_ptr 1
		.amdhsa_user_sgpr_dispatch_id 0
		.amdhsa_user_sgpr_private_segment_size 0
		.amdhsa_wavefront_size32 1
		.amdhsa_uses_dynamic_stack 0
		.amdhsa_enable_private_segment 0
		.amdhsa_system_sgpr_workgroup_id_x 1
		.amdhsa_system_sgpr_workgroup_id_y 0
		.amdhsa_system_sgpr_workgroup_id_z 0
		.amdhsa_system_sgpr_workgroup_info 0
		.amdhsa_system_vgpr_workitem_id 1
		.amdhsa_next_free_vgpr 16
		.amdhsa_next_free_sgpr 16
		.amdhsa_reserve_vcc 1
		.amdhsa_float_round_mode_32 0
		.amdhsa_float_round_mode_16_64 0
		.amdhsa_float_denorm_mode_32 3
		.amdhsa_float_denorm_mode_16_64 3
		.amdhsa_dx10_clamp 1
		.amdhsa_ieee_mode 1
		.amdhsa_fp16_overflow 0
		.amdhsa_workgroup_processor_mode 1
		.amdhsa_memory_ordered 1
		.amdhsa_forward_progress 0
		.amdhsa_shared_vgpr_count 0
		.amdhsa_exception_fp_ieee_invalid_op 0
		.amdhsa_exception_fp_denorm_src 0
		.amdhsa_exception_fp_ieee_div_zero 0
		.amdhsa_exception_fp_ieee_overflow 0
		.amdhsa_exception_fp_ieee_underflow 0
		.amdhsa_exception_fp_ieee_inexact 0
		.amdhsa_exception_int_div_zero 0
	.end_amdhsa_kernel
	.section	.text._ZN12_GLOBAL__N_120softmax_warp_forwardIN3c108BFloat16ES2_fLi1ELb0ELb1ELi64EEEvPT0_PKT_iiiPKbib,"axG",@progbits,_ZN12_GLOBAL__N_120softmax_warp_forwardIN3c108BFloat16ES2_fLi1ELb0ELb1ELi64EEEvPT0_PKT_iiiPKbib,comdat
.Lfunc_end746:
	.size	_ZN12_GLOBAL__N_120softmax_warp_forwardIN3c108BFloat16ES2_fLi1ELb0ELb1ELi64EEEvPT0_PKT_iiiPKbib, .Lfunc_end746-_ZN12_GLOBAL__N_120softmax_warp_forwardIN3c108BFloat16ES2_fLi1ELb0ELb1ELi64EEEvPT0_PKT_iiiPKbib
                                        ; -- End function
	.section	.AMDGPU.csdata,"",@progbits
; Kernel info:
; codeLenInByte = 1720
; NumSgprs: 18
; NumVgprs: 16
; ScratchSize: 0
; MemoryBound: 0
; FloatMode: 240
; IeeeMode: 1
; LDSByteSize: 0 bytes/workgroup (compile time only)
; SGPRBlocks: 2
; VGPRBlocks: 1
; NumSGPRsForWavesPerEU: 18
; NumVGPRsForWavesPerEU: 16
; Occupancy: 16
; WaveLimiterHint : 0
; COMPUTE_PGM_RSRC2:SCRATCH_EN: 0
; COMPUTE_PGM_RSRC2:USER_SGPR: 15
; COMPUTE_PGM_RSRC2:TRAP_HANDLER: 0
; COMPUTE_PGM_RSRC2:TGID_X_EN: 1
; COMPUTE_PGM_RSRC2:TGID_Y_EN: 0
; COMPUTE_PGM_RSRC2:TGID_Z_EN: 0
; COMPUTE_PGM_RSRC2:TIDIG_COMP_CNT: 1
	.section	.text._ZN12_GLOBAL__N_120softmax_warp_forwardIN3c108BFloat16ES2_fLi1ELb0ELb1ELi32EEEvPT0_PKT_iiiPKbib,"axG",@progbits,_ZN12_GLOBAL__N_120softmax_warp_forwardIN3c108BFloat16ES2_fLi1ELb0ELb1ELi32EEEvPT0_PKT_iiiPKbib,comdat
	.globl	_ZN12_GLOBAL__N_120softmax_warp_forwardIN3c108BFloat16ES2_fLi1ELb0ELb1ELi32EEEvPT0_PKT_iiiPKbib ; -- Begin function _ZN12_GLOBAL__N_120softmax_warp_forwardIN3c108BFloat16ES2_fLi1ELb0ELb1ELi32EEEvPT0_PKT_iiiPKbib
	.p2align	8
	.type	_ZN12_GLOBAL__N_120softmax_warp_forwardIN3c108BFloat16ES2_fLi1ELb0ELb1ELi32EEEvPT0_PKT_iiiPKbib,@function
_ZN12_GLOBAL__N_120softmax_warp_forwardIN3c108BFloat16ES2_fLi1ELb0ELb1ELi32EEEvPT0_PKT_iiiPKbib: ; @_ZN12_GLOBAL__N_120softmax_warp_forwardIN3c108BFloat16ES2_fLi1ELb0ELb1ELi32EEEvPT0_PKT_iiiPKbib
; %bb.0:
	s_clause 0x2
	s_load_b64 s[2:3], s[0:1], 0x28
	s_load_b32 s8, s[0:1], 0x3c
	s_load_b128 s[4:7], s[0:1], 0x10
	v_bfe_u32 v1, v0, 10, 10
	v_and_b32_e32 v4, 0x3ff, v0
	s_waitcnt lgkmcnt(0)
	s_bitcmp1_b32 s3, 0
	s_cselect_b32 s12, -1, 0
	s_lshr_b32 s7, s8, 16
	s_bitcmp0_b32 s3, 0
	s_mul_i32 s15, s15, s7
	s_delay_alu instid0(SALU_CYCLE_1) | instskip(NEXT) | instid1(VALU_DEP_1)
	v_add_lshl_u32 v5, s15, v1, 1
	v_mul_lo_u32 v6, v5, s5
	s_delay_alu instid0(VALU_DEP_1) | instskip(NEXT) | instid1(VALU_DEP_1)
	v_add_nc_u32_e32 v0, v6, v4
	v_ashrrev_i32_e32 v1, 31, v0
	s_delay_alu instid0(VALU_DEP_1)
	v_dual_mov_b32 v3, v1 :: v_dual_mov_b32 v2, v0
	s_cbranch_scc1 .LBB747_2
; %bb.1:
	s_abs_i32 s3, s2
	v_sub_nc_u32_e32 v7, 0, v6
	v_cvt_f32_u32_e32 v2, s3
	s_sub_i32 s7, 0, s3
	s_delay_alu instid0(VALU_DEP_2) | instskip(NEXT) | instid1(VALU_DEP_2)
	v_max_i32_e32 v7, v6, v7
	v_rcp_iflag_f32_e32 v2, v2
	v_xor_b32_e32 v6, s2, v6
	s_delay_alu instid0(VALU_DEP_1) | instskip(SKIP_2) | instid1(VALU_DEP_1)
	v_ashrrev_i32_e32 v6, 31, v6
	s_waitcnt_depctr 0xfff
	v_mul_f32_e32 v2, 0x4f7ffffe, v2
	v_cvt_u32_f32_e32 v2, v2
	s_delay_alu instid0(VALU_DEP_1) | instskip(NEXT) | instid1(VALU_DEP_1)
	v_mul_lo_u32 v3, s7, v2
	v_mul_hi_u32 v3, v2, v3
	s_delay_alu instid0(VALU_DEP_1) | instskip(NEXT) | instid1(VALU_DEP_1)
	v_add_nc_u32_e32 v2, v2, v3
	v_mul_hi_u32 v2, v7, v2
	s_delay_alu instid0(VALU_DEP_1) | instskip(NEXT) | instid1(VALU_DEP_1)
	v_mul_lo_u32 v3, v2, s3
	v_sub_nc_u32_e32 v3, v7, v3
	v_add_nc_u32_e32 v7, 1, v2
	s_delay_alu instid0(VALU_DEP_2) | instskip(SKIP_1) | instid1(VALU_DEP_2)
	v_subrev_nc_u32_e32 v8, s3, v3
	v_cmp_le_u32_e32 vcc_lo, s3, v3
	v_dual_cndmask_b32 v3, v3, v8 :: v_dual_cndmask_b32 v2, v2, v7
	s_delay_alu instid0(VALU_DEP_1) | instskip(NEXT) | instid1(VALU_DEP_2)
	v_cmp_le_u32_e32 vcc_lo, s3, v3
	v_add_nc_u32_e32 v7, 1, v2
	s_delay_alu instid0(VALU_DEP_1) | instskip(NEXT) | instid1(VALU_DEP_1)
	v_cndmask_b32_e32 v2, v2, v7, vcc_lo
	v_xor_b32_e32 v2, v2, v6
	s_delay_alu instid0(VALU_DEP_1) | instskip(NEXT) | instid1(VALU_DEP_1)
	v_sub_nc_u32_e32 v6, v2, v6
	v_mad_u64_u32 v[2:3], null, v6, s5, v[4:5]
	s_delay_alu instid0(VALU_DEP_1)
	v_ashrrev_i32_e32 v3, 31, v2
.LBB747_2:
	s_load_b128 s[8:11], s[0:1], 0x0
	v_lshlrev_b64 v[0:1], 1, v[0:1]
	v_sub_nc_u32_e32 v6, s4, v5
	v_cmp_gt_i32_e64 s2, s6, v4
	v_mov_b32_e32 v7, 0xff800000
	v_mov_b32_e32 v9, 0xff800000
	s_delay_alu instid0(VALU_DEP_4) | instskip(SKIP_2) | instid1(VALU_DEP_1)
	v_cmp_lt_i32_e32 vcc_lo, 0, v6
	s_waitcnt lgkmcnt(0)
	v_add_co_u32 v4, s3, s10, v0
	v_add_co_ci_u32_e64 v5, s3, s11, v1, s3
	s_and_b32 s11, s2, vcc_lo
	s_delay_alu instid0(SALU_CYCLE_1)
	s_and_saveexec_b32 s3, s11
	s_cbranch_execz .LBB747_4
; %bb.3:
	global_load_u16 v8, v[4:5], off
	s_waitcnt vmcnt(0)
	v_lshlrev_b32_e32 v9, 16, v8
.LBB747_4:
	s_or_b32 exec_lo, exec_lo, s3
	v_cmp_lt_i32_e64 s3, 1, v6
	s_delay_alu instid0(VALU_DEP_1) | instskip(NEXT) | instid1(SALU_CYCLE_1)
	s_and_b32 s10, s2, s3
	s_and_saveexec_b32 s4, s10
	s_cbranch_execz .LBB747_6
; %bb.5:
	s_mov_b32 s7, 0
	s_delay_alu instid0(SALU_CYCLE_1) | instskip(NEXT) | instid1(SALU_CYCLE_1)
	s_lshl_b64 s[14:15], s[6:7], 1
	v_add_co_u32 v4, s3, v4, s14
	s_delay_alu instid0(VALU_DEP_1)
	v_add_co_ci_u32_e64 v5, s3, s15, v5, s3
	global_load_u16 v4, v[4:5], off
	s_waitcnt vmcnt(0)
	v_lshlrev_b32_e32 v7, 16, v4
.LBB747_6:
	s_or_b32 exec_lo, exec_lo, s4
	s_load_b64 s[0:1], s[0:1], 0x20
	s_waitcnt lgkmcnt(0)
	v_add_co_u32 v4, s0, s0, v2
	s_delay_alu instid0(VALU_DEP_1)
	v_add_co_ci_u32_e64 v5, s0, s1, v3, s0
	v_mov_b32_e32 v2, 0xff800000
	s_and_saveexec_b32 s1, s11
	s_cbranch_execz .LBB747_8
; %bb.7:
	global_load_u8 v2, v[4:5], off
	s_waitcnt vmcnt(0)
	v_and_b32_e32 v2, 1, v2
	s_delay_alu instid0(VALU_DEP_1) | instskip(NEXT) | instid1(VALU_DEP_1)
	v_cmp_eq_u32_e64 s0, 1, v2
	v_cndmask_b32_e64 v2, v9, 0xff800000, s0
.LBB747_8:
	s_or_b32 exec_lo, exec_lo, s1
	s_mov_b32 s4, 0
	s_mov_b32 s1, 0
	s_and_saveexec_b32 s3, s10
	s_cbranch_execz .LBB747_10
; %bb.9:
	s_and_b32 s0, s12, exec_lo
	s_cselect_b32 s0, 0, s6
	s_cselect_b32 s1, 0, 0
	v_add_co_u32 v10, s0, v4, s0
	s_delay_alu instid0(VALU_DEP_1) | instskip(SKIP_3) | instid1(VALU_DEP_1)
	v_add_co_ci_u32_e64 v11, s0, s1, v5, s0
	global_load_u8 v3, v[10:11], off
	s_waitcnt vmcnt(0)
	v_and_b32_e32 v3, 1, v3
	v_cmp_eq_u32_e64 s0, 1, v3
	s_delay_alu instid0(VALU_DEP_1) | instskip(NEXT) | instid1(SALU_CYCLE_1)
	s_xor_b32 s0, s0, -1
	s_and_b32 s1, s0, exec_lo
.LBB747_10:
	s_or_b32 exec_lo, exec_lo, s3
	v_mbcnt_lo_u32_b32 v3, -1, 0
	s_mov_b32 s5, s4
	v_cndmask_b32_e64 v14, v2, v2, s1
	v_cndmask_b32_e64 v12, 0xff800000, v7, s1
	s_delay_alu instid0(VALU_DEP_3) | instskip(SKIP_1) | instid1(VALU_DEP_2)
	v_dual_mov_b32 v11, 0 :: v_dual_and_b32 v8, 30, v3
	v_xor_b32_e32 v10, 1, v3
	v_add_nc_u32_e32 v8, 2, v8
	s_delay_alu instid0(VALU_DEP_1) | instskip(SKIP_1) | instid1(VALU_DEP_2)
	v_cmp_lt_i32_e64 s0, v10, v8
	v_mov_b32_e32 v8, 0
	v_cndmask_b32_e64 v3, v3, v10, s0
	s_delay_alu instid0(VALU_DEP_1)
	v_lshlrev_b32_e32 v10, 2, v3
	v_dual_mov_b32 v2, s4 :: v_dual_mov_b32 v3, s5
	ds_bpermute_b32 v15, v10, v14
	ds_bpermute_b32 v13, v10, v12
	s_and_saveexec_b32 s1, s11
	s_cbranch_execz .LBB747_14
; %bb.11:
	global_load_u8 v2, v[4:5], off
	s_mov_b32 s5, s4
	s_waitcnt vmcnt(0)
	v_dual_mov_b32 v11, 0 :: v_dual_and_b32 v2, 1, v2
	s_delay_alu instid0(VALU_DEP_1) | instskip(SKIP_1) | instid1(VALU_DEP_2)
	v_cmp_eq_u32_e64 s0, 1, v2
	v_dual_mov_b32 v2, s4 :: v_dual_mov_b32 v3, s5
	s_xor_b32 s0, s0, -1
	s_delay_alu instid0(SALU_CYCLE_1)
	s_and_saveexec_b32 s3, s0
	s_cbranch_execz .LBB747_13
; %bb.12:
	s_waitcnt lgkmcnt(1)
	v_cmp_lt_f32_e64 s0, v14, v15
	s_delay_alu instid0(VALU_DEP_1) | instskip(NEXT) | instid1(VALU_DEP_1)
	v_cndmask_b32_e64 v2, v14, v15, s0
	v_sub_f32_e32 v2, v9, v2
	s_delay_alu instid0(VALU_DEP_1) | instskip(NEXT) | instid1(VALU_DEP_1)
	v_mul_f32_e32 v3, 0x3fb8aa3b, v2
	v_fma_f32 v9, 0x3fb8aa3b, v2, -v3
	v_rndne_f32_e32 v11, v3
	s_delay_alu instid0(VALU_DEP_1) | instskip(NEXT) | instid1(VALU_DEP_3)
	v_sub_f32_e32 v3, v3, v11
	v_fmamk_f32 v9, v2, 0x32a5705f, v9
	v_cmp_ngt_f32_e64 s0, 0xc2ce8ed0, v2
	s_delay_alu instid0(VALU_DEP_2) | instskip(SKIP_1) | instid1(VALU_DEP_2)
	v_add_f32_e32 v3, v3, v9
	v_cvt_i32_f32_e32 v9, v11
	v_exp_f32_e32 v3, v3
	s_waitcnt_depctr 0xfff
	v_ldexp_f32 v3, v3, v9
	s_delay_alu instid0(VALU_DEP_1) | instskip(SKIP_1) | instid1(VALU_DEP_1)
	v_cndmask_b32_e64 v3, 0, v3, s0
	v_cmp_nlt_f32_e64 s0, 0x42b17218, v2
	v_cndmask_b32_e64 v2, 0x7f800000, v3, s0
	v_mov_b32_e32 v3, 0
	s_delay_alu instid0(VALU_DEP_2)
	v_mov_b32_e32 v11, v2
.LBB747_13:
	s_or_b32 exec_lo, exec_lo, s3
.LBB747_14:
	s_delay_alu instid0(SALU_CYCLE_1)
	s_or_b32 exec_lo, exec_lo, s1
	s_and_saveexec_b32 s1, s10
	s_cbranch_execz .LBB747_18
; %bb.15:
	s_and_b32 s0, s12, exec_lo
	s_cselect_b32 s0, 0, s6
	s_cselect_b32 s3, 0, 0
	v_add_co_u32 v4, s0, v4, s0
	s_delay_alu instid0(VALU_DEP_1) | instskip(SKIP_4) | instid1(VALU_DEP_1)
	v_add_co_ci_u32_e64 v5, s0, s3, v5, s0
	v_mov_b32_e32 v8, 0
	global_load_u8 v4, v[4:5], off
	s_waitcnt vmcnt(0)
	v_and_b32_e32 v4, 1, v4
	v_cmp_eq_u32_e64 s0, 1, v4
	s_delay_alu instid0(VALU_DEP_1) | instskip(NEXT) | instid1(SALU_CYCLE_1)
	s_xor_b32 s0, s0, -1
	s_and_saveexec_b32 s3, s0
	s_cbranch_execz .LBB747_17
; %bb.16:
	s_waitcnt lgkmcnt(0)
	v_cmp_lt_f32_e64 s0, v12, v13
	s_delay_alu instid0(VALU_DEP_1) | instskip(NEXT) | instid1(VALU_DEP_1)
	v_cndmask_b32_e64 v4, v12, v13, s0
	v_sub_f32_e32 v4, v7, v4
	s_delay_alu instid0(VALU_DEP_1) | instskip(NEXT) | instid1(VALU_DEP_1)
	v_mul_f32_e32 v5, 0x3fb8aa3b, v4
	v_fma_f32 v7, 0x3fb8aa3b, v4, -v5
	v_rndne_f32_e32 v8, v5
	s_delay_alu instid0(VALU_DEP_2) | instskip(NEXT) | instid1(VALU_DEP_2)
	v_fmamk_f32 v7, v4, 0x32a5705f, v7
	v_sub_f32_e32 v5, v5, v8
	s_delay_alu instid0(VALU_DEP_1) | instskip(SKIP_2) | instid1(VALU_DEP_3)
	v_add_f32_e32 v5, v5, v7
	v_cvt_i32_f32_e32 v7, v8
	v_cmp_ngt_f32_e64 s0, 0xc2ce8ed0, v4
	v_exp_f32_e32 v5, v5
	s_waitcnt_depctr 0xfff
	v_ldexp_f32 v5, v5, v7
	s_delay_alu instid0(VALU_DEP_1) | instskip(SKIP_1) | instid1(VALU_DEP_1)
	v_cndmask_b32_e64 v5, 0, v5, s0
	v_cmp_nlt_f32_e64 s0, 0x42b17218, v4
	v_cndmask_b32_e64 v8, 0x7f800000, v5, s0
	s_delay_alu instid0(VALU_DEP_1)
	v_add_f32_e32 v3, v3, v8
.LBB747_17:
	s_or_b32 exec_lo, exec_lo, s3
.LBB747_18:
	s_delay_alu instid0(SALU_CYCLE_1)
	s_or_b32 exec_lo, exec_lo, s1
	ds_bpermute_b32 v5, v10, v2
	ds_bpermute_b32 v4, v10, v3
	s_and_saveexec_b32 s0, vcc_lo
	s_cbranch_execz .LBB747_26
; %bb.19:
	v_add_co_u32 v0, vcc_lo, s8, v0
	v_add_co_ci_u32_e32 v1, vcc_lo, s9, v1, vcc_lo
	s_and_saveexec_b32 s0, s2
	s_cbranch_execz .LBB747_23
; %bb.20:
	s_waitcnt lgkmcnt(1)
	v_dual_add_f32 v2, v2, v5 :: v_dual_mov_b32 v5, 0x7fc0
	s_mov_b32 s1, exec_lo
	s_delay_alu instid0(VALU_DEP_1)
	v_cmpx_neq_f32_e32 0, v2
	s_cbranch_execz .LBB747_22
; %bb.21:
	v_div_scale_f32 v5, null, v2, v2, v11
	s_delay_alu instid0(VALU_DEP_1) | instskip(SKIP_2) | instid1(VALU_DEP_1)
	v_rcp_f32_e32 v7, v5
	s_waitcnt_depctr 0xfff
	v_fma_f32 v9, -v5, v7, 1.0
	v_fmac_f32_e32 v7, v9, v7
	v_div_scale_f32 v9, vcc_lo, v11, v2, v11
	s_delay_alu instid0(VALU_DEP_1) | instskip(NEXT) | instid1(VALU_DEP_1)
	v_mul_f32_e32 v10, v9, v7
	v_fma_f32 v12, -v5, v10, v9
	s_delay_alu instid0(VALU_DEP_1) | instskip(NEXT) | instid1(VALU_DEP_1)
	v_fmac_f32_e32 v10, v12, v7
	v_fma_f32 v5, -v5, v10, v9
	s_delay_alu instid0(VALU_DEP_1) | instskip(NEXT) | instid1(VALU_DEP_1)
	v_div_fmas_f32 v5, v5, v7, v10
	v_div_fixup_f32 v2, v5, v2, v11
	s_delay_alu instid0(VALU_DEP_1) | instskip(SKIP_1) | instid1(VALU_DEP_2)
	v_bfe_u32 v5, v2, 16, 1
	v_cmp_o_f32_e32 vcc_lo, v2, v2
	v_add3_u32 v5, v2, v5, 0x7fff
	s_delay_alu instid0(VALU_DEP_1) | instskip(NEXT) | instid1(VALU_DEP_1)
	v_lshrrev_b32_e32 v5, 16, v5
	v_cndmask_b32_e32 v5, 0x7fc0, v5, vcc_lo
.LBB747_22:
	s_or_b32 exec_lo, exec_lo, s1
	global_store_b16 v[0:1], v5, off
.LBB747_23:
	s_or_b32 exec_lo, exec_lo, s0
	v_cmp_ne_u32_e32 vcc_lo, 1, v6
	s_and_b32 exec_lo, exec_lo, vcc_lo
	s_cbranch_execz .LBB747_26
; %bb.24:
	s_and_b32 exec_lo, exec_lo, s2
	s_cbranch_execz .LBB747_26
; %bb.25:
	s_waitcnt lgkmcnt(0)
	v_add_f32_e32 v2, v3, v4
	s_mov_b32 s7, 0
	s_delay_alu instid0(SALU_CYCLE_1) | instskip(NEXT) | instid1(SALU_CYCLE_1)
	s_lshl_b64 s[2:3], s[6:7], 1
	v_add_co_u32 v0, s1, v0, s2
	s_delay_alu instid0(VALU_DEP_2) | instskip(SKIP_2) | instid1(VALU_DEP_3)
	v_div_scale_f32 v3, null, v2, v2, v8
	v_div_scale_f32 v6, vcc_lo, v8, v2, v8
	v_add_co_ci_u32_e64 v1, s1, s3, v1, s1
	v_rcp_f32_e32 v4, v3
	s_waitcnt_depctr 0xfff
	v_fma_f32 v5, -v3, v4, 1.0
	s_delay_alu instid0(VALU_DEP_1) | instskip(NEXT) | instid1(VALU_DEP_1)
	v_fmac_f32_e32 v4, v5, v4
	v_mul_f32_e32 v5, v6, v4
	s_delay_alu instid0(VALU_DEP_1) | instskip(NEXT) | instid1(VALU_DEP_1)
	v_fma_f32 v7, -v3, v5, v6
	v_fmac_f32_e32 v5, v7, v4
	s_delay_alu instid0(VALU_DEP_1) | instskip(NEXT) | instid1(VALU_DEP_1)
	v_fma_f32 v3, -v3, v5, v6
	v_div_fmas_f32 v3, v3, v4, v5
	v_cmp_eq_f32_e32 vcc_lo, 0, v2
	s_delay_alu instid0(VALU_DEP_2) | instskip(NEXT) | instid1(VALU_DEP_1)
	v_div_fixup_f32 v3, v3, v2, v8
	v_bfe_u32 v4, v3, 16, 1
	v_cmp_u_f32_e64 s0, v3, v3
	s_delay_alu instid0(VALU_DEP_2) | instskip(NEXT) | instid1(VALU_DEP_2)
	v_add3_u32 v4, v3, v4, 0x7fff
	s_or_b32 s0, vcc_lo, s0
	s_delay_alu instid0(VALU_DEP_1) | instskip(NEXT) | instid1(VALU_DEP_1)
	v_lshrrev_b32_e32 v2, 16, v4
	v_cndmask_b32_e64 v2, v2, 0x7fc0, s0
	global_store_b16 v[0:1], v2, off
.LBB747_26:
	s_nop 0
	s_sendmsg sendmsg(MSG_DEALLOC_VGPRS)
	s_endpgm
	.section	.rodata,"a",@progbits
	.p2align	6, 0x0
	.amdhsa_kernel _ZN12_GLOBAL__N_120softmax_warp_forwardIN3c108BFloat16ES2_fLi1ELb0ELb1ELi32EEEvPT0_PKT_iiiPKbib
		.amdhsa_group_segment_fixed_size 0
		.amdhsa_private_segment_fixed_size 0
		.amdhsa_kernarg_size 304
		.amdhsa_user_sgpr_count 15
		.amdhsa_user_sgpr_dispatch_ptr 0
		.amdhsa_user_sgpr_queue_ptr 0
		.amdhsa_user_sgpr_kernarg_segment_ptr 1
		.amdhsa_user_sgpr_dispatch_id 0
		.amdhsa_user_sgpr_private_segment_size 0
		.amdhsa_wavefront_size32 1
		.amdhsa_uses_dynamic_stack 0
		.amdhsa_enable_private_segment 0
		.amdhsa_system_sgpr_workgroup_id_x 1
		.amdhsa_system_sgpr_workgroup_id_y 0
		.amdhsa_system_sgpr_workgroup_id_z 0
		.amdhsa_system_sgpr_workgroup_info 0
		.amdhsa_system_vgpr_workitem_id 1
		.amdhsa_next_free_vgpr 16
		.amdhsa_next_free_sgpr 16
		.amdhsa_reserve_vcc 1
		.amdhsa_float_round_mode_32 0
		.amdhsa_float_round_mode_16_64 0
		.amdhsa_float_denorm_mode_32 3
		.amdhsa_float_denorm_mode_16_64 3
		.amdhsa_dx10_clamp 1
		.amdhsa_ieee_mode 1
		.amdhsa_fp16_overflow 0
		.amdhsa_workgroup_processor_mode 1
		.amdhsa_memory_ordered 1
		.amdhsa_forward_progress 0
		.amdhsa_shared_vgpr_count 0
		.amdhsa_exception_fp_ieee_invalid_op 0
		.amdhsa_exception_fp_denorm_src 0
		.amdhsa_exception_fp_ieee_div_zero 0
		.amdhsa_exception_fp_ieee_overflow 0
		.amdhsa_exception_fp_ieee_underflow 0
		.amdhsa_exception_fp_ieee_inexact 0
		.amdhsa_exception_int_div_zero 0
	.end_amdhsa_kernel
	.section	.text._ZN12_GLOBAL__N_120softmax_warp_forwardIN3c108BFloat16ES2_fLi1ELb0ELb1ELi32EEEvPT0_PKT_iiiPKbib,"axG",@progbits,_ZN12_GLOBAL__N_120softmax_warp_forwardIN3c108BFloat16ES2_fLi1ELb0ELb1ELi32EEEvPT0_PKT_iiiPKbib,comdat
.Lfunc_end747:
	.size	_ZN12_GLOBAL__N_120softmax_warp_forwardIN3c108BFloat16ES2_fLi1ELb0ELb1ELi32EEEvPT0_PKT_iiiPKbib, .Lfunc_end747-_ZN12_GLOBAL__N_120softmax_warp_forwardIN3c108BFloat16ES2_fLi1ELb0ELb1ELi32EEEvPT0_PKT_iiiPKbib
                                        ; -- End function
	.section	.AMDGPU.csdata,"",@progbits
; Kernel info:
; codeLenInByte = 1720
; NumSgprs: 18
; NumVgprs: 16
; ScratchSize: 0
; MemoryBound: 0
; FloatMode: 240
; IeeeMode: 1
; LDSByteSize: 0 bytes/workgroup (compile time only)
; SGPRBlocks: 2
; VGPRBlocks: 1
; NumSGPRsForWavesPerEU: 18
; NumVGPRsForWavesPerEU: 16
; Occupancy: 16
; WaveLimiterHint : 0
; COMPUTE_PGM_RSRC2:SCRATCH_EN: 0
; COMPUTE_PGM_RSRC2:USER_SGPR: 15
; COMPUTE_PGM_RSRC2:TRAP_HANDLER: 0
; COMPUTE_PGM_RSRC2:TGID_X_EN: 1
; COMPUTE_PGM_RSRC2:TGID_Y_EN: 0
; COMPUTE_PGM_RSRC2:TGID_Z_EN: 0
; COMPUTE_PGM_RSRC2:TIDIG_COMP_CNT: 1
	.section	.text._ZN12_GLOBAL__N_120softmax_warp_forwardIN3c108BFloat16ES2_fLi2ELb0ELb1ELi64EEEvPT0_PKT_iiiPKbib,"axG",@progbits,_ZN12_GLOBAL__N_120softmax_warp_forwardIN3c108BFloat16ES2_fLi2ELb0ELb1ELi64EEEvPT0_PKT_iiiPKbib,comdat
	.globl	_ZN12_GLOBAL__N_120softmax_warp_forwardIN3c108BFloat16ES2_fLi2ELb0ELb1ELi64EEEvPT0_PKT_iiiPKbib ; -- Begin function _ZN12_GLOBAL__N_120softmax_warp_forwardIN3c108BFloat16ES2_fLi2ELb0ELb1ELi64EEEvPT0_PKT_iiiPKbib
	.p2align	8
	.type	_ZN12_GLOBAL__N_120softmax_warp_forwardIN3c108BFloat16ES2_fLi2ELb0ELb1ELi64EEEvPT0_PKT_iiiPKbib,@function
_ZN12_GLOBAL__N_120softmax_warp_forwardIN3c108BFloat16ES2_fLi2ELb0ELb1ELi64EEEvPT0_PKT_iiiPKbib: ; @_ZN12_GLOBAL__N_120softmax_warp_forwardIN3c108BFloat16ES2_fLi2ELb0ELb1ELi64EEEvPT0_PKT_iiiPKbib
; %bb.0:
	s_clause 0x2
	s_load_b64 s[2:3], s[0:1], 0x28
	s_load_b32 s8, s[0:1], 0x3c
	s_load_b128 s[4:7], s[0:1], 0x10
	v_bfe_u32 v1, v0, 10, 10
	v_and_b32_e32 v4, 0x3ff, v0
	s_waitcnt lgkmcnt(0)
	s_bitcmp1_b32 s3, 0
	s_cselect_b32 s12, -1, 0
	s_lshr_b32 s7, s8, 16
	s_bitcmp0_b32 s3, 0
	s_mul_i32 s15, s15, s7
	s_delay_alu instid0(SALU_CYCLE_1) | instskip(NEXT) | instid1(VALU_DEP_1)
	v_add_lshl_u32 v5, s15, v1, 1
	v_mul_lo_u32 v6, v5, s5
	s_delay_alu instid0(VALU_DEP_1) | instskip(NEXT) | instid1(VALU_DEP_1)
	v_add_nc_u32_e32 v0, v6, v4
	v_ashrrev_i32_e32 v1, 31, v0
	s_delay_alu instid0(VALU_DEP_1)
	v_dual_mov_b32 v3, v1 :: v_dual_mov_b32 v2, v0
	s_cbranch_scc1 .LBB748_2
; %bb.1:
	s_abs_i32 s3, s2
	v_sub_nc_u32_e32 v7, 0, v6
	v_cvt_f32_u32_e32 v2, s3
	s_sub_i32 s7, 0, s3
	s_delay_alu instid0(VALU_DEP_2) | instskip(NEXT) | instid1(VALU_DEP_2)
	v_max_i32_e32 v7, v6, v7
	v_rcp_iflag_f32_e32 v2, v2
	v_xor_b32_e32 v6, s2, v6
	s_delay_alu instid0(VALU_DEP_1) | instskip(SKIP_2) | instid1(VALU_DEP_1)
	v_ashrrev_i32_e32 v6, 31, v6
	s_waitcnt_depctr 0xfff
	v_mul_f32_e32 v2, 0x4f7ffffe, v2
	v_cvt_u32_f32_e32 v2, v2
	s_delay_alu instid0(VALU_DEP_1) | instskip(NEXT) | instid1(VALU_DEP_1)
	v_mul_lo_u32 v3, s7, v2
	v_mul_hi_u32 v3, v2, v3
	s_delay_alu instid0(VALU_DEP_1) | instskip(NEXT) | instid1(VALU_DEP_1)
	v_add_nc_u32_e32 v2, v2, v3
	v_mul_hi_u32 v2, v7, v2
	s_delay_alu instid0(VALU_DEP_1) | instskip(NEXT) | instid1(VALU_DEP_1)
	v_mul_lo_u32 v3, v2, s3
	v_sub_nc_u32_e32 v3, v7, v3
	v_add_nc_u32_e32 v7, 1, v2
	s_delay_alu instid0(VALU_DEP_2) | instskip(SKIP_1) | instid1(VALU_DEP_2)
	v_subrev_nc_u32_e32 v8, s3, v3
	v_cmp_le_u32_e32 vcc_lo, s3, v3
	v_dual_cndmask_b32 v3, v3, v8 :: v_dual_cndmask_b32 v2, v2, v7
	s_delay_alu instid0(VALU_DEP_1) | instskip(NEXT) | instid1(VALU_DEP_2)
	v_cmp_le_u32_e32 vcc_lo, s3, v3
	v_add_nc_u32_e32 v7, 1, v2
	s_delay_alu instid0(VALU_DEP_1) | instskip(NEXT) | instid1(VALU_DEP_1)
	v_cndmask_b32_e32 v2, v2, v7, vcc_lo
	v_xor_b32_e32 v2, v2, v6
	s_delay_alu instid0(VALU_DEP_1) | instskip(NEXT) | instid1(VALU_DEP_1)
	v_sub_nc_u32_e32 v6, v2, v6
	v_mad_u64_u32 v[2:3], null, v6, s5, v[4:5]
	s_delay_alu instid0(VALU_DEP_1)
	v_ashrrev_i32_e32 v3, 31, v2
.LBB748_2:
	s_load_b128 s[8:11], s[0:1], 0x0
	v_lshlrev_b64 v[0:1], 1, v[0:1]
	v_sub_nc_u32_e32 v6, s4, v5
	v_cmp_gt_i32_e64 s2, s6, v4
	v_mov_b32_e32 v7, 0xff800000
	v_mov_b32_e32 v9, 0xff800000
	s_delay_alu instid0(VALU_DEP_4) | instskip(SKIP_2) | instid1(VALU_DEP_1)
	v_cmp_lt_i32_e32 vcc_lo, 0, v6
	s_waitcnt lgkmcnt(0)
	v_add_co_u32 v4, s3, s10, v0
	v_add_co_ci_u32_e64 v5, s3, s11, v1, s3
	s_and_b32 s11, s2, vcc_lo
	s_delay_alu instid0(SALU_CYCLE_1)
	s_and_saveexec_b32 s3, s11
	s_cbranch_execz .LBB748_4
; %bb.3:
	global_load_u16 v8, v[4:5], off
	s_waitcnt vmcnt(0)
	v_lshlrev_b32_e32 v9, 16, v8
.LBB748_4:
	s_or_b32 exec_lo, exec_lo, s3
	v_cmp_lt_i32_e64 s3, 1, v6
	s_delay_alu instid0(VALU_DEP_1) | instskip(NEXT) | instid1(SALU_CYCLE_1)
	s_and_b32 s10, s2, s3
	s_and_saveexec_b32 s4, s10
	s_cbranch_execz .LBB748_6
; %bb.5:
	s_mov_b32 s7, 0
	s_delay_alu instid0(SALU_CYCLE_1) | instskip(NEXT) | instid1(SALU_CYCLE_1)
	s_lshl_b64 s[14:15], s[6:7], 1
	v_add_co_u32 v4, s3, v4, s14
	s_delay_alu instid0(VALU_DEP_1)
	v_add_co_ci_u32_e64 v5, s3, s15, v5, s3
	global_load_u16 v4, v[4:5], off
	s_waitcnt vmcnt(0)
	v_lshlrev_b32_e32 v7, 16, v4
.LBB748_6:
	s_or_b32 exec_lo, exec_lo, s4
	s_load_b64 s[0:1], s[0:1], 0x20
	v_mov_b32_e32 v4, 0xff800000
	s_waitcnt lgkmcnt(0)
	v_add_co_u32 v2, s0, s0, v2
	s_delay_alu instid0(VALU_DEP_1)
	v_add_co_ci_u32_e64 v3, s0, s1, v3, s0
	s_and_saveexec_b32 s1, s11
	s_cbranch_execz .LBB748_8
; %bb.7:
	global_load_u8 v4, v[2:3], off
	s_waitcnt vmcnt(0)
	v_and_b32_e32 v4, 1, v4
	s_delay_alu instid0(VALU_DEP_1) | instskip(NEXT) | instid1(VALU_DEP_1)
	v_cmp_eq_u32_e64 s0, 1, v4
	v_cndmask_b32_e64 v4, v9, 0xff800000, s0
.LBB748_8:
	s_or_b32 exec_lo, exec_lo, s1
	s_mov_b32 s4, 0
	s_mov_b32 s1, 0
	s_and_saveexec_b32 s3, s10
	s_cbranch_execz .LBB748_10
; %bb.9:
	s_and_b32 s0, s12, exec_lo
	s_cselect_b32 s0, 0, s6
	s_cselect_b32 s1, 0, 0
	v_add_co_u32 v10, s0, v2, s0
	s_delay_alu instid0(VALU_DEP_1) | instskip(SKIP_3) | instid1(VALU_DEP_1)
	v_add_co_ci_u32_e64 v11, s0, s1, v3, s0
	global_load_u8 v5, v[10:11], off
	s_waitcnt vmcnt(0)
	v_and_b32_e32 v5, 1, v5
	v_cmp_eq_u32_e64 s0, 1, v5
	s_delay_alu instid0(VALU_DEP_1) | instskip(NEXT) | instid1(SALU_CYCLE_1)
	s_xor_b32 s0, s0, -1
	s_and_b32 s1, s0, exec_lo
.LBB748_10:
	s_or_b32 exec_lo, exec_lo, s3
	v_mbcnt_lo_u32_b32 v5, -1, 0
	s_mov_b32 s5, s4
	v_cndmask_b32_e64 v4, v4, v4, s1
	v_cndmask_b32_e64 v12, 0xff800000, v7, s1
	s_delay_alu instid0(VALU_DEP_3) | instskip(SKIP_2) | instid1(VALU_DEP_3)
	v_and_b32_e32 v8, 28, v5
	v_xor_b32_e32 v10, 2, v5
	v_xor_b32_e32 v11, 1, v5
	v_add_nc_u32_e32 v8, 4, v8
	s_delay_alu instid0(VALU_DEP_1) | instskip(NEXT) | instid1(VALU_DEP_1)
	v_cmp_lt_i32_e64 s0, v10, v8
	v_cndmask_b32_e64 v10, v5, v10, s0
	s_delay_alu instid0(VALU_DEP_4) | instskip(SKIP_1) | instid1(VALU_DEP_3)
	v_cmp_lt_i32_e64 s0, v11, v8
	v_mov_b32_e32 v8, 0
	v_lshlrev_b32_e32 v10, 2, v10
	s_delay_alu instid0(VALU_DEP_3)
	v_cndmask_b32_e64 v5, v5, v11, s0
	ds_bpermute_b32 v13, v10, v4
	ds_bpermute_b32 v14, v10, v12
	v_lshlrev_b32_e32 v11, 2, v5
	s_waitcnt lgkmcnt(1)
	v_cmp_lt_f32_e64 s0, v4, v13
	s_delay_alu instid0(VALU_DEP_1)
	v_cndmask_b32_e64 v15, v4, v13, s0
	s_waitcnt lgkmcnt(0)
	v_cmp_lt_f32_e64 s0, v12, v14
	v_dual_mov_b32 v4, s4 :: v_dual_mov_b32 v5, s5
	ds_bpermute_b32 v16, v11, v15
	v_cndmask_b32_e64 v13, v12, v14, s0
	v_mov_b32_e32 v12, 0
	ds_bpermute_b32 v14, v11, v13
	s_and_saveexec_b32 s1, s11
	s_cbranch_execz .LBB748_14
; %bb.11:
	global_load_u8 v4, v[2:3], off
	s_mov_b32 s5, s4
	v_mov_b32_e32 v12, 0
	s_waitcnt vmcnt(0)
	v_and_b32_e32 v4, 1, v4
	s_delay_alu instid0(VALU_DEP_1) | instskip(SKIP_1) | instid1(VALU_DEP_2)
	v_cmp_eq_u32_e64 s0, 1, v4
	v_dual_mov_b32 v4, s4 :: v_dual_mov_b32 v5, s5
	s_xor_b32 s0, s0, -1
	s_delay_alu instid0(SALU_CYCLE_1)
	s_and_saveexec_b32 s3, s0
	s_cbranch_execz .LBB748_13
; %bb.12:
	s_waitcnt lgkmcnt(1)
	v_cmp_lt_f32_e64 s0, v15, v16
	s_delay_alu instid0(VALU_DEP_1) | instskip(NEXT) | instid1(VALU_DEP_1)
	v_cndmask_b32_e64 v4, v15, v16, s0
	v_sub_f32_e32 v4, v9, v4
	s_delay_alu instid0(VALU_DEP_1) | instskip(SKIP_1) | instid1(VALU_DEP_2)
	v_mul_f32_e32 v5, 0x3fb8aa3b, v4
	v_cmp_ngt_f32_e64 s0, 0xc2ce8ed0, v4
	v_fma_f32 v9, 0x3fb8aa3b, v4, -v5
	v_rndne_f32_e32 v12, v5
	s_delay_alu instid0(VALU_DEP_2) | instskip(NEXT) | instid1(VALU_DEP_2)
	v_fmamk_f32 v9, v4, 0x32a5705f, v9
	v_sub_f32_e32 v5, v5, v12
	s_delay_alu instid0(VALU_DEP_1) | instskip(SKIP_1) | instid1(VALU_DEP_2)
	v_add_f32_e32 v5, v5, v9
	v_cvt_i32_f32_e32 v9, v12
	v_exp_f32_e32 v5, v5
	s_waitcnt_depctr 0xfff
	v_ldexp_f32 v5, v5, v9
	s_delay_alu instid0(VALU_DEP_1) | instskip(SKIP_1) | instid1(VALU_DEP_1)
	v_cndmask_b32_e64 v5, 0, v5, s0
	v_cmp_nlt_f32_e64 s0, 0x42b17218, v4
	v_cndmask_b32_e64 v4, 0x7f800000, v5, s0
	s_delay_alu instid0(VALU_DEP_1)
	v_dual_mov_b32 v5, 0 :: v_dual_mov_b32 v12, v4
.LBB748_13:
	s_or_b32 exec_lo, exec_lo, s3
.LBB748_14:
	s_delay_alu instid0(SALU_CYCLE_1)
	s_or_b32 exec_lo, exec_lo, s1
	s_and_saveexec_b32 s1, s10
	s_cbranch_execz .LBB748_18
; %bb.15:
	s_and_b32 s0, s12, exec_lo
	s_cselect_b32 s0, 0, s6
	s_cselect_b32 s3, 0, 0
	v_add_co_u32 v2, s0, v2, s0
	s_delay_alu instid0(VALU_DEP_1) | instskip(SKIP_4) | instid1(VALU_DEP_1)
	v_add_co_ci_u32_e64 v3, s0, s3, v3, s0
	v_mov_b32_e32 v8, 0
	global_load_u8 v2, v[2:3], off
	s_waitcnt vmcnt(0)
	v_and_b32_e32 v2, 1, v2
	v_cmp_eq_u32_e64 s0, 1, v2
	s_delay_alu instid0(VALU_DEP_1) | instskip(NEXT) | instid1(SALU_CYCLE_1)
	s_xor_b32 s0, s0, -1
	s_and_saveexec_b32 s3, s0
	s_cbranch_execz .LBB748_17
; %bb.16:
	s_waitcnt lgkmcnt(0)
	v_cmp_lt_f32_e64 s0, v13, v14
	s_delay_alu instid0(VALU_DEP_1) | instskip(NEXT) | instid1(VALU_DEP_1)
	v_cndmask_b32_e64 v2, v13, v14, s0
	v_sub_f32_e32 v2, v7, v2
	s_delay_alu instid0(VALU_DEP_1) | instskip(SKIP_1) | instid1(VALU_DEP_2)
	v_mul_f32_e32 v3, 0x3fb8aa3b, v2
	v_cmp_ngt_f32_e64 s0, 0xc2ce8ed0, v2
	v_fma_f32 v7, 0x3fb8aa3b, v2, -v3
	v_rndne_f32_e32 v8, v3
	s_delay_alu instid0(VALU_DEP_2) | instskip(NEXT) | instid1(VALU_DEP_2)
	v_fmamk_f32 v7, v2, 0x32a5705f, v7
	v_sub_f32_e32 v3, v3, v8
	s_delay_alu instid0(VALU_DEP_1) | instskip(SKIP_1) | instid1(VALU_DEP_2)
	v_add_f32_e32 v3, v3, v7
	v_cvt_i32_f32_e32 v7, v8
	v_exp_f32_e32 v3, v3
	s_waitcnt_depctr 0xfff
	v_ldexp_f32 v3, v3, v7
	s_delay_alu instid0(VALU_DEP_1) | instskip(SKIP_1) | instid1(VALU_DEP_1)
	v_cndmask_b32_e64 v3, 0, v3, s0
	v_cmp_nlt_f32_e64 s0, 0x42b17218, v2
	v_cndmask_b32_e64 v8, 0x7f800000, v3, s0
	s_delay_alu instid0(VALU_DEP_1)
	v_add_f32_e32 v5, v5, v8
.LBB748_17:
	s_or_b32 exec_lo, exec_lo, s3
.LBB748_18:
	s_delay_alu instid0(SALU_CYCLE_1)
	s_or_b32 exec_lo, exec_lo, s1
	ds_bpermute_b32 v2, v10, v4
	ds_bpermute_b32 v3, v10, v5
	s_waitcnt lgkmcnt(1)
	v_add_f32_e32 v4, v4, v2
	s_waitcnt lgkmcnt(0)
	v_add_f32_e32 v2, v5, v3
	ds_bpermute_b32 v5, v11, v4
	ds_bpermute_b32 v3, v11, v2
	s_and_saveexec_b32 s0, vcc_lo
	s_cbranch_execz .LBB748_26
; %bb.19:
	v_add_co_u32 v0, vcc_lo, s8, v0
	v_add_co_ci_u32_e32 v1, vcc_lo, s9, v1, vcc_lo
	s_and_saveexec_b32 s0, s2
	s_cbranch_execz .LBB748_23
; %bb.20:
	s_waitcnt lgkmcnt(1)
	v_dual_add_f32 v4, v4, v5 :: v_dual_mov_b32 v5, 0x7fc0
	s_mov_b32 s1, exec_lo
	s_delay_alu instid0(VALU_DEP_1)
	v_cmpx_neq_f32_e32 0, v4
	s_cbranch_execz .LBB748_22
; %bb.21:
	v_div_scale_f32 v5, null, v4, v4, v12
	s_delay_alu instid0(VALU_DEP_1) | instskip(SKIP_2) | instid1(VALU_DEP_1)
	v_rcp_f32_e32 v7, v5
	s_waitcnt_depctr 0xfff
	v_fma_f32 v9, -v5, v7, 1.0
	v_fmac_f32_e32 v7, v9, v7
	v_div_scale_f32 v9, vcc_lo, v12, v4, v12
	s_delay_alu instid0(VALU_DEP_1) | instskip(NEXT) | instid1(VALU_DEP_1)
	v_mul_f32_e32 v10, v9, v7
	v_fma_f32 v11, -v5, v10, v9
	s_delay_alu instid0(VALU_DEP_1) | instskip(NEXT) | instid1(VALU_DEP_1)
	v_fmac_f32_e32 v10, v11, v7
	v_fma_f32 v5, -v5, v10, v9
	s_delay_alu instid0(VALU_DEP_1) | instskip(NEXT) | instid1(VALU_DEP_1)
	v_div_fmas_f32 v5, v5, v7, v10
	v_div_fixup_f32 v4, v5, v4, v12
	s_delay_alu instid0(VALU_DEP_1) | instskip(SKIP_1) | instid1(VALU_DEP_2)
	v_bfe_u32 v5, v4, 16, 1
	v_cmp_o_f32_e32 vcc_lo, v4, v4
	v_add3_u32 v5, v4, v5, 0x7fff
	s_delay_alu instid0(VALU_DEP_1) | instskip(NEXT) | instid1(VALU_DEP_1)
	v_lshrrev_b32_e32 v5, 16, v5
	v_cndmask_b32_e32 v5, 0x7fc0, v5, vcc_lo
.LBB748_22:
	s_or_b32 exec_lo, exec_lo, s1
	global_store_b16 v[0:1], v5, off
.LBB748_23:
	s_or_b32 exec_lo, exec_lo, s0
	v_cmp_ne_u32_e32 vcc_lo, 1, v6
	s_and_b32 exec_lo, exec_lo, vcc_lo
	s_cbranch_execz .LBB748_26
; %bb.24:
	s_and_b32 exec_lo, exec_lo, s2
	s_cbranch_execz .LBB748_26
; %bb.25:
	s_waitcnt lgkmcnt(0)
	v_add_f32_e32 v2, v2, v3
	s_mov_b32 s7, 0
	s_delay_alu instid0(SALU_CYCLE_1) | instskip(NEXT) | instid1(SALU_CYCLE_1)
	s_lshl_b64 s[2:3], s[6:7], 1
	v_add_co_u32 v0, s1, v0, s2
	s_delay_alu instid0(VALU_DEP_2) | instskip(SKIP_2) | instid1(VALU_DEP_3)
	v_div_scale_f32 v3, null, v2, v2, v8
	v_div_scale_f32 v6, vcc_lo, v8, v2, v8
	v_add_co_ci_u32_e64 v1, s1, s3, v1, s1
	v_rcp_f32_e32 v4, v3
	s_waitcnt_depctr 0xfff
	v_fma_f32 v5, -v3, v4, 1.0
	s_delay_alu instid0(VALU_DEP_1) | instskip(NEXT) | instid1(VALU_DEP_1)
	v_fmac_f32_e32 v4, v5, v4
	v_mul_f32_e32 v5, v6, v4
	s_delay_alu instid0(VALU_DEP_1) | instskip(NEXT) | instid1(VALU_DEP_1)
	v_fma_f32 v7, -v3, v5, v6
	v_fmac_f32_e32 v5, v7, v4
	s_delay_alu instid0(VALU_DEP_1) | instskip(NEXT) | instid1(VALU_DEP_1)
	v_fma_f32 v3, -v3, v5, v6
	v_div_fmas_f32 v3, v3, v4, v5
	v_cmp_eq_f32_e32 vcc_lo, 0, v2
	s_delay_alu instid0(VALU_DEP_2) | instskip(NEXT) | instid1(VALU_DEP_1)
	v_div_fixup_f32 v3, v3, v2, v8
	v_bfe_u32 v4, v3, 16, 1
	v_cmp_u_f32_e64 s0, v3, v3
	s_delay_alu instid0(VALU_DEP_2) | instskip(NEXT) | instid1(VALU_DEP_2)
	v_add3_u32 v4, v3, v4, 0x7fff
	s_or_b32 s0, vcc_lo, s0
	s_delay_alu instid0(VALU_DEP_1) | instskip(NEXT) | instid1(VALU_DEP_1)
	v_lshrrev_b32_e32 v2, 16, v4
	v_cndmask_b32_e64 v2, v2, 0x7fc0, s0
	global_store_b16 v[0:1], v2, off
.LBB748_26:
	s_nop 0
	s_sendmsg sendmsg(MSG_DEALLOC_VGPRS)
	s_endpgm
	.section	.rodata,"a",@progbits
	.p2align	6, 0x0
	.amdhsa_kernel _ZN12_GLOBAL__N_120softmax_warp_forwardIN3c108BFloat16ES2_fLi2ELb0ELb1ELi64EEEvPT0_PKT_iiiPKbib
		.amdhsa_group_segment_fixed_size 0
		.amdhsa_private_segment_fixed_size 0
		.amdhsa_kernarg_size 304
		.amdhsa_user_sgpr_count 15
		.amdhsa_user_sgpr_dispatch_ptr 0
		.amdhsa_user_sgpr_queue_ptr 0
		.amdhsa_user_sgpr_kernarg_segment_ptr 1
		.amdhsa_user_sgpr_dispatch_id 0
		.amdhsa_user_sgpr_private_segment_size 0
		.amdhsa_wavefront_size32 1
		.amdhsa_uses_dynamic_stack 0
		.amdhsa_enable_private_segment 0
		.amdhsa_system_sgpr_workgroup_id_x 1
		.amdhsa_system_sgpr_workgroup_id_y 0
		.amdhsa_system_sgpr_workgroup_id_z 0
		.amdhsa_system_sgpr_workgroup_info 0
		.amdhsa_system_vgpr_workitem_id 1
		.amdhsa_next_free_vgpr 17
		.amdhsa_next_free_sgpr 16
		.amdhsa_reserve_vcc 1
		.amdhsa_float_round_mode_32 0
		.amdhsa_float_round_mode_16_64 0
		.amdhsa_float_denorm_mode_32 3
		.amdhsa_float_denorm_mode_16_64 3
		.amdhsa_dx10_clamp 1
		.amdhsa_ieee_mode 1
		.amdhsa_fp16_overflow 0
		.amdhsa_workgroup_processor_mode 1
		.amdhsa_memory_ordered 1
		.amdhsa_forward_progress 0
		.amdhsa_shared_vgpr_count 0
		.amdhsa_exception_fp_ieee_invalid_op 0
		.amdhsa_exception_fp_denorm_src 0
		.amdhsa_exception_fp_ieee_div_zero 0
		.amdhsa_exception_fp_ieee_overflow 0
		.amdhsa_exception_fp_ieee_underflow 0
		.amdhsa_exception_fp_ieee_inexact 0
		.amdhsa_exception_int_div_zero 0
	.end_amdhsa_kernel
	.section	.text._ZN12_GLOBAL__N_120softmax_warp_forwardIN3c108BFloat16ES2_fLi2ELb0ELb1ELi64EEEvPT0_PKT_iiiPKbib,"axG",@progbits,_ZN12_GLOBAL__N_120softmax_warp_forwardIN3c108BFloat16ES2_fLi2ELb0ELb1ELi64EEEvPT0_PKT_iiiPKbib,comdat
.Lfunc_end748:
	.size	_ZN12_GLOBAL__N_120softmax_warp_forwardIN3c108BFloat16ES2_fLi2ELb0ELb1ELi64EEEvPT0_PKT_iiiPKbib, .Lfunc_end748-_ZN12_GLOBAL__N_120softmax_warp_forwardIN3c108BFloat16ES2_fLi2ELb0ELb1ELi64EEEvPT0_PKT_iiiPKbib
                                        ; -- End function
	.section	.AMDGPU.csdata,"",@progbits
; Kernel info:
; codeLenInByte = 1840
; NumSgprs: 18
; NumVgprs: 17
; ScratchSize: 0
; MemoryBound: 0
; FloatMode: 240
; IeeeMode: 1
; LDSByteSize: 0 bytes/workgroup (compile time only)
; SGPRBlocks: 2
; VGPRBlocks: 2
; NumSGPRsForWavesPerEU: 18
; NumVGPRsForWavesPerEU: 17
; Occupancy: 16
; WaveLimiterHint : 0
; COMPUTE_PGM_RSRC2:SCRATCH_EN: 0
; COMPUTE_PGM_RSRC2:USER_SGPR: 15
; COMPUTE_PGM_RSRC2:TRAP_HANDLER: 0
; COMPUTE_PGM_RSRC2:TGID_X_EN: 1
; COMPUTE_PGM_RSRC2:TGID_Y_EN: 0
; COMPUTE_PGM_RSRC2:TGID_Z_EN: 0
; COMPUTE_PGM_RSRC2:TIDIG_COMP_CNT: 1
	.section	.text._ZN12_GLOBAL__N_120softmax_warp_forwardIN3c108BFloat16ES2_fLi2ELb0ELb1ELi32EEEvPT0_PKT_iiiPKbib,"axG",@progbits,_ZN12_GLOBAL__N_120softmax_warp_forwardIN3c108BFloat16ES2_fLi2ELb0ELb1ELi32EEEvPT0_PKT_iiiPKbib,comdat
	.globl	_ZN12_GLOBAL__N_120softmax_warp_forwardIN3c108BFloat16ES2_fLi2ELb0ELb1ELi32EEEvPT0_PKT_iiiPKbib ; -- Begin function _ZN12_GLOBAL__N_120softmax_warp_forwardIN3c108BFloat16ES2_fLi2ELb0ELb1ELi32EEEvPT0_PKT_iiiPKbib
	.p2align	8
	.type	_ZN12_GLOBAL__N_120softmax_warp_forwardIN3c108BFloat16ES2_fLi2ELb0ELb1ELi32EEEvPT0_PKT_iiiPKbib,@function
_ZN12_GLOBAL__N_120softmax_warp_forwardIN3c108BFloat16ES2_fLi2ELb0ELb1ELi32EEEvPT0_PKT_iiiPKbib: ; @_ZN12_GLOBAL__N_120softmax_warp_forwardIN3c108BFloat16ES2_fLi2ELb0ELb1ELi32EEEvPT0_PKT_iiiPKbib
; %bb.0:
	s_clause 0x2
	s_load_b64 s[2:3], s[0:1], 0x28
	s_load_b32 s8, s[0:1], 0x3c
	s_load_b128 s[4:7], s[0:1], 0x10
	v_bfe_u32 v1, v0, 10, 10
	v_and_b32_e32 v4, 0x3ff, v0
	s_waitcnt lgkmcnt(0)
	s_bitcmp1_b32 s3, 0
	s_cselect_b32 s12, -1, 0
	s_lshr_b32 s7, s8, 16
	s_bitcmp0_b32 s3, 0
	s_mul_i32 s15, s15, s7
	s_delay_alu instid0(SALU_CYCLE_1) | instskip(NEXT) | instid1(VALU_DEP_1)
	v_add_lshl_u32 v5, s15, v1, 1
	v_mul_lo_u32 v6, v5, s5
	s_delay_alu instid0(VALU_DEP_1) | instskip(NEXT) | instid1(VALU_DEP_1)
	v_add_nc_u32_e32 v0, v6, v4
	v_ashrrev_i32_e32 v1, 31, v0
	s_delay_alu instid0(VALU_DEP_1)
	v_dual_mov_b32 v3, v1 :: v_dual_mov_b32 v2, v0
	s_cbranch_scc1 .LBB749_2
; %bb.1:
	s_abs_i32 s3, s2
	v_sub_nc_u32_e32 v7, 0, v6
	v_cvt_f32_u32_e32 v2, s3
	s_sub_i32 s7, 0, s3
	s_delay_alu instid0(VALU_DEP_2) | instskip(NEXT) | instid1(VALU_DEP_2)
	v_max_i32_e32 v7, v6, v7
	v_rcp_iflag_f32_e32 v2, v2
	v_xor_b32_e32 v6, s2, v6
	s_delay_alu instid0(VALU_DEP_1) | instskip(SKIP_2) | instid1(VALU_DEP_1)
	v_ashrrev_i32_e32 v6, 31, v6
	s_waitcnt_depctr 0xfff
	v_mul_f32_e32 v2, 0x4f7ffffe, v2
	v_cvt_u32_f32_e32 v2, v2
	s_delay_alu instid0(VALU_DEP_1) | instskip(NEXT) | instid1(VALU_DEP_1)
	v_mul_lo_u32 v3, s7, v2
	v_mul_hi_u32 v3, v2, v3
	s_delay_alu instid0(VALU_DEP_1) | instskip(NEXT) | instid1(VALU_DEP_1)
	v_add_nc_u32_e32 v2, v2, v3
	v_mul_hi_u32 v2, v7, v2
	s_delay_alu instid0(VALU_DEP_1) | instskip(NEXT) | instid1(VALU_DEP_1)
	v_mul_lo_u32 v3, v2, s3
	v_sub_nc_u32_e32 v3, v7, v3
	v_add_nc_u32_e32 v7, 1, v2
	s_delay_alu instid0(VALU_DEP_2) | instskip(SKIP_1) | instid1(VALU_DEP_2)
	v_subrev_nc_u32_e32 v8, s3, v3
	v_cmp_le_u32_e32 vcc_lo, s3, v3
	v_dual_cndmask_b32 v3, v3, v8 :: v_dual_cndmask_b32 v2, v2, v7
	s_delay_alu instid0(VALU_DEP_1) | instskip(NEXT) | instid1(VALU_DEP_2)
	v_cmp_le_u32_e32 vcc_lo, s3, v3
	v_add_nc_u32_e32 v7, 1, v2
	s_delay_alu instid0(VALU_DEP_1) | instskip(NEXT) | instid1(VALU_DEP_1)
	v_cndmask_b32_e32 v2, v2, v7, vcc_lo
	v_xor_b32_e32 v2, v2, v6
	s_delay_alu instid0(VALU_DEP_1) | instskip(NEXT) | instid1(VALU_DEP_1)
	v_sub_nc_u32_e32 v6, v2, v6
	v_mad_u64_u32 v[2:3], null, v6, s5, v[4:5]
	s_delay_alu instid0(VALU_DEP_1)
	v_ashrrev_i32_e32 v3, 31, v2
.LBB749_2:
	s_load_b128 s[8:11], s[0:1], 0x0
	v_lshlrev_b64 v[0:1], 1, v[0:1]
	v_sub_nc_u32_e32 v6, s4, v5
	v_cmp_gt_i32_e64 s2, s6, v4
	v_mov_b32_e32 v7, 0xff800000
	v_mov_b32_e32 v9, 0xff800000
	s_delay_alu instid0(VALU_DEP_4) | instskip(SKIP_2) | instid1(VALU_DEP_1)
	v_cmp_lt_i32_e32 vcc_lo, 0, v6
	s_waitcnt lgkmcnt(0)
	v_add_co_u32 v4, s3, s10, v0
	v_add_co_ci_u32_e64 v5, s3, s11, v1, s3
	s_and_b32 s11, s2, vcc_lo
	s_delay_alu instid0(SALU_CYCLE_1)
	s_and_saveexec_b32 s3, s11
	s_cbranch_execz .LBB749_4
; %bb.3:
	global_load_u16 v8, v[4:5], off
	s_waitcnt vmcnt(0)
	v_lshlrev_b32_e32 v9, 16, v8
.LBB749_4:
	s_or_b32 exec_lo, exec_lo, s3
	v_cmp_lt_i32_e64 s3, 1, v6
	s_delay_alu instid0(VALU_DEP_1) | instskip(NEXT) | instid1(SALU_CYCLE_1)
	s_and_b32 s10, s2, s3
	s_and_saveexec_b32 s4, s10
	s_cbranch_execz .LBB749_6
; %bb.5:
	s_mov_b32 s7, 0
	s_delay_alu instid0(SALU_CYCLE_1) | instskip(NEXT) | instid1(SALU_CYCLE_1)
	s_lshl_b64 s[14:15], s[6:7], 1
	v_add_co_u32 v4, s3, v4, s14
	s_delay_alu instid0(VALU_DEP_1)
	v_add_co_ci_u32_e64 v5, s3, s15, v5, s3
	global_load_u16 v4, v[4:5], off
	s_waitcnt vmcnt(0)
	v_lshlrev_b32_e32 v7, 16, v4
.LBB749_6:
	s_or_b32 exec_lo, exec_lo, s4
	s_load_b64 s[0:1], s[0:1], 0x20
	v_mov_b32_e32 v4, 0xff800000
	s_waitcnt lgkmcnt(0)
	v_add_co_u32 v2, s0, s0, v2
	s_delay_alu instid0(VALU_DEP_1)
	v_add_co_ci_u32_e64 v3, s0, s1, v3, s0
	s_and_saveexec_b32 s1, s11
	s_cbranch_execz .LBB749_8
; %bb.7:
	global_load_u8 v4, v[2:3], off
	s_waitcnt vmcnt(0)
	v_and_b32_e32 v4, 1, v4
	s_delay_alu instid0(VALU_DEP_1) | instskip(NEXT) | instid1(VALU_DEP_1)
	v_cmp_eq_u32_e64 s0, 1, v4
	v_cndmask_b32_e64 v4, v9, 0xff800000, s0
.LBB749_8:
	s_or_b32 exec_lo, exec_lo, s1
	s_mov_b32 s4, 0
	s_mov_b32 s1, 0
	s_and_saveexec_b32 s3, s10
	s_cbranch_execz .LBB749_10
; %bb.9:
	s_and_b32 s0, s12, exec_lo
	s_cselect_b32 s0, 0, s6
	s_cselect_b32 s1, 0, 0
	v_add_co_u32 v10, s0, v2, s0
	s_delay_alu instid0(VALU_DEP_1) | instskip(SKIP_3) | instid1(VALU_DEP_1)
	v_add_co_ci_u32_e64 v11, s0, s1, v3, s0
	global_load_u8 v5, v[10:11], off
	s_waitcnt vmcnt(0)
	v_and_b32_e32 v5, 1, v5
	v_cmp_eq_u32_e64 s0, 1, v5
	s_delay_alu instid0(VALU_DEP_1) | instskip(NEXT) | instid1(SALU_CYCLE_1)
	s_xor_b32 s0, s0, -1
	s_and_b32 s1, s0, exec_lo
.LBB749_10:
	s_or_b32 exec_lo, exec_lo, s3
	v_mbcnt_lo_u32_b32 v5, -1, 0
	s_mov_b32 s5, s4
	v_cndmask_b32_e64 v4, v4, v4, s1
	v_cndmask_b32_e64 v12, 0xff800000, v7, s1
	s_delay_alu instid0(VALU_DEP_3) | instskip(SKIP_2) | instid1(VALU_DEP_3)
	v_and_b32_e32 v8, 28, v5
	v_xor_b32_e32 v10, 2, v5
	v_xor_b32_e32 v11, 1, v5
	v_add_nc_u32_e32 v8, 4, v8
	s_delay_alu instid0(VALU_DEP_1) | instskip(NEXT) | instid1(VALU_DEP_1)
	v_cmp_lt_i32_e64 s0, v10, v8
	v_cndmask_b32_e64 v10, v5, v10, s0
	s_delay_alu instid0(VALU_DEP_4) | instskip(SKIP_1) | instid1(VALU_DEP_3)
	v_cmp_lt_i32_e64 s0, v11, v8
	v_mov_b32_e32 v8, 0
	v_lshlrev_b32_e32 v10, 2, v10
	s_delay_alu instid0(VALU_DEP_3)
	v_cndmask_b32_e64 v5, v5, v11, s0
	ds_bpermute_b32 v13, v10, v4
	ds_bpermute_b32 v14, v10, v12
	v_lshlrev_b32_e32 v11, 2, v5
	s_waitcnt lgkmcnt(1)
	v_cmp_lt_f32_e64 s0, v4, v13
	s_delay_alu instid0(VALU_DEP_1)
	v_cndmask_b32_e64 v15, v4, v13, s0
	s_waitcnt lgkmcnt(0)
	v_cmp_lt_f32_e64 s0, v12, v14
	v_dual_mov_b32 v4, s4 :: v_dual_mov_b32 v5, s5
	ds_bpermute_b32 v16, v11, v15
	v_cndmask_b32_e64 v13, v12, v14, s0
	v_mov_b32_e32 v12, 0
	ds_bpermute_b32 v14, v11, v13
	s_and_saveexec_b32 s1, s11
	s_cbranch_execz .LBB749_14
; %bb.11:
	global_load_u8 v4, v[2:3], off
	s_mov_b32 s5, s4
	v_mov_b32_e32 v12, 0
	s_waitcnt vmcnt(0)
	v_and_b32_e32 v4, 1, v4
	s_delay_alu instid0(VALU_DEP_1) | instskip(SKIP_1) | instid1(VALU_DEP_2)
	v_cmp_eq_u32_e64 s0, 1, v4
	v_dual_mov_b32 v4, s4 :: v_dual_mov_b32 v5, s5
	s_xor_b32 s0, s0, -1
	s_delay_alu instid0(SALU_CYCLE_1)
	s_and_saveexec_b32 s3, s0
	s_cbranch_execz .LBB749_13
; %bb.12:
	s_waitcnt lgkmcnt(1)
	v_cmp_lt_f32_e64 s0, v15, v16
	s_delay_alu instid0(VALU_DEP_1) | instskip(NEXT) | instid1(VALU_DEP_1)
	v_cndmask_b32_e64 v4, v15, v16, s0
	v_sub_f32_e32 v4, v9, v4
	s_delay_alu instid0(VALU_DEP_1) | instskip(SKIP_1) | instid1(VALU_DEP_2)
	v_mul_f32_e32 v5, 0x3fb8aa3b, v4
	v_cmp_ngt_f32_e64 s0, 0xc2ce8ed0, v4
	v_fma_f32 v9, 0x3fb8aa3b, v4, -v5
	v_rndne_f32_e32 v12, v5
	s_delay_alu instid0(VALU_DEP_2) | instskip(NEXT) | instid1(VALU_DEP_2)
	v_fmamk_f32 v9, v4, 0x32a5705f, v9
	v_sub_f32_e32 v5, v5, v12
	s_delay_alu instid0(VALU_DEP_1) | instskip(SKIP_1) | instid1(VALU_DEP_2)
	v_add_f32_e32 v5, v5, v9
	v_cvt_i32_f32_e32 v9, v12
	v_exp_f32_e32 v5, v5
	s_waitcnt_depctr 0xfff
	v_ldexp_f32 v5, v5, v9
	s_delay_alu instid0(VALU_DEP_1) | instskip(SKIP_1) | instid1(VALU_DEP_1)
	v_cndmask_b32_e64 v5, 0, v5, s0
	v_cmp_nlt_f32_e64 s0, 0x42b17218, v4
	v_cndmask_b32_e64 v4, 0x7f800000, v5, s0
	s_delay_alu instid0(VALU_DEP_1)
	v_dual_mov_b32 v5, 0 :: v_dual_mov_b32 v12, v4
.LBB749_13:
	s_or_b32 exec_lo, exec_lo, s3
.LBB749_14:
	s_delay_alu instid0(SALU_CYCLE_1)
	s_or_b32 exec_lo, exec_lo, s1
	s_and_saveexec_b32 s1, s10
	s_cbranch_execz .LBB749_18
; %bb.15:
	s_and_b32 s0, s12, exec_lo
	s_cselect_b32 s0, 0, s6
	s_cselect_b32 s3, 0, 0
	v_add_co_u32 v2, s0, v2, s0
	s_delay_alu instid0(VALU_DEP_1) | instskip(SKIP_4) | instid1(VALU_DEP_1)
	v_add_co_ci_u32_e64 v3, s0, s3, v3, s0
	v_mov_b32_e32 v8, 0
	global_load_u8 v2, v[2:3], off
	s_waitcnt vmcnt(0)
	v_and_b32_e32 v2, 1, v2
	v_cmp_eq_u32_e64 s0, 1, v2
	s_delay_alu instid0(VALU_DEP_1) | instskip(NEXT) | instid1(SALU_CYCLE_1)
	s_xor_b32 s0, s0, -1
	s_and_saveexec_b32 s3, s0
	s_cbranch_execz .LBB749_17
; %bb.16:
	s_waitcnt lgkmcnt(0)
	v_cmp_lt_f32_e64 s0, v13, v14
	s_delay_alu instid0(VALU_DEP_1) | instskip(NEXT) | instid1(VALU_DEP_1)
	v_cndmask_b32_e64 v2, v13, v14, s0
	v_sub_f32_e32 v2, v7, v2
	s_delay_alu instid0(VALU_DEP_1) | instskip(SKIP_1) | instid1(VALU_DEP_2)
	v_mul_f32_e32 v3, 0x3fb8aa3b, v2
	v_cmp_ngt_f32_e64 s0, 0xc2ce8ed0, v2
	v_fma_f32 v7, 0x3fb8aa3b, v2, -v3
	v_rndne_f32_e32 v8, v3
	s_delay_alu instid0(VALU_DEP_2) | instskip(NEXT) | instid1(VALU_DEP_2)
	v_fmamk_f32 v7, v2, 0x32a5705f, v7
	v_sub_f32_e32 v3, v3, v8
	s_delay_alu instid0(VALU_DEP_1) | instskip(SKIP_1) | instid1(VALU_DEP_2)
	v_add_f32_e32 v3, v3, v7
	v_cvt_i32_f32_e32 v7, v8
	v_exp_f32_e32 v3, v3
	s_waitcnt_depctr 0xfff
	v_ldexp_f32 v3, v3, v7
	s_delay_alu instid0(VALU_DEP_1) | instskip(SKIP_1) | instid1(VALU_DEP_1)
	v_cndmask_b32_e64 v3, 0, v3, s0
	v_cmp_nlt_f32_e64 s0, 0x42b17218, v2
	v_cndmask_b32_e64 v8, 0x7f800000, v3, s0
	s_delay_alu instid0(VALU_DEP_1)
	v_add_f32_e32 v5, v5, v8
.LBB749_17:
	s_or_b32 exec_lo, exec_lo, s3
.LBB749_18:
	s_delay_alu instid0(SALU_CYCLE_1)
	s_or_b32 exec_lo, exec_lo, s1
	ds_bpermute_b32 v2, v10, v4
	ds_bpermute_b32 v3, v10, v5
	s_waitcnt lgkmcnt(1)
	v_add_f32_e32 v4, v4, v2
	s_waitcnt lgkmcnt(0)
	v_add_f32_e32 v2, v5, v3
	ds_bpermute_b32 v5, v11, v4
	ds_bpermute_b32 v3, v11, v2
	s_and_saveexec_b32 s0, vcc_lo
	s_cbranch_execz .LBB749_26
; %bb.19:
	v_add_co_u32 v0, vcc_lo, s8, v0
	v_add_co_ci_u32_e32 v1, vcc_lo, s9, v1, vcc_lo
	s_and_saveexec_b32 s0, s2
	s_cbranch_execz .LBB749_23
; %bb.20:
	s_waitcnt lgkmcnt(1)
	v_dual_add_f32 v4, v4, v5 :: v_dual_mov_b32 v5, 0x7fc0
	s_mov_b32 s1, exec_lo
	s_delay_alu instid0(VALU_DEP_1)
	v_cmpx_neq_f32_e32 0, v4
	s_cbranch_execz .LBB749_22
; %bb.21:
	v_div_scale_f32 v5, null, v4, v4, v12
	s_delay_alu instid0(VALU_DEP_1) | instskip(SKIP_2) | instid1(VALU_DEP_1)
	v_rcp_f32_e32 v7, v5
	s_waitcnt_depctr 0xfff
	v_fma_f32 v9, -v5, v7, 1.0
	v_fmac_f32_e32 v7, v9, v7
	v_div_scale_f32 v9, vcc_lo, v12, v4, v12
	s_delay_alu instid0(VALU_DEP_1) | instskip(NEXT) | instid1(VALU_DEP_1)
	v_mul_f32_e32 v10, v9, v7
	v_fma_f32 v11, -v5, v10, v9
	s_delay_alu instid0(VALU_DEP_1) | instskip(NEXT) | instid1(VALU_DEP_1)
	v_fmac_f32_e32 v10, v11, v7
	v_fma_f32 v5, -v5, v10, v9
	s_delay_alu instid0(VALU_DEP_1) | instskip(NEXT) | instid1(VALU_DEP_1)
	v_div_fmas_f32 v5, v5, v7, v10
	v_div_fixup_f32 v4, v5, v4, v12
	s_delay_alu instid0(VALU_DEP_1) | instskip(SKIP_1) | instid1(VALU_DEP_2)
	v_bfe_u32 v5, v4, 16, 1
	v_cmp_o_f32_e32 vcc_lo, v4, v4
	v_add3_u32 v5, v4, v5, 0x7fff
	s_delay_alu instid0(VALU_DEP_1) | instskip(NEXT) | instid1(VALU_DEP_1)
	v_lshrrev_b32_e32 v5, 16, v5
	v_cndmask_b32_e32 v5, 0x7fc0, v5, vcc_lo
.LBB749_22:
	s_or_b32 exec_lo, exec_lo, s1
	global_store_b16 v[0:1], v5, off
.LBB749_23:
	s_or_b32 exec_lo, exec_lo, s0
	v_cmp_ne_u32_e32 vcc_lo, 1, v6
	s_and_b32 exec_lo, exec_lo, vcc_lo
	s_cbranch_execz .LBB749_26
; %bb.24:
	s_and_b32 exec_lo, exec_lo, s2
	s_cbranch_execz .LBB749_26
; %bb.25:
	s_waitcnt lgkmcnt(0)
	v_add_f32_e32 v2, v2, v3
	s_mov_b32 s7, 0
	s_delay_alu instid0(SALU_CYCLE_1) | instskip(NEXT) | instid1(SALU_CYCLE_1)
	s_lshl_b64 s[2:3], s[6:7], 1
	v_add_co_u32 v0, s1, v0, s2
	s_delay_alu instid0(VALU_DEP_2) | instskip(SKIP_2) | instid1(VALU_DEP_3)
	v_div_scale_f32 v3, null, v2, v2, v8
	v_div_scale_f32 v6, vcc_lo, v8, v2, v8
	v_add_co_ci_u32_e64 v1, s1, s3, v1, s1
	v_rcp_f32_e32 v4, v3
	s_waitcnt_depctr 0xfff
	v_fma_f32 v5, -v3, v4, 1.0
	s_delay_alu instid0(VALU_DEP_1) | instskip(NEXT) | instid1(VALU_DEP_1)
	v_fmac_f32_e32 v4, v5, v4
	v_mul_f32_e32 v5, v6, v4
	s_delay_alu instid0(VALU_DEP_1) | instskip(NEXT) | instid1(VALU_DEP_1)
	v_fma_f32 v7, -v3, v5, v6
	v_fmac_f32_e32 v5, v7, v4
	s_delay_alu instid0(VALU_DEP_1) | instskip(NEXT) | instid1(VALU_DEP_1)
	v_fma_f32 v3, -v3, v5, v6
	v_div_fmas_f32 v3, v3, v4, v5
	v_cmp_eq_f32_e32 vcc_lo, 0, v2
	s_delay_alu instid0(VALU_DEP_2) | instskip(NEXT) | instid1(VALU_DEP_1)
	v_div_fixup_f32 v3, v3, v2, v8
	v_bfe_u32 v4, v3, 16, 1
	v_cmp_u_f32_e64 s0, v3, v3
	s_delay_alu instid0(VALU_DEP_2) | instskip(NEXT) | instid1(VALU_DEP_2)
	v_add3_u32 v4, v3, v4, 0x7fff
	s_or_b32 s0, vcc_lo, s0
	s_delay_alu instid0(VALU_DEP_1) | instskip(NEXT) | instid1(VALU_DEP_1)
	v_lshrrev_b32_e32 v2, 16, v4
	v_cndmask_b32_e64 v2, v2, 0x7fc0, s0
	global_store_b16 v[0:1], v2, off
.LBB749_26:
	s_nop 0
	s_sendmsg sendmsg(MSG_DEALLOC_VGPRS)
	s_endpgm
	.section	.rodata,"a",@progbits
	.p2align	6, 0x0
	.amdhsa_kernel _ZN12_GLOBAL__N_120softmax_warp_forwardIN3c108BFloat16ES2_fLi2ELb0ELb1ELi32EEEvPT0_PKT_iiiPKbib
		.amdhsa_group_segment_fixed_size 0
		.amdhsa_private_segment_fixed_size 0
		.amdhsa_kernarg_size 304
		.amdhsa_user_sgpr_count 15
		.amdhsa_user_sgpr_dispatch_ptr 0
		.amdhsa_user_sgpr_queue_ptr 0
		.amdhsa_user_sgpr_kernarg_segment_ptr 1
		.amdhsa_user_sgpr_dispatch_id 0
		.amdhsa_user_sgpr_private_segment_size 0
		.amdhsa_wavefront_size32 1
		.amdhsa_uses_dynamic_stack 0
		.amdhsa_enable_private_segment 0
		.amdhsa_system_sgpr_workgroup_id_x 1
		.amdhsa_system_sgpr_workgroup_id_y 0
		.amdhsa_system_sgpr_workgroup_id_z 0
		.amdhsa_system_sgpr_workgroup_info 0
		.amdhsa_system_vgpr_workitem_id 1
		.amdhsa_next_free_vgpr 17
		.amdhsa_next_free_sgpr 16
		.amdhsa_reserve_vcc 1
		.amdhsa_float_round_mode_32 0
		.amdhsa_float_round_mode_16_64 0
		.amdhsa_float_denorm_mode_32 3
		.amdhsa_float_denorm_mode_16_64 3
		.amdhsa_dx10_clamp 1
		.amdhsa_ieee_mode 1
		.amdhsa_fp16_overflow 0
		.amdhsa_workgroup_processor_mode 1
		.amdhsa_memory_ordered 1
		.amdhsa_forward_progress 0
		.amdhsa_shared_vgpr_count 0
		.amdhsa_exception_fp_ieee_invalid_op 0
		.amdhsa_exception_fp_denorm_src 0
		.amdhsa_exception_fp_ieee_div_zero 0
		.amdhsa_exception_fp_ieee_overflow 0
		.amdhsa_exception_fp_ieee_underflow 0
		.amdhsa_exception_fp_ieee_inexact 0
		.amdhsa_exception_int_div_zero 0
	.end_amdhsa_kernel
	.section	.text._ZN12_GLOBAL__N_120softmax_warp_forwardIN3c108BFloat16ES2_fLi2ELb0ELb1ELi32EEEvPT0_PKT_iiiPKbib,"axG",@progbits,_ZN12_GLOBAL__N_120softmax_warp_forwardIN3c108BFloat16ES2_fLi2ELb0ELb1ELi32EEEvPT0_PKT_iiiPKbib,comdat
.Lfunc_end749:
	.size	_ZN12_GLOBAL__N_120softmax_warp_forwardIN3c108BFloat16ES2_fLi2ELb0ELb1ELi32EEEvPT0_PKT_iiiPKbib, .Lfunc_end749-_ZN12_GLOBAL__N_120softmax_warp_forwardIN3c108BFloat16ES2_fLi2ELb0ELb1ELi32EEEvPT0_PKT_iiiPKbib
                                        ; -- End function
	.section	.AMDGPU.csdata,"",@progbits
; Kernel info:
; codeLenInByte = 1840
; NumSgprs: 18
; NumVgprs: 17
; ScratchSize: 0
; MemoryBound: 0
; FloatMode: 240
; IeeeMode: 1
; LDSByteSize: 0 bytes/workgroup (compile time only)
; SGPRBlocks: 2
; VGPRBlocks: 2
; NumSGPRsForWavesPerEU: 18
; NumVGPRsForWavesPerEU: 17
; Occupancy: 16
; WaveLimiterHint : 0
; COMPUTE_PGM_RSRC2:SCRATCH_EN: 0
; COMPUTE_PGM_RSRC2:USER_SGPR: 15
; COMPUTE_PGM_RSRC2:TRAP_HANDLER: 0
; COMPUTE_PGM_RSRC2:TGID_X_EN: 1
; COMPUTE_PGM_RSRC2:TGID_Y_EN: 0
; COMPUTE_PGM_RSRC2:TGID_Z_EN: 0
; COMPUTE_PGM_RSRC2:TIDIG_COMP_CNT: 1
	.section	.text._ZN12_GLOBAL__N_120softmax_warp_forwardIN3c108BFloat16ES2_fLi3ELb0ELb1ELi64EEEvPT0_PKT_iiiPKbib,"axG",@progbits,_ZN12_GLOBAL__N_120softmax_warp_forwardIN3c108BFloat16ES2_fLi3ELb0ELb1ELi64EEEvPT0_PKT_iiiPKbib,comdat
	.globl	_ZN12_GLOBAL__N_120softmax_warp_forwardIN3c108BFloat16ES2_fLi3ELb0ELb1ELi64EEEvPT0_PKT_iiiPKbib ; -- Begin function _ZN12_GLOBAL__N_120softmax_warp_forwardIN3c108BFloat16ES2_fLi3ELb0ELb1ELi64EEEvPT0_PKT_iiiPKbib
	.p2align	8
	.type	_ZN12_GLOBAL__N_120softmax_warp_forwardIN3c108BFloat16ES2_fLi3ELb0ELb1ELi64EEEvPT0_PKT_iiiPKbib,@function
_ZN12_GLOBAL__N_120softmax_warp_forwardIN3c108BFloat16ES2_fLi3ELb0ELb1ELi64EEEvPT0_PKT_iiiPKbib: ; @_ZN12_GLOBAL__N_120softmax_warp_forwardIN3c108BFloat16ES2_fLi3ELb0ELb1ELi64EEEvPT0_PKT_iiiPKbib
; %bb.0:
	s_clause 0x2
	s_load_b64 s[2:3], s[0:1], 0x28
	s_load_b32 s8, s[0:1], 0x3c
	s_load_b128 s[4:7], s[0:1], 0x10
	v_bfe_u32 v1, v0, 10, 10
	v_and_b32_e32 v4, 0x3ff, v0
	s_waitcnt lgkmcnt(0)
	s_bitcmp1_b32 s3, 0
	s_cselect_b32 s12, -1, 0
	s_lshr_b32 s7, s8, 16
	s_bitcmp0_b32 s3, 0
	s_mul_i32 s15, s15, s7
	s_delay_alu instid0(SALU_CYCLE_1) | instskip(NEXT) | instid1(VALU_DEP_1)
	v_add_lshl_u32 v5, s15, v1, 1
	v_mul_lo_u32 v6, v5, s5
	s_delay_alu instid0(VALU_DEP_1) | instskip(NEXT) | instid1(VALU_DEP_1)
	v_add_nc_u32_e32 v0, v6, v4
	v_ashrrev_i32_e32 v1, 31, v0
	s_delay_alu instid0(VALU_DEP_1)
	v_dual_mov_b32 v3, v1 :: v_dual_mov_b32 v2, v0
	s_cbranch_scc1 .LBB750_2
; %bb.1:
	s_abs_i32 s3, s2
	v_sub_nc_u32_e32 v7, 0, v6
	v_cvt_f32_u32_e32 v2, s3
	s_sub_i32 s7, 0, s3
	s_delay_alu instid0(VALU_DEP_2) | instskip(NEXT) | instid1(VALU_DEP_2)
	v_max_i32_e32 v7, v6, v7
	v_rcp_iflag_f32_e32 v2, v2
	v_xor_b32_e32 v6, s2, v6
	s_delay_alu instid0(VALU_DEP_1) | instskip(SKIP_2) | instid1(VALU_DEP_1)
	v_ashrrev_i32_e32 v6, 31, v6
	s_waitcnt_depctr 0xfff
	v_mul_f32_e32 v2, 0x4f7ffffe, v2
	v_cvt_u32_f32_e32 v2, v2
	s_delay_alu instid0(VALU_DEP_1) | instskip(NEXT) | instid1(VALU_DEP_1)
	v_mul_lo_u32 v3, s7, v2
	v_mul_hi_u32 v3, v2, v3
	s_delay_alu instid0(VALU_DEP_1) | instskip(NEXT) | instid1(VALU_DEP_1)
	v_add_nc_u32_e32 v2, v2, v3
	v_mul_hi_u32 v2, v7, v2
	s_delay_alu instid0(VALU_DEP_1) | instskip(NEXT) | instid1(VALU_DEP_1)
	v_mul_lo_u32 v3, v2, s3
	v_sub_nc_u32_e32 v3, v7, v3
	v_add_nc_u32_e32 v7, 1, v2
	s_delay_alu instid0(VALU_DEP_2) | instskip(SKIP_1) | instid1(VALU_DEP_2)
	v_subrev_nc_u32_e32 v8, s3, v3
	v_cmp_le_u32_e32 vcc_lo, s3, v3
	v_dual_cndmask_b32 v3, v3, v8 :: v_dual_cndmask_b32 v2, v2, v7
	s_delay_alu instid0(VALU_DEP_1) | instskip(NEXT) | instid1(VALU_DEP_2)
	v_cmp_le_u32_e32 vcc_lo, s3, v3
	v_add_nc_u32_e32 v7, 1, v2
	s_delay_alu instid0(VALU_DEP_1) | instskip(NEXT) | instid1(VALU_DEP_1)
	v_cndmask_b32_e32 v2, v2, v7, vcc_lo
	v_xor_b32_e32 v2, v2, v6
	s_delay_alu instid0(VALU_DEP_1) | instskip(NEXT) | instid1(VALU_DEP_1)
	v_sub_nc_u32_e32 v6, v2, v6
	v_mad_u64_u32 v[2:3], null, v6, s5, v[4:5]
	s_delay_alu instid0(VALU_DEP_1)
	v_ashrrev_i32_e32 v3, 31, v2
.LBB750_2:
	s_load_b128 s[8:11], s[0:1], 0x0
	v_lshlrev_b64 v[0:1], 1, v[0:1]
	v_sub_nc_u32_e32 v6, s4, v5
	v_cmp_gt_i32_e64 s2, s6, v4
	v_mov_b32_e32 v7, 0xff800000
	v_mov_b32_e32 v9, 0xff800000
	s_delay_alu instid0(VALU_DEP_4) | instskip(SKIP_2) | instid1(VALU_DEP_1)
	v_cmp_lt_i32_e32 vcc_lo, 0, v6
	s_waitcnt lgkmcnt(0)
	v_add_co_u32 v4, s3, s10, v0
	v_add_co_ci_u32_e64 v5, s3, s11, v1, s3
	s_and_b32 s11, s2, vcc_lo
	s_delay_alu instid0(SALU_CYCLE_1)
	s_and_saveexec_b32 s3, s11
	s_cbranch_execz .LBB750_4
; %bb.3:
	global_load_u16 v8, v[4:5], off
	s_waitcnt vmcnt(0)
	v_lshlrev_b32_e32 v9, 16, v8
.LBB750_4:
	s_or_b32 exec_lo, exec_lo, s3
	v_cmp_lt_i32_e64 s3, 1, v6
	s_delay_alu instid0(VALU_DEP_1) | instskip(NEXT) | instid1(SALU_CYCLE_1)
	s_and_b32 s10, s2, s3
	s_and_saveexec_b32 s4, s10
	s_cbranch_execz .LBB750_6
; %bb.5:
	s_mov_b32 s7, 0
	s_delay_alu instid0(SALU_CYCLE_1) | instskip(NEXT) | instid1(SALU_CYCLE_1)
	s_lshl_b64 s[14:15], s[6:7], 1
	v_add_co_u32 v4, s3, v4, s14
	s_delay_alu instid0(VALU_DEP_1)
	v_add_co_ci_u32_e64 v5, s3, s15, v5, s3
	global_load_u16 v4, v[4:5], off
	s_waitcnt vmcnt(0)
	v_lshlrev_b32_e32 v7, 16, v4
.LBB750_6:
	s_or_b32 exec_lo, exec_lo, s4
	s_load_b64 s[0:1], s[0:1], 0x20
	v_mov_b32_e32 v4, 0xff800000
	s_waitcnt lgkmcnt(0)
	v_add_co_u32 v2, s0, s0, v2
	s_delay_alu instid0(VALU_DEP_1)
	v_add_co_ci_u32_e64 v3, s0, s1, v3, s0
	s_and_saveexec_b32 s1, s11
	s_cbranch_execz .LBB750_8
; %bb.7:
	global_load_u8 v4, v[2:3], off
	s_waitcnt vmcnt(0)
	v_and_b32_e32 v4, 1, v4
	s_delay_alu instid0(VALU_DEP_1) | instskip(NEXT) | instid1(VALU_DEP_1)
	v_cmp_eq_u32_e64 s0, 1, v4
	v_cndmask_b32_e64 v4, v9, 0xff800000, s0
.LBB750_8:
	s_or_b32 exec_lo, exec_lo, s1
	s_mov_b32 s4, 0
	s_mov_b32 s1, 0
	s_and_saveexec_b32 s3, s10
	s_cbranch_execz .LBB750_10
; %bb.9:
	s_and_b32 s0, s12, exec_lo
	s_cselect_b32 s0, 0, s6
	s_cselect_b32 s1, 0, 0
	v_add_co_u32 v10, s0, v2, s0
	s_delay_alu instid0(VALU_DEP_1) | instskip(SKIP_3) | instid1(VALU_DEP_1)
	v_add_co_ci_u32_e64 v11, s0, s1, v3, s0
	global_load_u8 v5, v[10:11], off
	s_waitcnt vmcnt(0)
	v_and_b32_e32 v5, 1, v5
	v_cmp_eq_u32_e64 s0, 1, v5
	s_delay_alu instid0(VALU_DEP_1) | instskip(NEXT) | instid1(SALU_CYCLE_1)
	s_xor_b32 s0, s0, -1
	s_and_b32 s1, s0, exec_lo
.LBB750_10:
	s_or_b32 exec_lo, exec_lo, s3
	v_mbcnt_lo_u32_b32 v5, -1, 0
	s_mov_b32 s5, s4
	v_cndmask_b32_e64 v4, v4, v4, s1
	v_cndmask_b32_e64 v12, 0xff800000, v7, s1
	s_delay_alu instid0(VALU_DEP_3) | instskip(SKIP_2) | instid1(VALU_DEP_3)
	v_and_b32_e32 v8, 24, v5
	v_xor_b32_e32 v10, 4, v5
	v_xor_b32_e32 v11, 2, v5
	v_add_nc_u32_e32 v8, 8, v8
	s_delay_alu instid0(VALU_DEP_1) | instskip(NEXT) | instid1(VALU_DEP_1)
	v_cmp_lt_i32_e64 s0, v10, v8
	v_cndmask_b32_e64 v10, v5, v10, s0
	s_delay_alu instid0(VALU_DEP_4) | instskip(NEXT) | instid1(VALU_DEP_2)
	v_cmp_lt_i32_e64 s0, v11, v8
	v_lshlrev_b32_e32 v10, 2, v10
	s_delay_alu instid0(VALU_DEP_2)
	v_cndmask_b32_e64 v11, v5, v11, s0
	ds_bpermute_b32 v13, v10, v4
	ds_bpermute_b32 v14, v10, v12
	v_lshlrev_b32_e32 v11, 2, v11
	s_waitcnt lgkmcnt(1)
	v_cmp_lt_f32_e64 s0, v4, v13
	s_delay_alu instid0(VALU_DEP_1) | instskip(SKIP_2) | instid1(VALU_DEP_1)
	v_cndmask_b32_e64 v4, v4, v13, s0
	s_waitcnt lgkmcnt(0)
	v_cmp_lt_f32_e64 s0, v12, v14
	v_cndmask_b32_e64 v13, v12, v14, s0
	v_xor_b32_e32 v12, 1, v5
	s_delay_alu instid0(VALU_DEP_1) | instskip(SKIP_4) | instid1(VALU_DEP_1)
	v_cmp_lt_i32_e64 s0, v12, v8
	v_mov_b32_e32 v8, 0
	ds_bpermute_b32 v14, v11, v4
	ds_bpermute_b32 v15, v11, v13
	v_cndmask_b32_e64 v5, v5, v12, s0
	v_lshlrev_b32_e32 v12, 2, v5
	s_waitcnt lgkmcnt(1)
	v_cmp_lt_f32_e64 s0, v4, v14
	s_delay_alu instid0(VALU_DEP_1)
	v_cndmask_b32_e64 v16, v4, v14, s0
	s_waitcnt lgkmcnt(0)
	v_cmp_lt_f32_e64 s0, v13, v15
	v_dual_mov_b32 v4, s4 :: v_dual_mov_b32 v5, s5
	ds_bpermute_b32 v17, v12, v16
	v_cndmask_b32_e64 v14, v13, v15, s0
	v_mov_b32_e32 v13, 0
	ds_bpermute_b32 v15, v12, v14
	s_and_saveexec_b32 s1, s11
	s_cbranch_execz .LBB750_14
; %bb.11:
	global_load_u8 v4, v[2:3], off
	s_mov_b32 s5, s4
	s_waitcnt vmcnt(0)
	v_dual_mov_b32 v13, 0 :: v_dual_and_b32 v4, 1, v4
	s_delay_alu instid0(VALU_DEP_1) | instskip(SKIP_1) | instid1(VALU_DEP_2)
	v_cmp_eq_u32_e64 s0, 1, v4
	v_dual_mov_b32 v4, s4 :: v_dual_mov_b32 v5, s5
	s_xor_b32 s0, s0, -1
	s_delay_alu instid0(SALU_CYCLE_1)
	s_and_saveexec_b32 s3, s0
	s_cbranch_execz .LBB750_13
; %bb.12:
	s_waitcnt lgkmcnt(1)
	v_cmp_lt_f32_e64 s0, v16, v17
	s_delay_alu instid0(VALU_DEP_1) | instskip(NEXT) | instid1(VALU_DEP_1)
	v_cndmask_b32_e64 v4, v16, v17, s0
	v_sub_f32_e32 v4, v9, v4
	s_delay_alu instid0(VALU_DEP_1) | instskip(SKIP_1) | instid1(VALU_DEP_2)
	v_mul_f32_e32 v5, 0x3fb8aa3b, v4
	v_cmp_ngt_f32_e64 s0, 0xc2ce8ed0, v4
	v_fma_f32 v9, 0x3fb8aa3b, v4, -v5
	v_rndne_f32_e32 v13, v5
	s_delay_alu instid0(VALU_DEP_2) | instskip(NEXT) | instid1(VALU_DEP_2)
	v_fmamk_f32 v9, v4, 0x32a5705f, v9
	v_sub_f32_e32 v5, v5, v13
	s_delay_alu instid0(VALU_DEP_1) | instskip(SKIP_1) | instid1(VALU_DEP_2)
	v_add_f32_e32 v5, v5, v9
	v_cvt_i32_f32_e32 v9, v13
	v_exp_f32_e32 v5, v5
	s_waitcnt_depctr 0xfff
	v_ldexp_f32 v5, v5, v9
	s_delay_alu instid0(VALU_DEP_1) | instskip(SKIP_1) | instid1(VALU_DEP_1)
	v_cndmask_b32_e64 v5, 0, v5, s0
	v_cmp_nlt_f32_e64 s0, 0x42b17218, v4
	v_cndmask_b32_e64 v4, 0x7f800000, v5, s0
	v_mov_b32_e32 v5, 0
	s_delay_alu instid0(VALU_DEP_2)
	v_mov_b32_e32 v13, v4
.LBB750_13:
	s_or_b32 exec_lo, exec_lo, s3
.LBB750_14:
	s_delay_alu instid0(SALU_CYCLE_1)
	s_or_b32 exec_lo, exec_lo, s1
	s_and_saveexec_b32 s1, s10
	s_cbranch_execz .LBB750_18
; %bb.15:
	s_and_b32 s0, s12, exec_lo
	s_cselect_b32 s0, 0, s6
	s_cselect_b32 s3, 0, 0
	v_add_co_u32 v2, s0, v2, s0
	s_delay_alu instid0(VALU_DEP_1) | instskip(SKIP_4) | instid1(VALU_DEP_1)
	v_add_co_ci_u32_e64 v3, s0, s3, v3, s0
	v_mov_b32_e32 v8, 0
	global_load_u8 v2, v[2:3], off
	s_waitcnt vmcnt(0)
	v_and_b32_e32 v2, 1, v2
	v_cmp_eq_u32_e64 s0, 1, v2
	s_delay_alu instid0(VALU_DEP_1) | instskip(NEXT) | instid1(SALU_CYCLE_1)
	s_xor_b32 s0, s0, -1
	s_and_saveexec_b32 s3, s0
	s_cbranch_execz .LBB750_17
; %bb.16:
	s_waitcnt lgkmcnt(0)
	v_cmp_lt_f32_e64 s0, v14, v15
	s_delay_alu instid0(VALU_DEP_1) | instskip(NEXT) | instid1(VALU_DEP_1)
	v_cndmask_b32_e64 v2, v14, v15, s0
	v_sub_f32_e32 v2, v7, v2
	s_delay_alu instid0(VALU_DEP_1) | instskip(SKIP_1) | instid1(VALU_DEP_2)
	v_mul_f32_e32 v3, 0x3fb8aa3b, v2
	v_cmp_ngt_f32_e64 s0, 0xc2ce8ed0, v2
	v_fma_f32 v7, 0x3fb8aa3b, v2, -v3
	v_rndne_f32_e32 v8, v3
	s_delay_alu instid0(VALU_DEP_2) | instskip(NEXT) | instid1(VALU_DEP_2)
	v_fmamk_f32 v7, v2, 0x32a5705f, v7
	v_sub_f32_e32 v3, v3, v8
	s_delay_alu instid0(VALU_DEP_1) | instskip(SKIP_1) | instid1(VALU_DEP_2)
	v_add_f32_e32 v3, v3, v7
	v_cvt_i32_f32_e32 v7, v8
	v_exp_f32_e32 v3, v3
	s_waitcnt_depctr 0xfff
	v_ldexp_f32 v3, v3, v7
	s_delay_alu instid0(VALU_DEP_1) | instskip(SKIP_1) | instid1(VALU_DEP_1)
	v_cndmask_b32_e64 v3, 0, v3, s0
	v_cmp_nlt_f32_e64 s0, 0x42b17218, v2
	v_cndmask_b32_e64 v8, 0x7f800000, v3, s0
	s_delay_alu instid0(VALU_DEP_1)
	v_add_f32_e32 v5, v5, v8
.LBB750_17:
	s_or_b32 exec_lo, exec_lo, s3
.LBB750_18:
	s_delay_alu instid0(SALU_CYCLE_1)
	s_or_b32 exec_lo, exec_lo, s1
	ds_bpermute_b32 v2, v10, v4
	ds_bpermute_b32 v3, v10, v5
	s_waitcnt lgkmcnt(0)
	v_dual_add_f32 v2, v4, v2 :: v_dual_add_f32 v3, v5, v3
	ds_bpermute_b32 v4, v11, v2
	ds_bpermute_b32 v5, v11, v3
	s_waitcnt lgkmcnt(1)
	v_add_f32_e32 v4, v2, v4
	s_waitcnt lgkmcnt(0)
	v_add_f32_e32 v2, v3, v5
	ds_bpermute_b32 v5, v12, v4
	ds_bpermute_b32 v3, v12, v2
	s_and_saveexec_b32 s0, vcc_lo
	s_cbranch_execz .LBB750_26
; %bb.19:
	v_add_co_u32 v0, vcc_lo, s8, v0
	v_add_co_ci_u32_e32 v1, vcc_lo, s9, v1, vcc_lo
	s_and_saveexec_b32 s0, s2
	s_cbranch_execz .LBB750_23
; %bb.20:
	s_waitcnt lgkmcnt(1)
	v_dual_add_f32 v4, v4, v5 :: v_dual_mov_b32 v5, 0x7fc0
	s_mov_b32 s1, exec_lo
	s_delay_alu instid0(VALU_DEP_1)
	v_cmpx_neq_f32_e32 0, v4
	s_cbranch_execz .LBB750_22
; %bb.21:
	v_div_scale_f32 v5, null, v4, v4, v13
	s_delay_alu instid0(VALU_DEP_1) | instskip(SKIP_2) | instid1(VALU_DEP_1)
	v_rcp_f32_e32 v7, v5
	s_waitcnt_depctr 0xfff
	v_fma_f32 v9, -v5, v7, 1.0
	v_fmac_f32_e32 v7, v9, v7
	v_div_scale_f32 v9, vcc_lo, v13, v4, v13
	s_delay_alu instid0(VALU_DEP_1) | instskip(NEXT) | instid1(VALU_DEP_1)
	v_mul_f32_e32 v10, v9, v7
	v_fma_f32 v11, -v5, v10, v9
	s_delay_alu instid0(VALU_DEP_1) | instskip(NEXT) | instid1(VALU_DEP_1)
	v_fmac_f32_e32 v10, v11, v7
	v_fma_f32 v5, -v5, v10, v9
	s_delay_alu instid0(VALU_DEP_1) | instskip(NEXT) | instid1(VALU_DEP_1)
	v_div_fmas_f32 v5, v5, v7, v10
	v_div_fixup_f32 v4, v5, v4, v13
	s_delay_alu instid0(VALU_DEP_1) | instskip(SKIP_1) | instid1(VALU_DEP_2)
	v_bfe_u32 v5, v4, 16, 1
	v_cmp_o_f32_e32 vcc_lo, v4, v4
	v_add3_u32 v5, v4, v5, 0x7fff
	s_delay_alu instid0(VALU_DEP_1) | instskip(NEXT) | instid1(VALU_DEP_1)
	v_lshrrev_b32_e32 v5, 16, v5
	v_cndmask_b32_e32 v5, 0x7fc0, v5, vcc_lo
.LBB750_22:
	s_or_b32 exec_lo, exec_lo, s1
	global_store_b16 v[0:1], v5, off
.LBB750_23:
	s_or_b32 exec_lo, exec_lo, s0
	v_cmp_ne_u32_e32 vcc_lo, 1, v6
	s_and_b32 exec_lo, exec_lo, vcc_lo
	s_cbranch_execz .LBB750_26
; %bb.24:
	s_and_b32 exec_lo, exec_lo, s2
	s_cbranch_execz .LBB750_26
; %bb.25:
	s_waitcnt lgkmcnt(0)
	v_add_f32_e32 v2, v2, v3
	s_mov_b32 s7, 0
	s_delay_alu instid0(SALU_CYCLE_1) | instskip(NEXT) | instid1(SALU_CYCLE_1)
	s_lshl_b64 s[2:3], s[6:7], 1
	v_add_co_u32 v0, s1, v0, s2
	s_delay_alu instid0(VALU_DEP_2) | instskip(SKIP_2) | instid1(VALU_DEP_3)
	v_div_scale_f32 v3, null, v2, v2, v8
	v_div_scale_f32 v6, vcc_lo, v8, v2, v8
	v_add_co_ci_u32_e64 v1, s1, s3, v1, s1
	v_rcp_f32_e32 v4, v3
	s_waitcnt_depctr 0xfff
	v_fma_f32 v5, -v3, v4, 1.0
	s_delay_alu instid0(VALU_DEP_1) | instskip(NEXT) | instid1(VALU_DEP_1)
	v_fmac_f32_e32 v4, v5, v4
	v_mul_f32_e32 v5, v6, v4
	s_delay_alu instid0(VALU_DEP_1) | instskip(NEXT) | instid1(VALU_DEP_1)
	v_fma_f32 v7, -v3, v5, v6
	v_fmac_f32_e32 v5, v7, v4
	s_delay_alu instid0(VALU_DEP_1) | instskip(NEXT) | instid1(VALU_DEP_1)
	v_fma_f32 v3, -v3, v5, v6
	v_div_fmas_f32 v3, v3, v4, v5
	v_cmp_eq_f32_e32 vcc_lo, 0, v2
	s_delay_alu instid0(VALU_DEP_2) | instskip(NEXT) | instid1(VALU_DEP_1)
	v_div_fixup_f32 v3, v3, v2, v8
	v_bfe_u32 v4, v3, 16, 1
	v_cmp_u_f32_e64 s0, v3, v3
	s_delay_alu instid0(VALU_DEP_2) | instskip(NEXT) | instid1(VALU_DEP_2)
	v_add3_u32 v4, v3, v4, 0x7fff
	s_or_b32 s0, vcc_lo, s0
	s_delay_alu instid0(VALU_DEP_1) | instskip(NEXT) | instid1(VALU_DEP_1)
	v_lshrrev_b32_e32 v2, 16, v4
	v_cndmask_b32_e64 v2, v2, 0x7fc0, s0
	global_store_b16 v[0:1], v2, off
.LBB750_26:
	s_nop 0
	s_sendmsg sendmsg(MSG_DEALLOC_VGPRS)
	s_endpgm
	.section	.rodata,"a",@progbits
	.p2align	6, 0x0
	.amdhsa_kernel _ZN12_GLOBAL__N_120softmax_warp_forwardIN3c108BFloat16ES2_fLi3ELb0ELb1ELi64EEEvPT0_PKT_iiiPKbib
		.amdhsa_group_segment_fixed_size 0
		.amdhsa_private_segment_fixed_size 0
		.amdhsa_kernarg_size 304
		.amdhsa_user_sgpr_count 15
		.amdhsa_user_sgpr_dispatch_ptr 0
		.amdhsa_user_sgpr_queue_ptr 0
		.amdhsa_user_sgpr_kernarg_segment_ptr 1
		.amdhsa_user_sgpr_dispatch_id 0
		.amdhsa_user_sgpr_private_segment_size 0
		.amdhsa_wavefront_size32 1
		.amdhsa_uses_dynamic_stack 0
		.amdhsa_enable_private_segment 0
		.amdhsa_system_sgpr_workgroup_id_x 1
		.amdhsa_system_sgpr_workgroup_id_y 0
		.amdhsa_system_sgpr_workgroup_id_z 0
		.amdhsa_system_sgpr_workgroup_info 0
		.amdhsa_system_vgpr_workitem_id 1
		.amdhsa_next_free_vgpr 18
		.amdhsa_next_free_sgpr 16
		.amdhsa_reserve_vcc 1
		.amdhsa_float_round_mode_32 0
		.amdhsa_float_round_mode_16_64 0
		.amdhsa_float_denorm_mode_32 3
		.amdhsa_float_denorm_mode_16_64 3
		.amdhsa_dx10_clamp 1
		.amdhsa_ieee_mode 1
		.amdhsa_fp16_overflow 0
		.amdhsa_workgroup_processor_mode 1
		.amdhsa_memory_ordered 1
		.amdhsa_forward_progress 0
		.amdhsa_shared_vgpr_count 0
		.amdhsa_exception_fp_ieee_invalid_op 0
		.amdhsa_exception_fp_denorm_src 0
		.amdhsa_exception_fp_ieee_div_zero 0
		.amdhsa_exception_fp_ieee_overflow 0
		.amdhsa_exception_fp_ieee_underflow 0
		.amdhsa_exception_fp_ieee_inexact 0
		.amdhsa_exception_int_div_zero 0
	.end_amdhsa_kernel
	.section	.text._ZN12_GLOBAL__N_120softmax_warp_forwardIN3c108BFloat16ES2_fLi3ELb0ELb1ELi64EEEvPT0_PKT_iiiPKbib,"axG",@progbits,_ZN12_GLOBAL__N_120softmax_warp_forwardIN3c108BFloat16ES2_fLi3ELb0ELb1ELi64EEEvPT0_PKT_iiiPKbib,comdat
.Lfunc_end750:
	.size	_ZN12_GLOBAL__N_120softmax_warp_forwardIN3c108BFloat16ES2_fLi3ELb0ELb1ELi64EEEvPT0_PKT_iiiPKbib, .Lfunc_end750-_ZN12_GLOBAL__N_120softmax_warp_forwardIN3c108BFloat16ES2_fLi3ELb0ELb1ELi64EEEvPT0_PKT_iiiPKbib
                                        ; -- End function
	.section	.AMDGPU.csdata,"",@progbits
; Kernel info:
; codeLenInByte = 1956
; NumSgprs: 18
; NumVgprs: 18
; ScratchSize: 0
; MemoryBound: 0
; FloatMode: 240
; IeeeMode: 1
; LDSByteSize: 0 bytes/workgroup (compile time only)
; SGPRBlocks: 2
; VGPRBlocks: 2
; NumSGPRsForWavesPerEU: 18
; NumVGPRsForWavesPerEU: 18
; Occupancy: 16
; WaveLimiterHint : 0
; COMPUTE_PGM_RSRC2:SCRATCH_EN: 0
; COMPUTE_PGM_RSRC2:USER_SGPR: 15
; COMPUTE_PGM_RSRC2:TRAP_HANDLER: 0
; COMPUTE_PGM_RSRC2:TGID_X_EN: 1
; COMPUTE_PGM_RSRC2:TGID_Y_EN: 0
; COMPUTE_PGM_RSRC2:TGID_Z_EN: 0
; COMPUTE_PGM_RSRC2:TIDIG_COMP_CNT: 1
	.section	.text._ZN12_GLOBAL__N_120softmax_warp_forwardIN3c108BFloat16ES2_fLi3ELb0ELb1ELi32EEEvPT0_PKT_iiiPKbib,"axG",@progbits,_ZN12_GLOBAL__N_120softmax_warp_forwardIN3c108BFloat16ES2_fLi3ELb0ELb1ELi32EEEvPT0_PKT_iiiPKbib,comdat
	.globl	_ZN12_GLOBAL__N_120softmax_warp_forwardIN3c108BFloat16ES2_fLi3ELb0ELb1ELi32EEEvPT0_PKT_iiiPKbib ; -- Begin function _ZN12_GLOBAL__N_120softmax_warp_forwardIN3c108BFloat16ES2_fLi3ELb0ELb1ELi32EEEvPT0_PKT_iiiPKbib
	.p2align	8
	.type	_ZN12_GLOBAL__N_120softmax_warp_forwardIN3c108BFloat16ES2_fLi3ELb0ELb1ELi32EEEvPT0_PKT_iiiPKbib,@function
_ZN12_GLOBAL__N_120softmax_warp_forwardIN3c108BFloat16ES2_fLi3ELb0ELb1ELi32EEEvPT0_PKT_iiiPKbib: ; @_ZN12_GLOBAL__N_120softmax_warp_forwardIN3c108BFloat16ES2_fLi3ELb0ELb1ELi32EEEvPT0_PKT_iiiPKbib
; %bb.0:
	s_clause 0x2
	s_load_b64 s[2:3], s[0:1], 0x28
	s_load_b32 s8, s[0:1], 0x3c
	s_load_b128 s[4:7], s[0:1], 0x10
	v_bfe_u32 v1, v0, 10, 10
	v_and_b32_e32 v4, 0x3ff, v0
	s_waitcnt lgkmcnt(0)
	s_bitcmp1_b32 s3, 0
	s_cselect_b32 s12, -1, 0
	s_lshr_b32 s7, s8, 16
	s_bitcmp0_b32 s3, 0
	s_mul_i32 s15, s15, s7
	s_delay_alu instid0(SALU_CYCLE_1) | instskip(NEXT) | instid1(VALU_DEP_1)
	v_add_lshl_u32 v5, s15, v1, 1
	v_mul_lo_u32 v6, v5, s5
	s_delay_alu instid0(VALU_DEP_1) | instskip(NEXT) | instid1(VALU_DEP_1)
	v_add_nc_u32_e32 v0, v6, v4
	v_ashrrev_i32_e32 v1, 31, v0
	s_delay_alu instid0(VALU_DEP_1)
	v_dual_mov_b32 v3, v1 :: v_dual_mov_b32 v2, v0
	s_cbranch_scc1 .LBB751_2
; %bb.1:
	s_abs_i32 s3, s2
	v_sub_nc_u32_e32 v7, 0, v6
	v_cvt_f32_u32_e32 v2, s3
	s_sub_i32 s7, 0, s3
	s_delay_alu instid0(VALU_DEP_2) | instskip(NEXT) | instid1(VALU_DEP_2)
	v_max_i32_e32 v7, v6, v7
	v_rcp_iflag_f32_e32 v2, v2
	v_xor_b32_e32 v6, s2, v6
	s_delay_alu instid0(VALU_DEP_1) | instskip(SKIP_2) | instid1(VALU_DEP_1)
	v_ashrrev_i32_e32 v6, 31, v6
	s_waitcnt_depctr 0xfff
	v_mul_f32_e32 v2, 0x4f7ffffe, v2
	v_cvt_u32_f32_e32 v2, v2
	s_delay_alu instid0(VALU_DEP_1) | instskip(NEXT) | instid1(VALU_DEP_1)
	v_mul_lo_u32 v3, s7, v2
	v_mul_hi_u32 v3, v2, v3
	s_delay_alu instid0(VALU_DEP_1) | instskip(NEXT) | instid1(VALU_DEP_1)
	v_add_nc_u32_e32 v2, v2, v3
	v_mul_hi_u32 v2, v7, v2
	s_delay_alu instid0(VALU_DEP_1) | instskip(NEXT) | instid1(VALU_DEP_1)
	v_mul_lo_u32 v3, v2, s3
	v_sub_nc_u32_e32 v3, v7, v3
	v_add_nc_u32_e32 v7, 1, v2
	s_delay_alu instid0(VALU_DEP_2) | instskip(SKIP_1) | instid1(VALU_DEP_2)
	v_subrev_nc_u32_e32 v8, s3, v3
	v_cmp_le_u32_e32 vcc_lo, s3, v3
	v_dual_cndmask_b32 v3, v3, v8 :: v_dual_cndmask_b32 v2, v2, v7
	s_delay_alu instid0(VALU_DEP_1) | instskip(NEXT) | instid1(VALU_DEP_2)
	v_cmp_le_u32_e32 vcc_lo, s3, v3
	v_add_nc_u32_e32 v7, 1, v2
	s_delay_alu instid0(VALU_DEP_1) | instskip(NEXT) | instid1(VALU_DEP_1)
	v_cndmask_b32_e32 v2, v2, v7, vcc_lo
	v_xor_b32_e32 v2, v2, v6
	s_delay_alu instid0(VALU_DEP_1) | instskip(NEXT) | instid1(VALU_DEP_1)
	v_sub_nc_u32_e32 v6, v2, v6
	v_mad_u64_u32 v[2:3], null, v6, s5, v[4:5]
	s_delay_alu instid0(VALU_DEP_1)
	v_ashrrev_i32_e32 v3, 31, v2
.LBB751_2:
	s_load_b128 s[8:11], s[0:1], 0x0
	v_lshlrev_b64 v[0:1], 1, v[0:1]
	v_sub_nc_u32_e32 v6, s4, v5
	v_cmp_gt_i32_e64 s2, s6, v4
	v_mov_b32_e32 v7, 0xff800000
	v_mov_b32_e32 v9, 0xff800000
	s_delay_alu instid0(VALU_DEP_4) | instskip(SKIP_2) | instid1(VALU_DEP_1)
	v_cmp_lt_i32_e32 vcc_lo, 0, v6
	s_waitcnt lgkmcnt(0)
	v_add_co_u32 v4, s3, s10, v0
	v_add_co_ci_u32_e64 v5, s3, s11, v1, s3
	s_and_b32 s11, s2, vcc_lo
	s_delay_alu instid0(SALU_CYCLE_1)
	s_and_saveexec_b32 s3, s11
	s_cbranch_execz .LBB751_4
; %bb.3:
	global_load_u16 v8, v[4:5], off
	s_waitcnt vmcnt(0)
	v_lshlrev_b32_e32 v9, 16, v8
.LBB751_4:
	s_or_b32 exec_lo, exec_lo, s3
	v_cmp_lt_i32_e64 s3, 1, v6
	s_delay_alu instid0(VALU_DEP_1) | instskip(NEXT) | instid1(SALU_CYCLE_1)
	s_and_b32 s10, s2, s3
	s_and_saveexec_b32 s4, s10
	s_cbranch_execz .LBB751_6
; %bb.5:
	s_mov_b32 s7, 0
	s_delay_alu instid0(SALU_CYCLE_1) | instskip(NEXT) | instid1(SALU_CYCLE_1)
	s_lshl_b64 s[14:15], s[6:7], 1
	v_add_co_u32 v4, s3, v4, s14
	s_delay_alu instid0(VALU_DEP_1)
	v_add_co_ci_u32_e64 v5, s3, s15, v5, s3
	global_load_u16 v4, v[4:5], off
	s_waitcnt vmcnt(0)
	v_lshlrev_b32_e32 v7, 16, v4
.LBB751_6:
	s_or_b32 exec_lo, exec_lo, s4
	s_load_b64 s[0:1], s[0:1], 0x20
	v_mov_b32_e32 v4, 0xff800000
	s_waitcnt lgkmcnt(0)
	v_add_co_u32 v2, s0, s0, v2
	s_delay_alu instid0(VALU_DEP_1)
	v_add_co_ci_u32_e64 v3, s0, s1, v3, s0
	s_and_saveexec_b32 s1, s11
	s_cbranch_execz .LBB751_8
; %bb.7:
	global_load_u8 v4, v[2:3], off
	s_waitcnt vmcnt(0)
	v_and_b32_e32 v4, 1, v4
	s_delay_alu instid0(VALU_DEP_1) | instskip(NEXT) | instid1(VALU_DEP_1)
	v_cmp_eq_u32_e64 s0, 1, v4
	v_cndmask_b32_e64 v4, v9, 0xff800000, s0
.LBB751_8:
	s_or_b32 exec_lo, exec_lo, s1
	s_mov_b32 s4, 0
	s_mov_b32 s1, 0
	s_and_saveexec_b32 s3, s10
	s_cbranch_execz .LBB751_10
; %bb.9:
	s_and_b32 s0, s12, exec_lo
	s_cselect_b32 s0, 0, s6
	s_cselect_b32 s1, 0, 0
	v_add_co_u32 v10, s0, v2, s0
	s_delay_alu instid0(VALU_DEP_1) | instskip(SKIP_3) | instid1(VALU_DEP_1)
	v_add_co_ci_u32_e64 v11, s0, s1, v3, s0
	global_load_u8 v5, v[10:11], off
	s_waitcnt vmcnt(0)
	v_and_b32_e32 v5, 1, v5
	v_cmp_eq_u32_e64 s0, 1, v5
	s_delay_alu instid0(VALU_DEP_1) | instskip(NEXT) | instid1(SALU_CYCLE_1)
	s_xor_b32 s0, s0, -1
	s_and_b32 s1, s0, exec_lo
.LBB751_10:
	s_or_b32 exec_lo, exec_lo, s3
	v_mbcnt_lo_u32_b32 v5, -1, 0
	s_mov_b32 s5, s4
	v_cndmask_b32_e64 v4, v4, v4, s1
	v_cndmask_b32_e64 v12, 0xff800000, v7, s1
	s_delay_alu instid0(VALU_DEP_3) | instskip(SKIP_2) | instid1(VALU_DEP_3)
	v_and_b32_e32 v8, 24, v5
	v_xor_b32_e32 v10, 4, v5
	v_xor_b32_e32 v11, 2, v5
	v_add_nc_u32_e32 v8, 8, v8
	s_delay_alu instid0(VALU_DEP_1) | instskip(NEXT) | instid1(VALU_DEP_1)
	v_cmp_lt_i32_e64 s0, v10, v8
	v_cndmask_b32_e64 v10, v5, v10, s0
	s_delay_alu instid0(VALU_DEP_4) | instskip(NEXT) | instid1(VALU_DEP_2)
	v_cmp_lt_i32_e64 s0, v11, v8
	v_lshlrev_b32_e32 v10, 2, v10
	s_delay_alu instid0(VALU_DEP_2)
	v_cndmask_b32_e64 v11, v5, v11, s0
	ds_bpermute_b32 v13, v10, v4
	ds_bpermute_b32 v14, v10, v12
	v_lshlrev_b32_e32 v11, 2, v11
	s_waitcnt lgkmcnt(1)
	v_cmp_lt_f32_e64 s0, v4, v13
	s_delay_alu instid0(VALU_DEP_1) | instskip(SKIP_2) | instid1(VALU_DEP_1)
	v_cndmask_b32_e64 v4, v4, v13, s0
	s_waitcnt lgkmcnt(0)
	v_cmp_lt_f32_e64 s0, v12, v14
	v_cndmask_b32_e64 v13, v12, v14, s0
	v_xor_b32_e32 v12, 1, v5
	s_delay_alu instid0(VALU_DEP_1) | instskip(SKIP_4) | instid1(VALU_DEP_1)
	v_cmp_lt_i32_e64 s0, v12, v8
	v_mov_b32_e32 v8, 0
	ds_bpermute_b32 v14, v11, v4
	ds_bpermute_b32 v15, v11, v13
	v_cndmask_b32_e64 v5, v5, v12, s0
	v_lshlrev_b32_e32 v12, 2, v5
	s_waitcnt lgkmcnt(1)
	v_cmp_lt_f32_e64 s0, v4, v14
	s_delay_alu instid0(VALU_DEP_1)
	v_cndmask_b32_e64 v16, v4, v14, s0
	s_waitcnt lgkmcnt(0)
	v_cmp_lt_f32_e64 s0, v13, v15
	v_dual_mov_b32 v4, s4 :: v_dual_mov_b32 v5, s5
	ds_bpermute_b32 v17, v12, v16
	v_cndmask_b32_e64 v14, v13, v15, s0
	v_mov_b32_e32 v13, 0
	ds_bpermute_b32 v15, v12, v14
	s_and_saveexec_b32 s1, s11
	s_cbranch_execz .LBB751_14
; %bb.11:
	global_load_u8 v4, v[2:3], off
	s_mov_b32 s5, s4
	s_waitcnt vmcnt(0)
	v_dual_mov_b32 v13, 0 :: v_dual_and_b32 v4, 1, v4
	s_delay_alu instid0(VALU_DEP_1) | instskip(SKIP_1) | instid1(VALU_DEP_2)
	v_cmp_eq_u32_e64 s0, 1, v4
	v_dual_mov_b32 v4, s4 :: v_dual_mov_b32 v5, s5
	s_xor_b32 s0, s0, -1
	s_delay_alu instid0(SALU_CYCLE_1)
	s_and_saveexec_b32 s3, s0
	s_cbranch_execz .LBB751_13
; %bb.12:
	s_waitcnt lgkmcnt(1)
	v_cmp_lt_f32_e64 s0, v16, v17
	s_delay_alu instid0(VALU_DEP_1) | instskip(NEXT) | instid1(VALU_DEP_1)
	v_cndmask_b32_e64 v4, v16, v17, s0
	v_sub_f32_e32 v4, v9, v4
	s_delay_alu instid0(VALU_DEP_1) | instskip(SKIP_1) | instid1(VALU_DEP_2)
	v_mul_f32_e32 v5, 0x3fb8aa3b, v4
	v_cmp_ngt_f32_e64 s0, 0xc2ce8ed0, v4
	v_fma_f32 v9, 0x3fb8aa3b, v4, -v5
	v_rndne_f32_e32 v13, v5
	s_delay_alu instid0(VALU_DEP_2) | instskip(NEXT) | instid1(VALU_DEP_2)
	v_fmamk_f32 v9, v4, 0x32a5705f, v9
	v_sub_f32_e32 v5, v5, v13
	s_delay_alu instid0(VALU_DEP_1) | instskip(SKIP_1) | instid1(VALU_DEP_2)
	v_add_f32_e32 v5, v5, v9
	v_cvt_i32_f32_e32 v9, v13
	v_exp_f32_e32 v5, v5
	s_waitcnt_depctr 0xfff
	v_ldexp_f32 v5, v5, v9
	s_delay_alu instid0(VALU_DEP_1) | instskip(SKIP_1) | instid1(VALU_DEP_1)
	v_cndmask_b32_e64 v5, 0, v5, s0
	v_cmp_nlt_f32_e64 s0, 0x42b17218, v4
	v_cndmask_b32_e64 v4, 0x7f800000, v5, s0
	v_mov_b32_e32 v5, 0
	s_delay_alu instid0(VALU_DEP_2)
	v_mov_b32_e32 v13, v4
.LBB751_13:
	s_or_b32 exec_lo, exec_lo, s3
.LBB751_14:
	s_delay_alu instid0(SALU_CYCLE_1)
	s_or_b32 exec_lo, exec_lo, s1
	s_and_saveexec_b32 s1, s10
	s_cbranch_execz .LBB751_18
; %bb.15:
	s_and_b32 s0, s12, exec_lo
	s_cselect_b32 s0, 0, s6
	s_cselect_b32 s3, 0, 0
	v_add_co_u32 v2, s0, v2, s0
	s_delay_alu instid0(VALU_DEP_1) | instskip(SKIP_4) | instid1(VALU_DEP_1)
	v_add_co_ci_u32_e64 v3, s0, s3, v3, s0
	v_mov_b32_e32 v8, 0
	global_load_u8 v2, v[2:3], off
	s_waitcnt vmcnt(0)
	v_and_b32_e32 v2, 1, v2
	v_cmp_eq_u32_e64 s0, 1, v2
	s_delay_alu instid0(VALU_DEP_1) | instskip(NEXT) | instid1(SALU_CYCLE_1)
	s_xor_b32 s0, s0, -1
	s_and_saveexec_b32 s3, s0
	s_cbranch_execz .LBB751_17
; %bb.16:
	s_waitcnt lgkmcnt(0)
	v_cmp_lt_f32_e64 s0, v14, v15
	s_delay_alu instid0(VALU_DEP_1) | instskip(NEXT) | instid1(VALU_DEP_1)
	v_cndmask_b32_e64 v2, v14, v15, s0
	v_sub_f32_e32 v2, v7, v2
	s_delay_alu instid0(VALU_DEP_1) | instskip(SKIP_1) | instid1(VALU_DEP_2)
	v_mul_f32_e32 v3, 0x3fb8aa3b, v2
	v_cmp_ngt_f32_e64 s0, 0xc2ce8ed0, v2
	v_fma_f32 v7, 0x3fb8aa3b, v2, -v3
	v_rndne_f32_e32 v8, v3
	s_delay_alu instid0(VALU_DEP_2) | instskip(NEXT) | instid1(VALU_DEP_2)
	v_fmamk_f32 v7, v2, 0x32a5705f, v7
	v_sub_f32_e32 v3, v3, v8
	s_delay_alu instid0(VALU_DEP_1) | instskip(SKIP_1) | instid1(VALU_DEP_2)
	v_add_f32_e32 v3, v3, v7
	v_cvt_i32_f32_e32 v7, v8
	v_exp_f32_e32 v3, v3
	s_waitcnt_depctr 0xfff
	v_ldexp_f32 v3, v3, v7
	s_delay_alu instid0(VALU_DEP_1) | instskip(SKIP_1) | instid1(VALU_DEP_1)
	v_cndmask_b32_e64 v3, 0, v3, s0
	v_cmp_nlt_f32_e64 s0, 0x42b17218, v2
	v_cndmask_b32_e64 v8, 0x7f800000, v3, s0
	s_delay_alu instid0(VALU_DEP_1)
	v_add_f32_e32 v5, v5, v8
.LBB751_17:
	s_or_b32 exec_lo, exec_lo, s3
.LBB751_18:
	s_delay_alu instid0(SALU_CYCLE_1)
	s_or_b32 exec_lo, exec_lo, s1
	ds_bpermute_b32 v2, v10, v4
	ds_bpermute_b32 v3, v10, v5
	s_waitcnt lgkmcnt(0)
	v_dual_add_f32 v2, v4, v2 :: v_dual_add_f32 v3, v5, v3
	ds_bpermute_b32 v4, v11, v2
	ds_bpermute_b32 v5, v11, v3
	s_waitcnt lgkmcnt(1)
	v_add_f32_e32 v4, v2, v4
	s_waitcnt lgkmcnt(0)
	v_add_f32_e32 v2, v3, v5
	ds_bpermute_b32 v5, v12, v4
	ds_bpermute_b32 v3, v12, v2
	s_and_saveexec_b32 s0, vcc_lo
	s_cbranch_execz .LBB751_26
; %bb.19:
	v_add_co_u32 v0, vcc_lo, s8, v0
	v_add_co_ci_u32_e32 v1, vcc_lo, s9, v1, vcc_lo
	s_and_saveexec_b32 s0, s2
	s_cbranch_execz .LBB751_23
; %bb.20:
	s_waitcnt lgkmcnt(1)
	v_dual_add_f32 v4, v4, v5 :: v_dual_mov_b32 v5, 0x7fc0
	s_mov_b32 s1, exec_lo
	s_delay_alu instid0(VALU_DEP_1)
	v_cmpx_neq_f32_e32 0, v4
	s_cbranch_execz .LBB751_22
; %bb.21:
	v_div_scale_f32 v5, null, v4, v4, v13
	s_delay_alu instid0(VALU_DEP_1) | instskip(SKIP_2) | instid1(VALU_DEP_1)
	v_rcp_f32_e32 v7, v5
	s_waitcnt_depctr 0xfff
	v_fma_f32 v9, -v5, v7, 1.0
	v_fmac_f32_e32 v7, v9, v7
	v_div_scale_f32 v9, vcc_lo, v13, v4, v13
	s_delay_alu instid0(VALU_DEP_1) | instskip(NEXT) | instid1(VALU_DEP_1)
	v_mul_f32_e32 v10, v9, v7
	v_fma_f32 v11, -v5, v10, v9
	s_delay_alu instid0(VALU_DEP_1) | instskip(NEXT) | instid1(VALU_DEP_1)
	v_fmac_f32_e32 v10, v11, v7
	v_fma_f32 v5, -v5, v10, v9
	s_delay_alu instid0(VALU_DEP_1) | instskip(NEXT) | instid1(VALU_DEP_1)
	v_div_fmas_f32 v5, v5, v7, v10
	v_div_fixup_f32 v4, v5, v4, v13
	s_delay_alu instid0(VALU_DEP_1) | instskip(SKIP_1) | instid1(VALU_DEP_2)
	v_bfe_u32 v5, v4, 16, 1
	v_cmp_o_f32_e32 vcc_lo, v4, v4
	v_add3_u32 v5, v4, v5, 0x7fff
	s_delay_alu instid0(VALU_DEP_1) | instskip(NEXT) | instid1(VALU_DEP_1)
	v_lshrrev_b32_e32 v5, 16, v5
	v_cndmask_b32_e32 v5, 0x7fc0, v5, vcc_lo
.LBB751_22:
	s_or_b32 exec_lo, exec_lo, s1
	global_store_b16 v[0:1], v5, off
.LBB751_23:
	s_or_b32 exec_lo, exec_lo, s0
	v_cmp_ne_u32_e32 vcc_lo, 1, v6
	s_and_b32 exec_lo, exec_lo, vcc_lo
	s_cbranch_execz .LBB751_26
; %bb.24:
	s_and_b32 exec_lo, exec_lo, s2
	s_cbranch_execz .LBB751_26
; %bb.25:
	s_waitcnt lgkmcnt(0)
	v_add_f32_e32 v2, v2, v3
	s_mov_b32 s7, 0
	s_delay_alu instid0(SALU_CYCLE_1) | instskip(NEXT) | instid1(SALU_CYCLE_1)
	s_lshl_b64 s[2:3], s[6:7], 1
	v_add_co_u32 v0, s1, v0, s2
	s_delay_alu instid0(VALU_DEP_2) | instskip(SKIP_2) | instid1(VALU_DEP_3)
	v_div_scale_f32 v3, null, v2, v2, v8
	v_div_scale_f32 v6, vcc_lo, v8, v2, v8
	v_add_co_ci_u32_e64 v1, s1, s3, v1, s1
	v_rcp_f32_e32 v4, v3
	s_waitcnt_depctr 0xfff
	v_fma_f32 v5, -v3, v4, 1.0
	s_delay_alu instid0(VALU_DEP_1) | instskip(NEXT) | instid1(VALU_DEP_1)
	v_fmac_f32_e32 v4, v5, v4
	v_mul_f32_e32 v5, v6, v4
	s_delay_alu instid0(VALU_DEP_1) | instskip(NEXT) | instid1(VALU_DEP_1)
	v_fma_f32 v7, -v3, v5, v6
	v_fmac_f32_e32 v5, v7, v4
	s_delay_alu instid0(VALU_DEP_1) | instskip(NEXT) | instid1(VALU_DEP_1)
	v_fma_f32 v3, -v3, v5, v6
	v_div_fmas_f32 v3, v3, v4, v5
	v_cmp_eq_f32_e32 vcc_lo, 0, v2
	s_delay_alu instid0(VALU_DEP_2) | instskip(NEXT) | instid1(VALU_DEP_1)
	v_div_fixup_f32 v3, v3, v2, v8
	v_bfe_u32 v4, v3, 16, 1
	v_cmp_u_f32_e64 s0, v3, v3
	s_delay_alu instid0(VALU_DEP_2) | instskip(NEXT) | instid1(VALU_DEP_2)
	v_add3_u32 v4, v3, v4, 0x7fff
	s_or_b32 s0, vcc_lo, s0
	s_delay_alu instid0(VALU_DEP_1) | instskip(NEXT) | instid1(VALU_DEP_1)
	v_lshrrev_b32_e32 v2, 16, v4
	v_cndmask_b32_e64 v2, v2, 0x7fc0, s0
	global_store_b16 v[0:1], v2, off
.LBB751_26:
	s_nop 0
	s_sendmsg sendmsg(MSG_DEALLOC_VGPRS)
	s_endpgm
	.section	.rodata,"a",@progbits
	.p2align	6, 0x0
	.amdhsa_kernel _ZN12_GLOBAL__N_120softmax_warp_forwardIN3c108BFloat16ES2_fLi3ELb0ELb1ELi32EEEvPT0_PKT_iiiPKbib
		.amdhsa_group_segment_fixed_size 0
		.amdhsa_private_segment_fixed_size 0
		.amdhsa_kernarg_size 304
		.amdhsa_user_sgpr_count 15
		.amdhsa_user_sgpr_dispatch_ptr 0
		.amdhsa_user_sgpr_queue_ptr 0
		.amdhsa_user_sgpr_kernarg_segment_ptr 1
		.amdhsa_user_sgpr_dispatch_id 0
		.amdhsa_user_sgpr_private_segment_size 0
		.amdhsa_wavefront_size32 1
		.amdhsa_uses_dynamic_stack 0
		.amdhsa_enable_private_segment 0
		.amdhsa_system_sgpr_workgroup_id_x 1
		.amdhsa_system_sgpr_workgroup_id_y 0
		.amdhsa_system_sgpr_workgroup_id_z 0
		.amdhsa_system_sgpr_workgroup_info 0
		.amdhsa_system_vgpr_workitem_id 1
		.amdhsa_next_free_vgpr 18
		.amdhsa_next_free_sgpr 16
		.amdhsa_reserve_vcc 1
		.amdhsa_float_round_mode_32 0
		.amdhsa_float_round_mode_16_64 0
		.amdhsa_float_denorm_mode_32 3
		.amdhsa_float_denorm_mode_16_64 3
		.amdhsa_dx10_clamp 1
		.amdhsa_ieee_mode 1
		.amdhsa_fp16_overflow 0
		.amdhsa_workgroup_processor_mode 1
		.amdhsa_memory_ordered 1
		.amdhsa_forward_progress 0
		.amdhsa_shared_vgpr_count 0
		.amdhsa_exception_fp_ieee_invalid_op 0
		.amdhsa_exception_fp_denorm_src 0
		.amdhsa_exception_fp_ieee_div_zero 0
		.amdhsa_exception_fp_ieee_overflow 0
		.amdhsa_exception_fp_ieee_underflow 0
		.amdhsa_exception_fp_ieee_inexact 0
		.amdhsa_exception_int_div_zero 0
	.end_amdhsa_kernel
	.section	.text._ZN12_GLOBAL__N_120softmax_warp_forwardIN3c108BFloat16ES2_fLi3ELb0ELb1ELi32EEEvPT0_PKT_iiiPKbib,"axG",@progbits,_ZN12_GLOBAL__N_120softmax_warp_forwardIN3c108BFloat16ES2_fLi3ELb0ELb1ELi32EEEvPT0_PKT_iiiPKbib,comdat
.Lfunc_end751:
	.size	_ZN12_GLOBAL__N_120softmax_warp_forwardIN3c108BFloat16ES2_fLi3ELb0ELb1ELi32EEEvPT0_PKT_iiiPKbib, .Lfunc_end751-_ZN12_GLOBAL__N_120softmax_warp_forwardIN3c108BFloat16ES2_fLi3ELb0ELb1ELi32EEEvPT0_PKT_iiiPKbib
                                        ; -- End function
	.section	.AMDGPU.csdata,"",@progbits
; Kernel info:
; codeLenInByte = 1956
; NumSgprs: 18
; NumVgprs: 18
; ScratchSize: 0
; MemoryBound: 0
; FloatMode: 240
; IeeeMode: 1
; LDSByteSize: 0 bytes/workgroup (compile time only)
; SGPRBlocks: 2
; VGPRBlocks: 2
; NumSGPRsForWavesPerEU: 18
; NumVGPRsForWavesPerEU: 18
; Occupancy: 16
; WaveLimiterHint : 0
; COMPUTE_PGM_RSRC2:SCRATCH_EN: 0
; COMPUTE_PGM_RSRC2:USER_SGPR: 15
; COMPUTE_PGM_RSRC2:TRAP_HANDLER: 0
; COMPUTE_PGM_RSRC2:TGID_X_EN: 1
; COMPUTE_PGM_RSRC2:TGID_Y_EN: 0
; COMPUTE_PGM_RSRC2:TGID_Z_EN: 0
; COMPUTE_PGM_RSRC2:TIDIG_COMP_CNT: 1
	.section	.text._ZN12_GLOBAL__N_120softmax_warp_forwardIN3c108BFloat16ES2_fLi4ELb0ELb1ELi64EEEvPT0_PKT_iiiPKbib,"axG",@progbits,_ZN12_GLOBAL__N_120softmax_warp_forwardIN3c108BFloat16ES2_fLi4ELb0ELb1ELi64EEEvPT0_PKT_iiiPKbib,comdat
	.globl	_ZN12_GLOBAL__N_120softmax_warp_forwardIN3c108BFloat16ES2_fLi4ELb0ELb1ELi64EEEvPT0_PKT_iiiPKbib ; -- Begin function _ZN12_GLOBAL__N_120softmax_warp_forwardIN3c108BFloat16ES2_fLi4ELb0ELb1ELi64EEEvPT0_PKT_iiiPKbib
	.p2align	8
	.type	_ZN12_GLOBAL__N_120softmax_warp_forwardIN3c108BFloat16ES2_fLi4ELb0ELb1ELi64EEEvPT0_PKT_iiiPKbib,@function
_ZN12_GLOBAL__N_120softmax_warp_forwardIN3c108BFloat16ES2_fLi4ELb0ELb1ELi64EEEvPT0_PKT_iiiPKbib: ; @_ZN12_GLOBAL__N_120softmax_warp_forwardIN3c108BFloat16ES2_fLi4ELb0ELb1ELi64EEEvPT0_PKT_iiiPKbib
; %bb.0:
	s_clause 0x2
	s_load_b64 s[2:3], s[0:1], 0x28
	s_load_b32 s8, s[0:1], 0x3c
	s_load_b128 s[4:7], s[0:1], 0x10
	v_bfe_u32 v1, v0, 10, 10
	v_and_b32_e32 v4, 0x3ff, v0
	s_waitcnt lgkmcnt(0)
	s_bitcmp1_b32 s3, 0
	s_cselect_b32 s12, -1, 0
	s_lshr_b32 s7, s8, 16
	s_bitcmp0_b32 s3, 0
	s_mul_i32 s15, s15, s7
	s_delay_alu instid0(SALU_CYCLE_1) | instskip(NEXT) | instid1(VALU_DEP_1)
	v_add_lshl_u32 v5, s15, v1, 1
	v_mul_lo_u32 v6, v5, s5
	s_delay_alu instid0(VALU_DEP_1) | instskip(NEXT) | instid1(VALU_DEP_1)
	v_add_nc_u32_e32 v0, v6, v4
	v_ashrrev_i32_e32 v1, 31, v0
	s_delay_alu instid0(VALU_DEP_1)
	v_dual_mov_b32 v3, v1 :: v_dual_mov_b32 v2, v0
	s_cbranch_scc1 .LBB752_2
; %bb.1:
	s_abs_i32 s3, s2
	v_sub_nc_u32_e32 v7, 0, v6
	v_cvt_f32_u32_e32 v2, s3
	s_sub_i32 s7, 0, s3
	s_delay_alu instid0(VALU_DEP_2) | instskip(NEXT) | instid1(VALU_DEP_2)
	v_max_i32_e32 v7, v6, v7
	v_rcp_iflag_f32_e32 v2, v2
	v_xor_b32_e32 v6, s2, v6
	s_delay_alu instid0(VALU_DEP_1) | instskip(SKIP_2) | instid1(VALU_DEP_1)
	v_ashrrev_i32_e32 v6, 31, v6
	s_waitcnt_depctr 0xfff
	v_mul_f32_e32 v2, 0x4f7ffffe, v2
	v_cvt_u32_f32_e32 v2, v2
	s_delay_alu instid0(VALU_DEP_1) | instskip(NEXT) | instid1(VALU_DEP_1)
	v_mul_lo_u32 v3, s7, v2
	v_mul_hi_u32 v3, v2, v3
	s_delay_alu instid0(VALU_DEP_1) | instskip(NEXT) | instid1(VALU_DEP_1)
	v_add_nc_u32_e32 v2, v2, v3
	v_mul_hi_u32 v2, v7, v2
	s_delay_alu instid0(VALU_DEP_1) | instskip(NEXT) | instid1(VALU_DEP_1)
	v_mul_lo_u32 v3, v2, s3
	v_sub_nc_u32_e32 v3, v7, v3
	v_add_nc_u32_e32 v7, 1, v2
	s_delay_alu instid0(VALU_DEP_2) | instskip(SKIP_1) | instid1(VALU_DEP_2)
	v_subrev_nc_u32_e32 v8, s3, v3
	v_cmp_le_u32_e32 vcc_lo, s3, v3
	v_dual_cndmask_b32 v3, v3, v8 :: v_dual_cndmask_b32 v2, v2, v7
	s_delay_alu instid0(VALU_DEP_1) | instskip(NEXT) | instid1(VALU_DEP_2)
	v_cmp_le_u32_e32 vcc_lo, s3, v3
	v_add_nc_u32_e32 v7, 1, v2
	s_delay_alu instid0(VALU_DEP_1) | instskip(NEXT) | instid1(VALU_DEP_1)
	v_cndmask_b32_e32 v2, v2, v7, vcc_lo
	v_xor_b32_e32 v2, v2, v6
	s_delay_alu instid0(VALU_DEP_1) | instskip(NEXT) | instid1(VALU_DEP_1)
	v_sub_nc_u32_e32 v6, v2, v6
	v_mad_u64_u32 v[2:3], null, v6, s5, v[4:5]
	s_delay_alu instid0(VALU_DEP_1)
	v_ashrrev_i32_e32 v3, 31, v2
.LBB752_2:
	s_load_b128 s[8:11], s[0:1], 0x0
	v_lshlrev_b64 v[0:1], 1, v[0:1]
	v_sub_nc_u32_e32 v6, s4, v5
	v_cmp_gt_i32_e64 s2, s6, v4
	v_mov_b32_e32 v7, 0xff800000
	v_mov_b32_e32 v9, 0xff800000
	s_delay_alu instid0(VALU_DEP_4) | instskip(SKIP_2) | instid1(VALU_DEP_1)
	v_cmp_lt_i32_e32 vcc_lo, 0, v6
	s_waitcnt lgkmcnt(0)
	v_add_co_u32 v4, s3, s10, v0
	v_add_co_ci_u32_e64 v5, s3, s11, v1, s3
	s_and_b32 s11, s2, vcc_lo
	s_delay_alu instid0(SALU_CYCLE_1)
	s_and_saveexec_b32 s3, s11
	s_cbranch_execz .LBB752_4
; %bb.3:
	global_load_u16 v8, v[4:5], off
	s_waitcnt vmcnt(0)
	v_lshlrev_b32_e32 v9, 16, v8
.LBB752_4:
	s_or_b32 exec_lo, exec_lo, s3
	v_cmp_lt_i32_e64 s3, 1, v6
	s_delay_alu instid0(VALU_DEP_1) | instskip(NEXT) | instid1(SALU_CYCLE_1)
	s_and_b32 s10, s2, s3
	s_and_saveexec_b32 s4, s10
	s_cbranch_execz .LBB752_6
; %bb.5:
	s_mov_b32 s7, 0
	s_delay_alu instid0(SALU_CYCLE_1) | instskip(NEXT) | instid1(SALU_CYCLE_1)
	s_lshl_b64 s[14:15], s[6:7], 1
	v_add_co_u32 v4, s3, v4, s14
	s_delay_alu instid0(VALU_DEP_1)
	v_add_co_ci_u32_e64 v5, s3, s15, v5, s3
	global_load_u16 v4, v[4:5], off
	s_waitcnt vmcnt(0)
	v_lshlrev_b32_e32 v7, 16, v4
.LBB752_6:
	s_or_b32 exec_lo, exec_lo, s4
	s_load_b64 s[0:1], s[0:1], 0x20
	v_mov_b32_e32 v4, 0xff800000
	s_waitcnt lgkmcnt(0)
	v_add_co_u32 v2, s0, s0, v2
	s_delay_alu instid0(VALU_DEP_1)
	v_add_co_ci_u32_e64 v3, s0, s1, v3, s0
	s_and_saveexec_b32 s1, s11
	s_cbranch_execz .LBB752_8
; %bb.7:
	global_load_u8 v4, v[2:3], off
	s_waitcnt vmcnt(0)
	v_and_b32_e32 v4, 1, v4
	s_delay_alu instid0(VALU_DEP_1) | instskip(NEXT) | instid1(VALU_DEP_1)
	v_cmp_eq_u32_e64 s0, 1, v4
	v_cndmask_b32_e64 v4, v9, 0xff800000, s0
.LBB752_8:
	s_or_b32 exec_lo, exec_lo, s1
	s_mov_b32 s4, 0
	s_mov_b32 s1, 0
	s_and_saveexec_b32 s3, s10
	s_cbranch_execz .LBB752_10
; %bb.9:
	s_and_b32 s0, s12, exec_lo
	s_cselect_b32 s0, 0, s6
	s_cselect_b32 s1, 0, 0
	v_add_co_u32 v10, s0, v2, s0
	s_delay_alu instid0(VALU_DEP_1) | instskip(SKIP_3) | instid1(VALU_DEP_1)
	v_add_co_ci_u32_e64 v11, s0, s1, v3, s0
	global_load_u8 v5, v[10:11], off
	s_waitcnt vmcnt(0)
	v_and_b32_e32 v5, 1, v5
	v_cmp_eq_u32_e64 s0, 1, v5
	s_delay_alu instid0(VALU_DEP_1) | instskip(NEXT) | instid1(SALU_CYCLE_1)
	s_xor_b32 s0, s0, -1
	s_and_b32 s1, s0, exec_lo
.LBB752_10:
	s_or_b32 exec_lo, exec_lo, s3
	v_mbcnt_lo_u32_b32 v5, -1, 0
	s_mov_b32 s5, s4
	v_cndmask_b32_e64 v4, v4, v4, s1
	v_cndmask_b32_e64 v12, 0xff800000, v7, s1
	s_delay_alu instid0(VALU_DEP_3) | instskip(SKIP_2) | instid1(VALU_DEP_3)
	v_and_b32_e32 v8, 16, v5
	v_xor_b32_e32 v10, 8, v5
	v_xor_b32_e32 v11, 4, v5
	v_add_nc_u32_e32 v8, 16, v8
	s_delay_alu instid0(VALU_DEP_1) | instskip(NEXT) | instid1(VALU_DEP_1)
	v_cmp_lt_i32_e64 s0, v10, v8
	v_cndmask_b32_e64 v10, v5, v10, s0
	s_delay_alu instid0(VALU_DEP_4) | instskip(NEXT) | instid1(VALU_DEP_2)
	v_cmp_lt_i32_e64 s0, v11, v8
	v_lshlrev_b32_e32 v10, 2, v10
	s_delay_alu instid0(VALU_DEP_2)
	v_cndmask_b32_e64 v11, v5, v11, s0
	ds_bpermute_b32 v13, v10, v4
	ds_bpermute_b32 v14, v10, v12
	v_lshlrev_b32_e32 v11, 2, v11
	s_waitcnt lgkmcnt(1)
	v_cmp_lt_f32_e64 s0, v4, v13
	s_delay_alu instid0(VALU_DEP_1) | instskip(SKIP_2) | instid1(VALU_DEP_1)
	v_cndmask_b32_e64 v4, v4, v13, s0
	s_waitcnt lgkmcnt(0)
	v_cmp_lt_f32_e64 s0, v12, v14
	v_cndmask_b32_e64 v13, v12, v14, s0
	ds_bpermute_b32 v14, v11, v4
	v_xor_b32_e32 v12, 2, v5
	ds_bpermute_b32 v15, v11, v13
	v_cmp_lt_i32_e64 s0, v12, v8
	s_delay_alu instid0(VALU_DEP_1) | instskip(NEXT) | instid1(VALU_DEP_1)
	v_cndmask_b32_e64 v12, v5, v12, s0
	v_lshlrev_b32_e32 v12, 2, v12
	s_waitcnt lgkmcnt(1)
	v_cmp_lt_f32_e64 s0, v4, v14
	s_delay_alu instid0(VALU_DEP_1) | instskip(SKIP_2) | instid1(VALU_DEP_1)
	v_cndmask_b32_e64 v4, v4, v14, s0
	s_waitcnt lgkmcnt(0)
	v_cmp_lt_f32_e64 s0, v13, v15
	v_cndmask_b32_e64 v14, v13, v15, s0
	ds_bpermute_b32 v15, v12, v4
	v_xor_b32_e32 v13, 1, v5
	ds_bpermute_b32 v16, v12, v14
	v_cmp_lt_i32_e64 s0, v13, v8
	v_mov_b32_e32 v8, 0
	s_delay_alu instid0(VALU_DEP_2) | instskip(NEXT) | instid1(VALU_DEP_1)
	v_cndmask_b32_e64 v5, v5, v13, s0
	v_lshlrev_b32_e32 v13, 2, v5
	s_waitcnt lgkmcnt(1)
	v_cmp_lt_f32_e64 s0, v4, v15
	s_delay_alu instid0(VALU_DEP_1)
	v_cndmask_b32_e64 v17, v4, v15, s0
	v_mov_b32_e32 v4, s4
	s_waitcnt lgkmcnt(0)
	v_cmp_lt_f32_e64 s0, v14, v16
	v_mov_b32_e32 v5, s5
	ds_bpermute_b32 v18, v13, v17
	v_cndmask_b32_e64 v15, v14, v16, s0
	v_mov_b32_e32 v14, 0
	ds_bpermute_b32 v16, v13, v15
	s_and_saveexec_b32 s1, s11
	s_cbranch_execz .LBB752_14
; %bb.11:
	global_load_u8 v4, v[2:3], off
	s_mov_b32 s5, s4
	v_mov_b32_e32 v14, 0
	s_waitcnt vmcnt(0)
	v_and_b32_e32 v4, 1, v4
	s_delay_alu instid0(VALU_DEP_1) | instskip(SKIP_1) | instid1(VALU_DEP_2)
	v_cmp_eq_u32_e64 s0, 1, v4
	v_dual_mov_b32 v4, s4 :: v_dual_mov_b32 v5, s5
	s_xor_b32 s0, s0, -1
	s_delay_alu instid0(SALU_CYCLE_1)
	s_and_saveexec_b32 s3, s0
	s_cbranch_execz .LBB752_13
; %bb.12:
	s_waitcnt lgkmcnt(1)
	v_cmp_lt_f32_e64 s0, v17, v18
	s_delay_alu instid0(VALU_DEP_1) | instskip(NEXT) | instid1(VALU_DEP_1)
	v_cndmask_b32_e64 v4, v17, v18, s0
	v_sub_f32_e32 v4, v9, v4
	s_delay_alu instid0(VALU_DEP_1) | instskip(SKIP_1) | instid1(VALU_DEP_2)
	v_mul_f32_e32 v5, 0x3fb8aa3b, v4
	v_cmp_ngt_f32_e64 s0, 0xc2ce8ed0, v4
	v_fma_f32 v9, 0x3fb8aa3b, v4, -v5
	v_rndne_f32_e32 v14, v5
	s_delay_alu instid0(VALU_DEP_2) | instskip(NEXT) | instid1(VALU_DEP_2)
	v_fmamk_f32 v9, v4, 0x32a5705f, v9
	v_sub_f32_e32 v5, v5, v14
	s_delay_alu instid0(VALU_DEP_1) | instskip(SKIP_1) | instid1(VALU_DEP_2)
	v_add_f32_e32 v5, v5, v9
	v_cvt_i32_f32_e32 v9, v14
	v_exp_f32_e32 v5, v5
	s_waitcnt_depctr 0xfff
	v_ldexp_f32 v5, v5, v9
	s_delay_alu instid0(VALU_DEP_1) | instskip(SKIP_1) | instid1(VALU_DEP_1)
	v_cndmask_b32_e64 v5, 0, v5, s0
	v_cmp_nlt_f32_e64 s0, 0x42b17218, v4
	v_cndmask_b32_e64 v4, 0x7f800000, v5, s0
	s_delay_alu instid0(VALU_DEP_1)
	v_dual_mov_b32 v5, 0 :: v_dual_mov_b32 v14, v4
.LBB752_13:
	s_or_b32 exec_lo, exec_lo, s3
.LBB752_14:
	s_delay_alu instid0(SALU_CYCLE_1)
	s_or_b32 exec_lo, exec_lo, s1
	s_and_saveexec_b32 s1, s10
	s_cbranch_execz .LBB752_18
; %bb.15:
	s_and_b32 s0, s12, exec_lo
	s_cselect_b32 s0, 0, s6
	s_cselect_b32 s3, 0, 0
	v_add_co_u32 v2, s0, v2, s0
	s_delay_alu instid0(VALU_DEP_1) | instskip(SKIP_4) | instid1(VALU_DEP_1)
	v_add_co_ci_u32_e64 v3, s0, s3, v3, s0
	v_mov_b32_e32 v8, 0
	global_load_u8 v2, v[2:3], off
	s_waitcnt vmcnt(0)
	v_and_b32_e32 v2, 1, v2
	v_cmp_eq_u32_e64 s0, 1, v2
	s_delay_alu instid0(VALU_DEP_1) | instskip(NEXT) | instid1(SALU_CYCLE_1)
	s_xor_b32 s0, s0, -1
	s_and_saveexec_b32 s3, s0
	s_cbranch_execz .LBB752_17
; %bb.16:
	s_waitcnt lgkmcnt(0)
	v_cmp_lt_f32_e64 s0, v15, v16
	s_delay_alu instid0(VALU_DEP_1) | instskip(NEXT) | instid1(VALU_DEP_1)
	v_cndmask_b32_e64 v2, v15, v16, s0
	v_sub_f32_e32 v2, v7, v2
	s_delay_alu instid0(VALU_DEP_1) | instskip(SKIP_1) | instid1(VALU_DEP_2)
	v_mul_f32_e32 v3, 0x3fb8aa3b, v2
	v_cmp_ngt_f32_e64 s0, 0xc2ce8ed0, v2
	v_fma_f32 v7, 0x3fb8aa3b, v2, -v3
	v_rndne_f32_e32 v8, v3
	s_delay_alu instid0(VALU_DEP_2) | instskip(NEXT) | instid1(VALU_DEP_2)
	v_fmamk_f32 v7, v2, 0x32a5705f, v7
	v_sub_f32_e32 v3, v3, v8
	s_delay_alu instid0(VALU_DEP_1) | instskip(SKIP_1) | instid1(VALU_DEP_2)
	v_add_f32_e32 v3, v3, v7
	v_cvt_i32_f32_e32 v7, v8
	v_exp_f32_e32 v3, v3
	s_waitcnt_depctr 0xfff
	v_ldexp_f32 v3, v3, v7
	s_delay_alu instid0(VALU_DEP_1) | instskip(SKIP_1) | instid1(VALU_DEP_1)
	v_cndmask_b32_e64 v3, 0, v3, s0
	v_cmp_nlt_f32_e64 s0, 0x42b17218, v2
	v_cndmask_b32_e64 v8, 0x7f800000, v3, s0
	s_delay_alu instid0(VALU_DEP_1)
	v_add_f32_e32 v5, v5, v8
.LBB752_17:
	s_or_b32 exec_lo, exec_lo, s3
.LBB752_18:
	s_delay_alu instid0(SALU_CYCLE_1)
	s_or_b32 exec_lo, exec_lo, s1
	ds_bpermute_b32 v2, v10, v4
	ds_bpermute_b32 v3, v10, v5
	s_waitcnt lgkmcnt(0)
	v_dual_add_f32 v2, v4, v2 :: v_dual_add_f32 v3, v5, v3
	ds_bpermute_b32 v4, v11, v2
	ds_bpermute_b32 v5, v11, v3
	s_waitcnt lgkmcnt(0)
	v_dual_add_f32 v2, v2, v4 :: v_dual_add_f32 v3, v3, v5
	ds_bpermute_b32 v4, v12, v2
	ds_bpermute_b32 v5, v12, v3
	s_waitcnt lgkmcnt(1)
	v_add_f32_e32 v4, v2, v4
	s_waitcnt lgkmcnt(0)
	v_add_f32_e32 v2, v3, v5
	ds_bpermute_b32 v5, v13, v4
	ds_bpermute_b32 v3, v13, v2
	s_and_saveexec_b32 s0, vcc_lo
	s_cbranch_execz .LBB752_26
; %bb.19:
	v_add_co_u32 v0, vcc_lo, s8, v0
	v_add_co_ci_u32_e32 v1, vcc_lo, s9, v1, vcc_lo
	s_and_saveexec_b32 s0, s2
	s_cbranch_execz .LBB752_23
; %bb.20:
	s_waitcnt lgkmcnt(1)
	v_dual_add_f32 v4, v4, v5 :: v_dual_mov_b32 v5, 0x7fc0
	s_mov_b32 s1, exec_lo
	s_delay_alu instid0(VALU_DEP_1)
	v_cmpx_neq_f32_e32 0, v4
	s_cbranch_execz .LBB752_22
; %bb.21:
	v_div_scale_f32 v5, null, v4, v4, v14
	s_delay_alu instid0(VALU_DEP_1) | instskip(SKIP_2) | instid1(VALU_DEP_1)
	v_rcp_f32_e32 v7, v5
	s_waitcnt_depctr 0xfff
	v_fma_f32 v9, -v5, v7, 1.0
	v_fmac_f32_e32 v7, v9, v7
	v_div_scale_f32 v9, vcc_lo, v14, v4, v14
	s_delay_alu instid0(VALU_DEP_1) | instskip(NEXT) | instid1(VALU_DEP_1)
	v_mul_f32_e32 v10, v9, v7
	v_fma_f32 v11, -v5, v10, v9
	s_delay_alu instid0(VALU_DEP_1) | instskip(NEXT) | instid1(VALU_DEP_1)
	v_fmac_f32_e32 v10, v11, v7
	v_fma_f32 v5, -v5, v10, v9
	s_delay_alu instid0(VALU_DEP_1) | instskip(NEXT) | instid1(VALU_DEP_1)
	v_div_fmas_f32 v5, v5, v7, v10
	v_div_fixup_f32 v4, v5, v4, v14
	s_delay_alu instid0(VALU_DEP_1) | instskip(SKIP_1) | instid1(VALU_DEP_2)
	v_bfe_u32 v5, v4, 16, 1
	v_cmp_o_f32_e32 vcc_lo, v4, v4
	v_add3_u32 v5, v4, v5, 0x7fff
	s_delay_alu instid0(VALU_DEP_1) | instskip(NEXT) | instid1(VALU_DEP_1)
	v_lshrrev_b32_e32 v5, 16, v5
	v_cndmask_b32_e32 v5, 0x7fc0, v5, vcc_lo
.LBB752_22:
	s_or_b32 exec_lo, exec_lo, s1
	global_store_b16 v[0:1], v5, off
.LBB752_23:
	s_or_b32 exec_lo, exec_lo, s0
	v_cmp_ne_u32_e32 vcc_lo, 1, v6
	s_and_b32 exec_lo, exec_lo, vcc_lo
	s_cbranch_execz .LBB752_26
; %bb.24:
	s_and_b32 exec_lo, exec_lo, s2
	s_cbranch_execz .LBB752_26
; %bb.25:
	s_waitcnt lgkmcnt(0)
	v_add_f32_e32 v2, v2, v3
	s_mov_b32 s7, 0
	s_delay_alu instid0(SALU_CYCLE_1) | instskip(NEXT) | instid1(SALU_CYCLE_1)
	s_lshl_b64 s[2:3], s[6:7], 1
	v_add_co_u32 v0, s1, v0, s2
	s_delay_alu instid0(VALU_DEP_2) | instskip(SKIP_2) | instid1(VALU_DEP_3)
	v_div_scale_f32 v3, null, v2, v2, v8
	v_div_scale_f32 v6, vcc_lo, v8, v2, v8
	v_add_co_ci_u32_e64 v1, s1, s3, v1, s1
	v_rcp_f32_e32 v4, v3
	s_waitcnt_depctr 0xfff
	v_fma_f32 v5, -v3, v4, 1.0
	s_delay_alu instid0(VALU_DEP_1) | instskip(NEXT) | instid1(VALU_DEP_1)
	v_fmac_f32_e32 v4, v5, v4
	v_mul_f32_e32 v5, v6, v4
	s_delay_alu instid0(VALU_DEP_1) | instskip(NEXT) | instid1(VALU_DEP_1)
	v_fma_f32 v7, -v3, v5, v6
	v_fmac_f32_e32 v5, v7, v4
	s_delay_alu instid0(VALU_DEP_1) | instskip(NEXT) | instid1(VALU_DEP_1)
	v_fma_f32 v3, -v3, v5, v6
	v_div_fmas_f32 v3, v3, v4, v5
	v_cmp_eq_f32_e32 vcc_lo, 0, v2
	s_delay_alu instid0(VALU_DEP_2) | instskip(NEXT) | instid1(VALU_DEP_1)
	v_div_fixup_f32 v3, v3, v2, v8
	v_bfe_u32 v4, v3, 16, 1
	v_cmp_u_f32_e64 s0, v3, v3
	s_delay_alu instid0(VALU_DEP_2) | instskip(NEXT) | instid1(VALU_DEP_2)
	v_add3_u32 v4, v3, v4, 0x7fff
	s_or_b32 s0, vcc_lo, s0
	s_delay_alu instid0(VALU_DEP_1) | instskip(NEXT) | instid1(VALU_DEP_1)
	v_lshrrev_b32_e32 v2, 16, v4
	v_cndmask_b32_e64 v2, v2, 0x7fc0, s0
	global_store_b16 v[0:1], v2, off
.LBB752_26:
	s_nop 0
	s_sendmsg sendmsg(MSG_DEALLOC_VGPRS)
	s_endpgm
	.section	.rodata,"a",@progbits
	.p2align	6, 0x0
	.amdhsa_kernel _ZN12_GLOBAL__N_120softmax_warp_forwardIN3c108BFloat16ES2_fLi4ELb0ELb1ELi64EEEvPT0_PKT_iiiPKbib
		.amdhsa_group_segment_fixed_size 0
		.amdhsa_private_segment_fixed_size 0
		.amdhsa_kernarg_size 304
		.amdhsa_user_sgpr_count 15
		.amdhsa_user_sgpr_dispatch_ptr 0
		.amdhsa_user_sgpr_queue_ptr 0
		.amdhsa_user_sgpr_kernarg_segment_ptr 1
		.amdhsa_user_sgpr_dispatch_id 0
		.amdhsa_user_sgpr_private_segment_size 0
		.amdhsa_wavefront_size32 1
		.amdhsa_uses_dynamic_stack 0
		.amdhsa_enable_private_segment 0
		.amdhsa_system_sgpr_workgroup_id_x 1
		.amdhsa_system_sgpr_workgroup_id_y 0
		.amdhsa_system_sgpr_workgroup_id_z 0
		.amdhsa_system_sgpr_workgroup_info 0
		.amdhsa_system_vgpr_workitem_id 1
		.amdhsa_next_free_vgpr 19
		.amdhsa_next_free_sgpr 16
		.amdhsa_reserve_vcc 1
		.amdhsa_float_round_mode_32 0
		.amdhsa_float_round_mode_16_64 0
		.amdhsa_float_denorm_mode_32 3
		.amdhsa_float_denorm_mode_16_64 3
		.amdhsa_dx10_clamp 1
		.amdhsa_ieee_mode 1
		.amdhsa_fp16_overflow 0
		.amdhsa_workgroup_processor_mode 1
		.amdhsa_memory_ordered 1
		.amdhsa_forward_progress 0
		.amdhsa_shared_vgpr_count 0
		.amdhsa_exception_fp_ieee_invalid_op 0
		.amdhsa_exception_fp_denorm_src 0
		.amdhsa_exception_fp_ieee_div_zero 0
		.amdhsa_exception_fp_ieee_overflow 0
		.amdhsa_exception_fp_ieee_underflow 0
		.amdhsa_exception_fp_ieee_inexact 0
		.amdhsa_exception_int_div_zero 0
	.end_amdhsa_kernel
	.section	.text._ZN12_GLOBAL__N_120softmax_warp_forwardIN3c108BFloat16ES2_fLi4ELb0ELb1ELi64EEEvPT0_PKT_iiiPKbib,"axG",@progbits,_ZN12_GLOBAL__N_120softmax_warp_forwardIN3c108BFloat16ES2_fLi4ELb0ELb1ELi64EEEvPT0_PKT_iiiPKbib,comdat
.Lfunc_end752:
	.size	_ZN12_GLOBAL__N_120softmax_warp_forwardIN3c108BFloat16ES2_fLi4ELb0ELb1ELi64EEEvPT0_PKT_iiiPKbib, .Lfunc_end752-_ZN12_GLOBAL__N_120softmax_warp_forwardIN3c108BFloat16ES2_fLi4ELb0ELb1ELi64EEEvPT0_PKT_iiiPKbib
                                        ; -- End function
	.section	.AMDGPU.csdata,"",@progbits
; Kernel info:
; codeLenInByte = 2072
; NumSgprs: 18
; NumVgprs: 19
; ScratchSize: 0
; MemoryBound: 0
; FloatMode: 240
; IeeeMode: 1
; LDSByteSize: 0 bytes/workgroup (compile time only)
; SGPRBlocks: 2
; VGPRBlocks: 2
; NumSGPRsForWavesPerEU: 18
; NumVGPRsForWavesPerEU: 19
; Occupancy: 16
; WaveLimiterHint : 0
; COMPUTE_PGM_RSRC2:SCRATCH_EN: 0
; COMPUTE_PGM_RSRC2:USER_SGPR: 15
; COMPUTE_PGM_RSRC2:TRAP_HANDLER: 0
; COMPUTE_PGM_RSRC2:TGID_X_EN: 1
; COMPUTE_PGM_RSRC2:TGID_Y_EN: 0
; COMPUTE_PGM_RSRC2:TGID_Z_EN: 0
; COMPUTE_PGM_RSRC2:TIDIG_COMP_CNT: 1
	.section	.text._ZN12_GLOBAL__N_120softmax_warp_forwardIN3c108BFloat16ES2_fLi4ELb0ELb1ELi32EEEvPT0_PKT_iiiPKbib,"axG",@progbits,_ZN12_GLOBAL__N_120softmax_warp_forwardIN3c108BFloat16ES2_fLi4ELb0ELb1ELi32EEEvPT0_PKT_iiiPKbib,comdat
	.globl	_ZN12_GLOBAL__N_120softmax_warp_forwardIN3c108BFloat16ES2_fLi4ELb0ELb1ELi32EEEvPT0_PKT_iiiPKbib ; -- Begin function _ZN12_GLOBAL__N_120softmax_warp_forwardIN3c108BFloat16ES2_fLi4ELb0ELb1ELi32EEEvPT0_PKT_iiiPKbib
	.p2align	8
	.type	_ZN12_GLOBAL__N_120softmax_warp_forwardIN3c108BFloat16ES2_fLi4ELb0ELb1ELi32EEEvPT0_PKT_iiiPKbib,@function
_ZN12_GLOBAL__N_120softmax_warp_forwardIN3c108BFloat16ES2_fLi4ELb0ELb1ELi32EEEvPT0_PKT_iiiPKbib: ; @_ZN12_GLOBAL__N_120softmax_warp_forwardIN3c108BFloat16ES2_fLi4ELb0ELb1ELi32EEEvPT0_PKT_iiiPKbib
; %bb.0:
	s_clause 0x2
	s_load_b64 s[2:3], s[0:1], 0x28
	s_load_b32 s8, s[0:1], 0x3c
	s_load_b128 s[4:7], s[0:1], 0x10
	v_bfe_u32 v1, v0, 10, 10
	v_and_b32_e32 v4, 0x3ff, v0
	s_waitcnt lgkmcnt(0)
	s_bitcmp1_b32 s3, 0
	s_cselect_b32 s12, -1, 0
	s_lshr_b32 s7, s8, 16
	s_bitcmp0_b32 s3, 0
	s_mul_i32 s15, s15, s7
	s_delay_alu instid0(SALU_CYCLE_1) | instskip(NEXT) | instid1(VALU_DEP_1)
	v_add_lshl_u32 v5, s15, v1, 1
	v_mul_lo_u32 v6, v5, s5
	s_delay_alu instid0(VALU_DEP_1) | instskip(NEXT) | instid1(VALU_DEP_1)
	v_add_nc_u32_e32 v0, v6, v4
	v_ashrrev_i32_e32 v1, 31, v0
	s_delay_alu instid0(VALU_DEP_1)
	v_dual_mov_b32 v3, v1 :: v_dual_mov_b32 v2, v0
	s_cbranch_scc1 .LBB753_2
; %bb.1:
	s_abs_i32 s3, s2
	v_sub_nc_u32_e32 v7, 0, v6
	v_cvt_f32_u32_e32 v2, s3
	s_sub_i32 s7, 0, s3
	s_delay_alu instid0(VALU_DEP_2) | instskip(NEXT) | instid1(VALU_DEP_2)
	v_max_i32_e32 v7, v6, v7
	v_rcp_iflag_f32_e32 v2, v2
	v_xor_b32_e32 v6, s2, v6
	s_delay_alu instid0(VALU_DEP_1) | instskip(SKIP_2) | instid1(VALU_DEP_1)
	v_ashrrev_i32_e32 v6, 31, v6
	s_waitcnt_depctr 0xfff
	v_mul_f32_e32 v2, 0x4f7ffffe, v2
	v_cvt_u32_f32_e32 v2, v2
	s_delay_alu instid0(VALU_DEP_1) | instskip(NEXT) | instid1(VALU_DEP_1)
	v_mul_lo_u32 v3, s7, v2
	v_mul_hi_u32 v3, v2, v3
	s_delay_alu instid0(VALU_DEP_1) | instskip(NEXT) | instid1(VALU_DEP_1)
	v_add_nc_u32_e32 v2, v2, v3
	v_mul_hi_u32 v2, v7, v2
	s_delay_alu instid0(VALU_DEP_1) | instskip(NEXT) | instid1(VALU_DEP_1)
	v_mul_lo_u32 v3, v2, s3
	v_sub_nc_u32_e32 v3, v7, v3
	v_add_nc_u32_e32 v7, 1, v2
	s_delay_alu instid0(VALU_DEP_2) | instskip(SKIP_1) | instid1(VALU_DEP_2)
	v_subrev_nc_u32_e32 v8, s3, v3
	v_cmp_le_u32_e32 vcc_lo, s3, v3
	v_dual_cndmask_b32 v3, v3, v8 :: v_dual_cndmask_b32 v2, v2, v7
	s_delay_alu instid0(VALU_DEP_1) | instskip(NEXT) | instid1(VALU_DEP_2)
	v_cmp_le_u32_e32 vcc_lo, s3, v3
	v_add_nc_u32_e32 v7, 1, v2
	s_delay_alu instid0(VALU_DEP_1) | instskip(NEXT) | instid1(VALU_DEP_1)
	v_cndmask_b32_e32 v2, v2, v7, vcc_lo
	v_xor_b32_e32 v2, v2, v6
	s_delay_alu instid0(VALU_DEP_1) | instskip(NEXT) | instid1(VALU_DEP_1)
	v_sub_nc_u32_e32 v6, v2, v6
	v_mad_u64_u32 v[2:3], null, v6, s5, v[4:5]
	s_delay_alu instid0(VALU_DEP_1)
	v_ashrrev_i32_e32 v3, 31, v2
.LBB753_2:
	s_load_b128 s[8:11], s[0:1], 0x0
	v_lshlrev_b64 v[0:1], 1, v[0:1]
	v_sub_nc_u32_e32 v6, s4, v5
	v_cmp_gt_i32_e64 s2, s6, v4
	v_mov_b32_e32 v7, 0xff800000
	v_mov_b32_e32 v9, 0xff800000
	s_delay_alu instid0(VALU_DEP_4) | instskip(SKIP_2) | instid1(VALU_DEP_1)
	v_cmp_lt_i32_e32 vcc_lo, 0, v6
	s_waitcnt lgkmcnt(0)
	v_add_co_u32 v4, s3, s10, v0
	v_add_co_ci_u32_e64 v5, s3, s11, v1, s3
	s_and_b32 s11, s2, vcc_lo
	s_delay_alu instid0(SALU_CYCLE_1)
	s_and_saveexec_b32 s3, s11
	s_cbranch_execz .LBB753_4
; %bb.3:
	global_load_u16 v8, v[4:5], off
	s_waitcnt vmcnt(0)
	v_lshlrev_b32_e32 v9, 16, v8
.LBB753_4:
	s_or_b32 exec_lo, exec_lo, s3
	v_cmp_lt_i32_e64 s3, 1, v6
	s_delay_alu instid0(VALU_DEP_1) | instskip(NEXT) | instid1(SALU_CYCLE_1)
	s_and_b32 s10, s2, s3
	s_and_saveexec_b32 s4, s10
	s_cbranch_execz .LBB753_6
; %bb.5:
	s_mov_b32 s7, 0
	s_delay_alu instid0(SALU_CYCLE_1) | instskip(NEXT) | instid1(SALU_CYCLE_1)
	s_lshl_b64 s[14:15], s[6:7], 1
	v_add_co_u32 v4, s3, v4, s14
	s_delay_alu instid0(VALU_DEP_1)
	v_add_co_ci_u32_e64 v5, s3, s15, v5, s3
	global_load_u16 v4, v[4:5], off
	s_waitcnt vmcnt(0)
	v_lshlrev_b32_e32 v7, 16, v4
.LBB753_6:
	s_or_b32 exec_lo, exec_lo, s4
	s_load_b64 s[0:1], s[0:1], 0x20
	v_mov_b32_e32 v4, 0xff800000
	s_waitcnt lgkmcnt(0)
	v_add_co_u32 v2, s0, s0, v2
	s_delay_alu instid0(VALU_DEP_1)
	v_add_co_ci_u32_e64 v3, s0, s1, v3, s0
	s_and_saveexec_b32 s1, s11
	s_cbranch_execz .LBB753_8
; %bb.7:
	global_load_u8 v4, v[2:3], off
	s_waitcnt vmcnt(0)
	v_and_b32_e32 v4, 1, v4
	s_delay_alu instid0(VALU_DEP_1) | instskip(NEXT) | instid1(VALU_DEP_1)
	v_cmp_eq_u32_e64 s0, 1, v4
	v_cndmask_b32_e64 v4, v9, 0xff800000, s0
.LBB753_8:
	s_or_b32 exec_lo, exec_lo, s1
	s_mov_b32 s4, 0
	s_mov_b32 s1, 0
	s_and_saveexec_b32 s3, s10
	s_cbranch_execz .LBB753_10
; %bb.9:
	s_and_b32 s0, s12, exec_lo
	s_cselect_b32 s0, 0, s6
	s_cselect_b32 s1, 0, 0
	v_add_co_u32 v10, s0, v2, s0
	s_delay_alu instid0(VALU_DEP_1) | instskip(SKIP_3) | instid1(VALU_DEP_1)
	v_add_co_ci_u32_e64 v11, s0, s1, v3, s0
	global_load_u8 v5, v[10:11], off
	s_waitcnt vmcnt(0)
	v_and_b32_e32 v5, 1, v5
	v_cmp_eq_u32_e64 s0, 1, v5
	s_delay_alu instid0(VALU_DEP_1) | instskip(NEXT) | instid1(SALU_CYCLE_1)
	s_xor_b32 s0, s0, -1
	s_and_b32 s1, s0, exec_lo
.LBB753_10:
	s_or_b32 exec_lo, exec_lo, s3
	v_mbcnt_lo_u32_b32 v5, -1, 0
	s_mov_b32 s5, s4
	v_cndmask_b32_e64 v4, v4, v4, s1
	v_cndmask_b32_e64 v12, 0xff800000, v7, s1
	s_delay_alu instid0(VALU_DEP_3) | instskip(SKIP_2) | instid1(VALU_DEP_3)
	v_and_b32_e32 v8, 16, v5
	v_xor_b32_e32 v10, 8, v5
	v_xor_b32_e32 v11, 4, v5
	v_add_nc_u32_e32 v8, 16, v8
	s_delay_alu instid0(VALU_DEP_1) | instskip(NEXT) | instid1(VALU_DEP_1)
	v_cmp_lt_i32_e64 s0, v10, v8
	v_cndmask_b32_e64 v10, v5, v10, s0
	s_delay_alu instid0(VALU_DEP_4) | instskip(NEXT) | instid1(VALU_DEP_2)
	v_cmp_lt_i32_e64 s0, v11, v8
	v_lshlrev_b32_e32 v10, 2, v10
	s_delay_alu instid0(VALU_DEP_2)
	v_cndmask_b32_e64 v11, v5, v11, s0
	ds_bpermute_b32 v13, v10, v4
	ds_bpermute_b32 v14, v10, v12
	v_lshlrev_b32_e32 v11, 2, v11
	s_waitcnt lgkmcnt(1)
	v_cmp_lt_f32_e64 s0, v4, v13
	s_delay_alu instid0(VALU_DEP_1) | instskip(SKIP_2) | instid1(VALU_DEP_1)
	v_cndmask_b32_e64 v4, v4, v13, s0
	s_waitcnt lgkmcnt(0)
	v_cmp_lt_f32_e64 s0, v12, v14
	v_cndmask_b32_e64 v13, v12, v14, s0
	ds_bpermute_b32 v14, v11, v4
	v_xor_b32_e32 v12, 2, v5
	ds_bpermute_b32 v15, v11, v13
	v_cmp_lt_i32_e64 s0, v12, v8
	s_delay_alu instid0(VALU_DEP_1) | instskip(NEXT) | instid1(VALU_DEP_1)
	v_cndmask_b32_e64 v12, v5, v12, s0
	v_lshlrev_b32_e32 v12, 2, v12
	s_waitcnt lgkmcnt(1)
	v_cmp_lt_f32_e64 s0, v4, v14
	s_delay_alu instid0(VALU_DEP_1) | instskip(SKIP_2) | instid1(VALU_DEP_1)
	v_cndmask_b32_e64 v4, v4, v14, s0
	s_waitcnt lgkmcnt(0)
	v_cmp_lt_f32_e64 s0, v13, v15
	v_cndmask_b32_e64 v14, v13, v15, s0
	ds_bpermute_b32 v15, v12, v4
	v_xor_b32_e32 v13, 1, v5
	ds_bpermute_b32 v16, v12, v14
	v_cmp_lt_i32_e64 s0, v13, v8
	v_mov_b32_e32 v8, 0
	s_delay_alu instid0(VALU_DEP_2) | instskip(NEXT) | instid1(VALU_DEP_1)
	v_cndmask_b32_e64 v5, v5, v13, s0
	v_lshlrev_b32_e32 v13, 2, v5
	s_waitcnt lgkmcnt(1)
	v_cmp_lt_f32_e64 s0, v4, v15
	s_delay_alu instid0(VALU_DEP_1)
	v_cndmask_b32_e64 v17, v4, v15, s0
	v_mov_b32_e32 v4, s4
	s_waitcnt lgkmcnt(0)
	v_cmp_lt_f32_e64 s0, v14, v16
	v_mov_b32_e32 v5, s5
	ds_bpermute_b32 v18, v13, v17
	v_cndmask_b32_e64 v15, v14, v16, s0
	v_mov_b32_e32 v14, 0
	ds_bpermute_b32 v16, v13, v15
	s_and_saveexec_b32 s1, s11
	s_cbranch_execz .LBB753_14
; %bb.11:
	global_load_u8 v4, v[2:3], off
	s_mov_b32 s5, s4
	v_mov_b32_e32 v14, 0
	s_waitcnt vmcnt(0)
	v_and_b32_e32 v4, 1, v4
	s_delay_alu instid0(VALU_DEP_1) | instskip(SKIP_1) | instid1(VALU_DEP_2)
	v_cmp_eq_u32_e64 s0, 1, v4
	v_dual_mov_b32 v4, s4 :: v_dual_mov_b32 v5, s5
	s_xor_b32 s0, s0, -1
	s_delay_alu instid0(SALU_CYCLE_1)
	s_and_saveexec_b32 s3, s0
	s_cbranch_execz .LBB753_13
; %bb.12:
	s_waitcnt lgkmcnt(1)
	v_cmp_lt_f32_e64 s0, v17, v18
	s_delay_alu instid0(VALU_DEP_1) | instskip(NEXT) | instid1(VALU_DEP_1)
	v_cndmask_b32_e64 v4, v17, v18, s0
	v_sub_f32_e32 v4, v9, v4
	s_delay_alu instid0(VALU_DEP_1) | instskip(SKIP_1) | instid1(VALU_DEP_2)
	v_mul_f32_e32 v5, 0x3fb8aa3b, v4
	v_cmp_ngt_f32_e64 s0, 0xc2ce8ed0, v4
	v_fma_f32 v9, 0x3fb8aa3b, v4, -v5
	v_rndne_f32_e32 v14, v5
	s_delay_alu instid0(VALU_DEP_2) | instskip(NEXT) | instid1(VALU_DEP_2)
	v_fmamk_f32 v9, v4, 0x32a5705f, v9
	v_sub_f32_e32 v5, v5, v14
	s_delay_alu instid0(VALU_DEP_1) | instskip(SKIP_1) | instid1(VALU_DEP_2)
	v_add_f32_e32 v5, v5, v9
	v_cvt_i32_f32_e32 v9, v14
	v_exp_f32_e32 v5, v5
	s_waitcnt_depctr 0xfff
	v_ldexp_f32 v5, v5, v9
	s_delay_alu instid0(VALU_DEP_1) | instskip(SKIP_1) | instid1(VALU_DEP_1)
	v_cndmask_b32_e64 v5, 0, v5, s0
	v_cmp_nlt_f32_e64 s0, 0x42b17218, v4
	v_cndmask_b32_e64 v4, 0x7f800000, v5, s0
	s_delay_alu instid0(VALU_DEP_1)
	v_dual_mov_b32 v5, 0 :: v_dual_mov_b32 v14, v4
.LBB753_13:
	s_or_b32 exec_lo, exec_lo, s3
.LBB753_14:
	s_delay_alu instid0(SALU_CYCLE_1)
	s_or_b32 exec_lo, exec_lo, s1
	s_and_saveexec_b32 s1, s10
	s_cbranch_execz .LBB753_18
; %bb.15:
	s_and_b32 s0, s12, exec_lo
	s_cselect_b32 s0, 0, s6
	s_cselect_b32 s3, 0, 0
	v_add_co_u32 v2, s0, v2, s0
	s_delay_alu instid0(VALU_DEP_1) | instskip(SKIP_4) | instid1(VALU_DEP_1)
	v_add_co_ci_u32_e64 v3, s0, s3, v3, s0
	v_mov_b32_e32 v8, 0
	global_load_u8 v2, v[2:3], off
	s_waitcnt vmcnt(0)
	v_and_b32_e32 v2, 1, v2
	v_cmp_eq_u32_e64 s0, 1, v2
	s_delay_alu instid0(VALU_DEP_1) | instskip(NEXT) | instid1(SALU_CYCLE_1)
	s_xor_b32 s0, s0, -1
	s_and_saveexec_b32 s3, s0
	s_cbranch_execz .LBB753_17
; %bb.16:
	s_waitcnt lgkmcnt(0)
	v_cmp_lt_f32_e64 s0, v15, v16
	s_delay_alu instid0(VALU_DEP_1) | instskip(NEXT) | instid1(VALU_DEP_1)
	v_cndmask_b32_e64 v2, v15, v16, s0
	v_sub_f32_e32 v2, v7, v2
	s_delay_alu instid0(VALU_DEP_1) | instskip(SKIP_1) | instid1(VALU_DEP_2)
	v_mul_f32_e32 v3, 0x3fb8aa3b, v2
	v_cmp_ngt_f32_e64 s0, 0xc2ce8ed0, v2
	v_fma_f32 v7, 0x3fb8aa3b, v2, -v3
	v_rndne_f32_e32 v8, v3
	s_delay_alu instid0(VALU_DEP_2) | instskip(NEXT) | instid1(VALU_DEP_2)
	v_fmamk_f32 v7, v2, 0x32a5705f, v7
	v_sub_f32_e32 v3, v3, v8
	s_delay_alu instid0(VALU_DEP_1) | instskip(SKIP_1) | instid1(VALU_DEP_2)
	v_add_f32_e32 v3, v3, v7
	v_cvt_i32_f32_e32 v7, v8
	v_exp_f32_e32 v3, v3
	s_waitcnt_depctr 0xfff
	v_ldexp_f32 v3, v3, v7
	s_delay_alu instid0(VALU_DEP_1) | instskip(SKIP_1) | instid1(VALU_DEP_1)
	v_cndmask_b32_e64 v3, 0, v3, s0
	v_cmp_nlt_f32_e64 s0, 0x42b17218, v2
	v_cndmask_b32_e64 v8, 0x7f800000, v3, s0
	s_delay_alu instid0(VALU_DEP_1)
	v_add_f32_e32 v5, v5, v8
.LBB753_17:
	s_or_b32 exec_lo, exec_lo, s3
.LBB753_18:
	s_delay_alu instid0(SALU_CYCLE_1)
	s_or_b32 exec_lo, exec_lo, s1
	ds_bpermute_b32 v2, v10, v4
	ds_bpermute_b32 v3, v10, v5
	s_waitcnt lgkmcnt(0)
	v_dual_add_f32 v2, v4, v2 :: v_dual_add_f32 v3, v5, v3
	ds_bpermute_b32 v4, v11, v2
	ds_bpermute_b32 v5, v11, v3
	s_waitcnt lgkmcnt(0)
	v_dual_add_f32 v2, v2, v4 :: v_dual_add_f32 v3, v3, v5
	ds_bpermute_b32 v4, v12, v2
	ds_bpermute_b32 v5, v12, v3
	s_waitcnt lgkmcnt(1)
	v_add_f32_e32 v4, v2, v4
	s_waitcnt lgkmcnt(0)
	v_add_f32_e32 v2, v3, v5
	ds_bpermute_b32 v5, v13, v4
	ds_bpermute_b32 v3, v13, v2
	s_and_saveexec_b32 s0, vcc_lo
	s_cbranch_execz .LBB753_26
; %bb.19:
	v_add_co_u32 v0, vcc_lo, s8, v0
	v_add_co_ci_u32_e32 v1, vcc_lo, s9, v1, vcc_lo
	s_and_saveexec_b32 s0, s2
	s_cbranch_execz .LBB753_23
; %bb.20:
	s_waitcnt lgkmcnt(1)
	v_dual_add_f32 v4, v4, v5 :: v_dual_mov_b32 v5, 0x7fc0
	s_mov_b32 s1, exec_lo
	s_delay_alu instid0(VALU_DEP_1)
	v_cmpx_neq_f32_e32 0, v4
	s_cbranch_execz .LBB753_22
; %bb.21:
	v_div_scale_f32 v5, null, v4, v4, v14
	s_delay_alu instid0(VALU_DEP_1) | instskip(SKIP_2) | instid1(VALU_DEP_1)
	v_rcp_f32_e32 v7, v5
	s_waitcnt_depctr 0xfff
	v_fma_f32 v9, -v5, v7, 1.0
	v_fmac_f32_e32 v7, v9, v7
	v_div_scale_f32 v9, vcc_lo, v14, v4, v14
	s_delay_alu instid0(VALU_DEP_1) | instskip(NEXT) | instid1(VALU_DEP_1)
	v_mul_f32_e32 v10, v9, v7
	v_fma_f32 v11, -v5, v10, v9
	s_delay_alu instid0(VALU_DEP_1) | instskip(NEXT) | instid1(VALU_DEP_1)
	v_fmac_f32_e32 v10, v11, v7
	v_fma_f32 v5, -v5, v10, v9
	s_delay_alu instid0(VALU_DEP_1) | instskip(NEXT) | instid1(VALU_DEP_1)
	v_div_fmas_f32 v5, v5, v7, v10
	v_div_fixup_f32 v4, v5, v4, v14
	s_delay_alu instid0(VALU_DEP_1) | instskip(SKIP_1) | instid1(VALU_DEP_2)
	v_bfe_u32 v5, v4, 16, 1
	v_cmp_o_f32_e32 vcc_lo, v4, v4
	v_add3_u32 v5, v4, v5, 0x7fff
	s_delay_alu instid0(VALU_DEP_1) | instskip(NEXT) | instid1(VALU_DEP_1)
	v_lshrrev_b32_e32 v5, 16, v5
	v_cndmask_b32_e32 v5, 0x7fc0, v5, vcc_lo
.LBB753_22:
	s_or_b32 exec_lo, exec_lo, s1
	global_store_b16 v[0:1], v5, off
.LBB753_23:
	s_or_b32 exec_lo, exec_lo, s0
	v_cmp_ne_u32_e32 vcc_lo, 1, v6
	s_and_b32 exec_lo, exec_lo, vcc_lo
	s_cbranch_execz .LBB753_26
; %bb.24:
	s_and_b32 exec_lo, exec_lo, s2
	s_cbranch_execz .LBB753_26
; %bb.25:
	s_waitcnt lgkmcnt(0)
	v_add_f32_e32 v2, v2, v3
	s_mov_b32 s7, 0
	s_delay_alu instid0(SALU_CYCLE_1) | instskip(NEXT) | instid1(SALU_CYCLE_1)
	s_lshl_b64 s[2:3], s[6:7], 1
	v_add_co_u32 v0, s1, v0, s2
	s_delay_alu instid0(VALU_DEP_2) | instskip(SKIP_2) | instid1(VALU_DEP_3)
	v_div_scale_f32 v3, null, v2, v2, v8
	v_div_scale_f32 v6, vcc_lo, v8, v2, v8
	v_add_co_ci_u32_e64 v1, s1, s3, v1, s1
	v_rcp_f32_e32 v4, v3
	s_waitcnt_depctr 0xfff
	v_fma_f32 v5, -v3, v4, 1.0
	s_delay_alu instid0(VALU_DEP_1) | instskip(NEXT) | instid1(VALU_DEP_1)
	v_fmac_f32_e32 v4, v5, v4
	v_mul_f32_e32 v5, v6, v4
	s_delay_alu instid0(VALU_DEP_1) | instskip(NEXT) | instid1(VALU_DEP_1)
	v_fma_f32 v7, -v3, v5, v6
	v_fmac_f32_e32 v5, v7, v4
	s_delay_alu instid0(VALU_DEP_1) | instskip(NEXT) | instid1(VALU_DEP_1)
	v_fma_f32 v3, -v3, v5, v6
	v_div_fmas_f32 v3, v3, v4, v5
	v_cmp_eq_f32_e32 vcc_lo, 0, v2
	s_delay_alu instid0(VALU_DEP_2) | instskip(NEXT) | instid1(VALU_DEP_1)
	v_div_fixup_f32 v3, v3, v2, v8
	v_bfe_u32 v4, v3, 16, 1
	v_cmp_u_f32_e64 s0, v3, v3
	s_delay_alu instid0(VALU_DEP_2) | instskip(NEXT) | instid1(VALU_DEP_2)
	v_add3_u32 v4, v3, v4, 0x7fff
	s_or_b32 s0, vcc_lo, s0
	s_delay_alu instid0(VALU_DEP_1) | instskip(NEXT) | instid1(VALU_DEP_1)
	v_lshrrev_b32_e32 v2, 16, v4
	v_cndmask_b32_e64 v2, v2, 0x7fc0, s0
	global_store_b16 v[0:1], v2, off
.LBB753_26:
	s_nop 0
	s_sendmsg sendmsg(MSG_DEALLOC_VGPRS)
	s_endpgm
	.section	.rodata,"a",@progbits
	.p2align	6, 0x0
	.amdhsa_kernel _ZN12_GLOBAL__N_120softmax_warp_forwardIN3c108BFloat16ES2_fLi4ELb0ELb1ELi32EEEvPT0_PKT_iiiPKbib
		.amdhsa_group_segment_fixed_size 0
		.amdhsa_private_segment_fixed_size 0
		.amdhsa_kernarg_size 304
		.amdhsa_user_sgpr_count 15
		.amdhsa_user_sgpr_dispatch_ptr 0
		.amdhsa_user_sgpr_queue_ptr 0
		.amdhsa_user_sgpr_kernarg_segment_ptr 1
		.amdhsa_user_sgpr_dispatch_id 0
		.amdhsa_user_sgpr_private_segment_size 0
		.amdhsa_wavefront_size32 1
		.amdhsa_uses_dynamic_stack 0
		.amdhsa_enable_private_segment 0
		.amdhsa_system_sgpr_workgroup_id_x 1
		.amdhsa_system_sgpr_workgroup_id_y 0
		.amdhsa_system_sgpr_workgroup_id_z 0
		.amdhsa_system_sgpr_workgroup_info 0
		.amdhsa_system_vgpr_workitem_id 1
		.amdhsa_next_free_vgpr 19
		.amdhsa_next_free_sgpr 16
		.amdhsa_reserve_vcc 1
		.amdhsa_float_round_mode_32 0
		.amdhsa_float_round_mode_16_64 0
		.amdhsa_float_denorm_mode_32 3
		.amdhsa_float_denorm_mode_16_64 3
		.amdhsa_dx10_clamp 1
		.amdhsa_ieee_mode 1
		.amdhsa_fp16_overflow 0
		.amdhsa_workgroup_processor_mode 1
		.amdhsa_memory_ordered 1
		.amdhsa_forward_progress 0
		.amdhsa_shared_vgpr_count 0
		.amdhsa_exception_fp_ieee_invalid_op 0
		.amdhsa_exception_fp_denorm_src 0
		.amdhsa_exception_fp_ieee_div_zero 0
		.amdhsa_exception_fp_ieee_overflow 0
		.amdhsa_exception_fp_ieee_underflow 0
		.amdhsa_exception_fp_ieee_inexact 0
		.amdhsa_exception_int_div_zero 0
	.end_amdhsa_kernel
	.section	.text._ZN12_GLOBAL__N_120softmax_warp_forwardIN3c108BFloat16ES2_fLi4ELb0ELb1ELi32EEEvPT0_PKT_iiiPKbib,"axG",@progbits,_ZN12_GLOBAL__N_120softmax_warp_forwardIN3c108BFloat16ES2_fLi4ELb0ELb1ELi32EEEvPT0_PKT_iiiPKbib,comdat
.Lfunc_end753:
	.size	_ZN12_GLOBAL__N_120softmax_warp_forwardIN3c108BFloat16ES2_fLi4ELb0ELb1ELi32EEEvPT0_PKT_iiiPKbib, .Lfunc_end753-_ZN12_GLOBAL__N_120softmax_warp_forwardIN3c108BFloat16ES2_fLi4ELb0ELb1ELi32EEEvPT0_PKT_iiiPKbib
                                        ; -- End function
	.section	.AMDGPU.csdata,"",@progbits
; Kernel info:
; codeLenInByte = 2072
; NumSgprs: 18
; NumVgprs: 19
; ScratchSize: 0
; MemoryBound: 0
; FloatMode: 240
; IeeeMode: 1
; LDSByteSize: 0 bytes/workgroup (compile time only)
; SGPRBlocks: 2
; VGPRBlocks: 2
; NumSGPRsForWavesPerEU: 18
; NumVGPRsForWavesPerEU: 19
; Occupancy: 16
; WaveLimiterHint : 0
; COMPUTE_PGM_RSRC2:SCRATCH_EN: 0
; COMPUTE_PGM_RSRC2:USER_SGPR: 15
; COMPUTE_PGM_RSRC2:TRAP_HANDLER: 0
; COMPUTE_PGM_RSRC2:TGID_X_EN: 1
; COMPUTE_PGM_RSRC2:TGID_Y_EN: 0
; COMPUTE_PGM_RSRC2:TGID_Z_EN: 0
; COMPUTE_PGM_RSRC2:TIDIG_COMP_CNT: 1
	.section	.text._ZN12_GLOBAL__N_120softmax_warp_forwardIN3c108BFloat16ES2_fLi5ELb0ELb1ELi64EEEvPT0_PKT_iiiPKbib,"axG",@progbits,_ZN12_GLOBAL__N_120softmax_warp_forwardIN3c108BFloat16ES2_fLi5ELb0ELb1ELi64EEEvPT0_PKT_iiiPKbib,comdat
	.globl	_ZN12_GLOBAL__N_120softmax_warp_forwardIN3c108BFloat16ES2_fLi5ELb0ELb1ELi64EEEvPT0_PKT_iiiPKbib ; -- Begin function _ZN12_GLOBAL__N_120softmax_warp_forwardIN3c108BFloat16ES2_fLi5ELb0ELb1ELi64EEEvPT0_PKT_iiiPKbib
	.p2align	8
	.type	_ZN12_GLOBAL__N_120softmax_warp_forwardIN3c108BFloat16ES2_fLi5ELb0ELb1ELi64EEEvPT0_PKT_iiiPKbib,@function
_ZN12_GLOBAL__N_120softmax_warp_forwardIN3c108BFloat16ES2_fLi5ELb0ELb1ELi64EEEvPT0_PKT_iiiPKbib: ; @_ZN12_GLOBAL__N_120softmax_warp_forwardIN3c108BFloat16ES2_fLi5ELb0ELb1ELi64EEEvPT0_PKT_iiiPKbib
; %bb.0:
	s_clause 0x2
	s_load_b64 s[2:3], s[0:1], 0x28
	s_load_b32 s8, s[0:1], 0x3c
	s_load_b128 s[4:7], s[0:1], 0x10
	v_bfe_u32 v1, v0, 10, 10
	v_and_b32_e32 v4, 0x3ff, v0
	s_waitcnt lgkmcnt(0)
	s_bitcmp1_b32 s3, 0
	s_cselect_b32 s12, -1, 0
	s_lshr_b32 s7, s8, 16
	s_bitcmp0_b32 s3, 0
	s_mul_i32 s15, s15, s7
	s_delay_alu instid0(SALU_CYCLE_1) | instskip(NEXT) | instid1(VALU_DEP_1)
	v_add_lshl_u32 v5, s15, v1, 1
	v_mul_lo_u32 v6, v5, s5
	s_delay_alu instid0(VALU_DEP_1) | instskip(NEXT) | instid1(VALU_DEP_1)
	v_add_nc_u32_e32 v0, v6, v4
	v_ashrrev_i32_e32 v1, 31, v0
	s_delay_alu instid0(VALU_DEP_1)
	v_dual_mov_b32 v3, v1 :: v_dual_mov_b32 v2, v0
	s_cbranch_scc1 .LBB754_2
; %bb.1:
	s_abs_i32 s3, s2
	v_sub_nc_u32_e32 v7, 0, v6
	v_cvt_f32_u32_e32 v2, s3
	s_sub_i32 s7, 0, s3
	s_delay_alu instid0(VALU_DEP_2) | instskip(NEXT) | instid1(VALU_DEP_2)
	v_max_i32_e32 v7, v6, v7
	v_rcp_iflag_f32_e32 v2, v2
	v_xor_b32_e32 v6, s2, v6
	s_delay_alu instid0(VALU_DEP_1) | instskip(SKIP_2) | instid1(VALU_DEP_1)
	v_ashrrev_i32_e32 v6, 31, v6
	s_waitcnt_depctr 0xfff
	v_mul_f32_e32 v2, 0x4f7ffffe, v2
	v_cvt_u32_f32_e32 v2, v2
	s_delay_alu instid0(VALU_DEP_1) | instskip(NEXT) | instid1(VALU_DEP_1)
	v_mul_lo_u32 v3, s7, v2
	v_mul_hi_u32 v3, v2, v3
	s_delay_alu instid0(VALU_DEP_1) | instskip(NEXT) | instid1(VALU_DEP_1)
	v_add_nc_u32_e32 v2, v2, v3
	v_mul_hi_u32 v2, v7, v2
	s_delay_alu instid0(VALU_DEP_1) | instskip(NEXT) | instid1(VALU_DEP_1)
	v_mul_lo_u32 v3, v2, s3
	v_sub_nc_u32_e32 v3, v7, v3
	v_add_nc_u32_e32 v7, 1, v2
	s_delay_alu instid0(VALU_DEP_2) | instskip(SKIP_1) | instid1(VALU_DEP_2)
	v_subrev_nc_u32_e32 v8, s3, v3
	v_cmp_le_u32_e32 vcc_lo, s3, v3
	v_dual_cndmask_b32 v3, v3, v8 :: v_dual_cndmask_b32 v2, v2, v7
	s_delay_alu instid0(VALU_DEP_1) | instskip(NEXT) | instid1(VALU_DEP_2)
	v_cmp_le_u32_e32 vcc_lo, s3, v3
	v_add_nc_u32_e32 v7, 1, v2
	s_delay_alu instid0(VALU_DEP_1) | instskip(NEXT) | instid1(VALU_DEP_1)
	v_cndmask_b32_e32 v2, v2, v7, vcc_lo
	v_xor_b32_e32 v2, v2, v6
	s_delay_alu instid0(VALU_DEP_1) | instskip(NEXT) | instid1(VALU_DEP_1)
	v_sub_nc_u32_e32 v6, v2, v6
	v_mad_u64_u32 v[2:3], null, v6, s5, v[4:5]
	s_delay_alu instid0(VALU_DEP_1)
	v_ashrrev_i32_e32 v3, 31, v2
.LBB754_2:
	s_load_b128 s[8:11], s[0:1], 0x0
	v_lshlrev_b64 v[0:1], 1, v[0:1]
	v_sub_nc_u32_e32 v6, s4, v5
	v_cmp_gt_i32_e64 s2, s6, v4
	v_mov_b32_e32 v7, 0xff800000
	v_mov_b32_e32 v9, 0xff800000
	s_delay_alu instid0(VALU_DEP_4) | instskip(SKIP_2) | instid1(VALU_DEP_1)
	v_cmp_lt_i32_e32 vcc_lo, 0, v6
	s_waitcnt lgkmcnt(0)
	v_add_co_u32 v4, s3, s10, v0
	v_add_co_ci_u32_e64 v5, s3, s11, v1, s3
	s_and_b32 s11, s2, vcc_lo
	s_delay_alu instid0(SALU_CYCLE_1)
	s_and_saveexec_b32 s3, s11
	s_cbranch_execz .LBB754_4
; %bb.3:
	global_load_u16 v8, v[4:5], off
	s_waitcnt vmcnt(0)
	v_lshlrev_b32_e32 v9, 16, v8
.LBB754_4:
	s_or_b32 exec_lo, exec_lo, s3
	v_cmp_lt_i32_e64 s3, 1, v6
	s_delay_alu instid0(VALU_DEP_1) | instskip(NEXT) | instid1(SALU_CYCLE_1)
	s_and_b32 s10, s2, s3
	s_and_saveexec_b32 s4, s10
	s_cbranch_execz .LBB754_6
; %bb.5:
	s_mov_b32 s7, 0
	s_delay_alu instid0(SALU_CYCLE_1) | instskip(NEXT) | instid1(SALU_CYCLE_1)
	s_lshl_b64 s[14:15], s[6:7], 1
	v_add_co_u32 v4, s3, v4, s14
	s_delay_alu instid0(VALU_DEP_1)
	v_add_co_ci_u32_e64 v5, s3, s15, v5, s3
	global_load_u16 v4, v[4:5], off
	s_waitcnt vmcnt(0)
	v_lshlrev_b32_e32 v7, 16, v4
.LBB754_6:
	s_or_b32 exec_lo, exec_lo, s4
	s_load_b64 s[0:1], s[0:1], 0x20
	v_mov_b32_e32 v4, 0xff800000
	s_waitcnt lgkmcnt(0)
	v_add_co_u32 v2, s0, s0, v2
	s_delay_alu instid0(VALU_DEP_1)
	v_add_co_ci_u32_e64 v3, s0, s1, v3, s0
	s_and_saveexec_b32 s1, s11
	s_cbranch_execz .LBB754_8
; %bb.7:
	global_load_u8 v4, v[2:3], off
	s_waitcnt vmcnt(0)
	v_and_b32_e32 v4, 1, v4
	s_delay_alu instid0(VALU_DEP_1) | instskip(NEXT) | instid1(VALU_DEP_1)
	v_cmp_eq_u32_e64 s0, 1, v4
	v_cndmask_b32_e64 v4, v9, 0xff800000, s0
.LBB754_8:
	s_or_b32 exec_lo, exec_lo, s1
	s_mov_b32 s4, 0
	s_mov_b32 s1, 0
	s_and_saveexec_b32 s3, s10
	s_cbranch_execz .LBB754_10
; %bb.9:
	s_and_b32 s0, s12, exec_lo
	s_cselect_b32 s0, 0, s6
	s_cselect_b32 s1, 0, 0
	v_add_co_u32 v10, s0, v2, s0
	s_delay_alu instid0(VALU_DEP_1) | instskip(SKIP_3) | instid1(VALU_DEP_1)
	v_add_co_ci_u32_e64 v11, s0, s1, v3, s0
	global_load_u8 v5, v[10:11], off
	s_waitcnt vmcnt(0)
	v_and_b32_e32 v5, 1, v5
	v_cmp_eq_u32_e64 s0, 1, v5
	s_delay_alu instid0(VALU_DEP_1) | instskip(NEXT) | instid1(SALU_CYCLE_1)
	s_xor_b32 s0, s0, -1
	s_and_b32 s1, s0, exec_lo
.LBB754_10:
	s_or_b32 exec_lo, exec_lo, s3
	v_mbcnt_lo_u32_b32 v5, -1, 0
	v_cndmask_b32_e64 v4, v4, v4, s1
	s_mov_b32 s5, s4
	s_delay_alu instid0(VALU_DEP_2) | instskip(SKIP_1) | instid1(VALU_DEP_2)
	v_xor_b32_e32 v8, 16, v5
	v_xor_b32_e32 v11, 8, v5
	v_cmp_gt_i32_e64 s0, 32, v8
	s_delay_alu instid0(VALU_DEP_1) | instskip(NEXT) | instid1(VALU_DEP_3)
	v_cndmask_b32_e64 v8, v5, v8, s0
	v_cmp_gt_i32_e64 s0, 32, v11
	s_delay_alu instid0(VALU_DEP_2) | instskip(SKIP_1) | instid1(VALU_DEP_3)
	v_lshlrev_b32_e32 v10, 2, v8
	v_cndmask_b32_e64 v8, 0xff800000, v7, s1
	v_cndmask_b32_e64 v11, v5, v11, s0
	ds_bpermute_b32 v12, v10, v4
	ds_bpermute_b32 v13, v10, v8
	v_lshlrev_b32_e32 v11, 2, v11
	s_waitcnt lgkmcnt(1)
	v_cmp_lt_f32_e64 s0, v4, v12
	s_delay_alu instid0(VALU_DEP_1) | instskip(SKIP_3) | instid1(VALU_DEP_2)
	v_cndmask_b32_e64 v4, v4, v12, s0
	s_waitcnt lgkmcnt(0)
	v_cmp_lt_f32_e64 s0, v8, v13
	v_xor_b32_e32 v12, 4, v5
	v_cndmask_b32_e64 v8, v8, v13, s0
	ds_bpermute_b32 v13, v11, v4
	v_cmp_gt_i32_e64 s0, 32, v12
	ds_bpermute_b32 v14, v11, v8
	v_cndmask_b32_e64 v12, v5, v12, s0
	s_delay_alu instid0(VALU_DEP_1) | instskip(SKIP_2) | instid1(VALU_DEP_1)
	v_lshlrev_b32_e32 v12, 2, v12
	s_waitcnt lgkmcnt(1)
	v_cmp_lt_f32_e64 s0, v4, v13
	v_cndmask_b32_e64 v4, v4, v13, s0
	s_waitcnt lgkmcnt(0)
	v_cmp_lt_f32_e64 s0, v8, v14
	v_xor_b32_e32 v13, 2, v5
	s_delay_alu instid0(VALU_DEP_2) | instskip(SKIP_4) | instid1(VALU_DEP_1)
	v_cndmask_b32_e64 v8, v8, v14, s0
	ds_bpermute_b32 v14, v12, v4
	v_cmp_gt_i32_e64 s0, 32, v13
	ds_bpermute_b32 v15, v12, v8
	v_cndmask_b32_e64 v13, v5, v13, s0
	v_lshlrev_b32_e32 v13, 2, v13
	s_waitcnt lgkmcnt(1)
	v_cmp_lt_f32_e64 s0, v4, v14
	s_delay_alu instid0(VALU_DEP_1) | instskip(SKIP_3) | instid1(VALU_DEP_2)
	v_cndmask_b32_e64 v4, v4, v14, s0
	s_waitcnt lgkmcnt(0)
	v_cmp_lt_f32_e64 s0, v8, v15
	v_xor_b32_e32 v14, 1, v5
	v_cndmask_b32_e64 v8, v8, v15, s0
	ds_bpermute_b32 v15, v13, v4
	v_cmp_gt_i32_e64 s0, 32, v14
	s_delay_alu instid0(VALU_DEP_1) | instskip(NEXT) | instid1(VALU_DEP_1)
	v_cndmask_b32_e64 v5, v5, v14, s0
	v_lshlrev_b32_e32 v14, 2, v5
	s_waitcnt lgkmcnt(0)
	v_cmp_lt_f32_e64 s0, v4, v15
	s_delay_alu instid0(VALU_DEP_1)
	v_cndmask_b32_e64 v18, v4, v15, s0
	v_mov_b32_e32 v4, s4
	ds_bpermute_b32 v16, v13, v8
	v_mov_b32_e32 v5, s5
	v_mov_b32_e32 v15, 0
	ds_bpermute_b32 v19, v14, v18
	s_waitcnt lgkmcnt(1)
	v_cmp_lt_f32_e64 s0, v8, v16
	s_delay_alu instid0(VALU_DEP_1)
	v_cndmask_b32_e64 v16, v8, v16, s0
	v_mov_b32_e32 v8, 0
	ds_bpermute_b32 v17, v14, v16
	s_and_saveexec_b32 s1, s11
	s_cbranch_execz .LBB754_14
; %bb.11:
	global_load_u8 v4, v[2:3], off
	s_mov_b32 s5, s4
	s_waitcnt vmcnt(0)
	v_dual_mov_b32 v15, 0 :: v_dual_and_b32 v4, 1, v4
	s_delay_alu instid0(VALU_DEP_1) | instskip(SKIP_1) | instid1(VALU_DEP_2)
	v_cmp_eq_u32_e64 s0, 1, v4
	v_dual_mov_b32 v4, s4 :: v_dual_mov_b32 v5, s5
	s_xor_b32 s0, s0, -1
	s_delay_alu instid0(SALU_CYCLE_1)
	s_and_saveexec_b32 s3, s0
	s_cbranch_execz .LBB754_13
; %bb.12:
	s_waitcnt lgkmcnt(1)
	v_cmp_lt_f32_e64 s0, v18, v19
	s_delay_alu instid0(VALU_DEP_1) | instskip(NEXT) | instid1(VALU_DEP_1)
	v_cndmask_b32_e64 v4, v18, v19, s0
	v_sub_f32_e32 v4, v9, v4
	s_delay_alu instid0(VALU_DEP_1) | instskip(SKIP_1) | instid1(VALU_DEP_2)
	v_mul_f32_e32 v5, 0x3fb8aa3b, v4
	v_cmp_ngt_f32_e64 s0, 0xc2ce8ed0, v4
	v_fma_f32 v9, 0x3fb8aa3b, v4, -v5
	v_rndne_f32_e32 v15, v5
	s_delay_alu instid0(VALU_DEP_2) | instskip(NEXT) | instid1(VALU_DEP_2)
	v_fmamk_f32 v9, v4, 0x32a5705f, v9
	v_sub_f32_e32 v5, v5, v15
	s_delay_alu instid0(VALU_DEP_1) | instskip(SKIP_1) | instid1(VALU_DEP_2)
	v_add_f32_e32 v5, v5, v9
	v_cvt_i32_f32_e32 v9, v15
	v_exp_f32_e32 v5, v5
	s_waitcnt_depctr 0xfff
	v_ldexp_f32 v5, v5, v9
	s_delay_alu instid0(VALU_DEP_1) | instskip(SKIP_1) | instid1(VALU_DEP_1)
	v_cndmask_b32_e64 v5, 0, v5, s0
	v_cmp_nlt_f32_e64 s0, 0x42b17218, v4
	v_cndmask_b32_e64 v4, 0x7f800000, v5, s0
	v_mov_b32_e32 v5, 0
	s_delay_alu instid0(VALU_DEP_2)
	v_mov_b32_e32 v15, v4
.LBB754_13:
	s_or_b32 exec_lo, exec_lo, s3
.LBB754_14:
	s_delay_alu instid0(SALU_CYCLE_1)
	s_or_b32 exec_lo, exec_lo, s1
	s_and_saveexec_b32 s1, s10
	s_cbranch_execz .LBB754_18
; %bb.15:
	s_and_b32 s0, s12, exec_lo
	s_cselect_b32 s0, 0, s6
	s_cselect_b32 s3, 0, 0
	v_add_co_u32 v2, s0, v2, s0
	s_delay_alu instid0(VALU_DEP_1) | instskip(SKIP_4) | instid1(VALU_DEP_1)
	v_add_co_ci_u32_e64 v3, s0, s3, v3, s0
	v_mov_b32_e32 v8, 0
	global_load_u8 v2, v[2:3], off
	s_waitcnt vmcnt(0)
	v_and_b32_e32 v2, 1, v2
	v_cmp_eq_u32_e64 s0, 1, v2
	s_delay_alu instid0(VALU_DEP_1) | instskip(NEXT) | instid1(SALU_CYCLE_1)
	s_xor_b32 s0, s0, -1
	s_and_saveexec_b32 s3, s0
	s_cbranch_execz .LBB754_17
; %bb.16:
	s_waitcnt lgkmcnt(0)
	v_cmp_lt_f32_e64 s0, v16, v17
	s_delay_alu instid0(VALU_DEP_1) | instskip(NEXT) | instid1(VALU_DEP_1)
	v_cndmask_b32_e64 v2, v16, v17, s0
	v_sub_f32_e32 v2, v7, v2
	s_delay_alu instid0(VALU_DEP_1) | instskip(SKIP_1) | instid1(VALU_DEP_2)
	v_mul_f32_e32 v3, 0x3fb8aa3b, v2
	v_cmp_ngt_f32_e64 s0, 0xc2ce8ed0, v2
	v_fma_f32 v7, 0x3fb8aa3b, v2, -v3
	v_rndne_f32_e32 v8, v3
	s_delay_alu instid0(VALU_DEP_2) | instskip(NEXT) | instid1(VALU_DEP_2)
	v_fmamk_f32 v7, v2, 0x32a5705f, v7
	v_sub_f32_e32 v3, v3, v8
	s_delay_alu instid0(VALU_DEP_1) | instskip(SKIP_1) | instid1(VALU_DEP_2)
	v_add_f32_e32 v3, v3, v7
	v_cvt_i32_f32_e32 v7, v8
	v_exp_f32_e32 v3, v3
	s_waitcnt_depctr 0xfff
	v_ldexp_f32 v3, v3, v7
	s_delay_alu instid0(VALU_DEP_1) | instskip(SKIP_1) | instid1(VALU_DEP_1)
	v_cndmask_b32_e64 v3, 0, v3, s0
	v_cmp_nlt_f32_e64 s0, 0x42b17218, v2
	v_cndmask_b32_e64 v8, 0x7f800000, v3, s0
	s_delay_alu instid0(VALU_DEP_1)
	v_add_f32_e32 v5, v5, v8
.LBB754_17:
	s_or_b32 exec_lo, exec_lo, s3
.LBB754_18:
	s_delay_alu instid0(SALU_CYCLE_1)
	s_or_b32 exec_lo, exec_lo, s1
	ds_bpermute_b32 v2, v10, v4
	ds_bpermute_b32 v3, v10, v5
	s_waitcnt lgkmcnt(0)
	v_dual_add_f32 v2, v4, v2 :: v_dual_add_f32 v3, v5, v3
	ds_bpermute_b32 v4, v11, v2
	ds_bpermute_b32 v5, v11, v3
	s_waitcnt lgkmcnt(0)
	v_dual_add_f32 v2, v2, v4 :: v_dual_add_f32 v3, v3, v5
	;; [unrolled: 4-line block ×3, first 2 shown]
	ds_bpermute_b32 v4, v13, v2
	ds_bpermute_b32 v5, v13, v3
	s_waitcnt lgkmcnt(1)
	v_add_f32_e32 v4, v2, v4
	s_waitcnt lgkmcnt(0)
	v_add_f32_e32 v2, v3, v5
	ds_bpermute_b32 v5, v14, v4
	ds_bpermute_b32 v3, v14, v2
	s_and_saveexec_b32 s0, vcc_lo
	s_cbranch_execz .LBB754_26
; %bb.19:
	v_add_co_u32 v0, vcc_lo, s8, v0
	v_add_co_ci_u32_e32 v1, vcc_lo, s9, v1, vcc_lo
	s_and_saveexec_b32 s0, s2
	s_cbranch_execz .LBB754_23
; %bb.20:
	s_waitcnt lgkmcnt(1)
	v_dual_add_f32 v4, v4, v5 :: v_dual_mov_b32 v5, 0x7fc0
	s_mov_b32 s1, exec_lo
	s_delay_alu instid0(VALU_DEP_1)
	v_cmpx_neq_f32_e32 0, v4
	s_cbranch_execz .LBB754_22
; %bb.21:
	v_div_scale_f32 v5, null, v4, v4, v15
	s_delay_alu instid0(VALU_DEP_1) | instskip(SKIP_2) | instid1(VALU_DEP_1)
	v_rcp_f32_e32 v7, v5
	s_waitcnt_depctr 0xfff
	v_fma_f32 v9, -v5, v7, 1.0
	v_fmac_f32_e32 v7, v9, v7
	v_div_scale_f32 v9, vcc_lo, v15, v4, v15
	s_delay_alu instid0(VALU_DEP_1) | instskip(NEXT) | instid1(VALU_DEP_1)
	v_mul_f32_e32 v10, v9, v7
	v_fma_f32 v11, -v5, v10, v9
	s_delay_alu instid0(VALU_DEP_1) | instskip(NEXT) | instid1(VALU_DEP_1)
	v_fmac_f32_e32 v10, v11, v7
	v_fma_f32 v5, -v5, v10, v9
	s_delay_alu instid0(VALU_DEP_1) | instskip(NEXT) | instid1(VALU_DEP_1)
	v_div_fmas_f32 v5, v5, v7, v10
	v_div_fixup_f32 v4, v5, v4, v15
	s_delay_alu instid0(VALU_DEP_1) | instskip(SKIP_1) | instid1(VALU_DEP_2)
	v_bfe_u32 v5, v4, 16, 1
	v_cmp_o_f32_e32 vcc_lo, v4, v4
	v_add3_u32 v5, v4, v5, 0x7fff
	s_delay_alu instid0(VALU_DEP_1) | instskip(NEXT) | instid1(VALU_DEP_1)
	v_lshrrev_b32_e32 v5, 16, v5
	v_cndmask_b32_e32 v5, 0x7fc0, v5, vcc_lo
.LBB754_22:
	s_or_b32 exec_lo, exec_lo, s1
	global_store_b16 v[0:1], v5, off
.LBB754_23:
	s_or_b32 exec_lo, exec_lo, s0
	v_cmp_ne_u32_e32 vcc_lo, 1, v6
	s_and_b32 exec_lo, exec_lo, vcc_lo
	s_cbranch_execz .LBB754_26
; %bb.24:
	s_and_b32 exec_lo, exec_lo, s2
	s_cbranch_execz .LBB754_26
; %bb.25:
	s_waitcnt lgkmcnt(0)
	v_add_f32_e32 v2, v2, v3
	s_mov_b32 s7, 0
	s_delay_alu instid0(SALU_CYCLE_1) | instskip(NEXT) | instid1(SALU_CYCLE_1)
	s_lshl_b64 s[2:3], s[6:7], 1
	v_add_co_u32 v0, s1, v0, s2
	s_delay_alu instid0(VALU_DEP_2) | instskip(SKIP_2) | instid1(VALU_DEP_3)
	v_div_scale_f32 v3, null, v2, v2, v8
	v_div_scale_f32 v6, vcc_lo, v8, v2, v8
	v_add_co_ci_u32_e64 v1, s1, s3, v1, s1
	v_rcp_f32_e32 v4, v3
	s_waitcnt_depctr 0xfff
	v_fma_f32 v5, -v3, v4, 1.0
	s_delay_alu instid0(VALU_DEP_1) | instskip(NEXT) | instid1(VALU_DEP_1)
	v_fmac_f32_e32 v4, v5, v4
	v_mul_f32_e32 v5, v6, v4
	s_delay_alu instid0(VALU_DEP_1) | instskip(NEXT) | instid1(VALU_DEP_1)
	v_fma_f32 v7, -v3, v5, v6
	v_fmac_f32_e32 v5, v7, v4
	s_delay_alu instid0(VALU_DEP_1) | instskip(NEXT) | instid1(VALU_DEP_1)
	v_fma_f32 v3, -v3, v5, v6
	v_div_fmas_f32 v3, v3, v4, v5
	v_cmp_eq_f32_e32 vcc_lo, 0, v2
	s_delay_alu instid0(VALU_DEP_2) | instskip(NEXT) | instid1(VALU_DEP_1)
	v_div_fixup_f32 v3, v3, v2, v8
	v_bfe_u32 v4, v3, 16, 1
	v_cmp_u_f32_e64 s0, v3, v3
	s_delay_alu instid0(VALU_DEP_2) | instskip(NEXT) | instid1(VALU_DEP_2)
	v_add3_u32 v4, v3, v4, 0x7fff
	s_or_b32 s0, vcc_lo, s0
	s_delay_alu instid0(VALU_DEP_1) | instskip(NEXT) | instid1(VALU_DEP_1)
	v_lshrrev_b32_e32 v2, 16, v4
	v_cndmask_b32_e64 v2, v2, 0x7fc0, s0
	global_store_b16 v[0:1], v2, off
.LBB754_26:
	s_nop 0
	s_sendmsg sendmsg(MSG_DEALLOC_VGPRS)
	s_endpgm
	.section	.rodata,"a",@progbits
	.p2align	6, 0x0
	.amdhsa_kernel _ZN12_GLOBAL__N_120softmax_warp_forwardIN3c108BFloat16ES2_fLi5ELb0ELb1ELi64EEEvPT0_PKT_iiiPKbib
		.amdhsa_group_segment_fixed_size 0
		.amdhsa_private_segment_fixed_size 0
		.amdhsa_kernarg_size 304
		.amdhsa_user_sgpr_count 15
		.amdhsa_user_sgpr_dispatch_ptr 0
		.amdhsa_user_sgpr_queue_ptr 0
		.amdhsa_user_sgpr_kernarg_segment_ptr 1
		.amdhsa_user_sgpr_dispatch_id 0
		.amdhsa_user_sgpr_private_segment_size 0
		.amdhsa_wavefront_size32 1
		.amdhsa_uses_dynamic_stack 0
		.amdhsa_enable_private_segment 0
		.amdhsa_system_sgpr_workgroup_id_x 1
		.amdhsa_system_sgpr_workgroup_id_y 0
		.amdhsa_system_sgpr_workgroup_id_z 0
		.amdhsa_system_sgpr_workgroup_info 0
		.amdhsa_system_vgpr_workitem_id 1
		.amdhsa_next_free_vgpr 20
		.amdhsa_next_free_sgpr 16
		.amdhsa_reserve_vcc 1
		.amdhsa_float_round_mode_32 0
		.amdhsa_float_round_mode_16_64 0
		.amdhsa_float_denorm_mode_32 3
		.amdhsa_float_denorm_mode_16_64 3
		.amdhsa_dx10_clamp 1
		.amdhsa_ieee_mode 1
		.amdhsa_fp16_overflow 0
		.amdhsa_workgroup_processor_mode 1
		.amdhsa_memory_ordered 1
		.amdhsa_forward_progress 0
		.amdhsa_shared_vgpr_count 0
		.amdhsa_exception_fp_ieee_invalid_op 0
		.amdhsa_exception_fp_denorm_src 0
		.amdhsa_exception_fp_ieee_div_zero 0
		.amdhsa_exception_fp_ieee_overflow 0
		.amdhsa_exception_fp_ieee_underflow 0
		.amdhsa_exception_fp_ieee_inexact 0
		.amdhsa_exception_int_div_zero 0
	.end_amdhsa_kernel
	.section	.text._ZN12_GLOBAL__N_120softmax_warp_forwardIN3c108BFloat16ES2_fLi5ELb0ELb1ELi64EEEvPT0_PKT_iiiPKbib,"axG",@progbits,_ZN12_GLOBAL__N_120softmax_warp_forwardIN3c108BFloat16ES2_fLi5ELb0ELb1ELi64EEEvPT0_PKT_iiiPKbib,comdat
.Lfunc_end754:
	.size	_ZN12_GLOBAL__N_120softmax_warp_forwardIN3c108BFloat16ES2_fLi5ELb0ELb1ELi64EEEvPT0_PKT_iiiPKbib, .Lfunc_end754-_ZN12_GLOBAL__N_120softmax_warp_forwardIN3c108BFloat16ES2_fLi5ELb0ELb1ELi64EEEvPT0_PKT_iiiPKbib
                                        ; -- End function
	.section	.AMDGPU.csdata,"",@progbits
; Kernel info:
; codeLenInByte = 2176
; NumSgprs: 18
; NumVgprs: 20
; ScratchSize: 0
; MemoryBound: 0
; FloatMode: 240
; IeeeMode: 1
; LDSByteSize: 0 bytes/workgroup (compile time only)
; SGPRBlocks: 2
; VGPRBlocks: 2
; NumSGPRsForWavesPerEU: 18
; NumVGPRsForWavesPerEU: 20
; Occupancy: 16
; WaveLimiterHint : 0
; COMPUTE_PGM_RSRC2:SCRATCH_EN: 0
; COMPUTE_PGM_RSRC2:USER_SGPR: 15
; COMPUTE_PGM_RSRC2:TRAP_HANDLER: 0
; COMPUTE_PGM_RSRC2:TGID_X_EN: 1
; COMPUTE_PGM_RSRC2:TGID_Y_EN: 0
; COMPUTE_PGM_RSRC2:TGID_Z_EN: 0
; COMPUTE_PGM_RSRC2:TIDIG_COMP_CNT: 1
	.section	.text._ZN12_GLOBAL__N_120softmax_warp_forwardIN3c108BFloat16ES2_fLi5ELb0ELb1ELi32EEEvPT0_PKT_iiiPKbib,"axG",@progbits,_ZN12_GLOBAL__N_120softmax_warp_forwardIN3c108BFloat16ES2_fLi5ELb0ELb1ELi32EEEvPT0_PKT_iiiPKbib,comdat
	.globl	_ZN12_GLOBAL__N_120softmax_warp_forwardIN3c108BFloat16ES2_fLi5ELb0ELb1ELi32EEEvPT0_PKT_iiiPKbib ; -- Begin function _ZN12_GLOBAL__N_120softmax_warp_forwardIN3c108BFloat16ES2_fLi5ELb0ELb1ELi32EEEvPT0_PKT_iiiPKbib
	.p2align	8
	.type	_ZN12_GLOBAL__N_120softmax_warp_forwardIN3c108BFloat16ES2_fLi5ELb0ELb1ELi32EEEvPT0_PKT_iiiPKbib,@function
_ZN12_GLOBAL__N_120softmax_warp_forwardIN3c108BFloat16ES2_fLi5ELb0ELb1ELi32EEEvPT0_PKT_iiiPKbib: ; @_ZN12_GLOBAL__N_120softmax_warp_forwardIN3c108BFloat16ES2_fLi5ELb0ELb1ELi32EEEvPT0_PKT_iiiPKbib
; %bb.0:
	s_clause 0x2
	s_load_b64 s[2:3], s[0:1], 0x28
	s_load_b32 s8, s[0:1], 0x3c
	s_load_b128 s[4:7], s[0:1], 0x10
	v_bfe_u32 v1, v0, 10, 10
	v_and_b32_e32 v4, 0x3ff, v0
	s_waitcnt lgkmcnt(0)
	s_bitcmp1_b32 s3, 0
	s_cselect_b32 s12, -1, 0
	s_lshr_b32 s7, s8, 16
	s_bitcmp0_b32 s3, 0
	s_mul_i32 s15, s15, s7
	s_delay_alu instid0(SALU_CYCLE_1) | instskip(NEXT) | instid1(VALU_DEP_1)
	v_add_lshl_u32 v5, s15, v1, 1
	v_mul_lo_u32 v6, v5, s5
	s_delay_alu instid0(VALU_DEP_1) | instskip(NEXT) | instid1(VALU_DEP_1)
	v_add_nc_u32_e32 v0, v6, v4
	v_ashrrev_i32_e32 v1, 31, v0
	s_delay_alu instid0(VALU_DEP_1)
	v_dual_mov_b32 v3, v1 :: v_dual_mov_b32 v2, v0
	s_cbranch_scc1 .LBB755_2
; %bb.1:
	s_abs_i32 s3, s2
	v_sub_nc_u32_e32 v7, 0, v6
	v_cvt_f32_u32_e32 v2, s3
	s_sub_i32 s7, 0, s3
	s_delay_alu instid0(VALU_DEP_2) | instskip(NEXT) | instid1(VALU_DEP_2)
	v_max_i32_e32 v7, v6, v7
	v_rcp_iflag_f32_e32 v2, v2
	v_xor_b32_e32 v6, s2, v6
	s_delay_alu instid0(VALU_DEP_1) | instskip(SKIP_2) | instid1(VALU_DEP_1)
	v_ashrrev_i32_e32 v6, 31, v6
	s_waitcnt_depctr 0xfff
	v_mul_f32_e32 v2, 0x4f7ffffe, v2
	v_cvt_u32_f32_e32 v2, v2
	s_delay_alu instid0(VALU_DEP_1) | instskip(NEXT) | instid1(VALU_DEP_1)
	v_mul_lo_u32 v3, s7, v2
	v_mul_hi_u32 v3, v2, v3
	s_delay_alu instid0(VALU_DEP_1) | instskip(NEXT) | instid1(VALU_DEP_1)
	v_add_nc_u32_e32 v2, v2, v3
	v_mul_hi_u32 v2, v7, v2
	s_delay_alu instid0(VALU_DEP_1) | instskip(NEXT) | instid1(VALU_DEP_1)
	v_mul_lo_u32 v3, v2, s3
	v_sub_nc_u32_e32 v3, v7, v3
	v_add_nc_u32_e32 v7, 1, v2
	s_delay_alu instid0(VALU_DEP_2) | instskip(SKIP_1) | instid1(VALU_DEP_2)
	v_subrev_nc_u32_e32 v8, s3, v3
	v_cmp_le_u32_e32 vcc_lo, s3, v3
	v_dual_cndmask_b32 v3, v3, v8 :: v_dual_cndmask_b32 v2, v2, v7
	s_delay_alu instid0(VALU_DEP_1) | instskip(NEXT) | instid1(VALU_DEP_2)
	v_cmp_le_u32_e32 vcc_lo, s3, v3
	v_add_nc_u32_e32 v7, 1, v2
	s_delay_alu instid0(VALU_DEP_1) | instskip(NEXT) | instid1(VALU_DEP_1)
	v_cndmask_b32_e32 v2, v2, v7, vcc_lo
	v_xor_b32_e32 v2, v2, v6
	s_delay_alu instid0(VALU_DEP_1) | instskip(NEXT) | instid1(VALU_DEP_1)
	v_sub_nc_u32_e32 v6, v2, v6
	v_mad_u64_u32 v[2:3], null, v6, s5, v[4:5]
	s_delay_alu instid0(VALU_DEP_1)
	v_ashrrev_i32_e32 v3, 31, v2
.LBB755_2:
	s_load_b128 s[8:11], s[0:1], 0x0
	v_lshlrev_b64 v[0:1], 1, v[0:1]
	v_sub_nc_u32_e32 v6, s4, v5
	v_cmp_gt_i32_e64 s2, s6, v4
	v_mov_b32_e32 v7, 0xff800000
	v_mov_b32_e32 v9, 0xff800000
	s_delay_alu instid0(VALU_DEP_4) | instskip(SKIP_2) | instid1(VALU_DEP_1)
	v_cmp_lt_i32_e32 vcc_lo, 0, v6
	s_waitcnt lgkmcnt(0)
	v_add_co_u32 v4, s3, s10, v0
	v_add_co_ci_u32_e64 v5, s3, s11, v1, s3
	s_and_b32 s11, s2, vcc_lo
	s_delay_alu instid0(SALU_CYCLE_1)
	s_and_saveexec_b32 s3, s11
	s_cbranch_execz .LBB755_4
; %bb.3:
	global_load_u16 v8, v[4:5], off
	s_waitcnt vmcnt(0)
	v_lshlrev_b32_e32 v9, 16, v8
.LBB755_4:
	s_or_b32 exec_lo, exec_lo, s3
	v_cmp_lt_i32_e64 s3, 1, v6
	s_delay_alu instid0(VALU_DEP_1) | instskip(NEXT) | instid1(SALU_CYCLE_1)
	s_and_b32 s10, s2, s3
	s_and_saveexec_b32 s4, s10
	s_cbranch_execz .LBB755_6
; %bb.5:
	s_mov_b32 s7, 0
	s_delay_alu instid0(SALU_CYCLE_1) | instskip(NEXT) | instid1(SALU_CYCLE_1)
	s_lshl_b64 s[14:15], s[6:7], 1
	v_add_co_u32 v4, s3, v4, s14
	s_delay_alu instid0(VALU_DEP_1)
	v_add_co_ci_u32_e64 v5, s3, s15, v5, s3
	global_load_u16 v4, v[4:5], off
	s_waitcnt vmcnt(0)
	v_lshlrev_b32_e32 v7, 16, v4
.LBB755_6:
	s_or_b32 exec_lo, exec_lo, s4
	s_load_b64 s[0:1], s[0:1], 0x20
	v_mov_b32_e32 v4, 0xff800000
	s_waitcnt lgkmcnt(0)
	v_add_co_u32 v2, s0, s0, v2
	s_delay_alu instid0(VALU_DEP_1)
	v_add_co_ci_u32_e64 v3, s0, s1, v3, s0
	s_and_saveexec_b32 s1, s11
	s_cbranch_execz .LBB755_8
; %bb.7:
	global_load_u8 v4, v[2:3], off
	s_waitcnt vmcnt(0)
	v_and_b32_e32 v4, 1, v4
	s_delay_alu instid0(VALU_DEP_1) | instskip(NEXT) | instid1(VALU_DEP_1)
	v_cmp_eq_u32_e64 s0, 1, v4
	v_cndmask_b32_e64 v4, v9, 0xff800000, s0
.LBB755_8:
	s_or_b32 exec_lo, exec_lo, s1
	s_mov_b32 s4, 0
	s_mov_b32 s1, 0
	s_and_saveexec_b32 s3, s10
	s_cbranch_execz .LBB755_10
; %bb.9:
	s_and_b32 s0, s12, exec_lo
	s_cselect_b32 s0, 0, s6
	s_cselect_b32 s1, 0, 0
	v_add_co_u32 v10, s0, v2, s0
	s_delay_alu instid0(VALU_DEP_1) | instskip(SKIP_3) | instid1(VALU_DEP_1)
	v_add_co_ci_u32_e64 v11, s0, s1, v3, s0
	global_load_u8 v5, v[10:11], off
	s_waitcnt vmcnt(0)
	v_and_b32_e32 v5, 1, v5
	v_cmp_eq_u32_e64 s0, 1, v5
	s_delay_alu instid0(VALU_DEP_1) | instskip(NEXT) | instid1(SALU_CYCLE_1)
	s_xor_b32 s0, s0, -1
	s_and_b32 s1, s0, exec_lo
.LBB755_10:
	s_or_b32 exec_lo, exec_lo, s3
	v_mbcnt_lo_u32_b32 v5, -1, 0
	v_cndmask_b32_e64 v4, v4, v4, s1
	s_mov_b32 s5, s4
	s_delay_alu instid0(VALU_DEP_2) | instskip(SKIP_1) | instid1(VALU_DEP_2)
	v_xor_b32_e32 v8, 16, v5
	v_xor_b32_e32 v11, 8, v5
	v_cmp_gt_i32_e64 s0, 32, v8
	s_delay_alu instid0(VALU_DEP_1) | instskip(NEXT) | instid1(VALU_DEP_3)
	v_cndmask_b32_e64 v8, v5, v8, s0
	v_cmp_gt_i32_e64 s0, 32, v11
	s_delay_alu instid0(VALU_DEP_2) | instskip(SKIP_1) | instid1(VALU_DEP_3)
	v_lshlrev_b32_e32 v10, 2, v8
	v_cndmask_b32_e64 v8, 0xff800000, v7, s1
	v_cndmask_b32_e64 v11, v5, v11, s0
	ds_bpermute_b32 v12, v10, v4
	ds_bpermute_b32 v13, v10, v8
	v_lshlrev_b32_e32 v11, 2, v11
	s_waitcnt lgkmcnt(1)
	v_cmp_lt_f32_e64 s0, v4, v12
	s_delay_alu instid0(VALU_DEP_1) | instskip(SKIP_3) | instid1(VALU_DEP_2)
	v_cndmask_b32_e64 v4, v4, v12, s0
	s_waitcnt lgkmcnt(0)
	v_cmp_lt_f32_e64 s0, v8, v13
	v_xor_b32_e32 v12, 4, v5
	v_cndmask_b32_e64 v8, v8, v13, s0
	ds_bpermute_b32 v13, v11, v4
	v_cmp_gt_i32_e64 s0, 32, v12
	ds_bpermute_b32 v14, v11, v8
	v_cndmask_b32_e64 v12, v5, v12, s0
	s_delay_alu instid0(VALU_DEP_1) | instskip(SKIP_2) | instid1(VALU_DEP_1)
	v_lshlrev_b32_e32 v12, 2, v12
	s_waitcnt lgkmcnt(1)
	v_cmp_lt_f32_e64 s0, v4, v13
	v_cndmask_b32_e64 v4, v4, v13, s0
	s_waitcnt lgkmcnt(0)
	v_cmp_lt_f32_e64 s0, v8, v14
	v_xor_b32_e32 v13, 2, v5
	s_delay_alu instid0(VALU_DEP_2) | instskip(SKIP_4) | instid1(VALU_DEP_1)
	v_cndmask_b32_e64 v8, v8, v14, s0
	ds_bpermute_b32 v14, v12, v4
	v_cmp_gt_i32_e64 s0, 32, v13
	ds_bpermute_b32 v15, v12, v8
	v_cndmask_b32_e64 v13, v5, v13, s0
	v_lshlrev_b32_e32 v13, 2, v13
	s_waitcnt lgkmcnt(1)
	v_cmp_lt_f32_e64 s0, v4, v14
	s_delay_alu instid0(VALU_DEP_1) | instskip(SKIP_3) | instid1(VALU_DEP_2)
	v_cndmask_b32_e64 v4, v4, v14, s0
	s_waitcnt lgkmcnt(0)
	v_cmp_lt_f32_e64 s0, v8, v15
	v_xor_b32_e32 v14, 1, v5
	v_cndmask_b32_e64 v8, v8, v15, s0
	ds_bpermute_b32 v15, v13, v4
	v_cmp_gt_i32_e64 s0, 32, v14
	s_delay_alu instid0(VALU_DEP_1) | instskip(NEXT) | instid1(VALU_DEP_1)
	v_cndmask_b32_e64 v5, v5, v14, s0
	v_lshlrev_b32_e32 v14, 2, v5
	s_waitcnt lgkmcnt(0)
	v_cmp_lt_f32_e64 s0, v4, v15
	s_delay_alu instid0(VALU_DEP_1)
	v_cndmask_b32_e64 v18, v4, v15, s0
	v_mov_b32_e32 v4, s4
	ds_bpermute_b32 v16, v13, v8
	v_mov_b32_e32 v5, s5
	v_mov_b32_e32 v15, 0
	ds_bpermute_b32 v19, v14, v18
	s_waitcnt lgkmcnt(1)
	v_cmp_lt_f32_e64 s0, v8, v16
	s_delay_alu instid0(VALU_DEP_1)
	v_cndmask_b32_e64 v16, v8, v16, s0
	v_mov_b32_e32 v8, 0
	ds_bpermute_b32 v17, v14, v16
	s_and_saveexec_b32 s1, s11
	s_cbranch_execz .LBB755_14
; %bb.11:
	global_load_u8 v4, v[2:3], off
	s_mov_b32 s5, s4
	s_waitcnt vmcnt(0)
	v_dual_mov_b32 v15, 0 :: v_dual_and_b32 v4, 1, v4
	s_delay_alu instid0(VALU_DEP_1) | instskip(SKIP_1) | instid1(VALU_DEP_2)
	v_cmp_eq_u32_e64 s0, 1, v4
	v_dual_mov_b32 v4, s4 :: v_dual_mov_b32 v5, s5
	s_xor_b32 s0, s0, -1
	s_delay_alu instid0(SALU_CYCLE_1)
	s_and_saveexec_b32 s3, s0
	s_cbranch_execz .LBB755_13
; %bb.12:
	s_waitcnt lgkmcnt(1)
	v_cmp_lt_f32_e64 s0, v18, v19
	s_delay_alu instid0(VALU_DEP_1) | instskip(NEXT) | instid1(VALU_DEP_1)
	v_cndmask_b32_e64 v4, v18, v19, s0
	v_sub_f32_e32 v4, v9, v4
	s_delay_alu instid0(VALU_DEP_1) | instskip(SKIP_1) | instid1(VALU_DEP_2)
	v_mul_f32_e32 v5, 0x3fb8aa3b, v4
	v_cmp_ngt_f32_e64 s0, 0xc2ce8ed0, v4
	v_fma_f32 v9, 0x3fb8aa3b, v4, -v5
	v_rndne_f32_e32 v15, v5
	s_delay_alu instid0(VALU_DEP_2) | instskip(NEXT) | instid1(VALU_DEP_2)
	v_fmamk_f32 v9, v4, 0x32a5705f, v9
	v_sub_f32_e32 v5, v5, v15
	s_delay_alu instid0(VALU_DEP_1) | instskip(SKIP_1) | instid1(VALU_DEP_2)
	v_add_f32_e32 v5, v5, v9
	v_cvt_i32_f32_e32 v9, v15
	v_exp_f32_e32 v5, v5
	s_waitcnt_depctr 0xfff
	v_ldexp_f32 v5, v5, v9
	s_delay_alu instid0(VALU_DEP_1) | instskip(SKIP_1) | instid1(VALU_DEP_1)
	v_cndmask_b32_e64 v5, 0, v5, s0
	v_cmp_nlt_f32_e64 s0, 0x42b17218, v4
	v_cndmask_b32_e64 v4, 0x7f800000, v5, s0
	v_mov_b32_e32 v5, 0
	s_delay_alu instid0(VALU_DEP_2)
	v_mov_b32_e32 v15, v4
.LBB755_13:
	s_or_b32 exec_lo, exec_lo, s3
.LBB755_14:
	s_delay_alu instid0(SALU_CYCLE_1)
	s_or_b32 exec_lo, exec_lo, s1
	s_and_saveexec_b32 s1, s10
	s_cbranch_execz .LBB755_18
; %bb.15:
	s_and_b32 s0, s12, exec_lo
	s_cselect_b32 s0, 0, s6
	s_cselect_b32 s3, 0, 0
	v_add_co_u32 v2, s0, v2, s0
	s_delay_alu instid0(VALU_DEP_1) | instskip(SKIP_4) | instid1(VALU_DEP_1)
	v_add_co_ci_u32_e64 v3, s0, s3, v3, s0
	v_mov_b32_e32 v8, 0
	global_load_u8 v2, v[2:3], off
	s_waitcnt vmcnt(0)
	v_and_b32_e32 v2, 1, v2
	v_cmp_eq_u32_e64 s0, 1, v2
	s_delay_alu instid0(VALU_DEP_1) | instskip(NEXT) | instid1(SALU_CYCLE_1)
	s_xor_b32 s0, s0, -1
	s_and_saveexec_b32 s3, s0
	s_cbranch_execz .LBB755_17
; %bb.16:
	s_waitcnt lgkmcnt(0)
	v_cmp_lt_f32_e64 s0, v16, v17
	s_delay_alu instid0(VALU_DEP_1) | instskip(NEXT) | instid1(VALU_DEP_1)
	v_cndmask_b32_e64 v2, v16, v17, s0
	v_sub_f32_e32 v2, v7, v2
	s_delay_alu instid0(VALU_DEP_1) | instskip(SKIP_1) | instid1(VALU_DEP_2)
	v_mul_f32_e32 v3, 0x3fb8aa3b, v2
	v_cmp_ngt_f32_e64 s0, 0xc2ce8ed0, v2
	v_fma_f32 v7, 0x3fb8aa3b, v2, -v3
	v_rndne_f32_e32 v8, v3
	s_delay_alu instid0(VALU_DEP_2) | instskip(NEXT) | instid1(VALU_DEP_2)
	v_fmamk_f32 v7, v2, 0x32a5705f, v7
	v_sub_f32_e32 v3, v3, v8
	s_delay_alu instid0(VALU_DEP_1) | instskip(SKIP_1) | instid1(VALU_DEP_2)
	v_add_f32_e32 v3, v3, v7
	v_cvt_i32_f32_e32 v7, v8
	v_exp_f32_e32 v3, v3
	s_waitcnt_depctr 0xfff
	v_ldexp_f32 v3, v3, v7
	s_delay_alu instid0(VALU_DEP_1) | instskip(SKIP_1) | instid1(VALU_DEP_1)
	v_cndmask_b32_e64 v3, 0, v3, s0
	v_cmp_nlt_f32_e64 s0, 0x42b17218, v2
	v_cndmask_b32_e64 v8, 0x7f800000, v3, s0
	s_delay_alu instid0(VALU_DEP_1)
	v_add_f32_e32 v5, v5, v8
.LBB755_17:
	s_or_b32 exec_lo, exec_lo, s3
.LBB755_18:
	s_delay_alu instid0(SALU_CYCLE_1)
	s_or_b32 exec_lo, exec_lo, s1
	ds_bpermute_b32 v2, v10, v4
	ds_bpermute_b32 v3, v10, v5
	s_waitcnt lgkmcnt(0)
	v_dual_add_f32 v2, v4, v2 :: v_dual_add_f32 v3, v5, v3
	ds_bpermute_b32 v4, v11, v2
	ds_bpermute_b32 v5, v11, v3
	s_waitcnt lgkmcnt(0)
	v_dual_add_f32 v2, v2, v4 :: v_dual_add_f32 v3, v3, v5
	;; [unrolled: 4-line block ×3, first 2 shown]
	ds_bpermute_b32 v4, v13, v2
	ds_bpermute_b32 v5, v13, v3
	s_waitcnt lgkmcnt(1)
	v_add_f32_e32 v4, v2, v4
	s_waitcnt lgkmcnt(0)
	v_add_f32_e32 v2, v3, v5
	ds_bpermute_b32 v5, v14, v4
	ds_bpermute_b32 v3, v14, v2
	s_and_saveexec_b32 s0, vcc_lo
	s_cbranch_execz .LBB755_26
; %bb.19:
	v_add_co_u32 v0, vcc_lo, s8, v0
	v_add_co_ci_u32_e32 v1, vcc_lo, s9, v1, vcc_lo
	s_and_saveexec_b32 s0, s2
	s_cbranch_execz .LBB755_23
; %bb.20:
	s_waitcnt lgkmcnt(1)
	v_dual_add_f32 v4, v4, v5 :: v_dual_mov_b32 v5, 0x7fc0
	s_mov_b32 s1, exec_lo
	s_delay_alu instid0(VALU_DEP_1)
	v_cmpx_neq_f32_e32 0, v4
	s_cbranch_execz .LBB755_22
; %bb.21:
	v_div_scale_f32 v5, null, v4, v4, v15
	s_delay_alu instid0(VALU_DEP_1) | instskip(SKIP_2) | instid1(VALU_DEP_1)
	v_rcp_f32_e32 v7, v5
	s_waitcnt_depctr 0xfff
	v_fma_f32 v9, -v5, v7, 1.0
	v_fmac_f32_e32 v7, v9, v7
	v_div_scale_f32 v9, vcc_lo, v15, v4, v15
	s_delay_alu instid0(VALU_DEP_1) | instskip(NEXT) | instid1(VALU_DEP_1)
	v_mul_f32_e32 v10, v9, v7
	v_fma_f32 v11, -v5, v10, v9
	s_delay_alu instid0(VALU_DEP_1) | instskip(NEXT) | instid1(VALU_DEP_1)
	v_fmac_f32_e32 v10, v11, v7
	v_fma_f32 v5, -v5, v10, v9
	s_delay_alu instid0(VALU_DEP_1) | instskip(NEXT) | instid1(VALU_DEP_1)
	v_div_fmas_f32 v5, v5, v7, v10
	v_div_fixup_f32 v4, v5, v4, v15
	s_delay_alu instid0(VALU_DEP_1) | instskip(SKIP_1) | instid1(VALU_DEP_2)
	v_bfe_u32 v5, v4, 16, 1
	v_cmp_o_f32_e32 vcc_lo, v4, v4
	v_add3_u32 v5, v4, v5, 0x7fff
	s_delay_alu instid0(VALU_DEP_1) | instskip(NEXT) | instid1(VALU_DEP_1)
	v_lshrrev_b32_e32 v5, 16, v5
	v_cndmask_b32_e32 v5, 0x7fc0, v5, vcc_lo
.LBB755_22:
	s_or_b32 exec_lo, exec_lo, s1
	global_store_b16 v[0:1], v5, off
.LBB755_23:
	s_or_b32 exec_lo, exec_lo, s0
	v_cmp_ne_u32_e32 vcc_lo, 1, v6
	s_and_b32 exec_lo, exec_lo, vcc_lo
	s_cbranch_execz .LBB755_26
; %bb.24:
	s_and_b32 exec_lo, exec_lo, s2
	s_cbranch_execz .LBB755_26
; %bb.25:
	s_waitcnt lgkmcnt(0)
	v_add_f32_e32 v2, v2, v3
	s_mov_b32 s7, 0
	s_delay_alu instid0(SALU_CYCLE_1) | instskip(NEXT) | instid1(SALU_CYCLE_1)
	s_lshl_b64 s[2:3], s[6:7], 1
	v_add_co_u32 v0, s1, v0, s2
	s_delay_alu instid0(VALU_DEP_2) | instskip(SKIP_2) | instid1(VALU_DEP_3)
	v_div_scale_f32 v3, null, v2, v2, v8
	v_div_scale_f32 v6, vcc_lo, v8, v2, v8
	v_add_co_ci_u32_e64 v1, s1, s3, v1, s1
	v_rcp_f32_e32 v4, v3
	s_waitcnt_depctr 0xfff
	v_fma_f32 v5, -v3, v4, 1.0
	s_delay_alu instid0(VALU_DEP_1) | instskip(NEXT) | instid1(VALU_DEP_1)
	v_fmac_f32_e32 v4, v5, v4
	v_mul_f32_e32 v5, v6, v4
	s_delay_alu instid0(VALU_DEP_1) | instskip(NEXT) | instid1(VALU_DEP_1)
	v_fma_f32 v7, -v3, v5, v6
	v_fmac_f32_e32 v5, v7, v4
	s_delay_alu instid0(VALU_DEP_1) | instskip(NEXT) | instid1(VALU_DEP_1)
	v_fma_f32 v3, -v3, v5, v6
	v_div_fmas_f32 v3, v3, v4, v5
	v_cmp_eq_f32_e32 vcc_lo, 0, v2
	s_delay_alu instid0(VALU_DEP_2) | instskip(NEXT) | instid1(VALU_DEP_1)
	v_div_fixup_f32 v3, v3, v2, v8
	v_bfe_u32 v4, v3, 16, 1
	v_cmp_u_f32_e64 s0, v3, v3
	s_delay_alu instid0(VALU_DEP_2) | instskip(NEXT) | instid1(VALU_DEP_2)
	v_add3_u32 v4, v3, v4, 0x7fff
	s_or_b32 s0, vcc_lo, s0
	s_delay_alu instid0(VALU_DEP_1) | instskip(NEXT) | instid1(VALU_DEP_1)
	v_lshrrev_b32_e32 v2, 16, v4
	v_cndmask_b32_e64 v2, v2, 0x7fc0, s0
	global_store_b16 v[0:1], v2, off
.LBB755_26:
	s_nop 0
	s_sendmsg sendmsg(MSG_DEALLOC_VGPRS)
	s_endpgm
	.section	.rodata,"a",@progbits
	.p2align	6, 0x0
	.amdhsa_kernel _ZN12_GLOBAL__N_120softmax_warp_forwardIN3c108BFloat16ES2_fLi5ELb0ELb1ELi32EEEvPT0_PKT_iiiPKbib
		.amdhsa_group_segment_fixed_size 0
		.amdhsa_private_segment_fixed_size 0
		.amdhsa_kernarg_size 304
		.amdhsa_user_sgpr_count 15
		.amdhsa_user_sgpr_dispatch_ptr 0
		.amdhsa_user_sgpr_queue_ptr 0
		.amdhsa_user_sgpr_kernarg_segment_ptr 1
		.amdhsa_user_sgpr_dispatch_id 0
		.amdhsa_user_sgpr_private_segment_size 0
		.amdhsa_wavefront_size32 1
		.amdhsa_uses_dynamic_stack 0
		.amdhsa_enable_private_segment 0
		.amdhsa_system_sgpr_workgroup_id_x 1
		.amdhsa_system_sgpr_workgroup_id_y 0
		.amdhsa_system_sgpr_workgroup_id_z 0
		.amdhsa_system_sgpr_workgroup_info 0
		.amdhsa_system_vgpr_workitem_id 1
		.amdhsa_next_free_vgpr 20
		.amdhsa_next_free_sgpr 16
		.amdhsa_reserve_vcc 1
		.amdhsa_float_round_mode_32 0
		.amdhsa_float_round_mode_16_64 0
		.amdhsa_float_denorm_mode_32 3
		.amdhsa_float_denorm_mode_16_64 3
		.amdhsa_dx10_clamp 1
		.amdhsa_ieee_mode 1
		.amdhsa_fp16_overflow 0
		.amdhsa_workgroup_processor_mode 1
		.amdhsa_memory_ordered 1
		.amdhsa_forward_progress 0
		.amdhsa_shared_vgpr_count 0
		.amdhsa_exception_fp_ieee_invalid_op 0
		.amdhsa_exception_fp_denorm_src 0
		.amdhsa_exception_fp_ieee_div_zero 0
		.amdhsa_exception_fp_ieee_overflow 0
		.amdhsa_exception_fp_ieee_underflow 0
		.amdhsa_exception_fp_ieee_inexact 0
		.amdhsa_exception_int_div_zero 0
	.end_amdhsa_kernel
	.section	.text._ZN12_GLOBAL__N_120softmax_warp_forwardIN3c108BFloat16ES2_fLi5ELb0ELb1ELi32EEEvPT0_PKT_iiiPKbib,"axG",@progbits,_ZN12_GLOBAL__N_120softmax_warp_forwardIN3c108BFloat16ES2_fLi5ELb0ELb1ELi32EEEvPT0_PKT_iiiPKbib,comdat
.Lfunc_end755:
	.size	_ZN12_GLOBAL__N_120softmax_warp_forwardIN3c108BFloat16ES2_fLi5ELb0ELb1ELi32EEEvPT0_PKT_iiiPKbib, .Lfunc_end755-_ZN12_GLOBAL__N_120softmax_warp_forwardIN3c108BFloat16ES2_fLi5ELb0ELb1ELi32EEEvPT0_PKT_iiiPKbib
                                        ; -- End function
	.section	.AMDGPU.csdata,"",@progbits
; Kernel info:
; codeLenInByte = 2176
; NumSgprs: 18
; NumVgprs: 20
; ScratchSize: 0
; MemoryBound: 0
; FloatMode: 240
; IeeeMode: 1
; LDSByteSize: 0 bytes/workgroup (compile time only)
; SGPRBlocks: 2
; VGPRBlocks: 2
; NumSGPRsForWavesPerEU: 18
; NumVGPRsForWavesPerEU: 20
; Occupancy: 16
; WaveLimiterHint : 0
; COMPUTE_PGM_RSRC2:SCRATCH_EN: 0
; COMPUTE_PGM_RSRC2:USER_SGPR: 15
; COMPUTE_PGM_RSRC2:TRAP_HANDLER: 0
; COMPUTE_PGM_RSRC2:TGID_X_EN: 1
; COMPUTE_PGM_RSRC2:TGID_Y_EN: 0
; COMPUTE_PGM_RSRC2:TGID_Z_EN: 0
; COMPUTE_PGM_RSRC2:TIDIG_COMP_CNT: 1
	.section	.text._ZN12_GLOBAL__N_120softmax_warp_forwardIN3c108BFloat16ES2_fLi6ELb0ELb1ELi64EEEvPT0_PKT_iiiPKbib,"axG",@progbits,_ZN12_GLOBAL__N_120softmax_warp_forwardIN3c108BFloat16ES2_fLi6ELb0ELb1ELi64EEEvPT0_PKT_iiiPKbib,comdat
	.globl	_ZN12_GLOBAL__N_120softmax_warp_forwardIN3c108BFloat16ES2_fLi6ELb0ELb1ELi64EEEvPT0_PKT_iiiPKbib ; -- Begin function _ZN12_GLOBAL__N_120softmax_warp_forwardIN3c108BFloat16ES2_fLi6ELb0ELb1ELi64EEEvPT0_PKT_iiiPKbib
	.p2align	8
	.type	_ZN12_GLOBAL__N_120softmax_warp_forwardIN3c108BFloat16ES2_fLi6ELb0ELb1ELi64EEEvPT0_PKT_iiiPKbib,@function
_ZN12_GLOBAL__N_120softmax_warp_forwardIN3c108BFloat16ES2_fLi6ELb0ELb1ELi64EEEvPT0_PKT_iiiPKbib: ; @_ZN12_GLOBAL__N_120softmax_warp_forwardIN3c108BFloat16ES2_fLi6ELb0ELb1ELi64EEEvPT0_PKT_iiiPKbib
; %bb.0:
	s_clause 0x2
	s_load_b64 s[2:3], s[0:1], 0x28
	s_load_b32 s8, s[0:1], 0x3c
	s_load_b128 s[4:7], s[0:1], 0x10
	v_bfe_u32 v1, v0, 10, 10
	v_and_b32_e32 v4, 0x3ff, v0
	s_waitcnt lgkmcnt(0)
	s_bitcmp1_b32 s3, 0
	s_cselect_b32 s12, -1, 0
	s_lshr_b32 s7, s8, 16
	s_bitcmp0_b32 s3, 0
	s_mul_i32 s15, s15, s7
	s_delay_alu instid0(SALU_CYCLE_1) | instskip(NEXT) | instid1(VALU_DEP_1)
	v_add_lshl_u32 v5, s15, v1, 1
	v_mul_lo_u32 v6, v5, s5
	s_delay_alu instid0(VALU_DEP_1) | instskip(NEXT) | instid1(VALU_DEP_1)
	v_add_nc_u32_e32 v0, v6, v4
	v_ashrrev_i32_e32 v1, 31, v0
	s_delay_alu instid0(VALU_DEP_1)
	v_dual_mov_b32 v3, v1 :: v_dual_mov_b32 v2, v0
	s_cbranch_scc1 .LBB756_2
; %bb.1:
	s_abs_i32 s3, s2
	v_sub_nc_u32_e32 v7, 0, v6
	v_cvt_f32_u32_e32 v2, s3
	s_sub_i32 s7, 0, s3
	s_delay_alu instid0(VALU_DEP_2) | instskip(NEXT) | instid1(VALU_DEP_2)
	v_max_i32_e32 v7, v6, v7
	v_rcp_iflag_f32_e32 v2, v2
	v_xor_b32_e32 v6, s2, v6
	s_delay_alu instid0(VALU_DEP_1) | instskip(SKIP_2) | instid1(VALU_DEP_1)
	v_ashrrev_i32_e32 v6, 31, v6
	s_waitcnt_depctr 0xfff
	v_mul_f32_e32 v2, 0x4f7ffffe, v2
	v_cvt_u32_f32_e32 v2, v2
	s_delay_alu instid0(VALU_DEP_1) | instskip(NEXT) | instid1(VALU_DEP_1)
	v_mul_lo_u32 v3, s7, v2
	v_mul_hi_u32 v3, v2, v3
	s_delay_alu instid0(VALU_DEP_1) | instskip(NEXT) | instid1(VALU_DEP_1)
	v_add_nc_u32_e32 v2, v2, v3
	v_mul_hi_u32 v2, v7, v2
	s_delay_alu instid0(VALU_DEP_1) | instskip(NEXT) | instid1(VALU_DEP_1)
	v_mul_lo_u32 v3, v2, s3
	v_sub_nc_u32_e32 v3, v7, v3
	v_add_nc_u32_e32 v7, 1, v2
	s_delay_alu instid0(VALU_DEP_2) | instskip(SKIP_1) | instid1(VALU_DEP_2)
	v_subrev_nc_u32_e32 v8, s3, v3
	v_cmp_le_u32_e32 vcc_lo, s3, v3
	v_dual_cndmask_b32 v3, v3, v8 :: v_dual_cndmask_b32 v2, v2, v7
	s_delay_alu instid0(VALU_DEP_1) | instskip(NEXT) | instid1(VALU_DEP_2)
	v_cmp_le_u32_e32 vcc_lo, s3, v3
	v_add_nc_u32_e32 v7, 1, v2
	s_delay_alu instid0(VALU_DEP_1) | instskip(NEXT) | instid1(VALU_DEP_1)
	v_cndmask_b32_e32 v2, v2, v7, vcc_lo
	v_xor_b32_e32 v2, v2, v6
	s_delay_alu instid0(VALU_DEP_1) | instskip(NEXT) | instid1(VALU_DEP_1)
	v_sub_nc_u32_e32 v6, v2, v6
	v_mad_u64_u32 v[2:3], null, v6, s5, v[4:5]
	s_delay_alu instid0(VALU_DEP_1)
	v_ashrrev_i32_e32 v3, 31, v2
.LBB756_2:
	s_load_b128 s[8:11], s[0:1], 0x0
	v_lshlrev_b64 v[0:1], 1, v[0:1]
	v_sub_nc_u32_e32 v6, s4, v5
	v_cmp_gt_i32_e64 s2, s6, v4
	v_mov_b32_e32 v7, 0xff800000
	v_mov_b32_e32 v9, 0xff800000
	s_delay_alu instid0(VALU_DEP_4) | instskip(SKIP_2) | instid1(VALU_DEP_1)
	v_cmp_lt_i32_e32 vcc_lo, 0, v6
	s_waitcnt lgkmcnt(0)
	v_add_co_u32 v4, s3, s10, v0
	v_add_co_ci_u32_e64 v5, s3, s11, v1, s3
	s_and_b32 s11, s2, vcc_lo
	s_delay_alu instid0(SALU_CYCLE_1)
	s_and_saveexec_b32 s3, s11
	s_cbranch_execz .LBB756_4
; %bb.3:
	global_load_u16 v8, v[4:5], off
	s_waitcnt vmcnt(0)
	v_lshlrev_b32_e32 v9, 16, v8
.LBB756_4:
	s_or_b32 exec_lo, exec_lo, s3
	v_cmp_lt_i32_e64 s3, 1, v6
	s_delay_alu instid0(VALU_DEP_1) | instskip(NEXT) | instid1(SALU_CYCLE_1)
	s_and_b32 s10, s2, s3
	s_and_saveexec_b32 s4, s10
	s_cbranch_execz .LBB756_6
; %bb.5:
	s_mov_b32 s7, 0
	s_delay_alu instid0(SALU_CYCLE_1) | instskip(NEXT) | instid1(SALU_CYCLE_1)
	s_lshl_b64 s[14:15], s[6:7], 1
	v_add_co_u32 v4, s3, v4, s14
	s_delay_alu instid0(VALU_DEP_1)
	v_add_co_ci_u32_e64 v5, s3, s15, v5, s3
	global_load_u16 v4, v[4:5], off
	s_waitcnt vmcnt(0)
	v_lshlrev_b32_e32 v7, 16, v4
.LBB756_6:
	s_or_b32 exec_lo, exec_lo, s4
	s_load_b64 s[0:1], s[0:1], 0x20
	v_mov_b32_e32 v4, 0xff800000
	s_waitcnt lgkmcnt(0)
	v_add_co_u32 v2, s0, s0, v2
	s_delay_alu instid0(VALU_DEP_1)
	v_add_co_ci_u32_e64 v3, s0, s1, v3, s0
	s_and_saveexec_b32 s1, s11
	s_cbranch_execz .LBB756_8
; %bb.7:
	global_load_u8 v4, v[2:3], off
	s_waitcnt vmcnt(0)
	v_and_b32_e32 v4, 1, v4
	s_delay_alu instid0(VALU_DEP_1) | instskip(NEXT) | instid1(VALU_DEP_1)
	v_cmp_eq_u32_e64 s0, 1, v4
	v_cndmask_b32_e64 v4, v9, 0xff800000, s0
.LBB756_8:
	s_or_b32 exec_lo, exec_lo, s1
	s_mov_b32 s4, 0
	s_mov_b32 s1, 0
	s_and_saveexec_b32 s3, s10
	s_cbranch_execz .LBB756_10
; %bb.9:
	s_and_b32 s0, s12, exec_lo
	s_cselect_b32 s0, 0, s6
	s_cselect_b32 s1, 0, 0
	v_add_co_u32 v10, s0, v2, s0
	s_delay_alu instid0(VALU_DEP_1) | instskip(SKIP_3) | instid1(VALU_DEP_1)
	v_add_co_ci_u32_e64 v11, s0, s1, v3, s0
	global_load_u8 v5, v[10:11], off
	s_waitcnt vmcnt(0)
	v_and_b32_e32 v5, 1, v5
	v_cmp_eq_u32_e64 s0, 1, v5
	s_delay_alu instid0(VALU_DEP_1) | instskip(NEXT) | instid1(SALU_CYCLE_1)
	s_xor_b32 s0, s0, -1
	s_and_b32 s1, s0, exec_lo
.LBB756_10:
	s_or_b32 exec_lo, exec_lo, s3
	v_mbcnt_lo_u32_b32 v5, -1, 0
	v_cndmask_b32_e64 v4, v4, v4, s1
	s_mov_b32 s5, s4
	s_delay_alu instid0(VALU_DEP_2) | instskip(SKIP_1) | instid1(VALU_DEP_2)
	v_or_b32_e32 v8, 32, v5
	v_xor_b32_e32 v11, 16, v5
	v_cmp_gt_i32_e64 s0, 64, v8
	s_delay_alu instid0(VALU_DEP_1) | instskip(NEXT) | instid1(VALU_DEP_3)
	v_cndmask_b32_e64 v8, v5, v8, s0
	v_cmp_gt_i32_e64 s0, 64, v11
	s_delay_alu instid0(VALU_DEP_2) | instskip(SKIP_1) | instid1(VALU_DEP_3)
	v_lshlrev_b32_e32 v10, 2, v8
	v_cndmask_b32_e64 v8, 0xff800000, v7, s1
	v_cndmask_b32_e64 v11, v5, v11, s0
	ds_bpermute_b32 v12, v10, v4
	ds_bpermute_b32 v13, v10, v8
	v_lshlrev_b32_e32 v11, 2, v11
	s_waitcnt lgkmcnt(1)
	v_cmp_lt_f32_e64 s0, v4, v12
	s_delay_alu instid0(VALU_DEP_1) | instskip(SKIP_3) | instid1(VALU_DEP_2)
	v_cndmask_b32_e64 v4, v4, v12, s0
	s_waitcnt lgkmcnt(0)
	v_cmp_lt_f32_e64 s0, v8, v13
	v_xor_b32_e32 v12, 8, v5
	v_cndmask_b32_e64 v8, v8, v13, s0
	ds_bpermute_b32 v13, v11, v4
	v_cmp_gt_i32_e64 s0, 64, v12
	ds_bpermute_b32 v14, v11, v8
	v_cndmask_b32_e64 v12, v5, v12, s0
	s_delay_alu instid0(VALU_DEP_1) | instskip(SKIP_2) | instid1(VALU_DEP_1)
	v_lshlrev_b32_e32 v12, 2, v12
	s_waitcnt lgkmcnt(1)
	v_cmp_lt_f32_e64 s0, v4, v13
	v_cndmask_b32_e64 v4, v4, v13, s0
	s_waitcnt lgkmcnt(0)
	v_cmp_lt_f32_e64 s0, v8, v14
	v_xor_b32_e32 v13, 4, v5
	s_delay_alu instid0(VALU_DEP_2) | instskip(SKIP_4) | instid1(VALU_DEP_1)
	v_cndmask_b32_e64 v8, v8, v14, s0
	ds_bpermute_b32 v14, v12, v4
	v_cmp_gt_i32_e64 s0, 64, v13
	ds_bpermute_b32 v15, v12, v8
	v_cndmask_b32_e64 v13, v5, v13, s0
	v_lshlrev_b32_e32 v13, 2, v13
	s_waitcnt lgkmcnt(1)
	v_cmp_lt_f32_e64 s0, v4, v14
	s_delay_alu instid0(VALU_DEP_1) | instskip(SKIP_3) | instid1(VALU_DEP_2)
	v_cndmask_b32_e64 v4, v4, v14, s0
	s_waitcnt lgkmcnt(0)
	v_cmp_lt_f32_e64 s0, v8, v15
	v_xor_b32_e32 v14, 2, v5
	v_cndmask_b32_e64 v8, v8, v15, s0
	ds_bpermute_b32 v15, v13, v4
	v_cmp_gt_i32_e64 s0, 64, v14
	ds_bpermute_b32 v16, v13, v8
	v_cndmask_b32_e64 v14, v5, v14, s0
	s_delay_alu instid0(VALU_DEP_1) | instskip(SKIP_2) | instid1(VALU_DEP_1)
	v_lshlrev_b32_e32 v14, 2, v14
	s_waitcnt lgkmcnt(1)
	v_cmp_lt_f32_e64 s0, v4, v15
	v_cndmask_b32_e64 v4, v4, v15, s0
	s_waitcnt lgkmcnt(0)
	v_cmp_lt_f32_e64 s0, v8, v16
	v_xor_b32_e32 v15, 1, v5
	s_delay_alu instid0(VALU_DEP_2) | instskip(SKIP_4) | instid1(VALU_DEP_1)
	v_cndmask_b32_e64 v8, v8, v16, s0
	ds_bpermute_b32 v16, v14, v4
	v_cmp_gt_i32_e64 s0, 64, v15
	ds_bpermute_b32 v17, v14, v8
	v_cndmask_b32_e64 v5, v5, v15, s0
	v_lshlrev_b32_e32 v15, 2, v5
	s_waitcnt lgkmcnt(1)
	v_cmp_lt_f32_e64 s0, v4, v16
	s_delay_alu instid0(VALU_DEP_1)
	v_cndmask_b32_e64 v19, v4, v16, s0
	v_mov_b32_e32 v16, 0
	s_waitcnt lgkmcnt(0)
	v_cmp_lt_f32_e64 s0, v8, v17
	v_dual_mov_b32 v4, s4 :: v_dual_mov_b32 v5, s5
	ds_bpermute_b32 v20, v15, v19
	v_cndmask_b32_e64 v17, v8, v17, s0
	v_mov_b32_e32 v8, 0
	ds_bpermute_b32 v18, v15, v17
	s_and_saveexec_b32 s1, s11
	s_cbranch_execz .LBB756_14
; %bb.11:
	global_load_u8 v4, v[2:3], off
	s_mov_b32 s5, s4
	v_mov_b32_e32 v16, 0
	s_waitcnt vmcnt(0)
	v_and_b32_e32 v4, 1, v4
	s_delay_alu instid0(VALU_DEP_1) | instskip(SKIP_1) | instid1(VALU_DEP_2)
	v_cmp_eq_u32_e64 s0, 1, v4
	v_dual_mov_b32 v4, s4 :: v_dual_mov_b32 v5, s5
	s_xor_b32 s0, s0, -1
	s_delay_alu instid0(SALU_CYCLE_1)
	s_and_saveexec_b32 s3, s0
	s_cbranch_execz .LBB756_13
; %bb.12:
	s_waitcnt lgkmcnt(1)
	v_cmp_lt_f32_e64 s0, v19, v20
	s_delay_alu instid0(VALU_DEP_1) | instskip(NEXT) | instid1(VALU_DEP_1)
	v_cndmask_b32_e64 v4, v19, v20, s0
	v_sub_f32_e32 v4, v9, v4
	s_delay_alu instid0(VALU_DEP_1) | instskip(SKIP_1) | instid1(VALU_DEP_2)
	v_mul_f32_e32 v5, 0x3fb8aa3b, v4
	v_cmp_ngt_f32_e64 s0, 0xc2ce8ed0, v4
	v_fma_f32 v9, 0x3fb8aa3b, v4, -v5
	v_rndne_f32_e32 v16, v5
	s_delay_alu instid0(VALU_DEP_2) | instskip(NEXT) | instid1(VALU_DEP_2)
	v_fmamk_f32 v9, v4, 0x32a5705f, v9
	v_sub_f32_e32 v5, v5, v16
	s_delay_alu instid0(VALU_DEP_1) | instskip(SKIP_1) | instid1(VALU_DEP_2)
	v_add_f32_e32 v5, v5, v9
	v_cvt_i32_f32_e32 v9, v16
	v_exp_f32_e32 v5, v5
	s_waitcnt_depctr 0xfff
	v_ldexp_f32 v5, v5, v9
	s_delay_alu instid0(VALU_DEP_1) | instskip(SKIP_1) | instid1(VALU_DEP_1)
	v_cndmask_b32_e64 v5, 0, v5, s0
	v_cmp_nlt_f32_e64 s0, 0x42b17218, v4
	v_cndmask_b32_e64 v4, 0x7f800000, v5, s0
	s_delay_alu instid0(VALU_DEP_1)
	v_dual_mov_b32 v5, 0 :: v_dual_mov_b32 v16, v4
.LBB756_13:
	s_or_b32 exec_lo, exec_lo, s3
.LBB756_14:
	s_delay_alu instid0(SALU_CYCLE_1)
	s_or_b32 exec_lo, exec_lo, s1
	s_and_saveexec_b32 s1, s10
	s_cbranch_execz .LBB756_18
; %bb.15:
	s_and_b32 s0, s12, exec_lo
	s_cselect_b32 s0, 0, s6
	s_cselect_b32 s3, 0, 0
	v_add_co_u32 v2, s0, v2, s0
	s_delay_alu instid0(VALU_DEP_1) | instskip(SKIP_4) | instid1(VALU_DEP_1)
	v_add_co_ci_u32_e64 v3, s0, s3, v3, s0
	v_mov_b32_e32 v8, 0
	global_load_u8 v2, v[2:3], off
	s_waitcnt vmcnt(0)
	v_and_b32_e32 v2, 1, v2
	v_cmp_eq_u32_e64 s0, 1, v2
	s_delay_alu instid0(VALU_DEP_1) | instskip(NEXT) | instid1(SALU_CYCLE_1)
	s_xor_b32 s0, s0, -1
	s_and_saveexec_b32 s3, s0
	s_cbranch_execz .LBB756_17
; %bb.16:
	s_waitcnt lgkmcnt(0)
	v_cmp_lt_f32_e64 s0, v17, v18
	s_delay_alu instid0(VALU_DEP_1) | instskip(NEXT) | instid1(VALU_DEP_1)
	v_cndmask_b32_e64 v2, v17, v18, s0
	v_sub_f32_e32 v2, v7, v2
	s_delay_alu instid0(VALU_DEP_1) | instskip(SKIP_1) | instid1(VALU_DEP_2)
	v_mul_f32_e32 v3, 0x3fb8aa3b, v2
	v_cmp_ngt_f32_e64 s0, 0xc2ce8ed0, v2
	v_fma_f32 v7, 0x3fb8aa3b, v2, -v3
	v_rndne_f32_e32 v8, v3
	s_delay_alu instid0(VALU_DEP_2) | instskip(NEXT) | instid1(VALU_DEP_2)
	v_fmamk_f32 v7, v2, 0x32a5705f, v7
	v_sub_f32_e32 v3, v3, v8
	s_delay_alu instid0(VALU_DEP_1) | instskip(SKIP_1) | instid1(VALU_DEP_2)
	v_add_f32_e32 v3, v3, v7
	v_cvt_i32_f32_e32 v7, v8
	v_exp_f32_e32 v3, v3
	s_waitcnt_depctr 0xfff
	v_ldexp_f32 v3, v3, v7
	s_delay_alu instid0(VALU_DEP_1) | instskip(SKIP_1) | instid1(VALU_DEP_1)
	v_cndmask_b32_e64 v3, 0, v3, s0
	v_cmp_nlt_f32_e64 s0, 0x42b17218, v2
	v_cndmask_b32_e64 v8, 0x7f800000, v3, s0
	s_delay_alu instid0(VALU_DEP_1)
	v_add_f32_e32 v5, v5, v8
.LBB756_17:
	s_or_b32 exec_lo, exec_lo, s3
.LBB756_18:
	s_delay_alu instid0(SALU_CYCLE_1)
	s_or_b32 exec_lo, exec_lo, s1
	ds_bpermute_b32 v2, v10, v4
	ds_bpermute_b32 v3, v10, v5
	s_waitcnt lgkmcnt(0)
	v_dual_add_f32 v2, v4, v2 :: v_dual_add_f32 v3, v5, v3
	ds_bpermute_b32 v4, v11, v2
	ds_bpermute_b32 v5, v11, v3
	s_waitcnt lgkmcnt(0)
	v_dual_add_f32 v2, v2, v4 :: v_dual_add_f32 v3, v3, v5
	;; [unrolled: 4-line block ×4, first 2 shown]
	ds_bpermute_b32 v4, v14, v2
	ds_bpermute_b32 v5, v14, v3
	s_waitcnt lgkmcnt(1)
	v_add_f32_e32 v4, v2, v4
	s_waitcnt lgkmcnt(0)
	v_add_f32_e32 v2, v3, v5
	ds_bpermute_b32 v5, v15, v4
	ds_bpermute_b32 v3, v15, v2
	s_and_saveexec_b32 s0, vcc_lo
	s_cbranch_execz .LBB756_26
; %bb.19:
	v_add_co_u32 v0, vcc_lo, s8, v0
	v_add_co_ci_u32_e32 v1, vcc_lo, s9, v1, vcc_lo
	s_and_saveexec_b32 s0, s2
	s_cbranch_execz .LBB756_23
; %bb.20:
	s_waitcnt lgkmcnt(1)
	v_dual_add_f32 v4, v4, v5 :: v_dual_mov_b32 v5, 0x7fc0
	s_mov_b32 s1, exec_lo
	s_delay_alu instid0(VALU_DEP_1)
	v_cmpx_neq_f32_e32 0, v4
	s_cbranch_execz .LBB756_22
; %bb.21:
	v_div_scale_f32 v5, null, v4, v4, v16
	s_delay_alu instid0(VALU_DEP_1) | instskip(SKIP_2) | instid1(VALU_DEP_1)
	v_rcp_f32_e32 v7, v5
	s_waitcnt_depctr 0xfff
	v_fma_f32 v9, -v5, v7, 1.0
	v_fmac_f32_e32 v7, v9, v7
	v_div_scale_f32 v9, vcc_lo, v16, v4, v16
	s_delay_alu instid0(VALU_DEP_1) | instskip(NEXT) | instid1(VALU_DEP_1)
	v_mul_f32_e32 v10, v9, v7
	v_fma_f32 v11, -v5, v10, v9
	s_delay_alu instid0(VALU_DEP_1) | instskip(NEXT) | instid1(VALU_DEP_1)
	v_fmac_f32_e32 v10, v11, v7
	v_fma_f32 v5, -v5, v10, v9
	s_delay_alu instid0(VALU_DEP_1) | instskip(NEXT) | instid1(VALU_DEP_1)
	v_div_fmas_f32 v5, v5, v7, v10
	v_div_fixup_f32 v4, v5, v4, v16
	s_delay_alu instid0(VALU_DEP_1) | instskip(SKIP_1) | instid1(VALU_DEP_2)
	v_bfe_u32 v5, v4, 16, 1
	v_cmp_o_f32_e32 vcc_lo, v4, v4
	v_add3_u32 v5, v4, v5, 0x7fff
	s_delay_alu instid0(VALU_DEP_1) | instskip(NEXT) | instid1(VALU_DEP_1)
	v_lshrrev_b32_e32 v5, 16, v5
	v_cndmask_b32_e32 v5, 0x7fc0, v5, vcc_lo
.LBB756_22:
	s_or_b32 exec_lo, exec_lo, s1
	global_store_b16 v[0:1], v5, off
.LBB756_23:
	s_or_b32 exec_lo, exec_lo, s0
	v_cmp_ne_u32_e32 vcc_lo, 1, v6
	s_and_b32 exec_lo, exec_lo, vcc_lo
	s_cbranch_execz .LBB756_26
; %bb.24:
	s_and_b32 exec_lo, exec_lo, s2
	s_cbranch_execz .LBB756_26
; %bb.25:
	s_waitcnt lgkmcnt(0)
	v_add_f32_e32 v2, v2, v3
	s_mov_b32 s7, 0
	s_delay_alu instid0(SALU_CYCLE_1) | instskip(NEXT) | instid1(SALU_CYCLE_1)
	s_lshl_b64 s[2:3], s[6:7], 1
	v_add_co_u32 v0, s1, v0, s2
	s_delay_alu instid0(VALU_DEP_2) | instskip(SKIP_2) | instid1(VALU_DEP_3)
	v_div_scale_f32 v3, null, v2, v2, v8
	v_div_scale_f32 v6, vcc_lo, v8, v2, v8
	v_add_co_ci_u32_e64 v1, s1, s3, v1, s1
	v_rcp_f32_e32 v4, v3
	s_waitcnt_depctr 0xfff
	v_fma_f32 v5, -v3, v4, 1.0
	s_delay_alu instid0(VALU_DEP_1) | instskip(NEXT) | instid1(VALU_DEP_1)
	v_fmac_f32_e32 v4, v5, v4
	v_mul_f32_e32 v5, v6, v4
	s_delay_alu instid0(VALU_DEP_1) | instskip(NEXT) | instid1(VALU_DEP_1)
	v_fma_f32 v7, -v3, v5, v6
	v_fmac_f32_e32 v5, v7, v4
	s_delay_alu instid0(VALU_DEP_1) | instskip(NEXT) | instid1(VALU_DEP_1)
	v_fma_f32 v3, -v3, v5, v6
	v_div_fmas_f32 v3, v3, v4, v5
	v_cmp_eq_f32_e32 vcc_lo, 0, v2
	s_delay_alu instid0(VALU_DEP_2) | instskip(NEXT) | instid1(VALU_DEP_1)
	v_div_fixup_f32 v3, v3, v2, v8
	v_bfe_u32 v4, v3, 16, 1
	v_cmp_u_f32_e64 s0, v3, v3
	s_delay_alu instid0(VALU_DEP_2) | instskip(NEXT) | instid1(VALU_DEP_2)
	v_add3_u32 v4, v3, v4, 0x7fff
	s_or_b32 s0, vcc_lo, s0
	s_delay_alu instid0(VALU_DEP_1) | instskip(NEXT) | instid1(VALU_DEP_1)
	v_lshrrev_b32_e32 v2, 16, v4
	v_cndmask_b32_e64 v2, v2, 0x7fc0, s0
	global_store_b16 v[0:1], v2, off
.LBB756_26:
	s_nop 0
	s_sendmsg sendmsg(MSG_DEALLOC_VGPRS)
	s_endpgm
	.section	.rodata,"a",@progbits
	.p2align	6, 0x0
	.amdhsa_kernel _ZN12_GLOBAL__N_120softmax_warp_forwardIN3c108BFloat16ES2_fLi6ELb0ELb1ELi64EEEvPT0_PKT_iiiPKbib
		.amdhsa_group_segment_fixed_size 0
		.amdhsa_private_segment_fixed_size 0
		.amdhsa_kernarg_size 304
		.amdhsa_user_sgpr_count 15
		.amdhsa_user_sgpr_dispatch_ptr 0
		.amdhsa_user_sgpr_queue_ptr 0
		.amdhsa_user_sgpr_kernarg_segment_ptr 1
		.amdhsa_user_sgpr_dispatch_id 0
		.amdhsa_user_sgpr_private_segment_size 0
		.amdhsa_wavefront_size32 1
		.amdhsa_uses_dynamic_stack 0
		.amdhsa_enable_private_segment 0
		.amdhsa_system_sgpr_workgroup_id_x 1
		.amdhsa_system_sgpr_workgroup_id_y 0
		.amdhsa_system_sgpr_workgroup_id_z 0
		.amdhsa_system_sgpr_workgroup_info 0
		.amdhsa_system_vgpr_workitem_id 1
		.amdhsa_next_free_vgpr 21
		.amdhsa_next_free_sgpr 16
		.amdhsa_reserve_vcc 1
		.amdhsa_float_round_mode_32 0
		.amdhsa_float_round_mode_16_64 0
		.amdhsa_float_denorm_mode_32 3
		.amdhsa_float_denorm_mode_16_64 3
		.amdhsa_dx10_clamp 1
		.amdhsa_ieee_mode 1
		.amdhsa_fp16_overflow 0
		.amdhsa_workgroup_processor_mode 1
		.amdhsa_memory_ordered 1
		.amdhsa_forward_progress 0
		.amdhsa_shared_vgpr_count 0
		.amdhsa_exception_fp_ieee_invalid_op 0
		.amdhsa_exception_fp_denorm_src 0
		.amdhsa_exception_fp_ieee_div_zero 0
		.amdhsa_exception_fp_ieee_overflow 0
		.amdhsa_exception_fp_ieee_underflow 0
		.amdhsa_exception_fp_ieee_inexact 0
		.amdhsa_exception_int_div_zero 0
	.end_amdhsa_kernel
	.section	.text._ZN12_GLOBAL__N_120softmax_warp_forwardIN3c108BFloat16ES2_fLi6ELb0ELb1ELi64EEEvPT0_PKT_iiiPKbib,"axG",@progbits,_ZN12_GLOBAL__N_120softmax_warp_forwardIN3c108BFloat16ES2_fLi6ELb0ELb1ELi64EEEvPT0_PKT_iiiPKbib,comdat
.Lfunc_end756:
	.size	_ZN12_GLOBAL__N_120softmax_warp_forwardIN3c108BFloat16ES2_fLi6ELb0ELb1ELi64EEEvPT0_PKT_iiiPKbib, .Lfunc_end756-_ZN12_GLOBAL__N_120softmax_warp_forwardIN3c108BFloat16ES2_fLi6ELb0ELb1ELi64EEEvPT0_PKT_iiiPKbib
                                        ; -- End function
	.section	.AMDGPU.csdata,"",@progbits
; Kernel info:
; codeLenInByte = 2284
; NumSgprs: 18
; NumVgprs: 21
; ScratchSize: 0
; MemoryBound: 0
; FloatMode: 240
; IeeeMode: 1
; LDSByteSize: 0 bytes/workgroup (compile time only)
; SGPRBlocks: 2
; VGPRBlocks: 2
; NumSGPRsForWavesPerEU: 18
; NumVGPRsForWavesPerEU: 21
; Occupancy: 16
; WaveLimiterHint : 0
; COMPUTE_PGM_RSRC2:SCRATCH_EN: 0
; COMPUTE_PGM_RSRC2:USER_SGPR: 15
; COMPUTE_PGM_RSRC2:TRAP_HANDLER: 0
; COMPUTE_PGM_RSRC2:TGID_X_EN: 1
; COMPUTE_PGM_RSRC2:TGID_Y_EN: 0
; COMPUTE_PGM_RSRC2:TGID_Z_EN: 0
; COMPUTE_PGM_RSRC2:TIDIG_COMP_CNT: 1
	.section	.text._ZN12_GLOBAL__N_120softmax_warp_forwardIN3c108BFloat16ES2_fLi6ELb0ELb1ELi32EEEvPT0_PKT_iiiPKbib,"axG",@progbits,_ZN12_GLOBAL__N_120softmax_warp_forwardIN3c108BFloat16ES2_fLi6ELb0ELb1ELi32EEEvPT0_PKT_iiiPKbib,comdat
	.globl	_ZN12_GLOBAL__N_120softmax_warp_forwardIN3c108BFloat16ES2_fLi6ELb0ELb1ELi32EEEvPT0_PKT_iiiPKbib ; -- Begin function _ZN12_GLOBAL__N_120softmax_warp_forwardIN3c108BFloat16ES2_fLi6ELb0ELb1ELi32EEEvPT0_PKT_iiiPKbib
	.p2align	8
	.type	_ZN12_GLOBAL__N_120softmax_warp_forwardIN3c108BFloat16ES2_fLi6ELb0ELb1ELi32EEEvPT0_PKT_iiiPKbib,@function
_ZN12_GLOBAL__N_120softmax_warp_forwardIN3c108BFloat16ES2_fLi6ELb0ELb1ELi32EEEvPT0_PKT_iiiPKbib: ; @_ZN12_GLOBAL__N_120softmax_warp_forwardIN3c108BFloat16ES2_fLi6ELb0ELb1ELi32EEEvPT0_PKT_iiiPKbib
; %bb.0:
	s_clause 0x2
	s_load_b64 s[2:3], s[0:1], 0x28
	s_load_b32 s8, s[0:1], 0x3c
	s_load_b128 s[4:7], s[0:1], 0x10
	v_bfe_u32 v1, v0, 10, 10
	v_and_b32_e32 v4, 0x3ff, v0
	s_waitcnt lgkmcnt(0)
	s_bitcmp1_b32 s3, 0
	s_cselect_b32 s14, -1, 0
	s_lshr_b32 s7, s8, 16
	s_bitcmp0_b32 s3, 0
	s_mul_i32 s15, s15, s7
	s_delay_alu instid0(SALU_CYCLE_1) | instskip(NEXT) | instid1(VALU_DEP_1)
	v_add_lshl_u32 v5, s15, v1, 1
	v_mul_lo_u32 v6, v5, s5
	s_delay_alu instid0(VALU_DEP_1) | instskip(NEXT) | instid1(VALU_DEP_1)
	v_add_nc_u32_e32 v0, v6, v4
	v_ashrrev_i32_e32 v1, 31, v0
	s_delay_alu instid0(VALU_DEP_1)
	v_dual_mov_b32 v3, v1 :: v_dual_mov_b32 v2, v0
	s_cbranch_scc1 .LBB757_2
; %bb.1:
	s_abs_i32 s3, s2
	v_sub_nc_u32_e32 v7, 0, v6
	v_cvt_f32_u32_e32 v2, s3
	s_sub_i32 s7, 0, s3
	s_delay_alu instid0(VALU_DEP_2) | instskip(NEXT) | instid1(VALU_DEP_2)
	v_max_i32_e32 v7, v6, v7
	v_rcp_iflag_f32_e32 v2, v2
	v_xor_b32_e32 v6, s2, v6
	s_delay_alu instid0(VALU_DEP_1) | instskip(SKIP_2) | instid1(VALU_DEP_1)
	v_ashrrev_i32_e32 v6, 31, v6
	s_waitcnt_depctr 0xfff
	v_mul_f32_e32 v2, 0x4f7ffffe, v2
	v_cvt_u32_f32_e32 v2, v2
	s_delay_alu instid0(VALU_DEP_1) | instskip(NEXT) | instid1(VALU_DEP_1)
	v_mul_lo_u32 v3, s7, v2
	v_mul_hi_u32 v3, v2, v3
	s_delay_alu instid0(VALU_DEP_1) | instskip(NEXT) | instid1(VALU_DEP_1)
	v_add_nc_u32_e32 v2, v2, v3
	v_mul_hi_u32 v2, v7, v2
	s_delay_alu instid0(VALU_DEP_1) | instskip(NEXT) | instid1(VALU_DEP_1)
	v_mul_lo_u32 v3, v2, s3
	v_sub_nc_u32_e32 v3, v7, v3
	v_add_nc_u32_e32 v7, 1, v2
	s_delay_alu instid0(VALU_DEP_2) | instskip(SKIP_1) | instid1(VALU_DEP_2)
	v_subrev_nc_u32_e32 v8, s3, v3
	v_cmp_le_u32_e32 vcc_lo, s3, v3
	v_dual_cndmask_b32 v3, v3, v8 :: v_dual_cndmask_b32 v2, v2, v7
	s_delay_alu instid0(VALU_DEP_1) | instskip(NEXT) | instid1(VALU_DEP_2)
	v_cmp_le_u32_e32 vcc_lo, s3, v3
	v_add_nc_u32_e32 v7, 1, v2
	s_delay_alu instid0(VALU_DEP_1) | instskip(NEXT) | instid1(VALU_DEP_1)
	v_cndmask_b32_e32 v2, v2, v7, vcc_lo
	v_xor_b32_e32 v2, v2, v6
	s_delay_alu instid0(VALU_DEP_1) | instskip(NEXT) | instid1(VALU_DEP_1)
	v_sub_nc_u32_e32 v6, v2, v6
	v_mad_u64_u32 v[2:3], null, v6, s5, v[4:5]
	s_delay_alu instid0(VALU_DEP_1)
	v_ashrrev_i32_e32 v3, 31, v2
.LBB757_2:
	s_load_b128 s[8:11], s[0:1], 0x0
	v_lshlrev_b64 v[0:1], 1, v[0:1]
	v_sub_nc_u32_e32 v9, s4, v5
	v_cmp_gt_i32_e64 s3, s6, v4
	v_dual_mov_b32 v11, 0xff800000 :: v_dual_mov_b32 v6, 0xff800000
	s_delay_alu instid0(VALU_DEP_3) | instskip(NEXT) | instid1(VALU_DEP_3)
	v_cmp_lt_i32_e32 vcc_lo, 0, v9
	s_and_b32 s13, vcc_lo, s3
	s_waitcnt lgkmcnt(0)
	v_add_co_u32 v7, s2, s10, v0
	s_delay_alu instid0(VALU_DEP_1)
	v_add_co_ci_u32_e64 v8, s2, s11, v1, s2
	s_and_saveexec_b32 s2, s13
	s_cbranch_execz .LBB757_4
; %bb.3:
	global_load_u16 v5, v[7:8], off
	s_waitcnt vmcnt(0)
	v_lshlrev_b32_e32 v6, 16, v5
.LBB757_4:
	s_or_b32 exec_lo, exec_lo, s2
	v_add_nc_u32_e32 v4, 32, v4
	s_delay_alu instid0(VALU_DEP_1) | instskip(NEXT) | instid1(VALU_DEP_1)
	v_cmp_gt_i32_e64 s2, s6, v4
	s_and_b32 s12, vcc_lo, s2
	s_delay_alu instid0(SALU_CYCLE_1)
	s_and_saveexec_b32 s4, s12
	s_cbranch_execz .LBB757_6
; %bb.5:
	global_load_u16 v4, v[7:8], off offset:64
	s_waitcnt vmcnt(0)
	v_lshlrev_b32_e32 v11, 16, v4
.LBB757_6:
	s_or_b32 exec_lo, exec_lo, s4
	v_cmp_lt_i32_e64 s4, 1, v9
	v_dual_mov_b32 v10, 0xff800000 :: v_dual_mov_b32 v5, 0xff800000
	s_delay_alu instid0(VALU_DEP_2) | instskip(NEXT) | instid1(SALU_CYCLE_1)
	s_and_b32 s11, s4, s3
	s_and_saveexec_b32 s10, s11
	s_cbranch_execz .LBB757_8
; %bb.7:
	s_mov_b32 s7, 0
	s_delay_alu instid0(SALU_CYCLE_1) | instskip(NEXT) | instid1(SALU_CYCLE_1)
	s_lshl_b64 s[16:17], s[6:7], 1
	v_add_co_u32 v4, s5, v7, s16
	s_delay_alu instid0(VALU_DEP_1)
	v_add_co_ci_u32_e64 v5, s5, s17, v8, s5
	global_load_u16 v4, v[4:5], off
	s_waitcnt vmcnt(0)
	v_lshlrev_b32_e32 v5, 16, v4
.LBB757_8:
	s_or_b32 exec_lo, exec_lo, s10
	s_and_b32 s10, s4, s2
	s_delay_alu instid0(SALU_CYCLE_1)
	s_and_saveexec_b32 s5, s10
	s_cbranch_execz .LBB757_10
; %bb.9:
	s_mov_b32 s7, 0
	s_delay_alu instid0(SALU_CYCLE_1) | instskip(NEXT) | instid1(SALU_CYCLE_1)
	s_lshl_b64 s[16:17], s[6:7], 1
	v_add_co_u32 v7, s4, v7, s16
	s_delay_alu instid0(VALU_DEP_1)
	v_add_co_ci_u32_e64 v8, s4, s17, v8, s4
	global_load_u16 v4, v[7:8], off offset:64
	s_waitcnt vmcnt(0)
	v_lshlrev_b32_e32 v10, 16, v4
.LBB757_10:
	s_or_b32 exec_lo, exec_lo, s5
	s_load_b64 s[0:1], s[0:1], 0x20
	v_mov_b32_e32 v8, v7
	v_mov_b32_e32 v7, v6
	s_waitcnt lgkmcnt(0)
	v_add_co_u32 v2, s0, s0, v2
	s_delay_alu instid0(VALU_DEP_1)
	v_add_co_ci_u32_e64 v3, s0, s1, v3, s0
	s_mov_b32 s1, 0
	s_and_saveexec_b32 s4, s13
	s_cbranch_execz .LBB757_12
; %bb.11:
	global_load_u8 v4, v[2:3], off
	v_mov_b32_e32 v8, v7
	s_waitcnt vmcnt(0)
	v_dual_mov_b32 v7, v6 :: v_dual_and_b32 v4, 1, v4
	s_delay_alu instid0(VALU_DEP_1) | instskip(NEXT) | instid1(VALU_DEP_1)
	v_cmp_eq_u32_e64 s0, 1, v4
	s_xor_b32 s0, s0, -1
	s_delay_alu instid0(SALU_CYCLE_1)
	s_and_b32 s1, s0, exec_lo
.LBB757_12:
	s_or_b32 exec_lo, exec_lo, s4
	s_and_saveexec_b32 s4, s12
	s_cbranch_execz .LBB757_16
; %bb.13:
	global_load_u8 v4, v[2:3], off offset:32
	s_waitcnt vmcnt(0)
	v_and_b32_e32 v4, 1, v4
	s_delay_alu instid0(VALU_DEP_1) | instskip(NEXT) | instid1(VALU_DEP_1)
	v_cmp_eq_u32_e64 s0, 1, v4
	s_xor_b32 s7, s0, -1
	s_mov_b32 s0, s1
	s_and_saveexec_b32 s5, s7
; %bb.14:
	v_cmp_gt_f32_e64 s0, v7, v11
	s_delay_alu instid0(VALU_DEP_1) | instskip(NEXT) | instid1(SALU_CYCLE_1)
	s_and_b32 s0, s1, s0
	v_cndmask_b32_e64 v7, v11, v7, s0
	s_or_b32 s0, s1, exec_lo
; %bb.15:
	s_or_b32 exec_lo, exec_lo, s5
	s_delay_alu instid0(SALU_CYCLE_1) | instskip(SKIP_1) | instid1(SALU_CYCLE_1)
	s_and_not1_b32 s1, s1, exec_lo
	s_and_b32 s0, s0, exec_lo
	s_or_b32 s1, s1, s0
.LBB757_16:
	s_or_b32 exec_lo, exec_lo, s4
	v_cndmask_b32_e64 v4, 0xff800000, v7, s1
	v_mov_b32_e32 v8, v5
	s_and_b32 s0, s14, exec_lo
	s_mov_b32 s4, 0
	s_cselect_b32 s1, 0, s6
	v_mov_b32_e32 v7, v4
	s_and_saveexec_b32 s5, s11
	s_cbranch_execz .LBB757_18
; %bb.17:
	s_ashr_i32 s4, s1, 31
	v_add_co_u32 v7, s0, v2, s1
	s_delay_alu instid0(VALU_DEP_1) | instskip(SKIP_3) | instid1(VALU_DEP_1)
	v_add_co_ci_u32_e64 v8, s0, s4, v3, s0
	global_load_u8 v7, v[7:8], off
	s_waitcnt vmcnt(0)
	v_and_b32_e32 v7, 1, v7
	v_cmp_eq_u32_e64 s0, 1, v7
	v_dual_mov_b32 v8, v5 :: v_dual_mov_b32 v7, v4
	s_delay_alu instid0(VALU_DEP_2) | instskip(NEXT) | instid1(SALU_CYCLE_1)
	s_xor_b32 s0, s0, -1
	s_and_b32 s4, s0, exec_lo
.LBB757_18:
	s_or_b32 exec_lo, exec_lo, s5
	s_and_saveexec_b32 s5, s10
	s_cbranch_execz .LBB757_22
; %bb.19:
	s_ashr_i32 s7, s1, 31
	v_add_co_u32 v12, s0, v2, s1
	s_delay_alu instid0(VALU_DEP_1) | instskip(SKIP_3) | instid1(VALU_DEP_1)
	v_add_co_ci_u32_e64 v13, s0, s7, v3, s0
	global_load_u8 v4, v[12:13], off offset:32
	s_waitcnt vmcnt(0)
	v_and_b32_e32 v4, 1, v4
	v_cmp_eq_u32_e64 s0, 1, v4
	s_delay_alu instid0(VALU_DEP_1)
	s_xor_b32 s14, s0, -1
	s_mov_b32 s0, s4
	s_and_saveexec_b32 s7, s14
; %bb.20:
	v_cmp_gt_f32_e64 s0, v8, v10
	s_delay_alu instid0(VALU_DEP_1) | instskip(NEXT) | instid1(SALU_CYCLE_1)
	s_and_b32 s0, s4, s0
	v_cndmask_b32_e64 v8, v10, v8, s0
	s_or_b32 s0, s4, exec_lo
; %bb.21:
	s_or_b32 exec_lo, exec_lo, s7
	s_delay_alu instid0(SALU_CYCLE_1) | instskip(SKIP_1) | instid1(SALU_CYCLE_1)
	s_and_not1_b32 s4, s4, exec_lo
	s_and_b32 s0, s0, exec_lo
	s_or_b32 s4, s4, s0
.LBB757_22:
	s_or_b32 exec_lo, exec_lo, s5
	v_mbcnt_lo_u32_b32 v4, -1, 0
	v_cndmask_b32_e64 v7, v7, v7, s4
	v_cndmask_b32_e64 v8, 0xff800000, v8, s4
	s_mov_b32 s4, 0
	s_delay_alu instid0(SALU_CYCLE_1) | instskip(SKIP_2) | instid1(VALU_DEP_2)
	s_mov_b32 s5, s4
	v_xor_b32_e32 v12, 16, v4
	v_xor_b32_e32 v13, 8, v4
	v_cmp_gt_i32_e64 s0, 32, v12
	s_delay_alu instid0(VALU_DEP_1) | instskip(NEXT) | instid1(VALU_DEP_3)
	v_cndmask_b32_e64 v12, v4, v12, s0
	v_cmp_gt_i32_e64 s0, 32, v13
	s_delay_alu instid0(VALU_DEP_2) | instskip(NEXT) | instid1(VALU_DEP_2)
	v_lshlrev_b32_e32 v12, 2, v12
	v_cndmask_b32_e64 v13, v4, v13, s0
	ds_bpermute_b32 v14, v12, v7
	ds_bpermute_b32 v15, v12, v8
	v_lshlrev_b32_e32 v13, 2, v13
	s_waitcnt lgkmcnt(1)
	v_cmp_lt_f32_e64 s0, v7, v14
	s_delay_alu instid0(VALU_DEP_1)
	v_cndmask_b32_e64 v7, v7, v14, s0
	s_waitcnt lgkmcnt(0)
	v_cmp_lt_f32_e64 s0, v8, v15
	v_xor_b32_e32 v14, 4, v4
	ds_bpermute_b32 v16, v13, v7
	v_cndmask_b32_e64 v8, v8, v15, s0
	v_cmp_gt_i32_e64 s0, 32, v14
	ds_bpermute_b32 v15, v13, v8
	v_cndmask_b32_e64 v14, v4, v14, s0
	s_delay_alu instid0(VALU_DEP_1) | instskip(SKIP_2) | instid1(VALU_DEP_1)
	v_lshlrev_b32_e32 v14, 2, v14
	s_waitcnt lgkmcnt(1)
	v_cmp_lt_f32_e64 s0, v7, v16
	v_cndmask_b32_e64 v7, v7, v16, s0
	s_waitcnt lgkmcnt(0)
	v_cmp_lt_f32_e64 s0, v8, v15
	ds_bpermute_b32 v16, v14, v7
	v_cndmask_b32_e64 v8, v8, v15, s0
	v_xor_b32_e32 v15, 2, v4
	ds_bpermute_b32 v17, v14, v8
	v_cmp_gt_i32_e64 s0, 32, v15
	s_delay_alu instid0(VALU_DEP_1) | instskip(NEXT) | instid1(VALU_DEP_1)
	v_cndmask_b32_e64 v15, v4, v15, s0
	v_lshlrev_b32_e32 v15, 2, v15
	s_waitcnt lgkmcnt(1)
	v_cmp_lt_f32_e64 s0, v7, v16
	s_delay_alu instid0(VALU_DEP_1)
	v_cndmask_b32_e64 v7, v7, v16, s0
	s_waitcnt lgkmcnt(0)
	v_cmp_lt_f32_e64 s0, v8, v17
	v_xor_b32_e32 v16, 1, v4
	ds_bpermute_b32 v18, v15, v7
	v_cndmask_b32_e64 v8, v8, v17, s0
	v_cmp_gt_i32_e64 s0, 32, v16
	ds_bpermute_b32 v17, v15, v8
	v_cndmask_b32_e64 v4, v4, v16, s0
	s_delay_alu instid0(VALU_DEP_1) | instskip(SKIP_3) | instid1(VALU_DEP_1)
	v_lshlrev_b32_e32 v16, 2, v4
	v_mov_b32_e32 v4, 0
	s_waitcnt lgkmcnt(1)
	v_cmp_lt_f32_e64 s0, v7, v18
	v_cndmask_b32_e64 v20, v7, v18, s0
	s_waitcnt lgkmcnt(0)
	v_cmp_lt_f32_e64 s0, v8, v17
	ds_bpermute_b32 v21, v16, v20
	v_cndmask_b32_e64 v18, v8, v17, s0
	v_dual_mov_b32 v8, s5 :: v_dual_mov_b32 v7, s4
	v_mov_b32_e32 v17, 0
	ds_bpermute_b32 v19, v16, v18
	s_waitcnt lgkmcnt(1)
	v_cmp_lt_f32_e64 s0, v20, v21
	s_delay_alu instid0(VALU_DEP_1)
	v_cndmask_b32_e64 v20, v20, v21, s0
	s_and_saveexec_b32 s7, s13
	s_cbranch_execz .LBB757_26
; %bb.23:
	global_load_u8 v7, v[2:3], off
	v_mov_b32_e32 v17, 0
	s_waitcnt vmcnt(0)
	v_and_b32_e32 v7, 1, v7
	s_delay_alu instid0(VALU_DEP_1) | instskip(SKIP_1) | instid1(VALU_DEP_2)
	v_cmp_eq_u32_e64 s0, 1, v7
	v_dual_mov_b32 v8, s5 :: v_dual_mov_b32 v7, s4
	s_xor_b32 s0, s0, -1
	s_delay_alu instid0(SALU_CYCLE_1)
	s_and_saveexec_b32 s4, s0
	s_cbranch_execz .LBB757_25
; %bb.24:
	v_sub_f32_e32 v6, v6, v20
	s_delay_alu instid0(VALU_DEP_1) | instskip(NEXT) | instid1(VALU_DEP_1)
	v_mul_f32_e32 v7, 0x3fb8aa3b, v6
	v_fma_f32 v8, 0x3fb8aa3b, v6, -v7
	v_rndne_f32_e32 v17, v7
	s_delay_alu instid0(VALU_DEP_1) | instskip(SKIP_1) | instid1(VALU_DEP_2)
	v_dual_sub_f32 v7, v7, v17 :: v_dual_fmamk_f32 v8, v6, 0x32a5705f, v8
	v_cmp_ngt_f32_e64 s0, 0xc2ce8ed0, v6
	v_add_f32_e32 v7, v7, v8
	v_cvt_i32_f32_e32 v8, v17
	s_delay_alu instid0(VALU_DEP_2) | instskip(SKIP_3) | instid1(VALU_DEP_2)
	v_exp_f32_e32 v7, v7
	s_waitcnt_depctr 0xfff
	v_ldexp_f32 v7, v7, v8
	v_mov_b32_e32 v8, 0
	v_cndmask_b32_e64 v7, 0, v7, s0
	v_cmp_nlt_f32_e64 s0, 0x42b17218, v6
	s_delay_alu instid0(VALU_DEP_1) | instskip(NEXT) | instid1(VALU_DEP_1)
	v_cndmask_b32_e64 v7, 0x7f800000, v7, s0
	v_mov_b32_e32 v17, v7
.LBB757_25:
	s_or_b32 exec_lo, exec_lo, s4
.LBB757_26:
	s_delay_alu instid0(SALU_CYCLE_1)
	s_or_b32 exec_lo, exec_lo, s7
	v_mov_b32_e32 v6, 0
	s_and_saveexec_b32 s4, s12
	s_cbranch_execz .LBB757_30
; %bb.27:
	global_load_u8 v6, v[2:3], off offset:32
	s_waitcnt vmcnt(0)
	v_and_b32_e32 v6, 1, v6
	s_delay_alu instid0(VALU_DEP_1) | instskip(SKIP_1) | instid1(VALU_DEP_2)
	v_cmp_eq_u32_e64 s0, 1, v6
	v_mov_b32_e32 v6, 0
	s_xor_b32 s0, s0, -1
	s_delay_alu instid0(SALU_CYCLE_1)
	s_and_saveexec_b32 s5, s0
	s_cbranch_execz .LBB757_29
; %bb.28:
	v_sub_f32_e32 v6, v11, v20
	s_delay_alu instid0(VALU_DEP_1) | instskip(SKIP_1) | instid1(VALU_DEP_2)
	v_mul_f32_e32 v11, 0x3fb8aa3b, v6
	v_cmp_ngt_f32_e64 s0, 0xc2ce8ed0, v6
	v_fma_f32 v20, 0x3fb8aa3b, v6, -v11
	v_rndne_f32_e32 v21, v11
	s_delay_alu instid0(VALU_DEP_1) | instskip(NEXT) | instid1(VALU_DEP_1)
	v_dual_fmamk_f32 v20, v6, 0x32a5705f, v20 :: v_dual_sub_f32 v11, v11, v21
	v_add_f32_e32 v11, v11, v20
	v_cvt_i32_f32_e32 v20, v21
	s_delay_alu instid0(VALU_DEP_2) | instskip(SKIP_2) | instid1(VALU_DEP_1)
	v_exp_f32_e32 v11, v11
	s_waitcnt_depctr 0xfff
	v_ldexp_f32 v11, v11, v20
	v_cndmask_b32_e64 v11, 0, v11, s0
	v_cmp_nlt_f32_e64 s0, 0x42b17218, v6
	s_delay_alu instid0(VALU_DEP_1) | instskip(NEXT) | instid1(VALU_DEP_1)
	v_cndmask_b32_e64 v6, 0x7f800000, v11, s0
	v_add_f32_e32 v7, v7, v6
.LBB757_29:
	s_or_b32 exec_lo, exec_lo, s5
.LBB757_30:
	s_delay_alu instid0(SALU_CYCLE_1) | instskip(SKIP_2) | instid1(VALU_DEP_1)
	s_or_b32 exec_lo, exec_lo, s4
	s_waitcnt lgkmcnt(0)
	v_cmp_lt_f32_e64 s0, v18, v19
	v_cndmask_b32_e64 v11, v18, v19, s0
	s_and_saveexec_b32 s4, s11
	s_cbranch_execz .LBB757_34
; %bb.31:
	s_ashr_i32 s5, s1, 31
	v_add_co_u32 v18, s0, v2, s1
	s_delay_alu instid0(VALU_DEP_1) | instskip(SKIP_3) | instid1(VALU_DEP_1)
	v_add_co_ci_u32_e64 v19, s0, s5, v3, s0
	global_load_u8 v4, v[18:19], off
	s_waitcnt vmcnt(0)
	v_and_b32_e32 v4, 1, v4
	v_cmp_eq_u32_e64 s0, 1, v4
	v_mov_b32_e32 v4, 0
	s_delay_alu instid0(VALU_DEP_2) | instskip(NEXT) | instid1(SALU_CYCLE_1)
	s_xor_b32 s0, s0, -1
	s_and_saveexec_b32 s5, s0
	s_cbranch_execz .LBB757_33
; %bb.32:
	v_sub_f32_e32 v4, v5, v11
	s_delay_alu instid0(VALU_DEP_1) | instskip(SKIP_1) | instid1(VALU_DEP_2)
	v_mul_f32_e32 v5, 0x3fb8aa3b, v4
	v_cmp_ngt_f32_e64 s0, 0xc2ce8ed0, v4
	v_fma_f32 v18, 0x3fb8aa3b, v4, -v5
	v_rndne_f32_e32 v19, v5
	s_delay_alu instid0(VALU_DEP_1) | instskip(NEXT) | instid1(VALU_DEP_1)
	v_dual_fmamk_f32 v18, v4, 0x32a5705f, v18 :: v_dual_sub_f32 v5, v5, v19
	v_add_f32_e32 v5, v5, v18
	v_cvt_i32_f32_e32 v18, v19
	s_delay_alu instid0(VALU_DEP_2) | instskip(SKIP_2) | instid1(VALU_DEP_1)
	v_exp_f32_e32 v5, v5
	s_waitcnt_depctr 0xfff
	v_ldexp_f32 v5, v5, v18
	v_cndmask_b32_e64 v5, 0, v5, s0
	v_cmp_nlt_f32_e64 s0, 0x42b17218, v4
	s_delay_alu instid0(VALU_DEP_1) | instskip(NEXT) | instid1(VALU_DEP_1)
	v_cndmask_b32_e64 v4, 0x7f800000, v5, s0
	v_add_f32_e32 v8, v8, v4
.LBB757_33:
	s_or_b32 exec_lo, exec_lo, s5
.LBB757_34:
	s_delay_alu instid0(SALU_CYCLE_1)
	s_or_b32 exec_lo, exec_lo, s4
	v_mov_b32_e32 v5, 0
	s_and_saveexec_b32 s4, s10
	s_cbranch_execz .LBB757_38
; %bb.35:
	s_ashr_i32 s5, s1, 31
	v_add_co_u32 v2, s0, v2, s1
	s_delay_alu instid0(VALU_DEP_1) | instskip(SKIP_4) | instid1(VALU_DEP_1)
	v_add_co_ci_u32_e64 v3, s0, s5, v3, s0
	v_mov_b32_e32 v5, 0
	global_load_u8 v2, v[2:3], off offset:32
	s_waitcnt vmcnt(0)
	v_and_b32_e32 v2, 1, v2
	v_cmp_eq_u32_e64 s0, 1, v2
	s_delay_alu instid0(VALU_DEP_1) | instskip(NEXT) | instid1(SALU_CYCLE_1)
	s_xor_b32 s0, s0, -1
	s_and_saveexec_b32 s1, s0
	s_cbranch_execz .LBB757_37
; %bb.36:
	v_sub_f32_e32 v2, v10, v11
	s_delay_alu instid0(VALU_DEP_1) | instskip(NEXT) | instid1(VALU_DEP_1)
	v_mul_f32_e32 v3, 0x3fb8aa3b, v2
	v_fma_f32 v5, 0x3fb8aa3b, v2, -v3
	v_rndne_f32_e32 v10, v3
	s_delay_alu instid0(VALU_DEP_1) | instskip(NEXT) | instid1(VALU_DEP_3)
	v_sub_f32_e32 v3, v3, v10
	v_fmamk_f32 v5, v2, 0x32a5705f, v5
	v_cmp_ngt_f32_e64 s0, 0xc2ce8ed0, v2
	s_delay_alu instid0(VALU_DEP_2) | instskip(SKIP_1) | instid1(VALU_DEP_2)
	v_add_f32_e32 v3, v3, v5
	v_cvt_i32_f32_e32 v5, v10
	v_exp_f32_e32 v3, v3
	s_waitcnt_depctr 0xfff
	v_ldexp_f32 v3, v3, v5
	s_delay_alu instid0(VALU_DEP_1) | instskip(SKIP_1) | instid1(VALU_DEP_1)
	v_cndmask_b32_e64 v3, 0, v3, s0
	v_cmp_nlt_f32_e64 s0, 0x42b17218, v2
	v_cndmask_b32_e64 v5, 0x7f800000, v3, s0
	s_delay_alu instid0(VALU_DEP_1)
	v_add_f32_e32 v8, v8, v5
.LBB757_37:
	s_or_b32 exec_lo, exec_lo, s1
.LBB757_38:
	s_delay_alu instid0(SALU_CYCLE_1)
	s_or_b32 exec_lo, exec_lo, s4
	ds_bpermute_b32 v2, v12, v7
	ds_bpermute_b32 v3, v12, v8
	s_waitcnt lgkmcnt(0)
	v_dual_add_f32 v2, v7, v2 :: v_dual_add_f32 v3, v8, v3
	ds_bpermute_b32 v7, v13, v2
	ds_bpermute_b32 v8, v13, v3
	s_waitcnt lgkmcnt(0)
	v_dual_add_f32 v2, v2, v7 :: v_dual_add_f32 v3, v3, v8
	;; [unrolled: 4-line block ×4, first 2 shown]
	ds_bpermute_b32 v8, v16, v7
	ds_bpermute_b32 v3, v16, v2
	s_and_saveexec_b32 s0, vcc_lo
	s_cbranch_execz .LBB757_50
; %bb.39:
	v_add_co_u32 v0, vcc_lo, s8, v0
	v_add_co_ci_u32_e32 v1, vcc_lo, s9, v1, vcc_lo
	s_and_saveexec_b32 s1, s3
	s_cbranch_execz .LBB757_46
; %bb.40:
	s_waitcnt lgkmcnt(1)
	v_dual_add_f32 v7, v7, v8 :: v_dual_mov_b32 v8, 0x7fc0
	s_delay_alu instid0(VALU_DEP_1) | instskip(NEXT) | instid1(VALU_DEP_1)
	v_cmp_neq_f32_e64 s0, 0, v7
	s_and_saveexec_b32 s4, s0
	s_cbranch_execz .LBB757_42
; %bb.41:
	v_div_scale_f32 v8, null, v7, v7, v17
	s_delay_alu instid0(VALU_DEP_1) | instskip(SKIP_2) | instid1(VALU_DEP_1)
	v_rcp_f32_e32 v10, v8
	s_waitcnt_depctr 0xfff
	v_fma_f32 v11, -v8, v10, 1.0
	v_fmac_f32_e32 v10, v11, v10
	v_div_scale_f32 v11, vcc_lo, v17, v7, v17
	s_delay_alu instid0(VALU_DEP_1) | instskip(NEXT) | instid1(VALU_DEP_1)
	v_mul_f32_e32 v12, v11, v10
	v_fma_f32 v13, -v8, v12, v11
	s_delay_alu instid0(VALU_DEP_1) | instskip(NEXT) | instid1(VALU_DEP_1)
	v_fmac_f32_e32 v12, v13, v10
	v_fma_f32 v8, -v8, v12, v11
	s_delay_alu instid0(VALU_DEP_1) | instskip(NEXT) | instid1(VALU_DEP_1)
	v_div_fmas_f32 v8, v8, v10, v12
	v_div_fixup_f32 v8, v8, v7, v17
	s_delay_alu instid0(VALU_DEP_1) | instskip(SKIP_1) | instid1(VALU_DEP_2)
	v_bfe_u32 v10, v8, 16, 1
	v_cmp_o_f32_e32 vcc_lo, v8, v8
	v_add3_u32 v10, v8, v10, 0x7fff
	s_delay_alu instid0(VALU_DEP_1) | instskip(NEXT) | instid1(VALU_DEP_1)
	v_lshrrev_b32_e32 v10, 16, v10
	v_cndmask_b32_e32 v8, 0x7fc0, v10, vcc_lo
.LBB757_42:
	s_or_b32 exec_lo, exec_lo, s4
	global_store_b16 v[0:1], v8, off
	s_and_b32 exec_lo, exec_lo, s2
	s_cbranch_execz .LBB757_46
; %bb.43:
	v_mov_b32_e32 v8, 0x7fc0
	s_and_saveexec_b32 s4, s0
	s_cbranch_execz .LBB757_45
; %bb.44:
	v_div_scale_f32 v8, null, v7, v7, v6
	s_delay_alu instid0(VALU_DEP_1) | instskip(SKIP_2) | instid1(VALU_DEP_1)
	v_rcp_f32_e32 v10, v8
	s_waitcnt_depctr 0xfff
	v_fma_f32 v11, -v8, v10, 1.0
	v_fmac_f32_e32 v10, v11, v10
	v_div_scale_f32 v11, vcc_lo, v6, v7, v6
	s_delay_alu instid0(VALU_DEP_1) | instskip(NEXT) | instid1(VALU_DEP_1)
	v_mul_f32_e32 v12, v11, v10
	v_fma_f32 v13, -v8, v12, v11
	s_delay_alu instid0(VALU_DEP_1) | instskip(NEXT) | instid1(VALU_DEP_1)
	v_fmac_f32_e32 v12, v13, v10
	v_fma_f32 v8, -v8, v12, v11
	s_delay_alu instid0(VALU_DEP_1) | instskip(NEXT) | instid1(VALU_DEP_1)
	v_div_fmas_f32 v8, v8, v10, v12
	v_div_fixup_f32 v6, v8, v7, v6
	s_delay_alu instid0(VALU_DEP_1) | instskip(SKIP_1) | instid1(VALU_DEP_2)
	v_bfe_u32 v7, v6, 16, 1
	v_cmp_o_f32_e32 vcc_lo, v6, v6
	v_add3_u32 v7, v6, v7, 0x7fff
	s_delay_alu instid0(VALU_DEP_1) | instskip(NEXT) | instid1(VALU_DEP_1)
	v_lshrrev_b32_e32 v7, 16, v7
	v_cndmask_b32_e32 v8, 0x7fc0, v7, vcc_lo
.LBB757_45:
	s_or_b32 exec_lo, exec_lo, s4
	global_store_b16 v[0:1], v8, off offset:64
.LBB757_46:
	s_or_b32 exec_lo, exec_lo, s1
	v_cmp_ne_u32_e32 vcc_lo, 1, v9
	s_and_b32 exec_lo, exec_lo, vcc_lo
	s_cbranch_execz .LBB757_50
; %bb.47:
	s_and_b32 exec_lo, exec_lo, s3
	s_cbranch_execz .LBB757_50
; %bb.48:
	s_waitcnt lgkmcnt(0)
	v_add_f32_e32 v2, v2, v3
	s_mov_b32 s7, 0
	s_delay_alu instid0(SALU_CYCLE_1) | instskip(NEXT) | instid1(VALU_DEP_1)
	s_lshl_b64 s[4:5], s[6:7], 1
	v_div_scale_f32 v3, null, v2, v2, v4
	v_div_scale_f32 v8, vcc_lo, v4, v2, v4
	s_delay_alu instid0(VALU_DEP_2) | instskip(SKIP_2) | instid1(VALU_DEP_1)
	v_rcp_f32_e32 v6, v3
	s_waitcnt_depctr 0xfff
	v_fma_f32 v7, -v3, v6, 1.0
	v_fmac_f32_e32 v6, v7, v6
	s_delay_alu instid0(VALU_DEP_1) | instskip(SKIP_1) | instid1(VALU_DEP_2)
	v_mul_f32_e32 v7, v8, v6
	v_cmp_eq_f32_e64 s0, 0, v2
	v_fma_f32 v9, -v3, v7, v8
	s_delay_alu instid0(VALU_DEP_1) | instskip(NEXT) | instid1(VALU_DEP_1)
	v_fmac_f32_e32 v7, v9, v6
	v_fma_f32 v3, -v3, v7, v8
	s_delay_alu instid0(VALU_DEP_1) | instskip(NEXT) | instid1(VALU_DEP_1)
	v_div_fmas_f32 v3, v3, v6, v7
	v_div_fixup_f32 v3, v3, v2, v4
	s_delay_alu instid0(VALU_DEP_1) | instskip(SKIP_1) | instid1(VALU_DEP_2)
	v_bfe_u32 v4, v3, 16, 1
	v_cmp_u_f32_e32 vcc_lo, v3, v3
	v_add3_u32 v4, v3, v4, 0x7fff
	v_add_co_u32 v3, s1, v0, s4
	s_delay_alu instid0(VALU_DEP_2)
	v_lshrrev_b32_e32 v6, 16, v4
	v_add_co_ci_u32_e64 v4, s1, s5, v1, s1
	s_or_b32 s1, s0, vcc_lo
	s_delay_alu instid0(VALU_DEP_2) | instid1(SALU_CYCLE_1)
	v_cndmask_b32_e64 v6, v6, 0x7fc0, s1
	global_store_b16 v[3:4], v6, off
	s_and_b32 exec_lo, exec_lo, s2
	s_cbranch_execz .LBB757_50
; %bb.49:
	v_div_scale_f32 v3, null, v2, v2, v5
	v_div_scale_f32 v7, vcc_lo, v5, v2, v5
	s_ashr_i32 s7, s6, 31
	s_delay_alu instid0(VALU_DEP_2) | instskip(SKIP_1) | instid1(SALU_CYCLE_1)
	v_rcp_f32_e32 v4, v3
	s_lshl_b64 s[2:3], s[6:7], 1
	v_add_co_u32 v0, s1, v0, s2
	s_delay_alu instid0(VALU_DEP_1) | instskip(SKIP_2) | instid1(VALU_DEP_1)
	v_add_co_ci_u32_e64 v1, s1, s3, v1, s1
	s_waitcnt_depctr 0xfff
	v_fma_f32 v6, -v3, v4, 1.0
	v_fmac_f32_e32 v4, v6, v4
	s_delay_alu instid0(VALU_DEP_1) | instskip(NEXT) | instid1(VALU_DEP_1)
	v_mul_f32_e32 v6, v7, v4
	v_fma_f32 v8, -v3, v6, v7
	s_delay_alu instid0(VALU_DEP_1) | instskip(NEXT) | instid1(VALU_DEP_1)
	v_fmac_f32_e32 v6, v8, v4
	v_fma_f32 v3, -v3, v6, v7
	s_delay_alu instid0(VALU_DEP_1) | instskip(NEXT) | instid1(VALU_DEP_1)
	v_div_fmas_f32 v3, v3, v4, v6
	v_div_fixup_f32 v2, v3, v2, v5
	s_delay_alu instid0(VALU_DEP_1) | instskip(SKIP_1) | instid1(VALU_DEP_2)
	v_bfe_u32 v3, v2, 16, 1
	v_cmp_u_f32_e32 vcc_lo, v2, v2
	v_add3_u32 v3, v2, v3, 0x7fff
	s_or_b32 s0, s0, vcc_lo
	s_delay_alu instid0(VALU_DEP_1) | instskip(NEXT) | instid1(VALU_DEP_1)
	v_lshrrev_b32_e32 v2, 16, v3
	v_cndmask_b32_e64 v2, v2, 0x7fc0, s0
	global_store_b16 v[0:1], v2, off offset:64
.LBB757_50:
	s_nop 0
	s_sendmsg sendmsg(MSG_DEALLOC_VGPRS)
	s_endpgm
	.section	.rodata,"a",@progbits
	.p2align	6, 0x0
	.amdhsa_kernel _ZN12_GLOBAL__N_120softmax_warp_forwardIN3c108BFloat16ES2_fLi6ELb0ELb1ELi32EEEvPT0_PKT_iiiPKbib
		.amdhsa_group_segment_fixed_size 0
		.amdhsa_private_segment_fixed_size 0
		.amdhsa_kernarg_size 304
		.amdhsa_user_sgpr_count 15
		.amdhsa_user_sgpr_dispatch_ptr 0
		.amdhsa_user_sgpr_queue_ptr 0
		.amdhsa_user_sgpr_kernarg_segment_ptr 1
		.amdhsa_user_sgpr_dispatch_id 0
		.amdhsa_user_sgpr_private_segment_size 0
		.amdhsa_wavefront_size32 1
		.amdhsa_uses_dynamic_stack 0
		.amdhsa_enable_private_segment 0
		.amdhsa_system_sgpr_workgroup_id_x 1
		.amdhsa_system_sgpr_workgroup_id_y 0
		.amdhsa_system_sgpr_workgroup_id_z 0
		.amdhsa_system_sgpr_workgroup_info 0
		.amdhsa_system_vgpr_workitem_id 1
		.amdhsa_next_free_vgpr 22
		.amdhsa_next_free_sgpr 18
		.amdhsa_reserve_vcc 1
		.amdhsa_float_round_mode_32 0
		.amdhsa_float_round_mode_16_64 0
		.amdhsa_float_denorm_mode_32 3
		.amdhsa_float_denorm_mode_16_64 3
		.amdhsa_dx10_clamp 1
		.amdhsa_ieee_mode 1
		.amdhsa_fp16_overflow 0
		.amdhsa_workgroup_processor_mode 1
		.amdhsa_memory_ordered 1
		.amdhsa_forward_progress 0
		.amdhsa_shared_vgpr_count 0
		.amdhsa_exception_fp_ieee_invalid_op 0
		.amdhsa_exception_fp_denorm_src 0
		.amdhsa_exception_fp_ieee_div_zero 0
		.amdhsa_exception_fp_ieee_overflow 0
		.amdhsa_exception_fp_ieee_underflow 0
		.amdhsa_exception_fp_ieee_inexact 0
		.amdhsa_exception_int_div_zero 0
	.end_amdhsa_kernel
	.section	.text._ZN12_GLOBAL__N_120softmax_warp_forwardIN3c108BFloat16ES2_fLi6ELb0ELb1ELi32EEEvPT0_PKT_iiiPKbib,"axG",@progbits,_ZN12_GLOBAL__N_120softmax_warp_forwardIN3c108BFloat16ES2_fLi6ELb0ELb1ELi32EEEvPT0_PKT_iiiPKbib,comdat
.Lfunc_end757:
	.size	_ZN12_GLOBAL__N_120softmax_warp_forwardIN3c108BFloat16ES2_fLi6ELb0ELb1ELi32EEEvPT0_PKT_iiiPKbib, .Lfunc_end757-_ZN12_GLOBAL__N_120softmax_warp_forwardIN3c108BFloat16ES2_fLi6ELb0ELb1ELi32EEEvPT0_PKT_iiiPKbib
                                        ; -- End function
	.section	.AMDGPU.csdata,"",@progbits
; Kernel info:
; codeLenInByte = 3320
; NumSgprs: 20
; NumVgprs: 22
; ScratchSize: 0
; MemoryBound: 0
; FloatMode: 240
; IeeeMode: 1
; LDSByteSize: 0 bytes/workgroup (compile time only)
; SGPRBlocks: 2
; VGPRBlocks: 2
; NumSGPRsForWavesPerEU: 20
; NumVGPRsForWavesPerEU: 22
; Occupancy: 16
; WaveLimiterHint : 0
; COMPUTE_PGM_RSRC2:SCRATCH_EN: 0
; COMPUTE_PGM_RSRC2:USER_SGPR: 15
; COMPUTE_PGM_RSRC2:TRAP_HANDLER: 0
; COMPUTE_PGM_RSRC2:TGID_X_EN: 1
; COMPUTE_PGM_RSRC2:TGID_Y_EN: 0
; COMPUTE_PGM_RSRC2:TGID_Z_EN: 0
; COMPUTE_PGM_RSRC2:TIDIG_COMP_CNT: 1
	.section	.text._ZN12_GLOBAL__N_120softmax_warp_forwardIN3c108BFloat16ES2_fLi7ELb0ELb1ELi64EEEvPT0_PKT_iiiPKbib,"axG",@progbits,_ZN12_GLOBAL__N_120softmax_warp_forwardIN3c108BFloat16ES2_fLi7ELb0ELb1ELi64EEEvPT0_PKT_iiiPKbib,comdat
	.globl	_ZN12_GLOBAL__N_120softmax_warp_forwardIN3c108BFloat16ES2_fLi7ELb0ELb1ELi64EEEvPT0_PKT_iiiPKbib ; -- Begin function _ZN12_GLOBAL__N_120softmax_warp_forwardIN3c108BFloat16ES2_fLi7ELb0ELb1ELi64EEEvPT0_PKT_iiiPKbib
	.p2align	8
	.type	_ZN12_GLOBAL__N_120softmax_warp_forwardIN3c108BFloat16ES2_fLi7ELb0ELb1ELi64EEEvPT0_PKT_iiiPKbib,@function
_ZN12_GLOBAL__N_120softmax_warp_forwardIN3c108BFloat16ES2_fLi7ELb0ELb1ELi64EEEvPT0_PKT_iiiPKbib: ; @_ZN12_GLOBAL__N_120softmax_warp_forwardIN3c108BFloat16ES2_fLi7ELb0ELb1ELi64EEEvPT0_PKT_iiiPKbib
; %bb.0:
	s_clause 0x2
	s_load_b64 s[2:3], s[0:1], 0x28
	s_load_b32 s8, s[0:1], 0x3c
	s_load_b128 s[4:7], s[0:1], 0x10
	v_bfe_u32 v1, v0, 10, 10
	v_and_b32_e32 v4, 0x3ff, v0
	s_waitcnt lgkmcnt(0)
	s_bitcmp1_b32 s3, 0
	s_cselect_b32 s14, -1, 0
	s_lshr_b32 s7, s8, 16
	s_bitcmp0_b32 s3, 0
	s_mul_i32 s15, s15, s7
	s_delay_alu instid0(SALU_CYCLE_1) | instskip(NEXT) | instid1(VALU_DEP_1)
	v_add_lshl_u32 v5, s15, v1, 1
	v_mul_lo_u32 v6, v5, s5
	s_delay_alu instid0(VALU_DEP_1) | instskip(NEXT) | instid1(VALU_DEP_1)
	v_add_nc_u32_e32 v0, v6, v4
	v_ashrrev_i32_e32 v1, 31, v0
	s_delay_alu instid0(VALU_DEP_1)
	v_dual_mov_b32 v3, v1 :: v_dual_mov_b32 v2, v0
	s_cbranch_scc1 .LBB758_2
; %bb.1:
	s_abs_i32 s3, s2
	v_sub_nc_u32_e32 v7, 0, v6
	v_cvt_f32_u32_e32 v2, s3
	s_sub_i32 s7, 0, s3
	s_delay_alu instid0(VALU_DEP_2) | instskip(NEXT) | instid1(VALU_DEP_2)
	v_max_i32_e32 v7, v6, v7
	v_rcp_iflag_f32_e32 v2, v2
	v_xor_b32_e32 v6, s2, v6
	s_delay_alu instid0(VALU_DEP_1) | instskip(SKIP_2) | instid1(VALU_DEP_1)
	v_ashrrev_i32_e32 v6, 31, v6
	s_waitcnt_depctr 0xfff
	v_mul_f32_e32 v2, 0x4f7ffffe, v2
	v_cvt_u32_f32_e32 v2, v2
	s_delay_alu instid0(VALU_DEP_1) | instskip(NEXT) | instid1(VALU_DEP_1)
	v_mul_lo_u32 v3, s7, v2
	v_mul_hi_u32 v3, v2, v3
	s_delay_alu instid0(VALU_DEP_1) | instskip(NEXT) | instid1(VALU_DEP_1)
	v_add_nc_u32_e32 v2, v2, v3
	v_mul_hi_u32 v2, v7, v2
	s_delay_alu instid0(VALU_DEP_1) | instskip(NEXT) | instid1(VALU_DEP_1)
	v_mul_lo_u32 v3, v2, s3
	v_sub_nc_u32_e32 v3, v7, v3
	v_add_nc_u32_e32 v7, 1, v2
	s_delay_alu instid0(VALU_DEP_2) | instskip(SKIP_1) | instid1(VALU_DEP_2)
	v_subrev_nc_u32_e32 v8, s3, v3
	v_cmp_le_u32_e32 vcc_lo, s3, v3
	v_dual_cndmask_b32 v3, v3, v8 :: v_dual_cndmask_b32 v2, v2, v7
	s_delay_alu instid0(VALU_DEP_1) | instskip(NEXT) | instid1(VALU_DEP_2)
	v_cmp_le_u32_e32 vcc_lo, s3, v3
	v_add_nc_u32_e32 v7, 1, v2
	s_delay_alu instid0(VALU_DEP_1) | instskip(NEXT) | instid1(VALU_DEP_1)
	v_cndmask_b32_e32 v2, v2, v7, vcc_lo
	v_xor_b32_e32 v2, v2, v6
	s_delay_alu instid0(VALU_DEP_1) | instskip(NEXT) | instid1(VALU_DEP_1)
	v_sub_nc_u32_e32 v6, v2, v6
	v_mad_u64_u32 v[2:3], null, v6, s5, v[4:5]
	s_delay_alu instid0(VALU_DEP_1)
	v_ashrrev_i32_e32 v3, 31, v2
.LBB758_2:
	s_load_b128 s[8:11], s[0:1], 0x0
	v_lshlrev_b64 v[0:1], 1, v[0:1]
	v_sub_nc_u32_e32 v9, s4, v5
	v_cmp_gt_i32_e64 s3, s6, v4
	v_dual_mov_b32 v11, 0xff800000 :: v_dual_mov_b32 v6, 0xff800000
	s_delay_alu instid0(VALU_DEP_3) | instskip(NEXT) | instid1(VALU_DEP_3)
	v_cmp_lt_i32_e32 vcc_lo, 0, v9
	s_and_b32 s13, vcc_lo, s3
	s_waitcnt lgkmcnt(0)
	v_add_co_u32 v7, s2, s10, v0
	s_delay_alu instid0(VALU_DEP_1)
	v_add_co_ci_u32_e64 v8, s2, s11, v1, s2
	s_and_saveexec_b32 s2, s13
	s_cbranch_execz .LBB758_4
; %bb.3:
	global_load_u16 v5, v[7:8], off
	s_waitcnt vmcnt(0)
	v_lshlrev_b32_e32 v6, 16, v5
.LBB758_4:
	s_or_b32 exec_lo, exec_lo, s2
	v_add_nc_u32_e32 v4, 64, v4
	s_delay_alu instid0(VALU_DEP_1) | instskip(NEXT) | instid1(VALU_DEP_1)
	v_cmp_gt_i32_e64 s2, s6, v4
	s_and_b32 s12, vcc_lo, s2
	s_delay_alu instid0(SALU_CYCLE_1)
	s_and_saveexec_b32 s4, s12
	s_cbranch_execz .LBB758_6
; %bb.5:
	global_load_u16 v4, v[7:8], off offset:128
	s_waitcnt vmcnt(0)
	v_lshlrev_b32_e32 v11, 16, v4
.LBB758_6:
	s_or_b32 exec_lo, exec_lo, s4
	v_cmp_lt_i32_e64 s4, 1, v9
	v_dual_mov_b32 v10, 0xff800000 :: v_dual_mov_b32 v5, 0xff800000
	s_delay_alu instid0(VALU_DEP_2) | instskip(NEXT) | instid1(SALU_CYCLE_1)
	s_and_b32 s11, s4, s3
	s_and_saveexec_b32 s10, s11
	s_cbranch_execz .LBB758_8
; %bb.7:
	s_mov_b32 s7, 0
	s_delay_alu instid0(SALU_CYCLE_1) | instskip(NEXT) | instid1(SALU_CYCLE_1)
	s_lshl_b64 s[16:17], s[6:7], 1
	v_add_co_u32 v4, s5, v7, s16
	s_delay_alu instid0(VALU_DEP_1)
	v_add_co_ci_u32_e64 v5, s5, s17, v8, s5
	global_load_u16 v4, v[4:5], off
	s_waitcnt vmcnt(0)
	v_lshlrev_b32_e32 v5, 16, v4
.LBB758_8:
	s_or_b32 exec_lo, exec_lo, s10
	s_and_b32 s10, s4, s2
	s_delay_alu instid0(SALU_CYCLE_1)
	s_and_saveexec_b32 s5, s10
	s_cbranch_execz .LBB758_10
; %bb.9:
	s_mov_b32 s7, 0
	s_delay_alu instid0(SALU_CYCLE_1) | instskip(NEXT) | instid1(SALU_CYCLE_1)
	s_lshl_b64 s[16:17], s[6:7], 1
	v_add_co_u32 v7, s4, v7, s16
	s_delay_alu instid0(VALU_DEP_1)
	v_add_co_ci_u32_e64 v8, s4, s17, v8, s4
	global_load_u16 v4, v[7:8], off offset:128
	s_waitcnt vmcnt(0)
	v_lshlrev_b32_e32 v10, 16, v4
.LBB758_10:
	s_or_b32 exec_lo, exec_lo, s5
	s_load_b64 s[0:1], s[0:1], 0x20
	v_mov_b32_e32 v8, v7
	v_mov_b32_e32 v7, v6
	s_waitcnt lgkmcnt(0)
	v_add_co_u32 v2, s0, s0, v2
	s_delay_alu instid0(VALU_DEP_1)
	v_add_co_ci_u32_e64 v3, s0, s1, v3, s0
	s_mov_b32 s1, 0
	s_and_saveexec_b32 s4, s13
	s_cbranch_execz .LBB758_12
; %bb.11:
	global_load_u8 v4, v[2:3], off
	v_mov_b32_e32 v8, v7
	s_waitcnt vmcnt(0)
	v_dual_mov_b32 v7, v6 :: v_dual_and_b32 v4, 1, v4
	s_delay_alu instid0(VALU_DEP_1) | instskip(NEXT) | instid1(VALU_DEP_1)
	v_cmp_eq_u32_e64 s0, 1, v4
	s_xor_b32 s0, s0, -1
	s_delay_alu instid0(SALU_CYCLE_1)
	s_and_b32 s1, s0, exec_lo
.LBB758_12:
	s_or_b32 exec_lo, exec_lo, s4
	s_and_saveexec_b32 s4, s12
	s_cbranch_execz .LBB758_16
; %bb.13:
	global_load_u8 v4, v[2:3], off offset:64
	s_waitcnt vmcnt(0)
	v_and_b32_e32 v4, 1, v4
	s_delay_alu instid0(VALU_DEP_1) | instskip(NEXT) | instid1(VALU_DEP_1)
	v_cmp_eq_u32_e64 s0, 1, v4
	s_xor_b32 s7, s0, -1
	s_mov_b32 s0, s1
	s_and_saveexec_b32 s5, s7
; %bb.14:
	v_cmp_gt_f32_e64 s0, v7, v11
	s_delay_alu instid0(VALU_DEP_1) | instskip(NEXT) | instid1(SALU_CYCLE_1)
	s_and_b32 s0, s1, s0
	v_cndmask_b32_e64 v7, v11, v7, s0
	s_or_b32 s0, s1, exec_lo
; %bb.15:
	s_or_b32 exec_lo, exec_lo, s5
	s_delay_alu instid0(SALU_CYCLE_1) | instskip(SKIP_1) | instid1(SALU_CYCLE_1)
	s_and_not1_b32 s1, s1, exec_lo
	s_and_b32 s0, s0, exec_lo
	s_or_b32 s1, s1, s0
.LBB758_16:
	s_or_b32 exec_lo, exec_lo, s4
	v_cndmask_b32_e64 v4, 0xff800000, v7, s1
	v_mov_b32_e32 v8, v5
	s_and_b32 s0, s14, exec_lo
	s_mov_b32 s4, 0
	s_cselect_b32 s1, 0, s6
	v_mov_b32_e32 v7, v4
	s_and_saveexec_b32 s5, s11
	s_cbranch_execz .LBB758_18
; %bb.17:
	s_ashr_i32 s4, s1, 31
	v_add_co_u32 v7, s0, v2, s1
	s_delay_alu instid0(VALU_DEP_1) | instskip(SKIP_3) | instid1(VALU_DEP_1)
	v_add_co_ci_u32_e64 v8, s0, s4, v3, s0
	global_load_u8 v7, v[7:8], off
	s_waitcnt vmcnt(0)
	v_and_b32_e32 v7, 1, v7
	v_cmp_eq_u32_e64 s0, 1, v7
	v_dual_mov_b32 v8, v5 :: v_dual_mov_b32 v7, v4
	s_delay_alu instid0(VALU_DEP_2) | instskip(NEXT) | instid1(SALU_CYCLE_1)
	s_xor_b32 s0, s0, -1
	s_and_b32 s4, s0, exec_lo
.LBB758_18:
	s_or_b32 exec_lo, exec_lo, s5
	s_and_saveexec_b32 s5, s10
	s_cbranch_execz .LBB758_22
; %bb.19:
	s_ashr_i32 s7, s1, 31
	v_add_co_u32 v12, s0, v2, s1
	s_delay_alu instid0(VALU_DEP_1) | instskip(SKIP_3) | instid1(VALU_DEP_1)
	v_add_co_ci_u32_e64 v13, s0, s7, v3, s0
	global_load_u8 v4, v[12:13], off offset:64
	s_waitcnt vmcnt(0)
	v_and_b32_e32 v4, 1, v4
	v_cmp_eq_u32_e64 s0, 1, v4
	s_delay_alu instid0(VALU_DEP_1)
	s_xor_b32 s14, s0, -1
	s_mov_b32 s0, s4
	s_and_saveexec_b32 s7, s14
; %bb.20:
	v_cmp_gt_f32_e64 s0, v8, v10
	s_delay_alu instid0(VALU_DEP_1) | instskip(NEXT) | instid1(SALU_CYCLE_1)
	s_and_b32 s0, s4, s0
	v_cndmask_b32_e64 v8, v10, v8, s0
	s_or_b32 s0, s4, exec_lo
; %bb.21:
	s_or_b32 exec_lo, exec_lo, s7
	s_delay_alu instid0(SALU_CYCLE_1) | instskip(SKIP_1) | instid1(SALU_CYCLE_1)
	s_and_not1_b32 s4, s4, exec_lo
	s_and_b32 s0, s0, exec_lo
	s_or_b32 s4, s4, s0
.LBB758_22:
	s_or_b32 exec_lo, exec_lo, s5
	v_mbcnt_lo_u32_b32 v4, -1, 0
	v_cndmask_b32_e64 v7, v7, v7, s4
	v_cndmask_b32_e64 v8, 0xff800000, v8, s4
	s_mov_b32 s4, 0
	s_delay_alu instid0(SALU_CYCLE_1) | instskip(SKIP_2) | instid1(VALU_DEP_2)
	s_mov_b32 s5, s4
	v_or_b32_e32 v12, 32, v4
	v_xor_b32_e32 v13, 16, v4
	v_cmp_gt_i32_e64 s0, 64, v12
	s_delay_alu instid0(VALU_DEP_1) | instskip(NEXT) | instid1(VALU_DEP_3)
	v_cndmask_b32_e64 v12, v4, v12, s0
	v_cmp_gt_i32_e64 s0, 64, v13
	s_delay_alu instid0(VALU_DEP_2) | instskip(NEXT) | instid1(VALU_DEP_2)
	v_lshlrev_b32_e32 v12, 2, v12
	v_cndmask_b32_e64 v13, v4, v13, s0
	ds_bpermute_b32 v14, v12, v7
	ds_bpermute_b32 v15, v12, v8
	v_lshlrev_b32_e32 v13, 2, v13
	s_waitcnt lgkmcnt(1)
	v_cmp_lt_f32_e64 s0, v7, v14
	s_delay_alu instid0(VALU_DEP_1)
	v_cndmask_b32_e64 v7, v7, v14, s0
	s_waitcnt lgkmcnt(0)
	v_cmp_lt_f32_e64 s0, v8, v15
	v_xor_b32_e32 v14, 8, v4
	ds_bpermute_b32 v16, v13, v7
	v_cndmask_b32_e64 v8, v8, v15, s0
	v_cmp_gt_i32_e64 s0, 64, v14
	ds_bpermute_b32 v15, v13, v8
	v_cndmask_b32_e64 v14, v4, v14, s0
	s_delay_alu instid0(VALU_DEP_1) | instskip(SKIP_2) | instid1(VALU_DEP_1)
	v_lshlrev_b32_e32 v14, 2, v14
	s_waitcnt lgkmcnt(1)
	v_cmp_lt_f32_e64 s0, v7, v16
	v_cndmask_b32_e64 v7, v7, v16, s0
	s_waitcnt lgkmcnt(0)
	v_cmp_lt_f32_e64 s0, v8, v15
	ds_bpermute_b32 v16, v14, v7
	v_cndmask_b32_e64 v8, v8, v15, s0
	v_xor_b32_e32 v15, 4, v4
	ds_bpermute_b32 v17, v14, v8
	v_cmp_gt_i32_e64 s0, 64, v15
	s_delay_alu instid0(VALU_DEP_1) | instskip(NEXT) | instid1(VALU_DEP_1)
	v_cndmask_b32_e64 v15, v4, v15, s0
	v_lshlrev_b32_e32 v15, 2, v15
	s_waitcnt lgkmcnt(1)
	v_cmp_lt_f32_e64 s0, v7, v16
	s_delay_alu instid0(VALU_DEP_1)
	v_cndmask_b32_e64 v7, v7, v16, s0
	s_waitcnt lgkmcnt(0)
	v_cmp_lt_f32_e64 s0, v8, v17
	v_xor_b32_e32 v16, 2, v4
	ds_bpermute_b32 v18, v15, v7
	v_cndmask_b32_e64 v8, v8, v17, s0
	v_cmp_gt_i32_e64 s0, 64, v16
	ds_bpermute_b32 v17, v15, v8
	v_cndmask_b32_e64 v16, v4, v16, s0
	s_delay_alu instid0(VALU_DEP_1) | instskip(SKIP_2) | instid1(VALU_DEP_1)
	v_lshlrev_b32_e32 v16, 2, v16
	s_waitcnt lgkmcnt(1)
	v_cmp_lt_f32_e64 s0, v7, v18
	v_cndmask_b32_e64 v7, v7, v18, s0
	s_waitcnt lgkmcnt(0)
	v_cmp_lt_f32_e64 s0, v8, v17
	ds_bpermute_b32 v18, v16, v7
	v_cndmask_b32_e64 v8, v8, v17, s0
	v_xor_b32_e32 v17, 1, v4
	ds_bpermute_b32 v19, v16, v8
	v_cmp_gt_i32_e64 s0, 64, v17
	s_delay_alu instid0(VALU_DEP_1) | instskip(NEXT) | instid1(VALU_DEP_1)
	v_cndmask_b32_e64 v4, v4, v17, s0
	v_dual_mov_b32 v4, 0 :: v_dual_lshlrev_b32 v17, 2, v4
	s_waitcnt lgkmcnt(1)
	v_cmp_lt_f32_e64 s0, v7, v18
	s_delay_alu instid0(VALU_DEP_1)
	v_cndmask_b32_e64 v18, v7, v18, s0
	s_waitcnt lgkmcnt(0)
	v_cmp_lt_f32_e64 s0, v8, v19
	ds_bpermute_b32 v21, v17, v18
	v_cndmask_b32_e64 v19, v8, v19, s0
	v_dual_mov_b32 v8, s5 :: v_dual_mov_b32 v7, s4
	s_waitcnt lgkmcnt(0)
	v_cmp_lt_f32_e64 s0, v18, v21
	s_delay_alu instid0(VALU_DEP_1)
	v_cndmask_b32_e64 v21, v18, v21, s0
	v_mov_b32_e32 v18, 0
	ds_bpermute_b32 v20, v17, v19
	s_and_saveexec_b32 s7, s13
	s_cbranch_execz .LBB758_26
; %bb.23:
	global_load_u8 v7, v[2:3], off
	s_waitcnt vmcnt(0)
	v_dual_mov_b32 v18, 0 :: v_dual_and_b32 v7, 1, v7
	s_delay_alu instid0(VALU_DEP_1) | instskip(SKIP_1) | instid1(VALU_DEP_2)
	v_cmp_eq_u32_e64 s0, 1, v7
	v_dual_mov_b32 v8, s5 :: v_dual_mov_b32 v7, s4
	s_xor_b32 s0, s0, -1
	s_delay_alu instid0(SALU_CYCLE_1)
	s_and_saveexec_b32 s4, s0
	s_cbranch_execz .LBB758_25
; %bb.24:
	v_sub_f32_e32 v6, v6, v21
	s_delay_alu instid0(VALU_DEP_1) | instskip(NEXT) | instid1(VALU_DEP_1)
	v_mul_f32_e32 v7, 0x3fb8aa3b, v6
	v_fma_f32 v8, 0x3fb8aa3b, v6, -v7
	v_rndne_f32_e32 v18, v7
	s_delay_alu instid0(VALU_DEP_1) | instskip(SKIP_1) | instid1(VALU_DEP_2)
	v_dual_sub_f32 v7, v7, v18 :: v_dual_fmamk_f32 v8, v6, 0x32a5705f, v8
	v_cmp_ngt_f32_e64 s0, 0xc2ce8ed0, v6
	v_add_f32_e32 v7, v7, v8
	v_cvt_i32_f32_e32 v8, v18
	s_delay_alu instid0(VALU_DEP_2) | instskip(SKIP_3) | instid1(VALU_DEP_2)
	v_exp_f32_e32 v7, v7
	s_waitcnt_depctr 0xfff
	v_ldexp_f32 v7, v7, v8
	v_mov_b32_e32 v8, 0
	v_cndmask_b32_e64 v7, 0, v7, s0
	v_cmp_nlt_f32_e64 s0, 0x42b17218, v6
	s_delay_alu instid0(VALU_DEP_1) | instskip(NEXT) | instid1(VALU_DEP_1)
	v_cndmask_b32_e64 v7, 0x7f800000, v7, s0
	v_mov_b32_e32 v18, v7
.LBB758_25:
	s_or_b32 exec_lo, exec_lo, s4
.LBB758_26:
	s_delay_alu instid0(SALU_CYCLE_1)
	s_or_b32 exec_lo, exec_lo, s7
	v_mov_b32_e32 v6, 0
	s_and_saveexec_b32 s4, s12
	s_cbranch_execz .LBB758_30
; %bb.27:
	global_load_u8 v6, v[2:3], off offset:64
	s_waitcnt vmcnt(0)
	v_and_b32_e32 v6, 1, v6
	s_delay_alu instid0(VALU_DEP_1) | instskip(SKIP_1) | instid1(VALU_DEP_2)
	v_cmp_eq_u32_e64 s0, 1, v6
	v_mov_b32_e32 v6, 0
	s_xor_b32 s0, s0, -1
	s_delay_alu instid0(SALU_CYCLE_1)
	s_and_saveexec_b32 s5, s0
	s_cbranch_execz .LBB758_29
; %bb.28:
	v_sub_f32_e32 v6, v11, v21
	s_delay_alu instid0(VALU_DEP_1) | instskip(SKIP_1) | instid1(VALU_DEP_2)
	v_mul_f32_e32 v11, 0x3fb8aa3b, v6
	v_cmp_ngt_f32_e64 s0, 0xc2ce8ed0, v6
	v_fma_f32 v21, 0x3fb8aa3b, v6, -v11
	v_rndne_f32_e32 v22, v11
	s_delay_alu instid0(VALU_DEP_2) | instskip(NEXT) | instid1(VALU_DEP_2)
	v_fmamk_f32 v21, v6, 0x32a5705f, v21
	v_sub_f32_e32 v11, v11, v22
	s_delay_alu instid0(VALU_DEP_1) | instskip(SKIP_1) | instid1(VALU_DEP_2)
	v_add_f32_e32 v11, v11, v21
	v_cvt_i32_f32_e32 v21, v22
	v_exp_f32_e32 v11, v11
	s_waitcnt_depctr 0xfff
	v_ldexp_f32 v11, v11, v21
	s_delay_alu instid0(VALU_DEP_1) | instskip(SKIP_1) | instid1(VALU_DEP_1)
	v_cndmask_b32_e64 v11, 0, v11, s0
	v_cmp_nlt_f32_e64 s0, 0x42b17218, v6
	v_cndmask_b32_e64 v6, 0x7f800000, v11, s0
	s_delay_alu instid0(VALU_DEP_1)
	v_add_f32_e32 v7, v7, v6
.LBB758_29:
	s_or_b32 exec_lo, exec_lo, s5
.LBB758_30:
	s_delay_alu instid0(SALU_CYCLE_1) | instskip(SKIP_2) | instid1(VALU_DEP_1)
	s_or_b32 exec_lo, exec_lo, s4
	s_waitcnt lgkmcnt(0)
	v_cmp_lt_f32_e64 s0, v19, v20
	v_cndmask_b32_e64 v11, v19, v20, s0
	s_and_saveexec_b32 s4, s11
	s_cbranch_execz .LBB758_34
; %bb.31:
	s_ashr_i32 s5, s1, 31
	v_add_co_u32 v19, s0, v2, s1
	s_delay_alu instid0(VALU_DEP_1) | instskip(SKIP_3) | instid1(VALU_DEP_1)
	v_add_co_ci_u32_e64 v20, s0, s5, v3, s0
	global_load_u8 v4, v[19:20], off
	s_waitcnt vmcnt(0)
	v_and_b32_e32 v4, 1, v4
	v_cmp_eq_u32_e64 s0, 1, v4
	v_mov_b32_e32 v4, 0
	s_delay_alu instid0(VALU_DEP_2) | instskip(NEXT) | instid1(SALU_CYCLE_1)
	s_xor_b32 s0, s0, -1
	s_and_saveexec_b32 s5, s0
	s_cbranch_execz .LBB758_33
; %bb.32:
	v_sub_f32_e32 v4, v5, v11
	s_delay_alu instid0(VALU_DEP_1) | instskip(SKIP_1) | instid1(VALU_DEP_2)
	v_mul_f32_e32 v5, 0x3fb8aa3b, v4
	v_cmp_ngt_f32_e64 s0, 0xc2ce8ed0, v4
	v_fma_f32 v19, 0x3fb8aa3b, v4, -v5
	v_rndne_f32_e32 v20, v5
	s_delay_alu instid0(VALU_DEP_2) | instskip(NEXT) | instid1(VALU_DEP_2)
	v_fmamk_f32 v19, v4, 0x32a5705f, v19
	v_sub_f32_e32 v5, v5, v20
	s_delay_alu instid0(VALU_DEP_1) | instskip(SKIP_1) | instid1(VALU_DEP_2)
	v_add_f32_e32 v5, v5, v19
	v_cvt_i32_f32_e32 v19, v20
	v_exp_f32_e32 v5, v5
	s_waitcnt_depctr 0xfff
	v_ldexp_f32 v5, v5, v19
	s_delay_alu instid0(VALU_DEP_1) | instskip(SKIP_1) | instid1(VALU_DEP_1)
	v_cndmask_b32_e64 v5, 0, v5, s0
	v_cmp_nlt_f32_e64 s0, 0x42b17218, v4
	v_cndmask_b32_e64 v4, 0x7f800000, v5, s0
	s_delay_alu instid0(VALU_DEP_1)
	v_add_f32_e32 v8, v8, v4
.LBB758_33:
	s_or_b32 exec_lo, exec_lo, s5
.LBB758_34:
	s_delay_alu instid0(SALU_CYCLE_1)
	s_or_b32 exec_lo, exec_lo, s4
	v_mov_b32_e32 v5, 0
	s_and_saveexec_b32 s4, s10
	s_cbranch_execz .LBB758_38
; %bb.35:
	s_ashr_i32 s5, s1, 31
	v_add_co_u32 v2, s0, v2, s1
	s_delay_alu instid0(VALU_DEP_1) | instskip(SKIP_4) | instid1(VALU_DEP_1)
	v_add_co_ci_u32_e64 v3, s0, s5, v3, s0
	v_mov_b32_e32 v5, 0
	global_load_u8 v2, v[2:3], off offset:64
	s_waitcnt vmcnt(0)
	v_and_b32_e32 v2, 1, v2
	v_cmp_eq_u32_e64 s0, 1, v2
	s_delay_alu instid0(VALU_DEP_1) | instskip(NEXT) | instid1(SALU_CYCLE_1)
	s_xor_b32 s0, s0, -1
	s_and_saveexec_b32 s1, s0
	s_cbranch_execz .LBB758_37
; %bb.36:
	v_sub_f32_e32 v2, v10, v11
	s_delay_alu instid0(VALU_DEP_1) | instskip(NEXT) | instid1(VALU_DEP_1)
	v_mul_f32_e32 v3, 0x3fb8aa3b, v2
	v_fma_f32 v5, 0x3fb8aa3b, v2, -v3
	v_rndne_f32_e32 v10, v3
	s_delay_alu instid0(VALU_DEP_1) | instskip(NEXT) | instid1(VALU_DEP_3)
	v_sub_f32_e32 v3, v3, v10
	v_fmamk_f32 v5, v2, 0x32a5705f, v5
	v_cmp_ngt_f32_e64 s0, 0xc2ce8ed0, v2
	s_delay_alu instid0(VALU_DEP_2) | instskip(SKIP_1) | instid1(VALU_DEP_2)
	v_add_f32_e32 v3, v3, v5
	v_cvt_i32_f32_e32 v5, v10
	v_exp_f32_e32 v3, v3
	s_waitcnt_depctr 0xfff
	v_ldexp_f32 v3, v3, v5
	s_delay_alu instid0(VALU_DEP_1) | instskip(SKIP_1) | instid1(VALU_DEP_1)
	v_cndmask_b32_e64 v3, 0, v3, s0
	v_cmp_nlt_f32_e64 s0, 0x42b17218, v2
	v_cndmask_b32_e64 v5, 0x7f800000, v3, s0
	s_delay_alu instid0(VALU_DEP_1)
	v_add_f32_e32 v8, v8, v5
.LBB758_37:
	s_or_b32 exec_lo, exec_lo, s1
.LBB758_38:
	s_delay_alu instid0(SALU_CYCLE_1)
	s_or_b32 exec_lo, exec_lo, s4
	ds_bpermute_b32 v2, v12, v7
	ds_bpermute_b32 v3, v12, v8
	s_waitcnt lgkmcnt(0)
	v_dual_add_f32 v2, v7, v2 :: v_dual_add_f32 v3, v8, v3
	ds_bpermute_b32 v7, v13, v2
	ds_bpermute_b32 v8, v13, v3
	s_waitcnt lgkmcnt(0)
	v_dual_add_f32 v2, v2, v7 :: v_dual_add_f32 v3, v3, v8
	;; [unrolled: 4-line block ×5, first 2 shown]
	ds_bpermute_b32 v8, v17, v7
	ds_bpermute_b32 v3, v17, v2
	s_and_saveexec_b32 s0, vcc_lo
	s_cbranch_execz .LBB758_50
; %bb.39:
	v_add_co_u32 v0, vcc_lo, s8, v0
	v_add_co_ci_u32_e32 v1, vcc_lo, s9, v1, vcc_lo
	s_and_saveexec_b32 s1, s3
	s_cbranch_execz .LBB758_46
; %bb.40:
	s_waitcnt lgkmcnt(1)
	v_dual_add_f32 v7, v7, v8 :: v_dual_mov_b32 v8, 0x7fc0
	s_delay_alu instid0(VALU_DEP_1) | instskip(NEXT) | instid1(VALU_DEP_1)
	v_cmp_neq_f32_e64 s0, 0, v7
	s_and_saveexec_b32 s4, s0
	s_cbranch_execz .LBB758_42
; %bb.41:
	v_div_scale_f32 v8, null, v7, v7, v18
	s_delay_alu instid0(VALU_DEP_1) | instskip(SKIP_2) | instid1(VALU_DEP_1)
	v_rcp_f32_e32 v10, v8
	s_waitcnt_depctr 0xfff
	v_fma_f32 v11, -v8, v10, 1.0
	v_fmac_f32_e32 v10, v11, v10
	v_div_scale_f32 v11, vcc_lo, v18, v7, v18
	s_delay_alu instid0(VALU_DEP_1) | instskip(NEXT) | instid1(VALU_DEP_1)
	v_mul_f32_e32 v12, v11, v10
	v_fma_f32 v13, -v8, v12, v11
	s_delay_alu instid0(VALU_DEP_1) | instskip(NEXT) | instid1(VALU_DEP_1)
	v_fmac_f32_e32 v12, v13, v10
	v_fma_f32 v8, -v8, v12, v11
	s_delay_alu instid0(VALU_DEP_1) | instskip(NEXT) | instid1(VALU_DEP_1)
	v_div_fmas_f32 v8, v8, v10, v12
	v_div_fixup_f32 v8, v8, v7, v18
	s_delay_alu instid0(VALU_DEP_1) | instskip(SKIP_1) | instid1(VALU_DEP_2)
	v_bfe_u32 v10, v8, 16, 1
	v_cmp_o_f32_e32 vcc_lo, v8, v8
	v_add3_u32 v10, v8, v10, 0x7fff
	s_delay_alu instid0(VALU_DEP_1) | instskip(NEXT) | instid1(VALU_DEP_1)
	v_lshrrev_b32_e32 v10, 16, v10
	v_cndmask_b32_e32 v8, 0x7fc0, v10, vcc_lo
.LBB758_42:
	s_or_b32 exec_lo, exec_lo, s4
	global_store_b16 v[0:1], v8, off
	s_and_b32 exec_lo, exec_lo, s2
	s_cbranch_execz .LBB758_46
; %bb.43:
	v_mov_b32_e32 v8, 0x7fc0
	s_and_saveexec_b32 s4, s0
	s_cbranch_execz .LBB758_45
; %bb.44:
	v_div_scale_f32 v8, null, v7, v7, v6
	s_delay_alu instid0(VALU_DEP_1) | instskip(SKIP_2) | instid1(VALU_DEP_1)
	v_rcp_f32_e32 v10, v8
	s_waitcnt_depctr 0xfff
	v_fma_f32 v11, -v8, v10, 1.0
	v_fmac_f32_e32 v10, v11, v10
	v_div_scale_f32 v11, vcc_lo, v6, v7, v6
	s_delay_alu instid0(VALU_DEP_1) | instskip(NEXT) | instid1(VALU_DEP_1)
	v_mul_f32_e32 v12, v11, v10
	v_fma_f32 v13, -v8, v12, v11
	s_delay_alu instid0(VALU_DEP_1) | instskip(NEXT) | instid1(VALU_DEP_1)
	v_fmac_f32_e32 v12, v13, v10
	v_fma_f32 v8, -v8, v12, v11
	s_delay_alu instid0(VALU_DEP_1) | instskip(NEXT) | instid1(VALU_DEP_1)
	v_div_fmas_f32 v8, v8, v10, v12
	v_div_fixup_f32 v6, v8, v7, v6
	s_delay_alu instid0(VALU_DEP_1) | instskip(SKIP_1) | instid1(VALU_DEP_2)
	v_bfe_u32 v7, v6, 16, 1
	v_cmp_o_f32_e32 vcc_lo, v6, v6
	v_add3_u32 v7, v6, v7, 0x7fff
	s_delay_alu instid0(VALU_DEP_1) | instskip(NEXT) | instid1(VALU_DEP_1)
	v_lshrrev_b32_e32 v7, 16, v7
	v_cndmask_b32_e32 v8, 0x7fc0, v7, vcc_lo
.LBB758_45:
	s_or_b32 exec_lo, exec_lo, s4
	global_store_b16 v[0:1], v8, off offset:128
.LBB758_46:
	s_or_b32 exec_lo, exec_lo, s1
	v_cmp_ne_u32_e32 vcc_lo, 1, v9
	s_and_b32 exec_lo, exec_lo, vcc_lo
	s_cbranch_execz .LBB758_50
; %bb.47:
	s_and_b32 exec_lo, exec_lo, s3
	s_cbranch_execz .LBB758_50
; %bb.48:
	s_waitcnt lgkmcnt(0)
	v_add_f32_e32 v2, v2, v3
	s_mov_b32 s7, 0
	s_delay_alu instid0(SALU_CYCLE_1) | instskip(NEXT) | instid1(VALU_DEP_1)
	s_lshl_b64 s[4:5], s[6:7], 1
	v_div_scale_f32 v3, null, v2, v2, v4
	v_div_scale_f32 v8, vcc_lo, v4, v2, v4
	s_delay_alu instid0(VALU_DEP_2) | instskip(SKIP_2) | instid1(VALU_DEP_1)
	v_rcp_f32_e32 v6, v3
	s_waitcnt_depctr 0xfff
	v_fma_f32 v7, -v3, v6, 1.0
	v_fmac_f32_e32 v6, v7, v6
	s_delay_alu instid0(VALU_DEP_1) | instskip(SKIP_1) | instid1(VALU_DEP_2)
	v_mul_f32_e32 v7, v8, v6
	v_cmp_eq_f32_e64 s0, 0, v2
	v_fma_f32 v9, -v3, v7, v8
	s_delay_alu instid0(VALU_DEP_1) | instskip(NEXT) | instid1(VALU_DEP_1)
	v_fmac_f32_e32 v7, v9, v6
	v_fma_f32 v3, -v3, v7, v8
	s_delay_alu instid0(VALU_DEP_1) | instskip(NEXT) | instid1(VALU_DEP_1)
	v_div_fmas_f32 v3, v3, v6, v7
	v_div_fixup_f32 v3, v3, v2, v4
	s_delay_alu instid0(VALU_DEP_1) | instskip(SKIP_1) | instid1(VALU_DEP_2)
	v_bfe_u32 v4, v3, 16, 1
	v_cmp_u_f32_e32 vcc_lo, v3, v3
	v_add3_u32 v4, v3, v4, 0x7fff
	v_add_co_u32 v3, s1, v0, s4
	s_delay_alu instid0(VALU_DEP_2)
	v_lshrrev_b32_e32 v6, 16, v4
	v_add_co_ci_u32_e64 v4, s1, s5, v1, s1
	s_or_b32 s1, s0, vcc_lo
	s_delay_alu instid0(VALU_DEP_2) | instid1(SALU_CYCLE_1)
	v_cndmask_b32_e64 v6, v6, 0x7fc0, s1
	global_store_b16 v[3:4], v6, off
	s_and_b32 exec_lo, exec_lo, s2
	s_cbranch_execz .LBB758_50
; %bb.49:
	v_div_scale_f32 v3, null, v2, v2, v5
	v_div_scale_f32 v7, vcc_lo, v5, v2, v5
	s_ashr_i32 s7, s6, 31
	s_delay_alu instid0(VALU_DEP_2) | instskip(SKIP_1) | instid1(SALU_CYCLE_1)
	v_rcp_f32_e32 v4, v3
	s_lshl_b64 s[2:3], s[6:7], 1
	v_add_co_u32 v0, s1, v0, s2
	s_delay_alu instid0(VALU_DEP_1) | instskip(SKIP_2) | instid1(VALU_DEP_1)
	v_add_co_ci_u32_e64 v1, s1, s3, v1, s1
	s_waitcnt_depctr 0xfff
	v_fma_f32 v6, -v3, v4, 1.0
	v_fmac_f32_e32 v4, v6, v4
	s_delay_alu instid0(VALU_DEP_1) | instskip(NEXT) | instid1(VALU_DEP_1)
	v_mul_f32_e32 v6, v7, v4
	v_fma_f32 v8, -v3, v6, v7
	s_delay_alu instid0(VALU_DEP_1) | instskip(NEXT) | instid1(VALU_DEP_1)
	v_fmac_f32_e32 v6, v8, v4
	v_fma_f32 v3, -v3, v6, v7
	s_delay_alu instid0(VALU_DEP_1) | instskip(NEXT) | instid1(VALU_DEP_1)
	v_div_fmas_f32 v3, v3, v4, v6
	v_div_fixup_f32 v2, v3, v2, v5
	s_delay_alu instid0(VALU_DEP_1) | instskip(SKIP_1) | instid1(VALU_DEP_2)
	v_bfe_u32 v3, v2, 16, 1
	v_cmp_u_f32_e32 vcc_lo, v2, v2
	v_add3_u32 v3, v2, v3, 0x7fff
	s_or_b32 s0, s0, vcc_lo
	s_delay_alu instid0(VALU_DEP_1) | instskip(NEXT) | instid1(VALU_DEP_1)
	v_lshrrev_b32_e32 v2, 16, v3
	v_cndmask_b32_e64 v2, v2, 0x7fc0, s0
	global_store_b16 v[0:1], v2, off offset:128
.LBB758_50:
	s_nop 0
	s_sendmsg sendmsg(MSG_DEALLOC_VGPRS)
	s_endpgm
	.section	.rodata,"a",@progbits
	.p2align	6, 0x0
	.amdhsa_kernel _ZN12_GLOBAL__N_120softmax_warp_forwardIN3c108BFloat16ES2_fLi7ELb0ELb1ELi64EEEvPT0_PKT_iiiPKbib
		.amdhsa_group_segment_fixed_size 0
		.amdhsa_private_segment_fixed_size 0
		.amdhsa_kernarg_size 304
		.amdhsa_user_sgpr_count 15
		.amdhsa_user_sgpr_dispatch_ptr 0
		.amdhsa_user_sgpr_queue_ptr 0
		.amdhsa_user_sgpr_kernarg_segment_ptr 1
		.amdhsa_user_sgpr_dispatch_id 0
		.amdhsa_user_sgpr_private_segment_size 0
		.amdhsa_wavefront_size32 1
		.amdhsa_uses_dynamic_stack 0
		.amdhsa_enable_private_segment 0
		.amdhsa_system_sgpr_workgroup_id_x 1
		.amdhsa_system_sgpr_workgroup_id_y 0
		.amdhsa_system_sgpr_workgroup_id_z 0
		.amdhsa_system_sgpr_workgroup_info 0
		.amdhsa_system_vgpr_workitem_id 1
		.amdhsa_next_free_vgpr 23
		.amdhsa_next_free_sgpr 18
		.amdhsa_reserve_vcc 1
		.amdhsa_float_round_mode_32 0
		.amdhsa_float_round_mode_16_64 0
		.amdhsa_float_denorm_mode_32 3
		.amdhsa_float_denorm_mode_16_64 3
		.amdhsa_dx10_clamp 1
		.amdhsa_ieee_mode 1
		.amdhsa_fp16_overflow 0
		.amdhsa_workgroup_processor_mode 1
		.amdhsa_memory_ordered 1
		.amdhsa_forward_progress 0
		.amdhsa_shared_vgpr_count 0
		.amdhsa_exception_fp_ieee_invalid_op 0
		.amdhsa_exception_fp_denorm_src 0
		.amdhsa_exception_fp_ieee_div_zero 0
		.amdhsa_exception_fp_ieee_overflow 0
		.amdhsa_exception_fp_ieee_underflow 0
		.amdhsa_exception_fp_ieee_inexact 0
		.amdhsa_exception_int_div_zero 0
	.end_amdhsa_kernel
	.section	.text._ZN12_GLOBAL__N_120softmax_warp_forwardIN3c108BFloat16ES2_fLi7ELb0ELb1ELi64EEEvPT0_PKT_iiiPKbib,"axG",@progbits,_ZN12_GLOBAL__N_120softmax_warp_forwardIN3c108BFloat16ES2_fLi7ELb0ELb1ELi64EEEvPT0_PKT_iiiPKbib,comdat
.Lfunc_end758:
	.size	_ZN12_GLOBAL__N_120softmax_warp_forwardIN3c108BFloat16ES2_fLi7ELb0ELb1ELi64EEEvPT0_PKT_iiiPKbib, .Lfunc_end758-_ZN12_GLOBAL__N_120softmax_warp_forwardIN3c108BFloat16ES2_fLi7ELb0ELb1ELi64EEEvPT0_PKT_iiiPKbib
                                        ; -- End function
	.section	.AMDGPU.csdata,"",@progbits
; Kernel info:
; codeLenInByte = 3444
; NumSgprs: 20
; NumVgprs: 23
; ScratchSize: 0
; MemoryBound: 0
; FloatMode: 240
; IeeeMode: 1
; LDSByteSize: 0 bytes/workgroup (compile time only)
; SGPRBlocks: 2
; VGPRBlocks: 2
; NumSGPRsForWavesPerEU: 20
; NumVGPRsForWavesPerEU: 23
; Occupancy: 16
; WaveLimiterHint : 0
; COMPUTE_PGM_RSRC2:SCRATCH_EN: 0
; COMPUTE_PGM_RSRC2:USER_SGPR: 15
; COMPUTE_PGM_RSRC2:TRAP_HANDLER: 0
; COMPUTE_PGM_RSRC2:TGID_X_EN: 1
; COMPUTE_PGM_RSRC2:TGID_Y_EN: 0
; COMPUTE_PGM_RSRC2:TGID_Z_EN: 0
; COMPUTE_PGM_RSRC2:TIDIG_COMP_CNT: 1
	.section	.text._ZN12_GLOBAL__N_120softmax_warp_forwardIN3c108BFloat16ES2_fLi7ELb0ELb1ELi32EEEvPT0_PKT_iiiPKbib,"axG",@progbits,_ZN12_GLOBAL__N_120softmax_warp_forwardIN3c108BFloat16ES2_fLi7ELb0ELb1ELi32EEEvPT0_PKT_iiiPKbib,comdat
	.globl	_ZN12_GLOBAL__N_120softmax_warp_forwardIN3c108BFloat16ES2_fLi7ELb0ELb1ELi32EEEvPT0_PKT_iiiPKbib ; -- Begin function _ZN12_GLOBAL__N_120softmax_warp_forwardIN3c108BFloat16ES2_fLi7ELb0ELb1ELi32EEEvPT0_PKT_iiiPKbib
	.p2align	8
	.type	_ZN12_GLOBAL__N_120softmax_warp_forwardIN3c108BFloat16ES2_fLi7ELb0ELb1ELi32EEEvPT0_PKT_iiiPKbib,@function
_ZN12_GLOBAL__N_120softmax_warp_forwardIN3c108BFloat16ES2_fLi7ELb0ELb1ELi32EEEvPT0_PKT_iiiPKbib: ; @_ZN12_GLOBAL__N_120softmax_warp_forwardIN3c108BFloat16ES2_fLi7ELb0ELb1ELi32EEEvPT0_PKT_iiiPKbib
; %bb.0:
	s_clause 0x2
	s_load_b64 s[2:3], s[0:1], 0x28
	s_load_b32 s4, s[0:1], 0x3c
	s_load_b128 s[8:11], s[0:1], 0x10
	v_bfe_u32 v1, v0, 10, 10
	v_and_b32_e32 v4, 0x3ff, v0
	s_waitcnt lgkmcnt(0)
	s_bitcmp1_b32 s3, 0
	s_cselect_b32 s20, -1, 0
	s_lshr_b32 s4, s4, 16
	s_bitcmp0_b32 s3, 0
	s_mul_i32 s15, s15, s4
	s_delay_alu instid0(SALU_CYCLE_1) | instskip(NEXT) | instid1(VALU_DEP_1)
	v_add_lshl_u32 v5, s15, v1, 1
	v_mul_lo_u32 v6, v5, s9
	s_delay_alu instid0(VALU_DEP_1) | instskip(NEXT) | instid1(VALU_DEP_1)
	v_add_nc_u32_e32 v0, v6, v4
	v_ashrrev_i32_e32 v1, 31, v0
	s_delay_alu instid0(VALU_DEP_1)
	v_dual_mov_b32 v3, v1 :: v_dual_mov_b32 v2, v0
	s_cbranch_scc1 .LBB759_2
; %bb.1:
	s_abs_i32 s3, s2
	v_sub_nc_u32_e32 v7, 0, v6
	v_cvt_f32_u32_e32 v2, s3
	s_sub_i32 s4, 0, s3
	s_delay_alu instid0(VALU_DEP_2) | instskip(NEXT) | instid1(VALU_DEP_2)
	v_max_i32_e32 v7, v6, v7
	v_rcp_iflag_f32_e32 v2, v2
	v_xor_b32_e32 v6, s2, v6
	s_delay_alu instid0(VALU_DEP_1) | instskip(SKIP_2) | instid1(VALU_DEP_1)
	v_ashrrev_i32_e32 v6, 31, v6
	s_waitcnt_depctr 0xfff
	v_mul_f32_e32 v2, 0x4f7ffffe, v2
	v_cvt_u32_f32_e32 v2, v2
	s_delay_alu instid0(VALU_DEP_1) | instskip(NEXT) | instid1(VALU_DEP_1)
	v_mul_lo_u32 v3, s4, v2
	v_mul_hi_u32 v3, v2, v3
	s_delay_alu instid0(VALU_DEP_1) | instskip(NEXT) | instid1(VALU_DEP_1)
	v_add_nc_u32_e32 v2, v2, v3
	v_mul_hi_u32 v2, v7, v2
	s_delay_alu instid0(VALU_DEP_1) | instskip(NEXT) | instid1(VALU_DEP_1)
	v_mul_lo_u32 v3, v2, s3
	v_sub_nc_u32_e32 v3, v7, v3
	v_add_nc_u32_e32 v7, 1, v2
	s_delay_alu instid0(VALU_DEP_2) | instskip(SKIP_1) | instid1(VALU_DEP_2)
	v_subrev_nc_u32_e32 v8, s3, v3
	v_cmp_le_u32_e32 vcc_lo, s3, v3
	v_dual_cndmask_b32 v3, v3, v8 :: v_dual_cndmask_b32 v2, v2, v7
	s_delay_alu instid0(VALU_DEP_1) | instskip(NEXT) | instid1(VALU_DEP_2)
	v_cmp_le_u32_e32 vcc_lo, s3, v3
	v_add_nc_u32_e32 v7, 1, v2
	s_delay_alu instid0(VALU_DEP_1) | instskip(NEXT) | instid1(VALU_DEP_1)
	v_cndmask_b32_e32 v2, v2, v7, vcc_lo
	v_xor_b32_e32 v2, v2, v6
	s_delay_alu instid0(VALU_DEP_1) | instskip(NEXT) | instid1(VALU_DEP_1)
	v_sub_nc_u32_e32 v6, v2, v6
	v_mad_u64_u32 v[2:3], null, v6, s9, v[4:5]
	s_delay_alu instid0(VALU_DEP_1)
	v_ashrrev_i32_e32 v3, 31, v2
.LBB759_2:
	s_load_b128 s[12:15], s[0:1], 0x0
	v_lshlrev_b64 v[0:1], 1, v[0:1]
	v_sub_nc_u32_e32 v9, s8, v5
	v_cmp_gt_i32_e64 s5, s10, v4
	v_dual_mov_b32 v15, 0xff800000 :: v_dual_mov_b32 v6, 0xff800000
	s_delay_alu instid0(VALU_DEP_3) | instskip(NEXT) | instid1(VALU_DEP_3)
	v_cmp_lt_i32_e32 vcc_lo, 0, v9
	s_and_b32 s19, vcc_lo, s5
	s_waitcnt lgkmcnt(0)
	v_add_co_u32 v7, s2, s14, v0
	s_delay_alu instid0(VALU_DEP_1)
	v_add_co_ci_u32_e64 v8, s2, s15, v1, s2
	s_and_saveexec_b32 s2, s19
	s_cbranch_execz .LBB759_4
; %bb.3:
	global_load_u16 v5, v[7:8], off
	s_waitcnt vmcnt(0)
	v_lshlrev_b32_e32 v6, 16, v5
.LBB759_4:
	s_or_b32 exec_lo, exec_lo, s2
	v_add_nc_u32_e32 v5, 32, v4
	s_delay_alu instid0(VALU_DEP_1) | instskip(NEXT) | instid1(VALU_DEP_1)
	v_cmp_gt_i32_e64 s4, s10, v5
	s_and_b32 s18, vcc_lo, s4
	s_delay_alu instid0(SALU_CYCLE_1)
	s_and_saveexec_b32 s2, s18
	s_cbranch_execz .LBB759_6
; %bb.5:
	global_load_u16 v5, v[7:8], off offset:64
	s_waitcnt vmcnt(0)
	v_lshlrev_b32_e32 v15, 16, v5
.LBB759_6:
	s_or_b32 exec_lo, exec_lo, s2
	v_dual_mov_b32 v14, 0xff800000 :: v_dual_add_nc_u32 v5, 64, v4
	v_mov_b32_e32 v13, 0xff800000
	s_delay_alu instid0(VALU_DEP_2) | instskip(NEXT) | instid1(VALU_DEP_1)
	v_cmp_gt_i32_e64 s3, s10, v5
	s_and_b32 s17, vcc_lo, s3
	s_delay_alu instid0(SALU_CYCLE_1)
	s_and_saveexec_b32 s2, s17
	s_cbranch_execz .LBB759_8
; %bb.7:
	global_load_u16 v5, v[7:8], off offset:128
	s_waitcnt vmcnt(0)
	v_lshlrev_b32_e32 v14, 16, v5
.LBB759_8:
	s_or_b32 exec_lo, exec_lo, s2
	v_add_nc_u32_e32 v4, 0x60, v4
	s_delay_alu instid0(VALU_DEP_1) | instskip(NEXT) | instid1(VALU_DEP_1)
	v_cmp_gt_i32_e64 s2, s10, v4
	s_and_b32 s16, vcc_lo, s2
	s_delay_alu instid0(SALU_CYCLE_1)
	s_and_saveexec_b32 s6, s16
	s_cbranch_execz .LBB759_10
; %bb.9:
	global_load_u16 v4, v[7:8], off offset:192
	s_waitcnt vmcnt(0)
	v_lshlrev_b32_e32 v13, 16, v4
.LBB759_10:
	s_or_b32 exec_lo, exec_lo, s6
	v_cmp_lt_i32_e64 s6, 1, v9
	v_dual_mov_b32 v12, 0xff800000 :: v_dual_mov_b32 v5, 0xff800000
	s_delay_alu instid0(VALU_DEP_2) | instskip(NEXT) | instid1(SALU_CYCLE_1)
	s_and_b32 s15, s6, s5
	s_and_saveexec_b32 s8, s15
	s_cbranch_execz .LBB759_12
; %bb.11:
	s_mov_b32 s11, 0
	s_delay_alu instid0(SALU_CYCLE_1) | instskip(NEXT) | instid1(SALU_CYCLE_1)
	s_lshl_b64 s[22:23], s[10:11], 1
	v_add_co_u32 v4, s7, v7, s22
	s_delay_alu instid0(VALU_DEP_1)
	v_add_co_ci_u32_e64 v5, s7, s23, v8, s7
	global_load_u16 v4, v[4:5], off
	s_waitcnt vmcnt(0)
	v_lshlrev_b32_e32 v5, 16, v4
.LBB759_12:
	s_or_b32 exec_lo, exec_lo, s8
	s_and_b32 s14, s6, s4
	s_delay_alu instid0(SALU_CYCLE_1)
	s_and_saveexec_b32 s8, s14
	s_cbranch_execz .LBB759_14
; %bb.13:
	s_mov_b32 s11, 0
	s_delay_alu instid0(SALU_CYCLE_1) | instskip(NEXT) | instid1(SALU_CYCLE_1)
	s_lshl_b64 s[22:23], s[10:11], 1
	v_add_co_u32 v10, s7, v7, s22
	s_delay_alu instid0(VALU_DEP_1)
	v_add_co_ci_u32_e64 v11, s7, s23, v8, s7
	global_load_u16 v4, v[10:11], off offset:64
	s_waitcnt vmcnt(0)
	v_lshlrev_b32_e32 v12, 16, v4
.LBB759_14:
	s_or_b32 exec_lo, exec_lo, s8
	v_dual_mov_b32 v10, 0xff800000 :: v_dual_mov_b32 v11, 0xff800000
	s_and_b32 s9, s6, s3
	s_delay_alu instid0(SALU_CYCLE_1)
	s_and_saveexec_b32 s8, s9
	s_cbranch_execz .LBB759_16
; %bb.15:
	s_mov_b32 s11, 0
	s_delay_alu instid0(SALU_CYCLE_1) | instskip(NEXT) | instid1(SALU_CYCLE_1)
	s_lshl_b64 s[22:23], s[10:11], 1
	v_add_co_u32 v16, s7, v7, s22
	s_delay_alu instid0(VALU_DEP_1)
	v_add_co_ci_u32_e64 v17, s7, s23, v8, s7
	global_load_u16 v4, v[16:17], off offset:128
	s_waitcnt vmcnt(0)
	v_lshlrev_b32_e32 v11, 16, v4
.LBB759_16:
	s_or_b32 exec_lo, exec_lo, s8
	s_and_b32 s8, s6, s2
	s_delay_alu instid0(SALU_CYCLE_1)
	s_and_saveexec_b32 s7, s8
	s_cbranch_execz .LBB759_18
; %bb.17:
	s_mov_b32 s11, 0
	s_delay_alu instid0(SALU_CYCLE_1) | instskip(NEXT) | instid1(SALU_CYCLE_1)
	s_lshl_b64 s[22:23], s[10:11], 1
	v_add_co_u32 v7, s6, v7, s22
	s_delay_alu instid0(VALU_DEP_1)
	v_add_co_ci_u32_e64 v8, s6, s23, v8, s6
	global_load_u16 v4, v[7:8], off offset:192
	s_waitcnt vmcnt(0)
	v_lshlrev_b32_e32 v10, 16, v4
.LBB759_18:
	s_or_b32 exec_lo, exec_lo, s7
	s_load_b64 s[0:1], s[0:1], 0x20
	v_mov_b32_e32 v8, v7
	v_mov_b32_e32 v7, v6
	s_waitcnt lgkmcnt(0)
	v_add_co_u32 v2, s0, s0, v2
	s_delay_alu instid0(VALU_DEP_1)
	v_add_co_ci_u32_e64 v3, s0, s1, v3, s0
	s_mov_b32 s1, 0
	s_and_saveexec_b32 s6, s19
	s_cbranch_execnz .LBB759_22
; %bb.19:
	s_or_b32 exec_lo, exec_lo, s6
	s_and_saveexec_b32 s6, s18
	s_cbranch_execnz .LBB759_23
.LBB759_20:
	s_or_b32 exec_lo, exec_lo, s6
	s_and_saveexec_b32 s6, s17
	s_cbranch_execnz .LBB759_26
.LBB759_21:
	s_or_b32 exec_lo, exec_lo, s6
	s_and_saveexec_b32 s6, s16
	s_cbranch_execnz .LBB759_29
	s_branch .LBB759_32
.LBB759_22:
	global_load_u8 v4, v[2:3], off
	v_mov_b32_e32 v8, v7
	s_waitcnt vmcnt(0)
	v_dual_mov_b32 v7, v6 :: v_dual_and_b32 v4, 1, v4
	s_delay_alu instid0(VALU_DEP_1) | instskip(NEXT) | instid1(VALU_DEP_1)
	v_cmp_eq_u32_e64 s0, 1, v4
	s_xor_b32 s0, s0, -1
	s_delay_alu instid0(SALU_CYCLE_1)
	s_and_b32 s1, s0, exec_lo
	s_or_b32 exec_lo, exec_lo, s6
	s_and_saveexec_b32 s6, s18
	s_cbranch_execz .LBB759_20
.LBB759_23:
	global_load_u8 v4, v[2:3], off offset:32
	s_waitcnt vmcnt(0)
	v_and_b32_e32 v4, 1, v4
	s_delay_alu instid0(VALU_DEP_1) | instskip(NEXT) | instid1(VALU_DEP_1)
	v_cmp_eq_u32_e64 s0, 1, v4
	s_xor_b32 s11, s0, -1
	s_mov_b32 s0, s1
	s_and_saveexec_b32 s7, s11
; %bb.24:
	v_cmp_gt_f32_e64 s0, v7, v15
	s_delay_alu instid0(VALU_DEP_1) | instskip(NEXT) | instid1(SALU_CYCLE_1)
	s_and_b32 s0, s1, s0
	v_cndmask_b32_e64 v7, v15, v7, s0
	s_or_b32 s0, s1, exec_lo
; %bb.25:
	s_or_b32 exec_lo, exec_lo, s7
	s_delay_alu instid0(SALU_CYCLE_1) | instskip(SKIP_1) | instid1(SALU_CYCLE_1)
	s_and_not1_b32 s1, s1, exec_lo
	s_and_b32 s0, s0, exec_lo
	s_or_b32 s1, s1, s0
	s_or_b32 exec_lo, exec_lo, s6
	s_and_saveexec_b32 s6, s17
	s_cbranch_execz .LBB759_21
.LBB759_26:
	global_load_u8 v4, v[2:3], off offset:64
	s_waitcnt vmcnt(0)
	v_and_b32_e32 v4, 1, v4
	s_delay_alu instid0(VALU_DEP_1) | instskip(NEXT) | instid1(VALU_DEP_1)
	v_cmp_eq_u32_e64 s0, 1, v4
	s_xor_b32 s11, s0, -1
	s_mov_b32 s0, s1
	s_and_saveexec_b32 s7, s11
; %bb.27:
	v_cmp_gt_f32_e64 s0, v7, v14
	s_delay_alu instid0(VALU_DEP_1) | instskip(NEXT) | instid1(SALU_CYCLE_1)
	s_and_b32 s0, s1, s0
	v_cndmask_b32_e64 v7, v14, v7, s0
	s_or_b32 s0, s1, exec_lo
; %bb.28:
	s_or_b32 exec_lo, exec_lo, s7
	s_delay_alu instid0(SALU_CYCLE_1) | instskip(SKIP_1) | instid1(SALU_CYCLE_1)
	s_and_not1_b32 s1, s1, exec_lo
	s_and_b32 s0, s0, exec_lo
	s_or_b32 s1, s1, s0
	s_or_b32 exec_lo, exec_lo, s6
	s_and_saveexec_b32 s6, s16
	s_cbranch_execz .LBB759_32
.LBB759_29:
	global_load_u8 v4, v[2:3], off offset:96
	s_waitcnt vmcnt(0)
	v_and_b32_e32 v4, 1, v4
	s_delay_alu instid0(VALU_DEP_1) | instskip(NEXT) | instid1(VALU_DEP_1)
	v_cmp_eq_u32_e64 s0, 1, v4
	s_xor_b32 s11, s0, -1
	s_mov_b32 s0, s1
	s_and_saveexec_b32 s7, s11
; %bb.30:
	v_cmp_gt_f32_e64 s0, v7, v13
	s_delay_alu instid0(VALU_DEP_1) | instskip(NEXT) | instid1(SALU_CYCLE_1)
	s_and_b32 s0, s1, s0
	v_cndmask_b32_e64 v7, v13, v7, s0
	s_or_b32 s0, s1, exec_lo
; %bb.31:
	s_or_b32 exec_lo, exec_lo, s7
	s_delay_alu instid0(SALU_CYCLE_1) | instskip(SKIP_1) | instid1(SALU_CYCLE_1)
	s_and_not1_b32 s1, s1, exec_lo
	s_and_b32 s0, s0, exec_lo
	s_or_b32 s1, s1, s0
.LBB759_32:
	s_or_b32 exec_lo, exec_lo, s6
	v_cndmask_b32_e64 v4, 0xff800000, v7, s1
	v_mov_b32_e32 v8, v5
	s_and_b32 s0, s20, exec_lo
	s_mov_b32 s6, 0
	s_cselect_b32 s1, 0, s10
	v_mov_b32_e32 v7, v4
	s_and_saveexec_b32 s7, s15
	s_cbranch_execnz .LBB759_36
; %bb.33:
	s_or_b32 exec_lo, exec_lo, s7
	s_and_saveexec_b32 s7, s14
	s_cbranch_execnz .LBB759_37
.LBB759_34:
	s_or_b32 exec_lo, exec_lo, s7
	s_and_saveexec_b32 s7, s9
	s_cbranch_execnz .LBB759_40
.LBB759_35:
	s_or_b32 exec_lo, exec_lo, s7
	s_and_saveexec_b32 s7, s8
	s_cbranch_execnz .LBB759_43
	s_branch .LBB759_46
.LBB759_36:
	s_ashr_i32 s6, s1, 31
	v_add_co_u32 v7, s0, v2, s1
	s_delay_alu instid0(VALU_DEP_1) | instskip(SKIP_3) | instid1(VALU_DEP_1)
	v_add_co_ci_u32_e64 v8, s0, s6, v3, s0
	global_load_u8 v7, v[7:8], off
	s_waitcnt vmcnt(0)
	v_and_b32_e32 v7, 1, v7
	v_cmp_eq_u32_e64 s0, 1, v7
	v_dual_mov_b32 v8, v5 :: v_dual_mov_b32 v7, v4
	s_delay_alu instid0(VALU_DEP_2) | instskip(NEXT) | instid1(SALU_CYCLE_1)
	s_xor_b32 s0, s0, -1
	s_and_b32 s6, s0, exec_lo
	s_or_b32 exec_lo, exec_lo, s7
	s_and_saveexec_b32 s7, s14
	s_cbranch_execz .LBB759_34
.LBB759_37:
	s_ashr_i32 s11, s1, 31
	v_add_co_u32 v16, s0, v2, s1
	s_delay_alu instid0(VALU_DEP_1) | instskip(SKIP_3) | instid1(VALU_DEP_1)
	v_add_co_ci_u32_e64 v17, s0, s11, v3, s0
	global_load_u8 v4, v[16:17], off offset:32
	s_waitcnt vmcnt(0)
	v_and_b32_e32 v4, 1, v4
	v_cmp_eq_u32_e64 s0, 1, v4
	s_delay_alu instid0(VALU_DEP_1)
	s_xor_b32 s20, s0, -1
	s_mov_b32 s0, s6
	s_and_saveexec_b32 s11, s20
; %bb.38:
	v_cmp_gt_f32_e64 s0, v8, v12
	s_delay_alu instid0(VALU_DEP_1) | instskip(NEXT) | instid1(SALU_CYCLE_1)
	s_and_b32 s0, s6, s0
	v_cndmask_b32_e64 v8, v12, v8, s0
	s_or_b32 s0, s6, exec_lo
; %bb.39:
	s_or_b32 exec_lo, exec_lo, s11
	s_delay_alu instid0(SALU_CYCLE_1) | instskip(SKIP_1) | instid1(SALU_CYCLE_1)
	s_and_not1_b32 s6, s6, exec_lo
	s_and_b32 s0, s0, exec_lo
	s_or_b32 s6, s6, s0
	s_or_b32 exec_lo, exec_lo, s7
	s_and_saveexec_b32 s7, s9
	s_cbranch_execz .LBB759_35
.LBB759_40:
	s_ashr_i32 s11, s1, 31
	v_add_co_u32 v16, s0, v2, s1
	s_delay_alu instid0(VALU_DEP_1) | instskip(SKIP_3) | instid1(VALU_DEP_1)
	v_add_co_ci_u32_e64 v17, s0, s11, v3, s0
	global_load_u8 v4, v[16:17], off offset:64
	s_waitcnt vmcnt(0)
	v_and_b32_e32 v4, 1, v4
	v_cmp_eq_u32_e64 s0, 1, v4
	s_delay_alu instid0(VALU_DEP_1)
	s_xor_b32 s20, s0, -1
	s_mov_b32 s0, s6
	s_and_saveexec_b32 s11, s20
; %bb.41:
	v_cmp_gt_f32_e64 s0, v8, v11
	s_delay_alu instid0(VALU_DEP_1) | instskip(NEXT) | instid1(SALU_CYCLE_1)
	s_and_b32 s0, s6, s0
	v_cndmask_b32_e64 v8, v11, v8, s0
	s_or_b32 s0, s6, exec_lo
; %bb.42:
	s_or_b32 exec_lo, exec_lo, s11
	s_delay_alu instid0(SALU_CYCLE_1) | instskip(SKIP_1) | instid1(SALU_CYCLE_1)
	s_and_not1_b32 s6, s6, exec_lo
	s_and_b32 s0, s0, exec_lo
	s_or_b32 s6, s6, s0
	s_or_b32 exec_lo, exec_lo, s7
	s_and_saveexec_b32 s7, s8
	s_cbranch_execz .LBB759_46
.LBB759_43:
	s_ashr_i32 s11, s1, 31
	v_add_co_u32 v16, s0, v2, s1
	s_delay_alu instid0(VALU_DEP_1) | instskip(SKIP_3) | instid1(VALU_DEP_1)
	v_add_co_ci_u32_e64 v17, s0, s11, v3, s0
	global_load_u8 v4, v[16:17], off offset:96
	s_waitcnt vmcnt(0)
	v_and_b32_e32 v4, 1, v4
	v_cmp_eq_u32_e64 s0, 1, v4
	s_delay_alu instid0(VALU_DEP_1)
	s_xor_b32 s20, s0, -1
	s_mov_b32 s0, s6
	s_and_saveexec_b32 s11, s20
; %bb.44:
	v_cmp_gt_f32_e64 s0, v8, v10
	s_delay_alu instid0(VALU_DEP_1) | instskip(NEXT) | instid1(SALU_CYCLE_1)
	s_and_b32 s0, s6, s0
	v_cndmask_b32_e64 v8, v10, v8, s0
	s_or_b32 s0, s6, exec_lo
; %bb.45:
	s_or_b32 exec_lo, exec_lo, s11
	s_delay_alu instid0(SALU_CYCLE_1) | instskip(SKIP_1) | instid1(SALU_CYCLE_1)
	s_and_not1_b32 s6, s6, exec_lo
	s_and_b32 s0, s0, exec_lo
	s_or_b32 s6, s6, s0
.LBB759_46:
	s_or_b32 exec_lo, exec_lo, s7
	v_mbcnt_lo_u32_b32 v4, -1, 0
	v_cndmask_b32_e64 v7, v7, v7, s6
	v_cndmask_b32_e64 v8, 0xff800000, v8, s6
	s_mov_b32 s6, 0
	s_delay_alu instid0(SALU_CYCLE_1) | instskip(SKIP_2) | instid1(VALU_DEP_2)
	s_mov_b32 s7, s6
	v_xor_b32_e32 v16, 16, v4
	v_xor_b32_e32 v17, 8, v4
	v_cmp_gt_i32_e64 s0, 32, v16
	s_delay_alu instid0(VALU_DEP_1) | instskip(NEXT) | instid1(VALU_DEP_3)
	v_cndmask_b32_e64 v16, v4, v16, s0
	v_cmp_gt_i32_e64 s0, 32, v17
	s_delay_alu instid0(VALU_DEP_2) | instskip(NEXT) | instid1(VALU_DEP_2)
	v_lshlrev_b32_e32 v16, 2, v16
	v_cndmask_b32_e64 v17, v4, v17, s0
	ds_bpermute_b32 v18, v16, v7
	ds_bpermute_b32 v19, v16, v8
	v_lshlrev_b32_e32 v17, 2, v17
	s_waitcnt lgkmcnt(1)
	v_cmp_lt_f32_e64 s0, v7, v18
	s_delay_alu instid0(VALU_DEP_1)
	v_cndmask_b32_e64 v7, v7, v18, s0
	s_waitcnt lgkmcnt(0)
	v_cmp_lt_f32_e64 s0, v8, v19
	v_xor_b32_e32 v18, 4, v4
	ds_bpermute_b32 v20, v17, v7
	v_cndmask_b32_e64 v8, v8, v19, s0
	v_cmp_gt_i32_e64 s0, 32, v18
	ds_bpermute_b32 v19, v17, v8
	v_cndmask_b32_e64 v18, v4, v18, s0
	s_delay_alu instid0(VALU_DEP_1) | instskip(SKIP_2) | instid1(VALU_DEP_1)
	v_lshlrev_b32_e32 v18, 2, v18
	s_waitcnt lgkmcnt(1)
	v_cmp_lt_f32_e64 s0, v7, v20
	v_cndmask_b32_e64 v7, v7, v20, s0
	s_waitcnt lgkmcnt(0)
	v_cmp_lt_f32_e64 s0, v8, v19
	ds_bpermute_b32 v20, v18, v7
	v_cndmask_b32_e64 v8, v8, v19, s0
	v_xor_b32_e32 v19, 2, v4
	ds_bpermute_b32 v21, v18, v8
	v_cmp_gt_i32_e64 s0, 32, v19
	s_delay_alu instid0(VALU_DEP_1) | instskip(NEXT) | instid1(VALU_DEP_1)
	v_cndmask_b32_e64 v19, v4, v19, s0
	v_lshlrev_b32_e32 v19, 2, v19
	s_waitcnt lgkmcnt(1)
	v_cmp_lt_f32_e64 s0, v7, v20
	s_delay_alu instid0(VALU_DEP_1)
	v_cndmask_b32_e64 v7, v7, v20, s0
	s_waitcnt lgkmcnt(0)
	v_cmp_lt_f32_e64 s0, v8, v21
	v_xor_b32_e32 v20, 1, v4
	ds_bpermute_b32 v22, v19, v7
	v_cndmask_b32_e64 v8, v8, v21, s0
	v_cmp_gt_i32_e64 s0, 32, v20
	ds_bpermute_b32 v21, v19, v8
	v_cndmask_b32_e64 v4, v4, v20, s0
	s_delay_alu instid0(VALU_DEP_1) | instskip(SKIP_3) | instid1(VALU_DEP_1)
	v_lshlrev_b32_e32 v20, 2, v4
	v_mov_b32_e32 v4, 0
	s_waitcnt lgkmcnt(1)
	v_cmp_lt_f32_e64 s0, v7, v22
	v_cndmask_b32_e64 v22, v7, v22, s0
	s_waitcnt lgkmcnt(0)
	v_cmp_lt_f32_e64 s0, v8, v21
	ds_bpermute_b32 v25, v20, v22
	v_cndmask_b32_e64 v23, v8, v21, s0
	v_dual_mov_b32 v8, s7 :: v_dual_mov_b32 v7, s6
	v_mov_b32_e32 v21, 0
	ds_bpermute_b32 v24, v20, v23
	s_waitcnt lgkmcnt(1)
	v_cmp_lt_f32_e64 s0, v22, v25
	s_delay_alu instid0(VALU_DEP_1)
	v_cndmask_b32_e64 v25, v22, v25, s0
	s_and_saveexec_b32 s11, s19
	s_cbranch_execnz .LBB759_49
; %bb.47:
	s_or_b32 exec_lo, exec_lo, s11
	v_mov_b32_e32 v22, 0
	s_and_saveexec_b32 s6, s18
	s_cbranch_execnz .LBB759_52
.LBB759_48:
	s_or_b32 exec_lo, exec_lo, s6
	s_and_saveexec_b32 s6, s17
	s_cbranch_execnz .LBB759_55
	s_branch .LBB759_58
.LBB759_49:
	global_load_u8 v7, v[2:3], off
	v_mov_b32_e32 v21, 0
	s_waitcnt vmcnt(0)
	v_and_b32_e32 v7, 1, v7
	s_delay_alu instid0(VALU_DEP_1) | instskip(SKIP_1) | instid1(VALU_DEP_2)
	v_cmp_eq_u32_e64 s0, 1, v7
	v_dual_mov_b32 v8, s7 :: v_dual_mov_b32 v7, s6
	s_xor_b32 s0, s0, -1
	s_delay_alu instid0(SALU_CYCLE_1)
	s_and_saveexec_b32 s6, s0
	s_cbranch_execz .LBB759_51
; %bb.50:
	v_sub_f32_e32 v6, v6, v25
	s_delay_alu instid0(VALU_DEP_1) | instskip(NEXT) | instid1(VALU_DEP_1)
	v_mul_f32_e32 v7, 0x3fb8aa3b, v6
	v_fma_f32 v8, 0x3fb8aa3b, v6, -v7
	v_rndne_f32_e32 v21, v7
	s_delay_alu instid0(VALU_DEP_1) | instskip(NEXT) | instid1(VALU_DEP_1)
	v_dual_fmamk_f32 v8, v6, 0x32a5705f, v8 :: v_dual_sub_f32 v7, v7, v21
	v_add_f32_e32 v7, v7, v8
	v_cvt_i32_f32_e32 v8, v21
	v_cmp_ngt_f32_e64 s0, 0xc2ce8ed0, v6
	s_delay_alu instid0(VALU_DEP_3) | instskip(SKIP_3) | instid1(VALU_DEP_2)
	v_exp_f32_e32 v7, v7
	s_waitcnt_depctr 0xfff
	v_ldexp_f32 v7, v7, v8
	v_mov_b32_e32 v8, 0
	v_cndmask_b32_e64 v7, 0, v7, s0
	v_cmp_nlt_f32_e64 s0, 0x42b17218, v6
	s_delay_alu instid0(VALU_DEP_1) | instskip(NEXT) | instid1(VALU_DEP_1)
	v_cndmask_b32_e64 v7, 0x7f800000, v7, s0
	v_mov_b32_e32 v21, v7
.LBB759_51:
	s_or_b32 exec_lo, exec_lo, s6
	s_delay_alu instid0(SALU_CYCLE_1)
	s_or_b32 exec_lo, exec_lo, s11
	v_mov_b32_e32 v22, 0
	s_and_saveexec_b32 s6, s18
	s_cbranch_execz .LBB759_48
.LBB759_52:
	global_load_u8 v6, v[2:3], off offset:32
	v_mov_b32_e32 v22, 0
	s_waitcnt vmcnt(0)
	v_and_b32_e32 v6, 1, v6
	s_delay_alu instid0(VALU_DEP_1) | instskip(NEXT) | instid1(VALU_DEP_1)
	v_cmp_eq_u32_e64 s0, 1, v6
	s_xor_b32 s0, s0, -1
	s_delay_alu instid0(SALU_CYCLE_1)
	s_and_saveexec_b32 s7, s0
	s_cbranch_execz .LBB759_54
; %bb.53:
	v_sub_f32_e32 v6, v15, v25
	s_delay_alu instid0(VALU_DEP_1) | instskip(SKIP_1) | instid1(VALU_DEP_2)
	v_mul_f32_e32 v15, 0x3fb8aa3b, v6
	v_cmp_ngt_f32_e64 s0, 0xc2ce8ed0, v6
	v_fma_f32 v22, 0x3fb8aa3b, v6, -v15
	v_rndne_f32_e32 v26, v15
	s_delay_alu instid0(VALU_DEP_1) | instskip(NEXT) | instid1(VALU_DEP_1)
	v_dual_fmamk_f32 v22, v6, 0x32a5705f, v22 :: v_dual_sub_f32 v15, v15, v26
	v_add_f32_e32 v15, v15, v22
	v_cvt_i32_f32_e32 v22, v26
	s_delay_alu instid0(VALU_DEP_2) | instskip(SKIP_2) | instid1(VALU_DEP_1)
	v_exp_f32_e32 v15, v15
	s_waitcnt_depctr 0xfff
	v_ldexp_f32 v15, v15, v22
	v_cndmask_b32_e64 v15, 0, v15, s0
	v_cmp_nlt_f32_e64 s0, 0x42b17218, v6
	s_delay_alu instid0(VALU_DEP_1) | instskip(NEXT) | instid1(VALU_DEP_1)
	v_cndmask_b32_e64 v22, 0x7f800000, v15, s0
	v_add_f32_e32 v7, v7, v22
.LBB759_54:
	s_or_b32 exec_lo, exec_lo, s7
	s_delay_alu instid0(SALU_CYCLE_1)
	s_or_b32 exec_lo, exec_lo, s6
	s_and_saveexec_b32 s6, s17
	s_cbranch_execz .LBB759_58
.LBB759_55:
	global_load_u8 v4, v[2:3], off offset:64
	s_waitcnt vmcnt(0)
	v_and_b32_e32 v4, 1, v4
	s_delay_alu instid0(VALU_DEP_1) | instskip(SKIP_1) | instid1(VALU_DEP_2)
	v_cmp_eq_u32_e64 s0, 1, v4
	v_mov_b32_e32 v4, 0
	s_xor_b32 s0, s0, -1
	s_delay_alu instid0(SALU_CYCLE_1)
	s_and_saveexec_b32 s7, s0
	s_cbranch_execz .LBB759_57
; %bb.56:
	v_sub_f32_e32 v4, v14, v25
	s_delay_alu instid0(VALU_DEP_1) | instskip(SKIP_1) | instid1(VALU_DEP_2)
	v_mul_f32_e32 v6, 0x3fb8aa3b, v4
	v_cmp_ngt_f32_e64 s0, 0xc2ce8ed0, v4
	v_fma_f32 v14, 0x3fb8aa3b, v4, -v6
	v_rndne_f32_e32 v15, v6
	s_delay_alu instid0(VALU_DEP_2) | instskip(NEXT) | instid1(VALU_DEP_2)
	v_fmamk_f32 v14, v4, 0x32a5705f, v14
	v_sub_f32_e32 v6, v6, v15
	s_delay_alu instid0(VALU_DEP_1) | instskip(SKIP_1) | instid1(VALU_DEP_2)
	v_add_f32_e32 v6, v6, v14
	v_cvt_i32_f32_e32 v14, v15
	v_exp_f32_e32 v6, v6
	s_waitcnt_depctr 0xfff
	v_ldexp_f32 v6, v6, v14
	s_delay_alu instid0(VALU_DEP_1) | instskip(SKIP_1) | instid1(VALU_DEP_1)
	v_cndmask_b32_e64 v6, 0, v6, s0
	v_cmp_nlt_f32_e64 s0, 0x42b17218, v4
	v_cndmask_b32_e64 v4, 0x7f800000, v6, s0
	s_delay_alu instid0(VALU_DEP_1)
	v_add_f32_e32 v7, v7, v4
.LBB759_57:
	s_or_b32 exec_lo, exec_lo, s7
.LBB759_58:
	s_delay_alu instid0(SALU_CYCLE_1)
	s_or_b32 exec_lo, exec_lo, s6
	v_mov_b32_e32 v6, 0
	v_mov_b32_e32 v14, 0
	s_and_saveexec_b32 s6, s16
	s_cbranch_execz .LBB759_62
; %bb.59:
	global_load_u8 v14, v[2:3], off offset:96
	s_waitcnt vmcnt(0)
	v_and_b32_e32 v14, 1, v14
	s_delay_alu instid0(VALU_DEP_1) | instskip(SKIP_1) | instid1(VALU_DEP_2)
	v_cmp_eq_u32_e64 s0, 1, v14
	v_mov_b32_e32 v14, 0
	s_xor_b32 s0, s0, -1
	s_delay_alu instid0(SALU_CYCLE_1)
	s_and_saveexec_b32 s7, s0
	s_cbranch_execz .LBB759_61
; %bb.60:
	v_sub_f32_e32 v13, v13, v25
	s_delay_alu instid0(VALU_DEP_1) | instskip(NEXT) | instid1(VALU_DEP_1)
	v_mul_f32_e32 v14, 0x3fb8aa3b, v13
	v_fma_f32 v15, 0x3fb8aa3b, v13, -v14
	v_rndne_f32_e32 v25, v14
	s_delay_alu instid0(VALU_DEP_1) | instskip(NEXT) | instid1(VALU_DEP_1)
	v_dual_fmamk_f32 v15, v13, 0x32a5705f, v15 :: v_dual_sub_f32 v14, v14, v25
	v_add_f32_e32 v14, v14, v15
	v_cvt_i32_f32_e32 v15, v25
	v_cmp_ngt_f32_e64 s0, 0xc2ce8ed0, v13
	s_delay_alu instid0(VALU_DEP_3) | instskip(SKIP_2) | instid1(VALU_DEP_1)
	v_exp_f32_e32 v14, v14
	s_waitcnt_depctr 0xfff
	v_ldexp_f32 v14, v14, v15
	v_cndmask_b32_e64 v14, 0, v14, s0
	v_cmp_nlt_f32_e64 s0, 0x42b17218, v13
	s_delay_alu instid0(VALU_DEP_1) | instskip(NEXT) | instid1(VALU_DEP_1)
	v_cndmask_b32_e64 v14, 0x7f800000, v14, s0
	v_add_f32_e32 v7, v7, v14
.LBB759_61:
	s_or_b32 exec_lo, exec_lo, s7
.LBB759_62:
	s_delay_alu instid0(SALU_CYCLE_1) | instskip(SKIP_2) | instid1(VALU_DEP_1)
	s_or_b32 exec_lo, exec_lo, s6
	s_waitcnt lgkmcnt(0)
	v_cmp_lt_f32_e64 s0, v23, v24
	v_cndmask_b32_e64 v15, v23, v24, s0
	s_and_saveexec_b32 s6, s15
	s_cbranch_execz .LBB759_66
; %bb.63:
	s_ashr_i32 s7, s1, 31
	v_add_co_u32 v23, s0, v2, s1
	s_delay_alu instid0(VALU_DEP_1) | instskip(SKIP_3) | instid1(VALU_DEP_1)
	v_add_co_ci_u32_e64 v24, s0, s7, v3, s0
	global_load_u8 v6, v[23:24], off
	s_waitcnt vmcnt(0)
	v_and_b32_e32 v6, 1, v6
	v_cmp_eq_u32_e64 s0, 1, v6
	v_mov_b32_e32 v6, 0
	s_delay_alu instid0(VALU_DEP_2) | instskip(NEXT) | instid1(SALU_CYCLE_1)
	s_xor_b32 s0, s0, -1
	s_and_saveexec_b32 s7, s0
	s_cbranch_execz .LBB759_65
; %bb.64:
	v_sub_f32_e32 v5, v5, v15
	s_delay_alu instid0(VALU_DEP_1) | instskip(NEXT) | instid1(VALU_DEP_1)
	v_mul_f32_e32 v6, 0x3fb8aa3b, v5
	v_fma_f32 v13, 0x3fb8aa3b, v5, -v6
	v_rndne_f32_e32 v23, v6
	s_delay_alu instid0(VALU_DEP_1) | instskip(NEXT) | instid1(VALU_DEP_1)
	v_dual_fmamk_f32 v13, v5, 0x32a5705f, v13 :: v_dual_sub_f32 v6, v6, v23
	v_add_f32_e32 v6, v6, v13
	v_cvt_i32_f32_e32 v13, v23
	v_cmp_ngt_f32_e64 s0, 0xc2ce8ed0, v5
	s_delay_alu instid0(VALU_DEP_3) | instskip(SKIP_2) | instid1(VALU_DEP_1)
	v_exp_f32_e32 v6, v6
	s_waitcnt_depctr 0xfff
	v_ldexp_f32 v6, v6, v13
	v_cndmask_b32_e64 v6, 0, v6, s0
	v_cmp_nlt_f32_e64 s0, 0x42b17218, v5
	s_delay_alu instid0(VALU_DEP_1) | instskip(NEXT) | instid1(VALU_DEP_1)
	v_cndmask_b32_e64 v6, 0x7f800000, v6, s0
	v_add_f32_e32 v8, v8, v6
.LBB759_65:
	s_or_b32 exec_lo, exec_lo, s7
.LBB759_66:
	s_delay_alu instid0(SALU_CYCLE_1)
	s_or_b32 exec_lo, exec_lo, s6
	v_mov_b32_e32 v5, 0
	v_mov_b32_e32 v13, 0
	s_and_saveexec_b32 s6, s14
	s_cbranch_execnz .LBB759_69
; %bb.67:
	s_or_b32 exec_lo, exec_lo, s6
	s_and_saveexec_b32 s6, s9
	s_cbranch_execnz .LBB759_72
.LBB759_68:
	s_or_b32 exec_lo, exec_lo, s6
	v_mov_b32_e32 v11, 0
	s_and_saveexec_b32 s6, s8
	s_cbranch_execnz .LBB759_75
	s_branch .LBB759_78
.LBB759_69:
	s_ashr_i32 s7, s1, 31
	v_add_co_u32 v23, s0, v2, s1
	s_delay_alu instid0(VALU_DEP_1) | instskip(SKIP_3) | instid1(VALU_DEP_1)
	v_add_co_ci_u32_e64 v24, s0, s7, v3, s0
	global_load_u8 v13, v[23:24], off offset:32
	s_waitcnt vmcnt(0)
	v_and_b32_e32 v13, 1, v13
	v_cmp_eq_u32_e64 s0, 1, v13
	v_mov_b32_e32 v13, 0
	s_delay_alu instid0(VALU_DEP_2) | instskip(NEXT) | instid1(SALU_CYCLE_1)
	s_xor_b32 s0, s0, -1
	s_and_saveexec_b32 s7, s0
	s_cbranch_execz .LBB759_71
; %bb.70:
	v_sub_f32_e32 v12, v12, v15
	s_delay_alu instid0(VALU_DEP_1) | instskip(NEXT) | instid1(VALU_DEP_1)
	v_mul_f32_e32 v13, 0x3fb8aa3b, v12
	v_fma_f32 v23, 0x3fb8aa3b, v12, -v13
	v_rndne_f32_e32 v24, v13
	s_delay_alu instid0(VALU_DEP_1) | instskip(NEXT) | instid1(VALU_DEP_3)
	v_sub_f32_e32 v13, v13, v24
	v_fmamk_f32 v23, v12, 0x32a5705f, v23
	v_cmp_ngt_f32_e64 s0, 0xc2ce8ed0, v12
	s_delay_alu instid0(VALU_DEP_2) | instskip(SKIP_1) | instid1(VALU_DEP_2)
	v_add_f32_e32 v13, v13, v23
	v_cvt_i32_f32_e32 v23, v24
	v_exp_f32_e32 v13, v13
	s_waitcnt_depctr 0xfff
	v_ldexp_f32 v13, v13, v23
	s_delay_alu instid0(VALU_DEP_1) | instskip(SKIP_1) | instid1(VALU_DEP_1)
	v_cndmask_b32_e64 v13, 0, v13, s0
	v_cmp_nlt_f32_e64 s0, 0x42b17218, v12
	v_cndmask_b32_e64 v13, 0x7f800000, v13, s0
	s_delay_alu instid0(VALU_DEP_1)
	v_add_f32_e32 v8, v8, v13
.LBB759_71:
	s_or_b32 exec_lo, exec_lo, s7
	s_delay_alu instid0(SALU_CYCLE_1)
	s_or_b32 exec_lo, exec_lo, s6
	s_and_saveexec_b32 s6, s9
	s_cbranch_execz .LBB759_68
.LBB759_72:
	s_ashr_i32 s7, s1, 31
	v_add_co_u32 v23, s0, v2, s1
	s_delay_alu instid0(VALU_DEP_1) | instskip(SKIP_3) | instid1(VALU_DEP_1)
	v_add_co_ci_u32_e64 v24, s0, s7, v3, s0
	global_load_u8 v5, v[23:24], off offset:64
	s_waitcnt vmcnt(0)
	v_and_b32_e32 v5, 1, v5
	v_cmp_eq_u32_e64 s0, 1, v5
	v_mov_b32_e32 v5, 0
	s_delay_alu instid0(VALU_DEP_2) | instskip(NEXT) | instid1(SALU_CYCLE_1)
	s_xor_b32 s0, s0, -1
	s_and_saveexec_b32 s7, s0
	s_cbranch_execz .LBB759_74
; %bb.73:
	v_sub_f32_e32 v5, v11, v15
	s_delay_alu instid0(VALU_DEP_1) | instskip(SKIP_1) | instid1(VALU_DEP_2)
	v_mul_f32_e32 v11, 0x3fb8aa3b, v5
	v_cmp_ngt_f32_e64 s0, 0xc2ce8ed0, v5
	v_fma_f32 v12, 0x3fb8aa3b, v5, -v11
	v_rndne_f32_e32 v23, v11
	s_delay_alu instid0(VALU_DEP_1) | instskip(NEXT) | instid1(VALU_DEP_1)
	v_dual_fmamk_f32 v12, v5, 0x32a5705f, v12 :: v_dual_sub_f32 v11, v11, v23
	v_add_f32_e32 v11, v11, v12
	v_cvt_i32_f32_e32 v12, v23
	s_delay_alu instid0(VALU_DEP_2) | instskip(SKIP_2) | instid1(VALU_DEP_1)
	v_exp_f32_e32 v11, v11
	s_waitcnt_depctr 0xfff
	v_ldexp_f32 v11, v11, v12
	v_cndmask_b32_e64 v11, 0, v11, s0
	v_cmp_nlt_f32_e64 s0, 0x42b17218, v5
	s_delay_alu instid0(VALU_DEP_1) | instskip(NEXT) | instid1(VALU_DEP_1)
	v_cndmask_b32_e64 v5, 0x7f800000, v11, s0
	v_add_f32_e32 v8, v8, v5
.LBB759_74:
	s_or_b32 exec_lo, exec_lo, s7
	s_delay_alu instid0(SALU_CYCLE_1)
	s_or_b32 exec_lo, exec_lo, s6
	v_mov_b32_e32 v11, 0
	s_and_saveexec_b32 s6, s8
	s_cbranch_execz .LBB759_78
.LBB759_75:
	s_ashr_i32 s7, s1, 31
	v_add_co_u32 v2, s0, v2, s1
	s_delay_alu instid0(VALU_DEP_1) | instskip(SKIP_4) | instid1(VALU_DEP_1)
	v_add_co_ci_u32_e64 v3, s0, s7, v3, s0
	v_mov_b32_e32 v11, 0
	global_load_u8 v2, v[2:3], off offset:96
	s_waitcnt vmcnt(0)
	v_and_b32_e32 v2, 1, v2
	v_cmp_eq_u32_e64 s0, 1, v2
	s_delay_alu instid0(VALU_DEP_1) | instskip(NEXT) | instid1(SALU_CYCLE_1)
	s_xor_b32 s0, s0, -1
	s_and_saveexec_b32 s1, s0
	s_cbranch_execz .LBB759_77
; %bb.76:
	v_sub_f32_e32 v2, v10, v15
	s_delay_alu instid0(VALU_DEP_1) | instskip(NEXT) | instid1(VALU_DEP_1)
	v_mul_f32_e32 v3, 0x3fb8aa3b, v2
	v_fma_f32 v10, 0x3fb8aa3b, v2, -v3
	v_rndne_f32_e32 v11, v3
	s_delay_alu instid0(VALU_DEP_1) | instskip(NEXT) | instid1(VALU_DEP_1)
	v_dual_fmamk_f32 v10, v2, 0x32a5705f, v10 :: v_dual_sub_f32 v3, v3, v11
	v_add_f32_e32 v3, v3, v10
	v_cvt_i32_f32_e32 v10, v11
	v_cmp_ngt_f32_e64 s0, 0xc2ce8ed0, v2
	s_delay_alu instid0(VALU_DEP_3) | instskip(SKIP_2) | instid1(VALU_DEP_1)
	v_exp_f32_e32 v3, v3
	s_waitcnt_depctr 0xfff
	v_ldexp_f32 v3, v3, v10
	v_cndmask_b32_e64 v3, 0, v3, s0
	v_cmp_nlt_f32_e64 s0, 0x42b17218, v2
	s_delay_alu instid0(VALU_DEP_1) | instskip(NEXT) | instid1(VALU_DEP_1)
	v_cndmask_b32_e64 v11, 0x7f800000, v3, s0
	v_add_f32_e32 v8, v8, v11
.LBB759_77:
	s_or_b32 exec_lo, exec_lo, s1
.LBB759_78:
	s_delay_alu instid0(SALU_CYCLE_1)
	s_or_b32 exec_lo, exec_lo, s6
	ds_bpermute_b32 v2, v16, v7
	ds_bpermute_b32 v3, v16, v8
	s_waitcnt lgkmcnt(0)
	v_dual_add_f32 v2, v7, v2 :: v_dual_add_f32 v3, v8, v3
	ds_bpermute_b32 v7, v17, v2
	ds_bpermute_b32 v8, v17, v3
	s_waitcnt lgkmcnt(0)
	v_dual_add_f32 v2, v2, v7 :: v_dual_add_f32 v3, v3, v8
	;; [unrolled: 4-line block ×4, first 2 shown]
	ds_bpermute_b32 v8, v20, v7
	ds_bpermute_b32 v3, v20, v2
	s_and_saveexec_b32 s0, vcc_lo
	s_cbranch_execz .LBB759_98
; %bb.79:
	v_add_co_u32 v0, vcc_lo, s12, v0
	v_add_co_ci_u32_e32 v1, vcc_lo, s13, v1, vcc_lo
	s_and_saveexec_b32 s1, s5
	s_cbranch_execz .LBB759_92
; %bb.80:
	s_waitcnt lgkmcnt(1)
	v_dual_add_f32 v7, v7, v8 :: v_dual_mov_b32 v8, 0x7fc0
	s_delay_alu instid0(VALU_DEP_1) | instskip(NEXT) | instid1(VALU_DEP_1)
	v_cmp_neq_f32_e64 s0, 0, v7
	s_and_saveexec_b32 s6, s0
	s_cbranch_execz .LBB759_82
; %bb.81:
	v_div_scale_f32 v8, null, v7, v7, v21
	s_delay_alu instid0(VALU_DEP_1) | instskip(SKIP_2) | instid1(VALU_DEP_1)
	v_rcp_f32_e32 v10, v8
	s_waitcnt_depctr 0xfff
	v_fma_f32 v12, -v8, v10, 1.0
	v_fmac_f32_e32 v10, v12, v10
	v_div_scale_f32 v12, vcc_lo, v21, v7, v21
	s_delay_alu instid0(VALU_DEP_1) | instskip(NEXT) | instid1(VALU_DEP_1)
	v_mul_f32_e32 v15, v12, v10
	v_fma_f32 v16, -v8, v15, v12
	s_delay_alu instid0(VALU_DEP_1) | instskip(NEXT) | instid1(VALU_DEP_1)
	v_fmac_f32_e32 v15, v16, v10
	v_fma_f32 v8, -v8, v15, v12
	s_delay_alu instid0(VALU_DEP_1) | instskip(NEXT) | instid1(VALU_DEP_1)
	v_div_fmas_f32 v8, v8, v10, v15
	v_div_fixup_f32 v8, v8, v7, v21
	s_delay_alu instid0(VALU_DEP_1) | instskip(SKIP_1) | instid1(VALU_DEP_2)
	v_bfe_u32 v10, v8, 16, 1
	v_cmp_o_f32_e32 vcc_lo, v8, v8
	v_add3_u32 v10, v8, v10, 0x7fff
	s_delay_alu instid0(VALU_DEP_1) | instskip(NEXT) | instid1(VALU_DEP_1)
	v_lshrrev_b32_e32 v10, 16, v10
	v_cndmask_b32_e32 v8, 0x7fc0, v10, vcc_lo
.LBB759_82:
	s_or_b32 exec_lo, exec_lo, s6
	global_store_b16 v[0:1], v8, off
	s_and_b32 exec_lo, exec_lo, s4
	s_cbranch_execz .LBB759_92
; %bb.83:
	v_mov_b32_e32 v8, 0x7fc0
	s_and_saveexec_b32 s6, s0
	s_cbranch_execz .LBB759_85
; %bb.84:
	v_div_scale_f32 v8, null, v7, v7, v22
	s_delay_alu instid0(VALU_DEP_1) | instskip(SKIP_2) | instid1(VALU_DEP_1)
	v_rcp_f32_e32 v10, v8
	s_waitcnt_depctr 0xfff
	v_fma_f32 v12, -v8, v10, 1.0
	v_fmac_f32_e32 v10, v12, v10
	v_div_scale_f32 v12, vcc_lo, v22, v7, v22
	s_delay_alu instid0(VALU_DEP_1) | instskip(NEXT) | instid1(VALU_DEP_1)
	v_mul_f32_e32 v15, v12, v10
	v_fma_f32 v16, -v8, v15, v12
	s_delay_alu instid0(VALU_DEP_1) | instskip(NEXT) | instid1(VALU_DEP_1)
	v_fmac_f32_e32 v15, v16, v10
	v_fma_f32 v8, -v8, v15, v12
	s_delay_alu instid0(VALU_DEP_1) | instskip(NEXT) | instid1(VALU_DEP_1)
	v_div_fmas_f32 v8, v8, v10, v15
	v_div_fixup_f32 v8, v8, v7, v22
	s_delay_alu instid0(VALU_DEP_1) | instskip(SKIP_1) | instid1(VALU_DEP_2)
	v_bfe_u32 v10, v8, 16, 1
	v_cmp_o_f32_e32 vcc_lo, v8, v8
	v_add3_u32 v10, v8, v10, 0x7fff
	s_delay_alu instid0(VALU_DEP_1) | instskip(NEXT) | instid1(VALU_DEP_1)
	v_lshrrev_b32_e32 v10, 16, v10
	v_cndmask_b32_e32 v8, 0x7fc0, v10, vcc_lo
.LBB759_85:
	s_or_b32 exec_lo, exec_lo, s6
	global_store_b16 v[0:1], v8, off offset:64
	s_and_b32 exec_lo, exec_lo, s3
	s_cbranch_execz .LBB759_92
; %bb.86:
	v_mov_b32_e32 v8, 0x7fc0
	s_and_saveexec_b32 s6, s0
	s_cbranch_execz .LBB759_88
; %bb.87:
	v_div_scale_f32 v8, null, v7, v7, v4
	s_delay_alu instid0(VALU_DEP_1) | instskip(SKIP_2) | instid1(VALU_DEP_1)
	v_rcp_f32_e32 v10, v8
	s_waitcnt_depctr 0xfff
	v_fma_f32 v12, -v8, v10, 1.0
	v_fmac_f32_e32 v10, v12, v10
	v_div_scale_f32 v12, vcc_lo, v4, v7, v4
	s_delay_alu instid0(VALU_DEP_1) | instskip(NEXT) | instid1(VALU_DEP_1)
	v_mul_f32_e32 v15, v12, v10
	v_fma_f32 v16, -v8, v15, v12
	s_delay_alu instid0(VALU_DEP_1) | instskip(NEXT) | instid1(VALU_DEP_1)
	v_fmac_f32_e32 v15, v16, v10
	v_fma_f32 v8, -v8, v15, v12
	s_delay_alu instid0(VALU_DEP_1) | instskip(NEXT) | instid1(VALU_DEP_1)
	v_div_fmas_f32 v8, v8, v10, v15
	v_div_fixup_f32 v4, v8, v7, v4
	s_delay_alu instid0(VALU_DEP_1) | instskip(SKIP_1) | instid1(VALU_DEP_2)
	v_bfe_u32 v8, v4, 16, 1
	v_cmp_o_f32_e32 vcc_lo, v4, v4
	v_add3_u32 v8, v4, v8, 0x7fff
	s_delay_alu instid0(VALU_DEP_1) | instskip(NEXT) | instid1(VALU_DEP_1)
	v_lshrrev_b32_e32 v8, 16, v8
	v_cndmask_b32_e32 v8, 0x7fc0, v8, vcc_lo
.LBB759_88:
	s_or_b32 exec_lo, exec_lo, s6
	global_store_b16 v[0:1], v8, off offset:128
	;; [unrolled: 33-line block ×3, first 2 shown]
.LBB759_92:
	s_or_b32 exec_lo, exec_lo, s1
	v_cmp_ne_u32_e32 vcc_lo, 1, v9
	s_and_b32 exec_lo, exec_lo, vcc_lo
	s_cbranch_execz .LBB759_98
; %bb.93:
	s_and_b32 exec_lo, exec_lo, s5
	s_cbranch_execz .LBB759_98
; %bb.94:
	s_waitcnt lgkmcnt(0)
	v_add_f32_e32 v2, v2, v3
	s_ashr_i32 s11, s10, 31
	s_delay_alu instid0(SALU_CYCLE_1) | instskip(NEXT) | instid1(SALU_CYCLE_1)
	s_lshl_b64 s[6:7], s[10:11], 1
	v_add_co_u32 v0, s1, v0, s6
	s_delay_alu instid0(VALU_DEP_2) | instskip(SKIP_2) | instid1(VALU_DEP_3)
	v_div_scale_f32 v3, null, v2, v2, v6
	v_div_scale_f32 v8, vcc_lo, v6, v2, v6
	v_add_co_ci_u32_e64 v1, s1, s7, v1, s1
	v_rcp_f32_e32 v4, v3
	s_waitcnt_depctr 0xfff
	v_fma_f32 v7, -v3, v4, 1.0
	s_delay_alu instid0(VALU_DEP_1) | instskip(NEXT) | instid1(VALU_DEP_1)
	v_fmac_f32_e32 v4, v7, v4
	v_mul_f32_e32 v7, v8, v4
	v_cmp_eq_f32_e64 s0, 0, v2
	s_delay_alu instid0(VALU_DEP_2) | instskip(NEXT) | instid1(VALU_DEP_1)
	v_fma_f32 v9, -v3, v7, v8
	v_fmac_f32_e32 v7, v9, v4
	s_delay_alu instid0(VALU_DEP_1) | instskip(NEXT) | instid1(VALU_DEP_1)
	v_fma_f32 v3, -v3, v7, v8
	v_div_fmas_f32 v3, v3, v4, v7
	s_delay_alu instid0(VALU_DEP_1) | instskip(NEXT) | instid1(VALU_DEP_1)
	v_div_fixup_f32 v3, v3, v2, v6
	v_bfe_u32 v4, v3, 16, 1
	v_cmp_u_f32_e32 vcc_lo, v3, v3
	s_delay_alu instid0(VALU_DEP_2) | instskip(SKIP_1) | instid1(VALU_DEP_1)
	v_add3_u32 v4, v3, v4, 0x7fff
	s_or_b32 s1, s0, vcc_lo
	v_lshrrev_b32_e32 v3, 16, v4
	s_delay_alu instid0(VALU_DEP_1)
	v_cndmask_b32_e64 v3, v3, 0x7fc0, s1
	global_store_b16 v[0:1], v3, off
	s_and_b32 exec_lo, exec_lo, s4
	s_cbranch_execz .LBB759_98
; %bb.95:
	v_div_scale_f32 v3, null, v2, v2, v13
	s_delay_alu instid0(VALU_DEP_1) | instskip(SKIP_2) | instid1(VALU_DEP_1)
	v_rcp_f32_e32 v4, v3
	s_waitcnt_depctr 0xfff
	v_fma_f32 v6, -v3, v4, 1.0
	v_fmac_f32_e32 v4, v6, v4
	v_div_scale_f32 v6, vcc_lo, v13, v2, v13
	s_delay_alu instid0(VALU_DEP_1) | instskip(NEXT) | instid1(VALU_DEP_1)
	v_mul_f32_e32 v7, v6, v4
	v_fma_f32 v8, -v3, v7, v6
	s_delay_alu instid0(VALU_DEP_1) | instskip(NEXT) | instid1(VALU_DEP_1)
	v_fmac_f32_e32 v7, v8, v4
	v_fma_f32 v3, -v3, v7, v6
	s_delay_alu instid0(VALU_DEP_1) | instskip(NEXT) | instid1(VALU_DEP_1)
	v_div_fmas_f32 v3, v3, v4, v7
	v_div_fixup_f32 v3, v3, v2, v13
	s_delay_alu instid0(VALU_DEP_1) | instskip(SKIP_1) | instid1(VALU_DEP_2)
	v_bfe_u32 v4, v3, 16, 1
	v_cmp_u_f32_e32 vcc_lo, v3, v3
	v_add3_u32 v4, v3, v4, 0x7fff
	s_or_b32 s1, s0, vcc_lo
	s_delay_alu instid0(VALU_DEP_1) | instskip(NEXT) | instid1(VALU_DEP_1)
	v_lshrrev_b32_e32 v3, 16, v4
	v_cndmask_b32_e64 v3, v3, 0x7fc0, s1
	global_store_b16 v[0:1], v3, off offset:64
	s_and_b32 exec_lo, exec_lo, s3
	s_cbranch_execz .LBB759_98
; %bb.96:
	v_div_scale_f32 v3, null, v2, v2, v5
	s_delay_alu instid0(VALU_DEP_1) | instskip(SKIP_2) | instid1(VALU_DEP_1)
	v_rcp_f32_e32 v4, v3
	s_waitcnt_depctr 0xfff
	v_fma_f32 v6, -v3, v4, 1.0
	v_fmac_f32_e32 v4, v6, v4
	v_div_scale_f32 v6, vcc_lo, v5, v2, v5
	s_delay_alu instid0(VALU_DEP_1) | instskip(NEXT) | instid1(VALU_DEP_1)
	v_mul_f32_e32 v7, v6, v4
	v_fma_f32 v8, -v3, v7, v6
	s_delay_alu instid0(VALU_DEP_1) | instskip(NEXT) | instid1(VALU_DEP_1)
	v_fmac_f32_e32 v7, v8, v4
	v_fma_f32 v3, -v3, v7, v6
	s_delay_alu instid0(VALU_DEP_1) | instskip(NEXT) | instid1(VALU_DEP_1)
	v_div_fmas_f32 v3, v3, v4, v7
	v_div_fixup_f32 v3, v3, v2, v5
	s_delay_alu instid0(VALU_DEP_1) | instskip(SKIP_1) | instid1(VALU_DEP_2)
	v_bfe_u32 v4, v3, 16, 1
	v_cmp_u_f32_e32 vcc_lo, v3, v3
	v_add3_u32 v4, v3, v4, 0x7fff
	s_or_b32 s1, s0, vcc_lo
	s_delay_alu instid0(VALU_DEP_1) | instskip(NEXT) | instid1(VALU_DEP_1)
	v_lshrrev_b32_e32 v3, 16, v4
	v_cndmask_b32_e64 v3, v3, 0x7fc0, s1
	global_store_b16 v[0:1], v3, off offset:128
	;; [unrolled: 28-line block ×3, first 2 shown]
.LBB759_98:
	s_nop 0
	s_sendmsg sendmsg(MSG_DEALLOC_VGPRS)
	s_endpgm
	.section	.rodata,"a",@progbits
	.p2align	6, 0x0
	.amdhsa_kernel _ZN12_GLOBAL__N_120softmax_warp_forwardIN3c108BFloat16ES2_fLi7ELb0ELb1ELi32EEEvPT0_PKT_iiiPKbib
		.amdhsa_group_segment_fixed_size 0
		.amdhsa_private_segment_fixed_size 0
		.amdhsa_kernarg_size 304
		.amdhsa_user_sgpr_count 15
		.amdhsa_user_sgpr_dispatch_ptr 0
		.amdhsa_user_sgpr_queue_ptr 0
		.amdhsa_user_sgpr_kernarg_segment_ptr 1
		.amdhsa_user_sgpr_dispatch_id 0
		.amdhsa_user_sgpr_private_segment_size 0
		.amdhsa_wavefront_size32 1
		.amdhsa_uses_dynamic_stack 0
		.amdhsa_enable_private_segment 0
		.amdhsa_system_sgpr_workgroup_id_x 1
		.amdhsa_system_sgpr_workgroup_id_y 0
		.amdhsa_system_sgpr_workgroup_id_z 0
		.amdhsa_system_sgpr_workgroup_info 0
		.amdhsa_system_vgpr_workitem_id 1
		.amdhsa_next_free_vgpr 27
		.amdhsa_next_free_sgpr 24
		.amdhsa_reserve_vcc 1
		.amdhsa_float_round_mode_32 0
		.amdhsa_float_round_mode_16_64 0
		.amdhsa_float_denorm_mode_32 3
		.amdhsa_float_denorm_mode_16_64 3
		.amdhsa_dx10_clamp 1
		.amdhsa_ieee_mode 1
		.amdhsa_fp16_overflow 0
		.amdhsa_workgroup_processor_mode 1
		.amdhsa_memory_ordered 1
		.amdhsa_forward_progress 0
		.amdhsa_shared_vgpr_count 0
		.amdhsa_exception_fp_ieee_invalid_op 0
		.amdhsa_exception_fp_denorm_src 0
		.amdhsa_exception_fp_ieee_div_zero 0
		.amdhsa_exception_fp_ieee_overflow 0
		.amdhsa_exception_fp_ieee_underflow 0
		.amdhsa_exception_fp_ieee_inexact 0
		.amdhsa_exception_int_div_zero 0
	.end_amdhsa_kernel
	.section	.text._ZN12_GLOBAL__N_120softmax_warp_forwardIN3c108BFloat16ES2_fLi7ELb0ELb1ELi32EEEvPT0_PKT_iiiPKbib,"axG",@progbits,_ZN12_GLOBAL__N_120softmax_warp_forwardIN3c108BFloat16ES2_fLi7ELb0ELb1ELi32EEEvPT0_PKT_iiiPKbib,comdat
.Lfunc_end759:
	.size	_ZN12_GLOBAL__N_120softmax_warp_forwardIN3c108BFloat16ES2_fLi7ELb0ELb1ELi32EEEvPT0_PKT_iiiPKbib, .Lfunc_end759-_ZN12_GLOBAL__N_120softmax_warp_forwardIN3c108BFloat16ES2_fLi7ELb0ELb1ELi32EEEvPT0_PKT_iiiPKbib
                                        ; -- End function
	.section	.AMDGPU.csdata,"",@progbits
; Kernel info:
; codeLenInByte = 5664
; NumSgprs: 26
; NumVgprs: 27
; ScratchSize: 0
; MemoryBound: 0
; FloatMode: 240
; IeeeMode: 1
; LDSByteSize: 0 bytes/workgroup (compile time only)
; SGPRBlocks: 3
; VGPRBlocks: 3
; NumSGPRsForWavesPerEU: 26
; NumVGPRsForWavesPerEU: 27
; Occupancy: 16
; WaveLimiterHint : 0
; COMPUTE_PGM_RSRC2:SCRATCH_EN: 0
; COMPUTE_PGM_RSRC2:USER_SGPR: 15
; COMPUTE_PGM_RSRC2:TRAP_HANDLER: 0
; COMPUTE_PGM_RSRC2:TGID_X_EN: 1
; COMPUTE_PGM_RSRC2:TGID_Y_EN: 0
; COMPUTE_PGM_RSRC2:TGID_Z_EN: 0
; COMPUTE_PGM_RSRC2:TIDIG_COMP_CNT: 1
	.section	.text._ZN12_GLOBAL__N_120softmax_warp_forwardIN3c108BFloat16ES2_fLi8ELb0ELb1ELi64EEEvPT0_PKT_iiiPKbib,"axG",@progbits,_ZN12_GLOBAL__N_120softmax_warp_forwardIN3c108BFloat16ES2_fLi8ELb0ELb1ELi64EEEvPT0_PKT_iiiPKbib,comdat
	.globl	_ZN12_GLOBAL__N_120softmax_warp_forwardIN3c108BFloat16ES2_fLi8ELb0ELb1ELi64EEEvPT0_PKT_iiiPKbib ; -- Begin function _ZN12_GLOBAL__N_120softmax_warp_forwardIN3c108BFloat16ES2_fLi8ELb0ELb1ELi64EEEvPT0_PKT_iiiPKbib
	.p2align	8
	.type	_ZN12_GLOBAL__N_120softmax_warp_forwardIN3c108BFloat16ES2_fLi8ELb0ELb1ELi64EEEvPT0_PKT_iiiPKbib,@function
_ZN12_GLOBAL__N_120softmax_warp_forwardIN3c108BFloat16ES2_fLi8ELb0ELb1ELi64EEEvPT0_PKT_iiiPKbib: ; @_ZN12_GLOBAL__N_120softmax_warp_forwardIN3c108BFloat16ES2_fLi8ELb0ELb1ELi64EEEvPT0_PKT_iiiPKbib
; %bb.0:
	s_clause 0x1
	s_load_b32 s2, s[0:1], 0x3c
	s_load_b128 s[4:7], s[0:1], 0x10
	v_bfe_u32 v3, v0, 10, 10
	s_waitcnt lgkmcnt(0)
	s_lshr_b32 s2, s2, 16
	s_delay_alu instid0(VALU_DEP_1) | instid1(SALU_CYCLE_1)
	v_mad_u64_u32 v[1:2], null, s15, s2, v[3:4]
	s_load_b64 s[2:3], s[0:1], 0x28
	v_and_b32_e32 v2, 0x3ff, v0
	s_delay_alu instid0(VALU_DEP_2) | instskip(NEXT) | instid1(VALU_DEP_1)
	v_mul_lo_u32 v7, v1, s5
	v_add_nc_u32_e32 v5, v7, v2
	s_delay_alu instid0(VALU_DEP_1) | instskip(SKIP_3) | instid1(VALU_DEP_2)
	v_ashrrev_i32_e32 v6, 31, v5
	v_mov_b32_e32 v3, v5
	s_waitcnt lgkmcnt(0)
	s_bitcmp0_b32 s3, 0
	v_mov_b32_e32 v4, v6
	s_cbranch_scc1 .LBB760_2
; %bb.1:
	s_abs_i32 s3, s2
	v_sub_nc_u32_e32 v4, 0, v7
	v_cvt_f32_u32_e32 v0, s3
	s_sub_i32 s7, 0, s3
	s_delay_alu instid0(VALU_DEP_2) | instskip(NEXT) | instid1(VALU_DEP_2)
	v_max_i32_e32 v4, v7, v4
	v_rcp_iflag_f32_e32 v0, v0
	s_waitcnt_depctr 0xfff
	v_mul_f32_e32 v0, 0x4f7ffffe, v0
	s_delay_alu instid0(VALU_DEP_1) | instskip(NEXT) | instid1(VALU_DEP_1)
	v_cvt_u32_f32_e32 v0, v0
	v_mul_lo_u32 v3, s7, v0
	s_delay_alu instid0(VALU_DEP_1) | instskip(NEXT) | instid1(VALU_DEP_1)
	v_mul_hi_u32 v3, v0, v3
	v_add_nc_u32_e32 v0, v0, v3
	s_delay_alu instid0(VALU_DEP_1) | instskip(NEXT) | instid1(VALU_DEP_1)
	v_mul_hi_u32 v0, v4, v0
	v_mul_lo_u32 v3, v0, s3
	s_delay_alu instid0(VALU_DEP_1) | instskip(SKIP_1) | instid1(VALU_DEP_2)
	v_sub_nc_u32_e32 v3, v4, v3
	v_add_nc_u32_e32 v4, 1, v0
	v_subrev_nc_u32_e32 v8, s3, v3
	v_cmp_le_u32_e32 vcc_lo, s3, v3
	s_delay_alu instid0(VALU_DEP_2) | instskip(NEXT) | instid1(VALU_DEP_4)
	v_cndmask_b32_e32 v3, v3, v8, vcc_lo
	v_cndmask_b32_e32 v0, v0, v4, vcc_lo
	v_xor_b32_e32 v4, s2, v7
	s_delay_alu instid0(VALU_DEP_3) | instskip(NEXT) | instid1(VALU_DEP_3)
	v_cmp_le_u32_e32 vcc_lo, s3, v3
	v_add_nc_u32_e32 v7, 1, v0
	s_delay_alu instid0(VALU_DEP_3) | instskip(NEXT) | instid1(VALU_DEP_2)
	v_ashrrev_i32_e32 v4, 31, v4
	v_cndmask_b32_e32 v0, v0, v7, vcc_lo
	s_delay_alu instid0(VALU_DEP_1) | instskip(NEXT) | instid1(VALU_DEP_1)
	v_xor_b32_e32 v0, v0, v4
	v_sub_nc_u32_e32 v0, v0, v4
	s_delay_alu instid0(VALU_DEP_1) | instskip(NEXT) | instid1(VALU_DEP_1)
	v_mad_u64_u32 v[3:4], null, v0, s5, v[2:3]
	v_ashrrev_i32_e32 v4, 31, v3
.LBB760_2:
	s_load_b128 s[8:11], s[0:1], 0x0
	v_sub_nc_u32_e32 v7, s4, v1
	v_lshlrev_b64 v[0:1], 1, v[5:6]
	v_cmp_gt_i32_e32 vcc_lo, s6, v2
	v_dual_mov_b32 v10, 0xff800000 :: v_dual_mov_b32 v11, 0xff800000
	s_delay_alu instid0(VALU_DEP_4) | instskip(SKIP_1) | instid1(VALU_DEP_4)
	v_cmp_lt_i32_e64 s5, 0, v7
	s_waitcnt lgkmcnt(0)
	v_add_co_u32 v5, s2, s10, v0
	s_delay_alu instid0(VALU_DEP_1) | instskip(NEXT) | instid1(VALU_DEP_3)
	v_add_co_ci_u32_e64 v6, s2, s11, v1, s2
	s_and_b32 s11, s5, vcc_lo
	s_delay_alu instid0(SALU_CYCLE_1)
	s_and_saveexec_b32 s2, s11
	s_cbranch_execz .LBB760_4
; %bb.3:
	global_load_u16 v8, v[5:6], off
	s_waitcnt vmcnt(0)
	v_lshlrev_b32_e32 v11, 16, v8
.LBB760_4:
	s_or_b32 exec_lo, exec_lo, s2
	v_add_nc_u32_e32 v8, 64, v2
	s_delay_alu instid0(VALU_DEP_1) | instskip(NEXT) | instid1(VALU_DEP_1)
	v_cmp_gt_i32_e64 s4, s6, v8
	s_and_b32 s10, s5, s4
	s_delay_alu instid0(SALU_CYCLE_1)
	s_and_saveexec_b32 s2, s10
	s_cbranch_execz .LBB760_6
; %bb.5:
	global_load_u16 v8, v[5:6], off offset:128
	s_waitcnt vmcnt(0)
	v_lshlrev_b32_e32 v10, 16, v8
.LBB760_6:
	s_or_b32 exec_lo, exec_lo, s2
	v_add_nc_u32_e32 v8, 0x80, v2
	v_mov_b32_e32 v9, 0xff800000
	s_delay_alu instid0(VALU_DEP_2) | instskip(SKIP_1) | instid1(VALU_DEP_2)
	v_cmp_gt_i32_e64 s3, s6, v8
	v_mov_b32_e32 v8, 0xff800000
	s_and_b32 s7, s5, s3
	s_delay_alu instid0(SALU_CYCLE_1)
	s_and_saveexec_b32 s2, s7
	s_cbranch_execz .LBB760_8
; %bb.7:
	global_load_u16 v9, v[5:6], off offset:256
	s_waitcnt vmcnt(0)
	v_lshlrev_b32_e32 v9, 16, v9
.LBB760_8:
	s_or_b32 exec_lo, exec_lo, s2
	v_add_nc_u32_e32 v2, 0xc0, v2
	s_delay_alu instid0(VALU_DEP_1) | instskip(NEXT) | instid1(VALU_DEP_1)
	v_cmp_gt_i32_e64 s2, s6, v2
	s_and_b32 s5, s5, s2
	s_delay_alu instid0(SALU_CYCLE_1)
	s_and_saveexec_b32 s6, s5
	s_cbranch_execz .LBB760_10
; %bb.9:
	global_load_u16 v2, v[5:6], off offset:384
	s_waitcnt vmcnt(0)
	v_lshlrev_b32_e32 v8, 16, v2
.LBB760_10:
	s_or_b32 exec_lo, exec_lo, s6
	s_load_b64 s[0:1], s[0:1], 0x20
	s_waitcnt lgkmcnt(0)
	v_add_co_u32 v2, s0, s0, v3
	s_delay_alu instid0(VALU_DEP_1)
	v_add_co_ci_u32_e64 v3, s0, s1, v4, s0
	s_mov_b32 s1, 0
	s_and_saveexec_b32 s6, s11
	s_cbranch_execnz .LBB760_14
; %bb.11:
	s_or_b32 exec_lo, exec_lo, s6
	v_mov_b32_e32 v4, v11
	s_and_saveexec_b32 s6, s10
	s_cbranch_execnz .LBB760_15
.LBB760_12:
	s_or_b32 exec_lo, exec_lo, s6
	s_and_saveexec_b32 s6, s7
	s_cbranch_execnz .LBB760_18
.LBB760_13:
	s_or_b32 exec_lo, exec_lo, s6
	s_and_saveexec_b32 s6, s5
	s_cbranch_execnz .LBB760_21
	s_branch .LBB760_24
.LBB760_14:
	global_load_u8 v4, v[2:3], off
	s_waitcnt vmcnt(0)
	v_and_b32_e32 v4, 1, v4
	s_delay_alu instid0(VALU_DEP_1) | instskip(NEXT) | instid1(VALU_DEP_1)
	v_cmp_eq_u32_e64 s0, 1, v4
	s_xor_b32 s0, s0, -1
	s_delay_alu instid0(SALU_CYCLE_1)
	s_and_b32 s1, s0, exec_lo
	s_or_b32 exec_lo, exec_lo, s6
	v_mov_b32_e32 v4, v11
	s_and_saveexec_b32 s6, s10
	s_cbranch_execz .LBB760_12
.LBB760_15:
	global_load_u8 v4, v[2:3], off offset:64
	s_waitcnt vmcnt(0)
	v_and_b32_e32 v4, 1, v4
	s_delay_alu instid0(VALU_DEP_1) | instskip(SKIP_1) | instid1(VALU_DEP_2)
	v_cmp_eq_u32_e64 s0, 1, v4
	v_mov_b32_e32 v4, v11
	s_xor_b32 s13, s0, -1
	s_mov_b32 s0, s1
	s_and_saveexec_b32 s12, s13
; %bb.16:
	v_cmp_gt_f32_e64 s0, v11, v10
	s_delay_alu instid0(VALU_DEP_1) | instskip(NEXT) | instid1(SALU_CYCLE_1)
	s_and_b32 s0, s1, s0
	v_cndmask_b32_e64 v4, v10, v11, s0
	s_or_b32 s0, s1, exec_lo
; %bb.17:
	s_or_b32 exec_lo, exec_lo, s12
	s_delay_alu instid0(SALU_CYCLE_1) | instskip(SKIP_1) | instid1(SALU_CYCLE_1)
	s_and_not1_b32 s1, s1, exec_lo
	s_and_b32 s0, s0, exec_lo
	s_or_b32 s1, s1, s0
	s_or_b32 exec_lo, exec_lo, s6
	s_and_saveexec_b32 s6, s7
	s_cbranch_execz .LBB760_13
.LBB760_18:
	global_load_u8 v5, v[2:3], off offset:128
	s_waitcnt vmcnt(0)
	v_and_b32_e32 v5, 1, v5
	s_delay_alu instid0(VALU_DEP_1) | instskip(NEXT) | instid1(VALU_DEP_1)
	v_cmp_eq_u32_e64 s0, 1, v5
	s_xor_b32 s13, s0, -1
	s_mov_b32 s0, s1
	s_and_saveexec_b32 s12, s13
; %bb.19:
	v_cmp_gt_f32_e64 s0, v4, v9
	s_delay_alu instid0(VALU_DEP_1) | instskip(NEXT) | instid1(SALU_CYCLE_1)
	s_and_b32 s0, s1, s0
	v_cndmask_b32_e64 v4, v9, v4, s0
	s_or_b32 s0, s1, exec_lo
; %bb.20:
	s_or_b32 exec_lo, exec_lo, s12
	s_delay_alu instid0(SALU_CYCLE_1) | instskip(SKIP_1) | instid1(SALU_CYCLE_1)
	s_and_not1_b32 s1, s1, exec_lo
	s_and_b32 s0, s0, exec_lo
	s_or_b32 s1, s1, s0
	s_or_b32 exec_lo, exec_lo, s6
	s_and_saveexec_b32 s6, s5
	s_cbranch_execz .LBB760_24
.LBB760_21:
	global_load_u8 v5, v[2:3], off offset:192
	s_waitcnt vmcnt(0)
	v_and_b32_e32 v5, 1, v5
	s_delay_alu instid0(VALU_DEP_1) | instskip(NEXT) | instid1(VALU_DEP_1)
	v_cmp_eq_u32_e64 s0, 1, v5
	s_xor_b32 s13, s0, -1
	s_mov_b32 s0, s1
	s_and_saveexec_b32 s12, s13
; %bb.22:
	v_cmp_gt_f32_e64 s0, v4, v8
	s_delay_alu instid0(VALU_DEP_1) | instskip(NEXT) | instid1(SALU_CYCLE_1)
	s_and_b32 s0, s1, s0
	v_cndmask_b32_e64 v4, v8, v4, s0
	s_or_b32 s0, s1, exec_lo
; %bb.23:
	s_or_b32 exec_lo, exec_lo, s12
	s_delay_alu instid0(SALU_CYCLE_1) | instskip(SKIP_1) | instid1(SALU_CYCLE_1)
	s_and_not1_b32 s1, s1, exec_lo
	s_and_b32 s0, s0, exec_lo
	s_or_b32 s1, s1, s0
.LBB760_24:
	s_or_b32 exec_lo, exec_lo, s6
	v_mbcnt_lo_u32_b32 v5, -1, 0
	v_cndmask_b32_e64 v4, 0xff800000, v4, s1
	s_delay_alu instid0(VALU_DEP_2) | instskip(SKIP_3) | instid1(VALU_DEP_4)
	v_or_b32_e32 v6, 32, v5
	v_xor_b32_e32 v12, 16, v5
	v_xor_b32_e32 v16, 2, v5
	;; [unrolled: 1-line block ×3, first 2 shown]
	v_cmp_gt_i32_e64 s0, 64, v6
	s_delay_alu instid0(VALU_DEP_1) | instskip(SKIP_1) | instid1(VALU_DEP_2)
	v_cndmask_b32_e64 v6, v5, v6, s0
	v_cmp_gt_i32_e64 s0, 64, v12
	v_lshlrev_b32_e32 v6, 2, v6
	s_delay_alu instid0(VALU_DEP_2) | instskip(SKIP_4) | instid1(VALU_DEP_1)
	v_cndmask_b32_e64 v12, v5, v12, s0
	ds_bpermute_b32 v13, v6, v4
	v_lshlrev_b32_e32 v12, 2, v12
	s_waitcnt lgkmcnt(0)
	v_cmp_lt_f32_e64 s0, v4, v13
	v_cndmask_b32_e64 v4, v4, v13, s0
	v_xor_b32_e32 v13, 8, v5
	ds_bpermute_b32 v14, v12, v4
	v_cmp_gt_i32_e64 s0, 64, v13
	s_delay_alu instid0(VALU_DEP_1) | instskip(NEXT) | instid1(VALU_DEP_1)
	v_cndmask_b32_e64 v13, v5, v13, s0
	v_lshlrev_b32_e32 v13, 2, v13
	s_waitcnt lgkmcnt(0)
	v_cmp_lt_f32_e64 s0, v4, v14
	s_delay_alu instid0(VALU_DEP_1) | instskip(SKIP_3) | instid1(VALU_DEP_1)
	v_cndmask_b32_e64 v4, v4, v14, s0
	v_xor_b32_e32 v14, 4, v5
	ds_bpermute_b32 v15, v13, v4
	v_cmp_gt_i32_e64 s0, 64, v14
	v_cndmask_b32_e64 v14, v5, v14, s0
	s_delay_alu instid0(VALU_DEP_1) | instskip(SKIP_2) | instid1(VALU_DEP_1)
	v_lshlrev_b32_e32 v14, 2, v14
	s_waitcnt lgkmcnt(0)
	v_cmp_lt_f32_e64 s0, v4, v15
	v_cndmask_b32_e64 v4, v4, v15, s0
	v_cmp_gt_i32_e64 s0, 64, v16
	ds_bpermute_b32 v15, v14, v4
	v_cndmask_b32_e64 v16, v5, v16, s0
	s_delay_alu instid0(VALU_DEP_1) | instskip(SKIP_2) | instid1(VALU_DEP_1)
	v_lshlrev_b32_e32 v16, 2, v16
	s_waitcnt lgkmcnt(0)
	v_cmp_lt_f32_e64 s0, v4, v15
	v_cndmask_b32_e64 v4, v4, v15, s0
	v_cmp_gt_i32_e64 s0, 64, v17
	ds_bpermute_b32 v15, v16, v4
	v_cndmask_b32_e64 v5, v5, v17, s0
	s_delay_alu instid0(VALU_DEP_1) | instskip(SKIP_2) | instid1(VALU_DEP_1)
	v_lshlrev_b32_e32 v17, 2, v5
	s_waitcnt lgkmcnt(0)
	v_cmp_lt_f32_e64 s0, v4, v15
	v_cndmask_b32_e64 v5, v4, v15, s0
	v_mov_b32_e32 v4, 0
	ds_bpermute_b32 v15, v17, v5
	s_waitcnt lgkmcnt(0)
	v_cmp_lt_f32_e64 s0, v5, v15
	s_delay_alu instid0(VALU_DEP_1)
	v_cndmask_b32_e64 v18, v5, v15, s0
	v_mov_b32_e32 v15, 0
	s_and_saveexec_b32 s1, s11
	s_cbranch_execz .LBB760_28
; %bb.25:
	global_load_u8 v5, v[2:3], off
	v_mov_b32_e32 v15, 0
	s_waitcnt vmcnt(0)
	v_and_b32_e32 v5, 1, v5
	s_delay_alu instid0(VALU_DEP_1) | instskip(NEXT) | instid1(VALU_DEP_1)
	v_cmp_eq_u32_e64 s0, 1, v5
	s_xor_b32 s0, s0, -1
	s_delay_alu instid0(SALU_CYCLE_1)
	s_and_saveexec_b32 s6, s0
	s_cbranch_execz .LBB760_27
; %bb.26:
	v_sub_f32_e32 v5, v11, v18
	s_delay_alu instid0(VALU_DEP_1) | instskip(SKIP_1) | instid1(VALU_DEP_2)
	v_mul_f32_e32 v11, 0x3fb8aa3b, v5
	v_cmp_ngt_f32_e64 s0, 0xc2ce8ed0, v5
	v_fma_f32 v15, 0x3fb8aa3b, v5, -v11
	v_rndne_f32_e32 v19, v11
	s_delay_alu instid0(VALU_DEP_2) | instskip(NEXT) | instid1(VALU_DEP_2)
	v_fmamk_f32 v15, v5, 0x32a5705f, v15
	v_sub_f32_e32 v11, v11, v19
	s_delay_alu instid0(VALU_DEP_1) | instskip(SKIP_1) | instid1(VALU_DEP_2)
	v_add_f32_e32 v11, v11, v15
	v_cvt_i32_f32_e32 v15, v19
	v_exp_f32_e32 v11, v11
	s_waitcnt_depctr 0xfff
	v_ldexp_f32 v11, v11, v15
	s_delay_alu instid0(VALU_DEP_1) | instskip(SKIP_1) | instid1(VALU_DEP_1)
	v_cndmask_b32_e64 v11, 0, v11, s0
	v_cmp_nlt_f32_e64 s0, 0x42b17218, v5
	v_cndmask_b32_e64 v15, 0x7f800000, v11, s0
.LBB760_27:
	s_or_b32 exec_lo, exec_lo, s6
.LBB760_28:
	s_delay_alu instid0(SALU_CYCLE_1) | instskip(NEXT) | instid1(VALU_DEP_1)
	s_or_b32 exec_lo, exec_lo, s1
	v_mov_b32_e32 v11, v15
	s_and_saveexec_b32 s1, s10
	s_cbranch_execz .LBB760_32
; %bb.29:
	global_load_u8 v4, v[2:3], off offset:64
	s_waitcnt vmcnt(0)
	v_dual_mov_b32 v11, v15 :: v_dual_and_b32 v4, 1, v4
	s_delay_alu instid0(VALU_DEP_1) | instskip(SKIP_1) | instid1(VALU_DEP_2)
	v_cmp_eq_u32_e64 s0, 1, v4
	v_mov_b32_e32 v4, 0
	s_xor_b32 s0, s0, -1
	s_delay_alu instid0(SALU_CYCLE_1)
	s_and_saveexec_b32 s6, s0
	s_cbranch_execz .LBB760_31
; %bb.30:
	v_sub_f32_e32 v4, v10, v18
	s_delay_alu instid0(VALU_DEP_1) | instskip(NEXT) | instid1(VALU_DEP_1)
	v_mul_f32_e32 v5, 0x3fb8aa3b, v4
	v_fma_f32 v10, 0x3fb8aa3b, v4, -v5
	v_rndne_f32_e32 v11, v5
	s_delay_alu instid0(VALU_DEP_1) | instskip(SKIP_1) | instid1(VALU_DEP_2)
	v_dual_sub_f32 v5, v5, v11 :: v_dual_fmamk_f32 v10, v4, 0x32a5705f, v10
	v_cmp_ngt_f32_e64 s0, 0xc2ce8ed0, v4
	v_add_f32_e32 v5, v5, v10
	v_cvt_i32_f32_e32 v10, v11
	s_delay_alu instid0(VALU_DEP_2) | instskip(SKIP_2) | instid1(VALU_DEP_1)
	v_exp_f32_e32 v5, v5
	s_waitcnt_depctr 0xfff
	v_ldexp_f32 v5, v5, v10
	v_cndmask_b32_e64 v5, 0, v5, s0
	v_cmp_nlt_f32_e64 s0, 0x42b17218, v4
	s_delay_alu instid0(VALU_DEP_1) | instskip(NEXT) | instid1(VALU_DEP_1)
	v_cndmask_b32_e64 v4, 0x7f800000, v5, s0
	v_add_f32_e32 v11, v15, v4
.LBB760_31:
	s_or_b32 exec_lo, exec_lo, s6
.LBB760_32:
	s_delay_alu instid0(SALU_CYCLE_1)
	s_or_b32 exec_lo, exec_lo, s1
	v_dual_mov_b32 v5, 0 :: v_dual_mov_b32 v10, 0
	s_and_saveexec_b32 s1, s7
	s_cbranch_execz .LBB760_36
; %bb.33:
	global_load_u8 v10, v[2:3], off offset:128
	s_waitcnt vmcnt(0)
	v_and_b32_e32 v10, 1, v10
	s_delay_alu instid0(VALU_DEP_1) | instskip(SKIP_1) | instid1(VALU_DEP_2)
	v_cmp_eq_u32_e64 s0, 1, v10
	v_mov_b32_e32 v10, 0
	s_xor_b32 s0, s0, -1
	s_delay_alu instid0(SALU_CYCLE_1)
	s_and_saveexec_b32 s6, s0
	s_cbranch_execz .LBB760_35
; %bb.34:
	v_sub_f32_e32 v9, v9, v18
	s_delay_alu instid0(VALU_DEP_1) | instskip(NEXT) | instid1(VALU_DEP_1)
	v_mul_f32_e32 v10, 0x3fb8aa3b, v9
	v_fma_f32 v19, 0x3fb8aa3b, v9, -v10
	v_rndne_f32_e32 v20, v10
	s_delay_alu instid0(VALU_DEP_1) | instskip(SKIP_1) | instid1(VALU_DEP_2)
	v_dual_sub_f32 v10, v10, v20 :: v_dual_fmamk_f32 v19, v9, 0x32a5705f, v19
	v_cmp_ngt_f32_e64 s0, 0xc2ce8ed0, v9
	v_add_f32_e32 v10, v10, v19
	v_cvt_i32_f32_e32 v19, v20
	s_delay_alu instid0(VALU_DEP_2) | instskip(SKIP_2) | instid1(VALU_DEP_1)
	v_exp_f32_e32 v10, v10
	s_waitcnt_depctr 0xfff
	v_ldexp_f32 v10, v10, v19
	v_cndmask_b32_e64 v10, 0, v10, s0
	v_cmp_nlt_f32_e64 s0, 0x42b17218, v9
	s_delay_alu instid0(VALU_DEP_1) | instskip(NEXT) | instid1(VALU_DEP_1)
	v_cndmask_b32_e64 v10, 0x7f800000, v10, s0
	v_add_f32_e32 v11, v11, v10
.LBB760_35:
	s_or_b32 exec_lo, exec_lo, s6
.LBB760_36:
	s_delay_alu instid0(SALU_CYCLE_1)
	s_or_b32 exec_lo, exec_lo, s1
	s_and_saveexec_b32 s1, s5
	s_cbranch_execz .LBB760_40
; %bb.37:
	global_load_u8 v2, v[2:3], off offset:192
	s_waitcnt vmcnt(0)
	v_dual_mov_b32 v5, 0 :: v_dual_and_b32 v2, 1, v2
	s_delay_alu instid0(VALU_DEP_1) | instskip(NEXT) | instid1(VALU_DEP_1)
	v_cmp_eq_u32_e64 s0, 1, v2
	s_xor_b32 s0, s0, -1
	s_delay_alu instid0(SALU_CYCLE_1)
	s_and_saveexec_b32 s5, s0
	s_cbranch_execz .LBB760_39
; %bb.38:
	v_sub_f32_e32 v2, v8, v18
	s_delay_alu instid0(VALU_DEP_1) | instskip(NEXT) | instid1(VALU_DEP_1)
	v_mul_f32_e32 v3, 0x3fb8aa3b, v2
	v_fma_f32 v5, 0x3fb8aa3b, v2, -v3
	v_rndne_f32_e32 v8, v3
	s_delay_alu instid0(VALU_DEP_1) | instskip(NEXT) | instid1(VALU_DEP_3)
	v_sub_f32_e32 v3, v3, v8
	v_fmamk_f32 v5, v2, 0x32a5705f, v5
	v_cmp_ngt_f32_e64 s0, 0xc2ce8ed0, v2
	s_delay_alu instid0(VALU_DEP_2) | instskip(SKIP_1) | instid1(VALU_DEP_2)
	v_add_f32_e32 v3, v3, v5
	v_cvt_i32_f32_e32 v5, v8
	v_exp_f32_e32 v3, v3
	s_waitcnt_depctr 0xfff
	v_ldexp_f32 v3, v3, v5
	s_delay_alu instid0(VALU_DEP_1) | instskip(SKIP_1) | instid1(VALU_DEP_1)
	v_cndmask_b32_e64 v3, 0, v3, s0
	v_cmp_nlt_f32_e64 s0, 0x42b17218, v2
	v_cndmask_b32_e64 v5, 0x7f800000, v3, s0
	s_delay_alu instid0(VALU_DEP_1)
	v_add_f32_e32 v11, v11, v5
.LBB760_39:
	s_or_b32 exec_lo, exec_lo, s5
.LBB760_40:
	s_delay_alu instid0(SALU_CYCLE_1)
	s_or_b32 exec_lo, exec_lo, s1
	ds_bpermute_b32 v2, v6, v11
	s_mov_b32 s1, exec_lo
	s_waitcnt lgkmcnt(0)
	v_add_f32_e32 v2, v11, v2
	ds_bpermute_b32 v3, v12, v2
	s_waitcnt lgkmcnt(0)
	v_add_f32_e32 v2, v2, v3
	ds_bpermute_b32 v3, v13, v2
	;; [unrolled: 3-line block ×5, first 2 shown]
	v_cmpx_lt_i32_e32 0, v7
	s_cbranch_execz .LBB760_54
; %bb.41:
	s_and_b32 exec_lo, exec_lo, vcc_lo
	s_cbranch_execz .LBB760_54
; %bb.42:
	s_waitcnt lgkmcnt(0)
	v_dual_add_f32 v2, v2, v3 :: v_dual_mov_b32 v3, 0x7fc0
	s_delay_alu instid0(VALU_DEP_1) | instskip(NEXT) | instid1(VALU_DEP_1)
	v_cmp_neq_f32_e64 s0, 0, v2
	s_and_saveexec_b32 s1, s0
	s_cbranch_execz .LBB760_44
; %bb.43:
	v_div_scale_f32 v3, null, v2, v2, v15
	s_delay_alu instid0(VALU_DEP_1) | instskip(SKIP_2) | instid1(VALU_DEP_1)
	v_rcp_f32_e32 v6, v3
	s_waitcnt_depctr 0xfff
	v_fma_f32 v7, -v3, v6, 1.0
	v_fmac_f32_e32 v6, v7, v6
	v_div_scale_f32 v7, vcc_lo, v15, v2, v15
	s_delay_alu instid0(VALU_DEP_1) | instskip(NEXT) | instid1(VALU_DEP_1)
	v_mul_f32_e32 v8, v7, v6
	v_fma_f32 v9, -v3, v8, v7
	s_delay_alu instid0(VALU_DEP_1) | instskip(NEXT) | instid1(VALU_DEP_1)
	v_fmac_f32_e32 v8, v9, v6
	v_fma_f32 v3, -v3, v8, v7
	s_delay_alu instid0(VALU_DEP_1) | instskip(NEXT) | instid1(VALU_DEP_1)
	v_div_fmas_f32 v3, v3, v6, v8
	v_div_fixup_f32 v3, v3, v2, v15
	s_delay_alu instid0(VALU_DEP_1) | instskip(SKIP_1) | instid1(VALU_DEP_2)
	v_bfe_u32 v6, v3, 16, 1
	v_cmp_o_f32_e32 vcc_lo, v3, v3
	v_add3_u32 v6, v3, v6, 0x7fff
	s_delay_alu instid0(VALU_DEP_1) | instskip(NEXT) | instid1(VALU_DEP_1)
	v_lshrrev_b32_e32 v6, 16, v6
	v_cndmask_b32_e32 v3, 0x7fc0, v6, vcc_lo
.LBB760_44:
	s_or_b32 exec_lo, exec_lo, s1
	v_add_co_u32 v0, vcc_lo, s8, v0
	v_add_co_ci_u32_e32 v1, vcc_lo, s9, v1, vcc_lo
	global_store_b16 v[0:1], v3, off
	s_and_b32 exec_lo, exec_lo, s4
	s_cbranch_execz .LBB760_54
; %bb.45:
	v_mov_b32_e32 v3, 0x7fc0
	s_and_saveexec_b32 s1, s0
	s_cbranch_execz .LBB760_47
; %bb.46:
	v_div_scale_f32 v3, null, v2, v2, v4
	s_delay_alu instid0(VALU_DEP_1) | instskip(SKIP_2) | instid1(VALU_DEP_1)
	v_rcp_f32_e32 v6, v3
	s_waitcnt_depctr 0xfff
	v_fma_f32 v7, -v3, v6, 1.0
	v_fmac_f32_e32 v6, v7, v6
	v_div_scale_f32 v7, vcc_lo, v4, v2, v4
	s_delay_alu instid0(VALU_DEP_1) | instskip(NEXT) | instid1(VALU_DEP_1)
	v_mul_f32_e32 v8, v7, v6
	v_fma_f32 v9, -v3, v8, v7
	s_delay_alu instid0(VALU_DEP_1) | instskip(NEXT) | instid1(VALU_DEP_1)
	v_fmac_f32_e32 v8, v9, v6
	v_fma_f32 v3, -v3, v8, v7
	s_delay_alu instid0(VALU_DEP_1) | instskip(NEXT) | instid1(VALU_DEP_1)
	v_div_fmas_f32 v3, v3, v6, v8
	v_div_fixup_f32 v3, v3, v2, v4
	s_delay_alu instid0(VALU_DEP_1) | instskip(SKIP_1) | instid1(VALU_DEP_2)
	v_bfe_u32 v4, v3, 16, 1
	v_cmp_o_f32_e32 vcc_lo, v3, v3
	v_add3_u32 v4, v3, v4, 0x7fff
	s_delay_alu instid0(VALU_DEP_1) | instskip(NEXT) | instid1(VALU_DEP_1)
	v_lshrrev_b32_e32 v4, 16, v4
	v_cndmask_b32_e32 v3, 0x7fc0, v4, vcc_lo
.LBB760_47:
	s_or_b32 exec_lo, exec_lo, s1
	global_store_b16 v[0:1], v3, off offset:128
	s_and_b32 exec_lo, exec_lo, s3
	s_cbranch_execz .LBB760_54
; %bb.48:
	v_mov_b32_e32 v3, 0x7fc0
	s_and_saveexec_b32 s1, s0
	s_cbranch_execz .LBB760_50
; %bb.49:
	v_div_scale_f32 v3, null, v2, v2, v10
	s_delay_alu instid0(VALU_DEP_1) | instskip(SKIP_2) | instid1(VALU_DEP_1)
	v_rcp_f32_e32 v4, v3
	s_waitcnt_depctr 0xfff
	v_fma_f32 v6, -v3, v4, 1.0
	v_fmac_f32_e32 v4, v6, v4
	v_div_scale_f32 v6, vcc_lo, v10, v2, v10
	s_delay_alu instid0(VALU_DEP_1) | instskip(NEXT) | instid1(VALU_DEP_1)
	v_mul_f32_e32 v7, v6, v4
	v_fma_f32 v8, -v3, v7, v6
	s_delay_alu instid0(VALU_DEP_1) | instskip(NEXT) | instid1(VALU_DEP_1)
	v_fmac_f32_e32 v7, v8, v4
	v_fma_f32 v3, -v3, v7, v6
	s_delay_alu instid0(VALU_DEP_1) | instskip(NEXT) | instid1(VALU_DEP_1)
	v_div_fmas_f32 v3, v3, v4, v7
	v_div_fixup_f32 v3, v3, v2, v10
	s_delay_alu instid0(VALU_DEP_1) | instskip(SKIP_1) | instid1(VALU_DEP_2)
	v_bfe_u32 v4, v3, 16, 1
	v_cmp_o_f32_e32 vcc_lo, v3, v3
	v_add3_u32 v4, v3, v4, 0x7fff
	s_delay_alu instid0(VALU_DEP_1) | instskip(NEXT) | instid1(VALU_DEP_1)
	v_lshrrev_b32_e32 v4, 16, v4
	v_cndmask_b32_e32 v3, 0x7fc0, v4, vcc_lo
.LBB760_50:
	s_or_b32 exec_lo, exec_lo, s1
	global_store_b16 v[0:1], v3, off offset:256
	;; [unrolled: 33-line block ×3, first 2 shown]
.LBB760_54:
	s_nop 0
	s_sendmsg sendmsg(MSG_DEALLOC_VGPRS)
	s_endpgm
	.section	.rodata,"a",@progbits
	.p2align	6, 0x0
	.amdhsa_kernel _ZN12_GLOBAL__N_120softmax_warp_forwardIN3c108BFloat16ES2_fLi8ELb0ELb1ELi64EEEvPT0_PKT_iiiPKbib
		.amdhsa_group_segment_fixed_size 0
		.amdhsa_private_segment_fixed_size 0
		.amdhsa_kernarg_size 304
		.amdhsa_user_sgpr_count 15
		.amdhsa_user_sgpr_dispatch_ptr 0
		.amdhsa_user_sgpr_queue_ptr 0
		.amdhsa_user_sgpr_kernarg_segment_ptr 1
		.amdhsa_user_sgpr_dispatch_id 0
		.amdhsa_user_sgpr_private_segment_size 0
		.amdhsa_wavefront_size32 1
		.amdhsa_uses_dynamic_stack 0
		.amdhsa_enable_private_segment 0
		.amdhsa_system_sgpr_workgroup_id_x 1
		.amdhsa_system_sgpr_workgroup_id_y 0
		.amdhsa_system_sgpr_workgroup_id_z 0
		.amdhsa_system_sgpr_workgroup_info 0
		.amdhsa_system_vgpr_workitem_id 1
		.amdhsa_next_free_vgpr 21
		.amdhsa_next_free_sgpr 16
		.amdhsa_reserve_vcc 1
		.amdhsa_float_round_mode_32 0
		.amdhsa_float_round_mode_16_64 0
		.amdhsa_float_denorm_mode_32 3
		.amdhsa_float_denorm_mode_16_64 3
		.amdhsa_dx10_clamp 1
		.amdhsa_ieee_mode 1
		.amdhsa_fp16_overflow 0
		.amdhsa_workgroup_processor_mode 1
		.amdhsa_memory_ordered 1
		.amdhsa_forward_progress 0
		.amdhsa_shared_vgpr_count 0
		.amdhsa_exception_fp_ieee_invalid_op 0
		.amdhsa_exception_fp_denorm_src 0
		.amdhsa_exception_fp_ieee_div_zero 0
		.amdhsa_exception_fp_ieee_overflow 0
		.amdhsa_exception_fp_ieee_underflow 0
		.amdhsa_exception_fp_ieee_inexact 0
		.amdhsa_exception_int_div_zero 0
	.end_amdhsa_kernel
	.section	.text._ZN12_GLOBAL__N_120softmax_warp_forwardIN3c108BFloat16ES2_fLi8ELb0ELb1ELi64EEEvPT0_PKT_iiiPKbib,"axG",@progbits,_ZN12_GLOBAL__N_120softmax_warp_forwardIN3c108BFloat16ES2_fLi8ELb0ELb1ELi64EEEvPT0_PKT_iiiPKbib,comdat
.Lfunc_end760:
	.size	_ZN12_GLOBAL__N_120softmax_warp_forwardIN3c108BFloat16ES2_fLi8ELb0ELb1ELi64EEEvPT0_PKT_iiiPKbib, .Lfunc_end760-_ZN12_GLOBAL__N_120softmax_warp_forwardIN3c108BFloat16ES2_fLi8ELb0ELb1ELi64EEEvPT0_PKT_iiiPKbib
                                        ; -- End function
	.section	.AMDGPU.csdata,"",@progbits
; Kernel info:
; codeLenInByte = 3024
; NumSgprs: 18
; NumVgprs: 21
; ScratchSize: 0
; MemoryBound: 0
; FloatMode: 240
; IeeeMode: 1
; LDSByteSize: 0 bytes/workgroup (compile time only)
; SGPRBlocks: 2
; VGPRBlocks: 2
; NumSGPRsForWavesPerEU: 18
; NumVGPRsForWavesPerEU: 21
; Occupancy: 16
; WaveLimiterHint : 0
; COMPUTE_PGM_RSRC2:SCRATCH_EN: 0
; COMPUTE_PGM_RSRC2:USER_SGPR: 15
; COMPUTE_PGM_RSRC2:TRAP_HANDLER: 0
; COMPUTE_PGM_RSRC2:TGID_X_EN: 1
; COMPUTE_PGM_RSRC2:TGID_Y_EN: 0
; COMPUTE_PGM_RSRC2:TGID_Z_EN: 0
; COMPUTE_PGM_RSRC2:TIDIG_COMP_CNT: 1
	.section	.text._ZN12_GLOBAL__N_120softmax_warp_forwardIN3c108BFloat16ES2_fLi8ELb0ELb1ELi32EEEvPT0_PKT_iiiPKbib,"axG",@progbits,_ZN12_GLOBAL__N_120softmax_warp_forwardIN3c108BFloat16ES2_fLi8ELb0ELb1ELi32EEEvPT0_PKT_iiiPKbib,comdat
	.globl	_ZN12_GLOBAL__N_120softmax_warp_forwardIN3c108BFloat16ES2_fLi8ELb0ELb1ELi32EEEvPT0_PKT_iiiPKbib ; -- Begin function _ZN12_GLOBAL__N_120softmax_warp_forwardIN3c108BFloat16ES2_fLi8ELb0ELb1ELi32EEEvPT0_PKT_iiiPKbib
	.p2align	8
	.type	_ZN12_GLOBAL__N_120softmax_warp_forwardIN3c108BFloat16ES2_fLi8ELb0ELb1ELi32EEEvPT0_PKT_iiiPKbib,@function
_ZN12_GLOBAL__N_120softmax_warp_forwardIN3c108BFloat16ES2_fLi8ELb0ELb1ELi32EEEvPT0_PKT_iiiPKbib: ; @_ZN12_GLOBAL__N_120softmax_warp_forwardIN3c108BFloat16ES2_fLi8ELb0ELb1ELi32EEEvPT0_PKT_iiiPKbib
; %bb.0:
	s_clause 0x1
	s_load_b32 s2, s[0:1], 0x3c
	s_load_b128 s[8:11], s[0:1], 0x10
	v_bfe_u32 v3, v0, 10, 10
	s_waitcnt lgkmcnt(0)
	s_lshr_b32 s2, s2, 16
	s_delay_alu instid0(VALU_DEP_1) | instid1(SALU_CYCLE_1)
	v_mad_u64_u32 v[1:2], null, s15, s2, v[3:4]
	s_load_b64 s[2:3], s[0:1], 0x28
	v_and_b32_e32 v2, 0x3ff, v0
	s_delay_alu instid0(VALU_DEP_2) | instskip(NEXT) | instid1(VALU_DEP_1)
	v_mul_lo_u32 v7, v1, s9
	v_add_nc_u32_e32 v5, v7, v2
	s_delay_alu instid0(VALU_DEP_1) | instskip(SKIP_3) | instid1(VALU_DEP_2)
	v_ashrrev_i32_e32 v6, 31, v5
	v_mov_b32_e32 v3, v5
	s_waitcnt lgkmcnt(0)
	s_bitcmp0_b32 s3, 0
	v_mov_b32_e32 v4, v6
	s_cbranch_scc1 .LBB761_2
; %bb.1:
	s_abs_i32 s3, s2
	v_sub_nc_u32_e32 v4, 0, v7
	v_cvt_f32_u32_e32 v0, s3
	s_sub_i32 s4, 0, s3
	s_delay_alu instid0(VALU_DEP_2) | instskip(NEXT) | instid1(VALU_DEP_2)
	v_max_i32_e32 v4, v7, v4
	v_rcp_iflag_f32_e32 v0, v0
	s_waitcnt_depctr 0xfff
	v_mul_f32_e32 v0, 0x4f7ffffe, v0
	s_delay_alu instid0(VALU_DEP_1) | instskip(NEXT) | instid1(VALU_DEP_1)
	v_cvt_u32_f32_e32 v0, v0
	v_mul_lo_u32 v3, s4, v0
	s_delay_alu instid0(VALU_DEP_1) | instskip(NEXT) | instid1(VALU_DEP_1)
	v_mul_hi_u32 v3, v0, v3
	v_add_nc_u32_e32 v0, v0, v3
	s_delay_alu instid0(VALU_DEP_1) | instskip(NEXT) | instid1(VALU_DEP_1)
	v_mul_hi_u32 v0, v4, v0
	v_mul_lo_u32 v3, v0, s3
	s_delay_alu instid0(VALU_DEP_1) | instskip(SKIP_1) | instid1(VALU_DEP_2)
	v_sub_nc_u32_e32 v3, v4, v3
	v_add_nc_u32_e32 v4, 1, v0
	v_subrev_nc_u32_e32 v8, s3, v3
	v_cmp_le_u32_e32 vcc_lo, s3, v3
	s_delay_alu instid0(VALU_DEP_2) | instskip(NEXT) | instid1(VALU_DEP_4)
	v_cndmask_b32_e32 v3, v3, v8, vcc_lo
	v_cndmask_b32_e32 v0, v0, v4, vcc_lo
	v_xor_b32_e32 v4, s2, v7
	s_delay_alu instid0(VALU_DEP_3) | instskip(NEXT) | instid1(VALU_DEP_3)
	v_cmp_le_u32_e32 vcc_lo, s3, v3
	v_add_nc_u32_e32 v7, 1, v0
	s_delay_alu instid0(VALU_DEP_3) | instskip(NEXT) | instid1(VALU_DEP_2)
	v_ashrrev_i32_e32 v4, 31, v4
	v_cndmask_b32_e32 v0, v0, v7, vcc_lo
	s_delay_alu instid0(VALU_DEP_1) | instskip(NEXT) | instid1(VALU_DEP_1)
	v_xor_b32_e32 v0, v0, v4
	v_sub_nc_u32_e32 v0, v0, v4
	s_delay_alu instid0(VALU_DEP_1) | instskip(NEXT) | instid1(VALU_DEP_1)
	v_mad_u64_u32 v[3:4], null, v0, s9, v[2:3]
	v_ashrrev_i32_e32 v4, 31, v3
.LBB761_2:
	s_load_b128 s[12:15], s[0:1], 0x0
	v_sub_nc_u32_e32 v7, s8, v1
	v_lshlrev_b64 v[0:1], 1, v[5:6]
	v_cmp_gt_i32_e32 vcc_lo, s10, v2
	v_dual_mov_b32 v14, 0xff800000 :: v_dual_mov_b32 v15, 0xff800000
	s_delay_alu instid0(VALU_DEP_4) | instskip(NEXT) | instid1(VALU_DEP_1)
	v_cmp_lt_i32_e64 s9, 0, v7
	s_and_b32 s19, s9, vcc_lo
	s_waitcnt lgkmcnt(0)
	v_add_co_u32 v5, s2, s14, v0
	s_delay_alu instid0(VALU_DEP_1)
	v_add_co_ci_u32_e64 v6, s2, s15, v1, s2
	s_and_saveexec_b32 s2, s19
	s_cbranch_execz .LBB761_4
; %bb.3:
	global_load_u16 v8, v[5:6], off
	s_waitcnt vmcnt(0)
	v_lshlrev_b32_e32 v15, 16, v8
.LBB761_4:
	s_or_b32 exec_lo, exec_lo, s2
	v_add_nc_u32_e32 v8, 32, v2
	s_delay_alu instid0(VALU_DEP_1) | instskip(NEXT) | instid1(VALU_DEP_1)
	v_cmp_gt_i32_e64 s8, s10, v8
	s_and_b32 s18, s9, s8
	s_delay_alu instid0(SALU_CYCLE_1)
	s_and_saveexec_b32 s2, s18
	s_cbranch_execz .LBB761_6
; %bb.5:
	global_load_u16 v8, v[5:6], off offset:64
	s_waitcnt vmcnt(0)
	v_lshlrev_b32_e32 v14, 16, v8
.LBB761_6:
	s_or_b32 exec_lo, exec_lo, s2
	v_dual_mov_b32 v13, 0xff800000 :: v_dual_add_nc_u32 v8, 64, v2
	v_mov_b32_e32 v12, 0xff800000
	s_delay_alu instid0(VALU_DEP_2) | instskip(NEXT) | instid1(VALU_DEP_1)
	v_cmp_gt_i32_e64 s7, s10, v8
	s_and_b32 s17, s9, s7
	s_delay_alu instid0(SALU_CYCLE_1)
	s_and_saveexec_b32 s2, s17
	s_cbranch_execz .LBB761_8
; %bb.7:
	global_load_u16 v8, v[5:6], off offset:128
	s_waitcnt vmcnt(0)
	v_lshlrev_b32_e32 v13, 16, v8
.LBB761_8:
	s_or_b32 exec_lo, exec_lo, s2
	v_add_nc_u32_e32 v8, 0x60, v2
	s_delay_alu instid0(VALU_DEP_1) | instskip(NEXT) | instid1(VALU_DEP_1)
	v_cmp_gt_i32_e64 s6, s10, v8
	s_and_b32 s16, s9, s6
	s_delay_alu instid0(SALU_CYCLE_1)
	s_and_saveexec_b32 s2, s16
	s_cbranch_execz .LBB761_10
; %bb.9:
	global_load_u16 v8, v[5:6], off offset:192
	s_waitcnt vmcnt(0)
	v_lshlrev_b32_e32 v12, 16, v8
.LBB761_10:
	s_or_b32 exec_lo, exec_lo, s2
	v_add_nc_u32_e32 v8, 0x80, v2
	v_dual_mov_b32 v10, 0xff800000 :: v_dual_mov_b32 v11, 0xff800000
	s_delay_alu instid0(VALU_DEP_2) | instskip(NEXT) | instid1(VALU_DEP_1)
	v_cmp_gt_i32_e64 s5, s10, v8
	s_and_b32 s15, s9, s5
	s_delay_alu instid0(SALU_CYCLE_1)
	s_and_saveexec_b32 s2, s15
	s_cbranch_execz .LBB761_12
; %bb.11:
	global_load_u16 v8, v[5:6], off offset:256
	s_waitcnt vmcnt(0)
	v_lshlrev_b32_e32 v11, 16, v8
.LBB761_12:
	s_or_b32 exec_lo, exec_lo, s2
	v_add_nc_u32_e32 v8, 0xa0, v2
	s_delay_alu instid0(VALU_DEP_1) | instskip(NEXT) | instid1(VALU_DEP_1)
	v_cmp_gt_i32_e64 s4, s10, v8
	s_and_b32 s14, s9, s4
	s_delay_alu instid0(SALU_CYCLE_1)
	s_and_saveexec_b32 s2, s14
	s_cbranch_execz .LBB761_14
; %bb.13:
	global_load_u16 v8, v[5:6], off offset:320
	s_waitcnt vmcnt(0)
	v_lshlrev_b32_e32 v10, 16, v8
.LBB761_14:
	s_or_b32 exec_lo, exec_lo, s2
	v_add_nc_u32_e32 v8, 0xc0, v2
	v_mov_b32_e32 v9, 0xff800000
	s_delay_alu instid0(VALU_DEP_2) | instskip(SKIP_1) | instid1(VALU_DEP_2)
	v_cmp_gt_i32_e64 s3, s10, v8
	v_mov_b32_e32 v8, 0xff800000
	s_and_b32 s11, s9, s3
	s_delay_alu instid0(SALU_CYCLE_1)
	s_and_saveexec_b32 s2, s11
	s_cbranch_execz .LBB761_16
; %bb.15:
	global_load_u16 v9, v[5:6], off offset:384
	s_waitcnt vmcnt(0)
	v_lshlrev_b32_e32 v9, 16, v9
.LBB761_16:
	s_or_b32 exec_lo, exec_lo, s2
	v_add_nc_u32_e32 v2, 0xe0, v2
	s_delay_alu instid0(VALU_DEP_1) | instskip(NEXT) | instid1(VALU_DEP_1)
	v_cmp_gt_i32_e64 s2, s10, v2
	s_and_b32 s9, s9, s2
	s_delay_alu instid0(SALU_CYCLE_1)
	s_and_saveexec_b32 s10, s9
	s_cbranch_execz .LBB761_18
; %bb.17:
	global_load_u16 v2, v[5:6], off offset:448
	s_waitcnt vmcnt(0)
	v_lshlrev_b32_e32 v8, 16, v2
.LBB761_18:
	s_or_b32 exec_lo, exec_lo, s10
	s_load_b64 s[0:1], s[0:1], 0x20
	s_waitcnt lgkmcnt(0)
	v_add_co_u32 v2, s0, s0, v3
	s_delay_alu instid0(VALU_DEP_1)
	v_add_co_ci_u32_e64 v3, s0, s1, v4, s0
	s_mov_b32 s1, 0
	s_and_saveexec_b32 s10, s19
	s_cbranch_execnz .LBB761_26
; %bb.19:
	s_or_b32 exec_lo, exec_lo, s10
	v_mov_b32_e32 v4, v15
	s_and_saveexec_b32 s10, s18
	s_cbranch_execnz .LBB761_27
.LBB761_20:
	s_or_b32 exec_lo, exec_lo, s10
	s_and_saveexec_b32 s10, s17
	s_cbranch_execnz .LBB761_30
.LBB761_21:
	s_or_b32 exec_lo, exec_lo, s10
	s_and_saveexec_b32 s10, s16
	s_cbranch_execnz .LBB761_33
.LBB761_22:
	s_or_b32 exec_lo, exec_lo, s10
	s_and_saveexec_b32 s10, s15
	s_cbranch_execnz .LBB761_36
.LBB761_23:
	s_or_b32 exec_lo, exec_lo, s10
	s_and_saveexec_b32 s10, s14
	s_cbranch_execnz .LBB761_39
.LBB761_24:
	s_or_b32 exec_lo, exec_lo, s10
	s_and_saveexec_b32 s10, s11
	s_cbranch_execnz .LBB761_42
.LBB761_25:
	s_or_b32 exec_lo, exec_lo, s10
	s_and_saveexec_b32 s10, s9
	s_cbranch_execnz .LBB761_45
	s_branch .LBB761_48
.LBB761_26:
	global_load_u8 v4, v[2:3], off
	s_waitcnt vmcnt(0)
	v_and_b32_e32 v4, 1, v4
	s_delay_alu instid0(VALU_DEP_1) | instskip(NEXT) | instid1(VALU_DEP_1)
	v_cmp_eq_u32_e64 s0, 1, v4
	s_xor_b32 s0, s0, -1
	s_delay_alu instid0(SALU_CYCLE_1)
	s_and_b32 s1, s0, exec_lo
	s_or_b32 exec_lo, exec_lo, s10
	v_mov_b32_e32 v4, v15
	s_and_saveexec_b32 s10, s18
	s_cbranch_execz .LBB761_20
.LBB761_27:
	global_load_u8 v4, v[2:3], off offset:32
	s_waitcnt vmcnt(0)
	v_and_b32_e32 v4, 1, v4
	s_delay_alu instid0(VALU_DEP_1) | instskip(SKIP_1) | instid1(VALU_DEP_2)
	v_cmp_eq_u32_e64 s0, 1, v4
	v_mov_b32_e32 v4, v15
	s_xor_b32 s21, s0, -1
	s_mov_b32 s0, s1
	s_and_saveexec_b32 s20, s21
; %bb.28:
	v_cmp_gt_f32_e64 s0, v15, v14
	s_delay_alu instid0(VALU_DEP_1) | instskip(NEXT) | instid1(SALU_CYCLE_1)
	s_and_b32 s0, s1, s0
	v_cndmask_b32_e64 v4, v14, v15, s0
	s_or_b32 s0, s1, exec_lo
; %bb.29:
	s_or_b32 exec_lo, exec_lo, s20
	s_delay_alu instid0(SALU_CYCLE_1) | instskip(SKIP_1) | instid1(SALU_CYCLE_1)
	s_and_not1_b32 s1, s1, exec_lo
	s_and_b32 s0, s0, exec_lo
	s_or_b32 s1, s1, s0
	s_or_b32 exec_lo, exec_lo, s10
	s_and_saveexec_b32 s10, s17
	s_cbranch_execz .LBB761_21
.LBB761_30:
	global_load_u8 v5, v[2:3], off offset:64
	s_waitcnt vmcnt(0)
	v_and_b32_e32 v5, 1, v5
	s_delay_alu instid0(VALU_DEP_1) | instskip(NEXT) | instid1(VALU_DEP_1)
	v_cmp_eq_u32_e64 s0, 1, v5
	s_xor_b32 s21, s0, -1
	s_mov_b32 s0, s1
	s_and_saveexec_b32 s20, s21
; %bb.31:
	v_cmp_gt_f32_e64 s0, v4, v13
	s_delay_alu instid0(VALU_DEP_1) | instskip(NEXT) | instid1(SALU_CYCLE_1)
	s_and_b32 s0, s1, s0
	v_cndmask_b32_e64 v4, v13, v4, s0
	s_or_b32 s0, s1, exec_lo
; %bb.32:
	s_or_b32 exec_lo, exec_lo, s20
	s_delay_alu instid0(SALU_CYCLE_1) | instskip(SKIP_1) | instid1(SALU_CYCLE_1)
	s_and_not1_b32 s1, s1, exec_lo
	s_and_b32 s0, s0, exec_lo
	s_or_b32 s1, s1, s0
	s_or_b32 exec_lo, exec_lo, s10
	s_and_saveexec_b32 s10, s16
	s_cbranch_execz .LBB761_22
.LBB761_33:
	global_load_u8 v5, v[2:3], off offset:96
	s_waitcnt vmcnt(0)
	v_and_b32_e32 v5, 1, v5
	s_delay_alu instid0(VALU_DEP_1) | instskip(NEXT) | instid1(VALU_DEP_1)
	v_cmp_eq_u32_e64 s0, 1, v5
	s_xor_b32 s21, s0, -1
	s_mov_b32 s0, s1
	s_and_saveexec_b32 s20, s21
; %bb.34:
	v_cmp_gt_f32_e64 s0, v4, v12
	s_delay_alu instid0(VALU_DEP_1) | instskip(NEXT) | instid1(SALU_CYCLE_1)
	s_and_b32 s0, s1, s0
	v_cndmask_b32_e64 v4, v12, v4, s0
	s_or_b32 s0, s1, exec_lo
; %bb.35:
	s_or_b32 exec_lo, exec_lo, s20
	s_delay_alu instid0(SALU_CYCLE_1) | instskip(SKIP_1) | instid1(SALU_CYCLE_1)
	s_and_not1_b32 s1, s1, exec_lo
	s_and_b32 s0, s0, exec_lo
	s_or_b32 s1, s1, s0
	s_or_b32 exec_lo, exec_lo, s10
	s_and_saveexec_b32 s10, s15
	s_cbranch_execz .LBB761_23
.LBB761_36:
	global_load_u8 v5, v[2:3], off offset:128
	s_waitcnt vmcnt(0)
	v_and_b32_e32 v5, 1, v5
	s_delay_alu instid0(VALU_DEP_1) | instskip(NEXT) | instid1(VALU_DEP_1)
	v_cmp_eq_u32_e64 s0, 1, v5
	s_xor_b32 s21, s0, -1
	s_mov_b32 s0, s1
	s_and_saveexec_b32 s20, s21
; %bb.37:
	v_cmp_gt_f32_e64 s0, v4, v11
	s_delay_alu instid0(VALU_DEP_1) | instskip(NEXT) | instid1(SALU_CYCLE_1)
	s_and_b32 s0, s1, s0
	v_cndmask_b32_e64 v4, v11, v4, s0
	s_or_b32 s0, s1, exec_lo
; %bb.38:
	s_or_b32 exec_lo, exec_lo, s20
	s_delay_alu instid0(SALU_CYCLE_1) | instskip(SKIP_1) | instid1(SALU_CYCLE_1)
	s_and_not1_b32 s1, s1, exec_lo
	s_and_b32 s0, s0, exec_lo
	s_or_b32 s1, s1, s0
	s_or_b32 exec_lo, exec_lo, s10
	s_and_saveexec_b32 s10, s14
	s_cbranch_execz .LBB761_24
.LBB761_39:
	global_load_u8 v5, v[2:3], off offset:160
	s_waitcnt vmcnt(0)
	v_and_b32_e32 v5, 1, v5
	s_delay_alu instid0(VALU_DEP_1) | instskip(NEXT) | instid1(VALU_DEP_1)
	v_cmp_eq_u32_e64 s0, 1, v5
	s_xor_b32 s21, s0, -1
	s_mov_b32 s0, s1
	s_and_saveexec_b32 s20, s21
; %bb.40:
	v_cmp_gt_f32_e64 s0, v4, v10
	s_delay_alu instid0(VALU_DEP_1) | instskip(NEXT) | instid1(SALU_CYCLE_1)
	s_and_b32 s0, s1, s0
	v_cndmask_b32_e64 v4, v10, v4, s0
	s_or_b32 s0, s1, exec_lo
; %bb.41:
	s_or_b32 exec_lo, exec_lo, s20
	s_delay_alu instid0(SALU_CYCLE_1) | instskip(SKIP_1) | instid1(SALU_CYCLE_1)
	s_and_not1_b32 s1, s1, exec_lo
	s_and_b32 s0, s0, exec_lo
	s_or_b32 s1, s1, s0
	s_or_b32 exec_lo, exec_lo, s10
	s_and_saveexec_b32 s10, s11
	s_cbranch_execz .LBB761_25
.LBB761_42:
	global_load_u8 v5, v[2:3], off offset:192
	s_waitcnt vmcnt(0)
	v_and_b32_e32 v5, 1, v5
	s_delay_alu instid0(VALU_DEP_1) | instskip(NEXT) | instid1(VALU_DEP_1)
	v_cmp_eq_u32_e64 s0, 1, v5
	s_xor_b32 s21, s0, -1
	s_mov_b32 s0, s1
	s_and_saveexec_b32 s20, s21
; %bb.43:
	v_cmp_gt_f32_e64 s0, v4, v9
	s_delay_alu instid0(VALU_DEP_1) | instskip(NEXT) | instid1(SALU_CYCLE_1)
	s_and_b32 s0, s1, s0
	v_cndmask_b32_e64 v4, v9, v4, s0
	s_or_b32 s0, s1, exec_lo
; %bb.44:
	s_or_b32 exec_lo, exec_lo, s20
	s_delay_alu instid0(SALU_CYCLE_1) | instskip(SKIP_1) | instid1(SALU_CYCLE_1)
	s_and_not1_b32 s1, s1, exec_lo
	s_and_b32 s0, s0, exec_lo
	s_or_b32 s1, s1, s0
	s_or_b32 exec_lo, exec_lo, s10
	s_and_saveexec_b32 s10, s9
	s_cbranch_execz .LBB761_48
.LBB761_45:
	global_load_u8 v5, v[2:3], off offset:224
	s_waitcnt vmcnt(0)
	v_and_b32_e32 v5, 1, v5
	s_delay_alu instid0(VALU_DEP_1) | instskip(NEXT) | instid1(VALU_DEP_1)
	v_cmp_eq_u32_e64 s0, 1, v5
	s_xor_b32 s21, s0, -1
	s_mov_b32 s0, s1
	s_and_saveexec_b32 s20, s21
; %bb.46:
	v_cmp_gt_f32_e64 s0, v4, v8
	s_delay_alu instid0(VALU_DEP_1) | instskip(NEXT) | instid1(SALU_CYCLE_1)
	s_and_b32 s0, s1, s0
	v_cndmask_b32_e64 v4, v8, v4, s0
	s_or_b32 s0, s1, exec_lo
; %bb.47:
	s_or_b32 exec_lo, exec_lo, s20
	s_delay_alu instid0(SALU_CYCLE_1) | instskip(SKIP_1) | instid1(SALU_CYCLE_1)
	s_and_not1_b32 s1, s1, exec_lo
	s_and_b32 s0, s0, exec_lo
	s_or_b32 s1, s1, s0
.LBB761_48:
	s_or_b32 exec_lo, exec_lo, s10
	v_mbcnt_lo_u32_b32 v5, -1, 0
	v_cndmask_b32_e64 v4, 0xff800000, v4, s1
	s_delay_alu instid0(VALU_DEP_2) | instskip(SKIP_3) | instid1(VALU_DEP_4)
	v_xor_b32_e32 v6, 16, v5
	v_xor_b32_e32 v16, 8, v5
	;; [unrolled: 1-line block ×4, first 2 shown]
	v_cmp_gt_i32_e64 s0, 32, v6
	s_delay_alu instid0(VALU_DEP_1) | instskip(SKIP_1) | instid1(VALU_DEP_2)
	v_cndmask_b32_e64 v6, v5, v6, s0
	v_cmp_gt_i32_e64 s0, 32, v16
	v_lshlrev_b32_e32 v6, 2, v6
	s_delay_alu instid0(VALU_DEP_2) | instskip(SKIP_4) | instid1(VALU_DEP_1)
	v_cndmask_b32_e64 v16, v5, v16, s0
	ds_bpermute_b32 v17, v6, v4
	v_lshlrev_b32_e32 v16, 2, v16
	s_waitcnt lgkmcnt(0)
	v_cmp_lt_f32_e64 s0, v4, v17
	v_cndmask_b32_e64 v4, v4, v17, s0
	v_xor_b32_e32 v17, 4, v5
	ds_bpermute_b32 v18, v16, v4
	v_cmp_gt_i32_e64 s0, 32, v17
	s_delay_alu instid0(VALU_DEP_1) | instskip(NEXT) | instid1(VALU_DEP_1)
	v_cndmask_b32_e64 v17, v5, v17, s0
	v_lshlrev_b32_e32 v17, 2, v17
	s_waitcnt lgkmcnt(0)
	v_cmp_lt_f32_e64 s0, v4, v18
	s_delay_alu instid0(VALU_DEP_1) | instskip(SKIP_3) | instid1(VALU_DEP_1)
	v_cndmask_b32_e64 v4, v4, v18, s0
	v_cmp_gt_i32_e64 s0, 32, v19
	ds_bpermute_b32 v18, v17, v4
	v_cndmask_b32_e64 v19, v5, v19, s0
	v_lshlrev_b32_e32 v19, 2, v19
	s_waitcnt lgkmcnt(0)
	v_cmp_lt_f32_e64 s0, v4, v18
	s_delay_alu instid0(VALU_DEP_1) | instskip(SKIP_3) | instid1(VALU_DEP_1)
	v_cndmask_b32_e64 v4, v4, v18, s0
	v_cmp_gt_i32_e64 s0, 32, v20
	ds_bpermute_b32 v18, v19, v4
	v_cndmask_b32_e64 v5, v5, v20, s0
	v_lshlrev_b32_e32 v20, 2, v5
	s_waitcnt lgkmcnt(0)
	v_cmp_lt_f32_e64 s0, v4, v18
	s_delay_alu instid0(VALU_DEP_1) | instskip(SKIP_4) | instid1(VALU_DEP_1)
	v_cndmask_b32_e64 v5, v4, v18, s0
	v_mov_b32_e32 v4, 0
	ds_bpermute_b32 v18, v20, v5
	s_waitcnt lgkmcnt(0)
	v_cmp_lt_f32_e64 s0, v5, v18
	v_cndmask_b32_e64 v21, v5, v18, s0
	v_mov_b32_e32 v18, 0
	s_and_saveexec_b32 s1, s19
	s_cbranch_execz .LBB761_52
; %bb.49:
	global_load_u8 v5, v[2:3], off
	s_waitcnt vmcnt(0)
	v_dual_mov_b32 v18, 0 :: v_dual_and_b32 v5, 1, v5
	s_delay_alu instid0(VALU_DEP_1) | instskip(NEXT) | instid1(VALU_DEP_1)
	v_cmp_eq_u32_e64 s0, 1, v5
	s_xor_b32 s0, s0, -1
	s_delay_alu instid0(SALU_CYCLE_1)
	s_and_saveexec_b32 s10, s0
	s_cbranch_execz .LBB761_51
; %bb.50:
	v_sub_f32_e32 v5, v15, v21
	s_delay_alu instid0(VALU_DEP_1) | instskip(SKIP_1) | instid1(VALU_DEP_2)
	v_mul_f32_e32 v15, 0x3fb8aa3b, v5
	v_cmp_ngt_f32_e64 s0, 0xc2ce8ed0, v5
	v_fma_f32 v18, 0x3fb8aa3b, v5, -v15
	v_rndne_f32_e32 v22, v15
	s_delay_alu instid0(VALU_DEP_1) | instskip(NEXT) | instid1(VALU_DEP_1)
	v_dual_fmamk_f32 v18, v5, 0x32a5705f, v18 :: v_dual_sub_f32 v15, v15, v22
	v_add_f32_e32 v15, v15, v18
	v_cvt_i32_f32_e32 v18, v22
	s_delay_alu instid0(VALU_DEP_2) | instskip(SKIP_2) | instid1(VALU_DEP_1)
	v_exp_f32_e32 v15, v15
	s_waitcnt_depctr 0xfff
	v_ldexp_f32 v15, v15, v18
	v_cndmask_b32_e64 v15, 0, v15, s0
	v_cmp_nlt_f32_e64 s0, 0x42b17218, v5
	s_delay_alu instid0(VALU_DEP_1)
	v_cndmask_b32_e64 v18, 0x7f800000, v15, s0
.LBB761_51:
	s_or_b32 exec_lo, exec_lo, s10
.LBB761_52:
	s_delay_alu instid0(SALU_CYCLE_1) | instskip(NEXT) | instid1(VALU_DEP_1)
	s_or_b32 exec_lo, exec_lo, s1
	v_mov_b32_e32 v15, v18
	s_and_saveexec_b32 s1, s18
	s_cbranch_execz .LBB761_56
; %bb.53:
	global_load_u8 v4, v[2:3], off offset:32
	s_waitcnt vmcnt(0)
	v_dual_mov_b32 v15, v18 :: v_dual_and_b32 v4, 1, v4
	s_delay_alu instid0(VALU_DEP_1) | instskip(SKIP_1) | instid1(VALU_DEP_2)
	v_cmp_eq_u32_e64 s0, 1, v4
	v_mov_b32_e32 v4, 0
	s_xor_b32 s0, s0, -1
	s_delay_alu instid0(SALU_CYCLE_1)
	s_and_saveexec_b32 s10, s0
	s_cbranch_execz .LBB761_55
; %bb.54:
	v_sub_f32_e32 v4, v14, v21
	s_delay_alu instid0(VALU_DEP_1) | instskip(NEXT) | instid1(VALU_DEP_1)
	v_mul_f32_e32 v5, 0x3fb8aa3b, v4
	v_fma_f32 v14, 0x3fb8aa3b, v4, -v5
	v_rndne_f32_e32 v15, v5
	s_delay_alu instid0(VALU_DEP_1) | instskip(SKIP_1) | instid1(VALU_DEP_2)
	v_dual_sub_f32 v5, v5, v15 :: v_dual_fmamk_f32 v14, v4, 0x32a5705f, v14
	v_cmp_ngt_f32_e64 s0, 0xc2ce8ed0, v4
	v_add_f32_e32 v5, v5, v14
	v_cvt_i32_f32_e32 v14, v15
	s_delay_alu instid0(VALU_DEP_2) | instskip(SKIP_2) | instid1(VALU_DEP_1)
	v_exp_f32_e32 v5, v5
	s_waitcnt_depctr 0xfff
	v_ldexp_f32 v5, v5, v14
	v_cndmask_b32_e64 v5, 0, v5, s0
	v_cmp_nlt_f32_e64 s0, 0x42b17218, v4
	s_delay_alu instid0(VALU_DEP_1) | instskip(NEXT) | instid1(VALU_DEP_1)
	v_cndmask_b32_e64 v4, 0x7f800000, v5, s0
	v_add_f32_e32 v15, v18, v4
.LBB761_55:
	s_or_b32 exec_lo, exec_lo, s10
.LBB761_56:
	s_delay_alu instid0(SALU_CYCLE_1)
	s_or_b32 exec_lo, exec_lo, s1
	v_dual_mov_b32 v5, 0 :: v_dual_mov_b32 v14, 0
	s_and_saveexec_b32 s1, s17
	s_cbranch_execz .LBB761_60
; %bb.57:
	global_load_u8 v14, v[2:3], off offset:64
	s_waitcnt vmcnt(0)
	v_and_b32_e32 v14, 1, v14
	s_delay_alu instid0(VALU_DEP_1) | instskip(SKIP_1) | instid1(VALU_DEP_2)
	v_cmp_eq_u32_e64 s0, 1, v14
	v_mov_b32_e32 v14, 0
	s_xor_b32 s0, s0, -1
	s_delay_alu instid0(SALU_CYCLE_1)
	s_and_saveexec_b32 s10, s0
	s_cbranch_execz .LBB761_59
; %bb.58:
	v_sub_f32_e32 v13, v13, v21
	s_delay_alu instid0(VALU_DEP_1) | instskip(NEXT) | instid1(VALU_DEP_1)
	v_mul_f32_e32 v14, 0x3fb8aa3b, v13
	v_fma_f32 v22, 0x3fb8aa3b, v13, -v14
	v_rndne_f32_e32 v23, v14
	s_delay_alu instid0(VALU_DEP_1) | instskip(NEXT) | instid1(VALU_DEP_3)
	v_sub_f32_e32 v14, v14, v23
	v_fmamk_f32 v22, v13, 0x32a5705f, v22
	v_cmp_ngt_f32_e64 s0, 0xc2ce8ed0, v13
	s_delay_alu instid0(VALU_DEP_2) | instskip(SKIP_1) | instid1(VALU_DEP_2)
	v_add_f32_e32 v14, v14, v22
	v_cvt_i32_f32_e32 v22, v23
	v_exp_f32_e32 v14, v14
	s_waitcnt_depctr 0xfff
	v_ldexp_f32 v14, v14, v22
	s_delay_alu instid0(VALU_DEP_1) | instskip(SKIP_1) | instid1(VALU_DEP_1)
	v_cndmask_b32_e64 v14, 0, v14, s0
	v_cmp_nlt_f32_e64 s0, 0x42b17218, v13
	v_cndmask_b32_e64 v14, 0x7f800000, v14, s0
	s_delay_alu instid0(VALU_DEP_1)
	v_add_f32_e32 v15, v15, v14
.LBB761_59:
	s_or_b32 exec_lo, exec_lo, s10
.LBB761_60:
	s_delay_alu instid0(SALU_CYCLE_1)
	s_or_b32 exec_lo, exec_lo, s1
	s_and_saveexec_b32 s1, s16
	s_cbranch_execz .LBB761_64
; %bb.61:
	global_load_u8 v5, v[2:3], off offset:96
	s_waitcnt vmcnt(0)
	v_and_b32_e32 v5, 1, v5
	s_delay_alu instid0(VALU_DEP_1) | instskip(SKIP_1) | instid1(VALU_DEP_2)
	v_cmp_eq_u32_e64 s0, 1, v5
	v_mov_b32_e32 v5, 0
	s_xor_b32 s0, s0, -1
	s_delay_alu instid0(SALU_CYCLE_1)
	s_and_saveexec_b32 s10, s0
	s_cbranch_execz .LBB761_63
; %bb.62:
	v_sub_f32_e32 v5, v12, v21
	s_delay_alu instid0(VALU_DEP_1) | instskip(SKIP_1) | instid1(VALU_DEP_2)
	v_mul_f32_e32 v12, 0x3fb8aa3b, v5
	v_cmp_ngt_f32_e64 s0, 0xc2ce8ed0, v5
	v_fma_f32 v13, 0x3fb8aa3b, v5, -v12
	v_rndne_f32_e32 v22, v12
	s_delay_alu instid0(VALU_DEP_1) | instskip(NEXT) | instid1(VALU_DEP_1)
	v_dual_fmamk_f32 v13, v5, 0x32a5705f, v13 :: v_dual_sub_f32 v12, v12, v22
	v_add_f32_e32 v12, v12, v13
	v_cvt_i32_f32_e32 v13, v22
	s_delay_alu instid0(VALU_DEP_2) | instskip(SKIP_2) | instid1(VALU_DEP_1)
	v_exp_f32_e32 v12, v12
	s_waitcnt_depctr 0xfff
	v_ldexp_f32 v12, v12, v13
	v_cndmask_b32_e64 v12, 0, v12, s0
	v_cmp_nlt_f32_e64 s0, 0x42b17218, v5
	s_delay_alu instid0(VALU_DEP_1) | instskip(NEXT) | instid1(VALU_DEP_1)
	v_cndmask_b32_e64 v5, 0x7f800000, v12, s0
	v_add_f32_e32 v15, v15, v5
.LBB761_63:
	s_or_b32 exec_lo, exec_lo, s10
.LBB761_64:
	s_delay_alu instid0(SALU_CYCLE_1)
	s_or_b32 exec_lo, exec_lo, s1
	v_dual_mov_b32 v12, 0 :: v_dual_mov_b32 v13, 0
	s_and_saveexec_b32 s1, s15
	s_cbranch_execz .LBB761_68
; %bb.65:
	global_load_u8 v13, v[2:3], off offset:128
	s_waitcnt vmcnt(0)
	v_and_b32_e32 v13, 1, v13
	s_delay_alu instid0(VALU_DEP_1) | instskip(SKIP_1) | instid1(VALU_DEP_2)
	v_cmp_eq_u32_e64 s0, 1, v13
	v_mov_b32_e32 v13, 0
	s_xor_b32 s0, s0, -1
	s_delay_alu instid0(SALU_CYCLE_1)
	s_and_saveexec_b32 s10, s0
	s_cbranch_execz .LBB761_67
; %bb.66:
	v_sub_f32_e32 v11, v11, v21
	s_delay_alu instid0(VALU_DEP_1) | instskip(SKIP_1) | instid1(VALU_DEP_2)
	v_mul_f32_e32 v13, 0x3fb8aa3b, v11
	v_cmp_ngt_f32_e64 s0, 0xc2ce8ed0, v11
	v_fma_f32 v22, 0x3fb8aa3b, v11, -v13
	v_rndne_f32_e32 v23, v13
	s_delay_alu instid0(VALU_DEP_1) | instskip(NEXT) | instid1(VALU_DEP_1)
	v_dual_fmamk_f32 v22, v11, 0x32a5705f, v22 :: v_dual_sub_f32 v13, v13, v23
	v_add_f32_e32 v13, v13, v22
	v_cvt_i32_f32_e32 v22, v23
	s_delay_alu instid0(VALU_DEP_2) | instskip(SKIP_2) | instid1(VALU_DEP_1)
	v_exp_f32_e32 v13, v13
	s_waitcnt_depctr 0xfff
	v_ldexp_f32 v13, v13, v22
	v_cndmask_b32_e64 v13, 0, v13, s0
	v_cmp_nlt_f32_e64 s0, 0x42b17218, v11
	s_delay_alu instid0(VALU_DEP_1) | instskip(NEXT) | instid1(VALU_DEP_1)
	v_cndmask_b32_e64 v13, 0x7f800000, v13, s0
	v_add_f32_e32 v15, v15, v13
.LBB761_67:
	s_or_b32 exec_lo, exec_lo, s10
.LBB761_68:
	s_delay_alu instid0(SALU_CYCLE_1)
	s_or_b32 exec_lo, exec_lo, s1
	s_and_saveexec_b32 s1, s14
	s_cbranch_execz .LBB761_72
; %bb.69:
	global_load_u8 v11, v[2:3], off offset:160
	s_waitcnt vmcnt(0)
	v_dual_mov_b32 v12, 0 :: v_dual_and_b32 v11, 1, v11
	s_delay_alu instid0(VALU_DEP_1) | instskip(NEXT) | instid1(VALU_DEP_1)
	v_cmp_eq_u32_e64 s0, 1, v11
	s_xor_b32 s0, s0, -1
	s_delay_alu instid0(SALU_CYCLE_1)
	s_and_saveexec_b32 s10, s0
	s_cbranch_execz .LBB761_71
; %bb.70:
	v_sub_f32_e32 v10, v10, v21
	s_delay_alu instid0(VALU_DEP_1) | instskip(NEXT) | instid1(VALU_DEP_1)
	v_mul_f32_e32 v11, 0x3fb8aa3b, v10
	v_fma_f32 v12, 0x3fb8aa3b, v10, -v11
	v_rndne_f32_e32 v22, v11
	s_delay_alu instid0(VALU_DEP_1) | instskip(SKIP_1) | instid1(VALU_DEP_2)
	v_dual_sub_f32 v11, v11, v22 :: v_dual_fmamk_f32 v12, v10, 0x32a5705f, v12
	v_cmp_ngt_f32_e64 s0, 0xc2ce8ed0, v10
	v_add_f32_e32 v11, v11, v12
	v_cvt_i32_f32_e32 v12, v22
	s_delay_alu instid0(VALU_DEP_2) | instskip(SKIP_2) | instid1(VALU_DEP_1)
	v_exp_f32_e32 v11, v11
	s_waitcnt_depctr 0xfff
	v_ldexp_f32 v11, v11, v12
	v_cndmask_b32_e64 v11, 0, v11, s0
	v_cmp_nlt_f32_e64 s0, 0x42b17218, v10
	s_delay_alu instid0(VALU_DEP_1) | instskip(NEXT) | instid1(VALU_DEP_1)
	v_cndmask_b32_e64 v12, 0x7f800000, v11, s0
	v_add_f32_e32 v15, v15, v12
.LBB761_71:
	s_or_b32 exec_lo, exec_lo, s10
.LBB761_72:
	s_delay_alu instid0(SALU_CYCLE_1)
	s_or_b32 exec_lo, exec_lo, s1
	v_dual_mov_b32 v10, 0 :: v_dual_mov_b32 v11, 0
	s_and_saveexec_b32 s1, s11
	s_cbranch_execz .LBB761_76
; %bb.73:
	global_load_u8 v11, v[2:3], off offset:192
	s_waitcnt vmcnt(0)
	v_and_b32_e32 v11, 1, v11
	s_delay_alu instid0(VALU_DEP_1) | instskip(SKIP_1) | instid1(VALU_DEP_2)
	v_cmp_eq_u32_e64 s0, 1, v11
	v_mov_b32_e32 v11, 0
	s_xor_b32 s0, s0, -1
	s_delay_alu instid0(SALU_CYCLE_1)
	s_and_saveexec_b32 s10, s0
	s_cbranch_execz .LBB761_75
; %bb.74:
	v_sub_f32_e32 v9, v9, v21
	s_delay_alu instid0(VALU_DEP_1) | instskip(SKIP_1) | instid1(VALU_DEP_2)
	v_mul_f32_e32 v11, 0x3fb8aa3b, v9
	v_cmp_ngt_f32_e64 s0, 0xc2ce8ed0, v9
	v_fma_f32 v22, 0x3fb8aa3b, v9, -v11
	v_rndne_f32_e32 v23, v11
	s_delay_alu instid0(VALU_DEP_1) | instskip(NEXT) | instid1(VALU_DEP_1)
	v_dual_fmamk_f32 v22, v9, 0x32a5705f, v22 :: v_dual_sub_f32 v11, v11, v23
	v_add_f32_e32 v11, v11, v22
	v_cvt_i32_f32_e32 v22, v23
	s_delay_alu instid0(VALU_DEP_2) | instskip(SKIP_2) | instid1(VALU_DEP_1)
	v_exp_f32_e32 v11, v11
	s_waitcnt_depctr 0xfff
	v_ldexp_f32 v11, v11, v22
	v_cndmask_b32_e64 v11, 0, v11, s0
	v_cmp_nlt_f32_e64 s0, 0x42b17218, v9
	s_delay_alu instid0(VALU_DEP_1) | instskip(NEXT) | instid1(VALU_DEP_1)
	v_cndmask_b32_e64 v11, 0x7f800000, v11, s0
	v_add_f32_e32 v15, v15, v11
.LBB761_75:
	s_or_b32 exec_lo, exec_lo, s10
.LBB761_76:
	s_delay_alu instid0(SALU_CYCLE_1)
	s_or_b32 exec_lo, exec_lo, s1
	s_and_saveexec_b32 s1, s9
	s_cbranch_execz .LBB761_80
; %bb.77:
	global_load_u8 v2, v[2:3], off offset:224
	v_mov_b32_e32 v10, 0
	s_waitcnt vmcnt(0)
	v_and_b32_e32 v2, 1, v2
	s_delay_alu instid0(VALU_DEP_1) | instskip(NEXT) | instid1(VALU_DEP_1)
	v_cmp_eq_u32_e64 s0, 1, v2
	s_xor_b32 s0, s0, -1
	s_delay_alu instid0(SALU_CYCLE_1)
	s_and_saveexec_b32 s9, s0
	s_cbranch_execz .LBB761_79
; %bb.78:
	v_sub_f32_e32 v2, v8, v21
	s_delay_alu instid0(VALU_DEP_1) | instskip(NEXT) | instid1(VALU_DEP_1)
	v_mul_f32_e32 v3, 0x3fb8aa3b, v2
	v_fma_f32 v8, 0x3fb8aa3b, v2, -v3
	v_rndne_f32_e32 v9, v3
	s_delay_alu instid0(VALU_DEP_1) | instskip(NEXT) | instid1(VALU_DEP_1)
	v_dual_fmamk_f32 v8, v2, 0x32a5705f, v8 :: v_dual_sub_f32 v3, v3, v9
	v_add_f32_e32 v3, v3, v8
	v_cvt_i32_f32_e32 v8, v9
	v_cmp_ngt_f32_e64 s0, 0xc2ce8ed0, v2
	s_delay_alu instid0(VALU_DEP_3) | instskip(SKIP_2) | instid1(VALU_DEP_1)
	v_exp_f32_e32 v3, v3
	s_waitcnt_depctr 0xfff
	v_ldexp_f32 v3, v3, v8
	v_cndmask_b32_e64 v3, 0, v3, s0
	v_cmp_nlt_f32_e64 s0, 0x42b17218, v2
	s_delay_alu instid0(VALU_DEP_1) | instskip(NEXT) | instid1(VALU_DEP_1)
	v_cndmask_b32_e64 v10, 0x7f800000, v3, s0
	v_add_f32_e32 v15, v15, v10
.LBB761_79:
	s_or_b32 exec_lo, exec_lo, s9
.LBB761_80:
	s_delay_alu instid0(SALU_CYCLE_1)
	s_or_b32 exec_lo, exec_lo, s1
	ds_bpermute_b32 v2, v6, v15
	s_mov_b32 s1, exec_lo
	s_waitcnt lgkmcnt(0)
	v_add_f32_e32 v2, v15, v2
	ds_bpermute_b32 v3, v16, v2
	s_waitcnt lgkmcnt(0)
	v_add_f32_e32 v2, v2, v3
	ds_bpermute_b32 v3, v17, v2
	;; [unrolled: 3-line block ×4, first 2 shown]
	v_cmpx_lt_i32_e32 0, v7
	s_cbranch_execz .LBB761_106
; %bb.81:
	s_and_b32 exec_lo, exec_lo, vcc_lo
	s_cbranch_execz .LBB761_106
; %bb.82:
	s_waitcnt lgkmcnt(0)
	v_dual_add_f32 v2, v2, v3 :: v_dual_mov_b32 v3, 0x7fc0
	s_delay_alu instid0(VALU_DEP_1) | instskip(NEXT) | instid1(VALU_DEP_1)
	v_cmp_neq_f32_e64 s0, 0, v2
	s_and_saveexec_b32 s1, s0
	s_cbranch_execz .LBB761_84
; %bb.83:
	v_div_scale_f32 v3, null, v2, v2, v18
	s_delay_alu instid0(VALU_DEP_1) | instskip(SKIP_2) | instid1(VALU_DEP_1)
	v_rcp_f32_e32 v6, v3
	s_waitcnt_depctr 0xfff
	v_fma_f32 v7, -v3, v6, 1.0
	v_fmac_f32_e32 v6, v7, v6
	v_div_scale_f32 v7, vcc_lo, v18, v2, v18
	s_delay_alu instid0(VALU_DEP_1) | instskip(NEXT) | instid1(VALU_DEP_1)
	v_mul_f32_e32 v8, v7, v6
	v_fma_f32 v9, -v3, v8, v7
	s_delay_alu instid0(VALU_DEP_1) | instskip(NEXT) | instid1(VALU_DEP_1)
	v_fmac_f32_e32 v8, v9, v6
	v_fma_f32 v3, -v3, v8, v7
	s_delay_alu instid0(VALU_DEP_1) | instskip(NEXT) | instid1(VALU_DEP_1)
	v_div_fmas_f32 v3, v3, v6, v8
	v_div_fixup_f32 v3, v3, v2, v18
	s_delay_alu instid0(VALU_DEP_1) | instskip(SKIP_1) | instid1(VALU_DEP_2)
	v_bfe_u32 v6, v3, 16, 1
	v_cmp_o_f32_e32 vcc_lo, v3, v3
	v_add3_u32 v6, v3, v6, 0x7fff
	s_delay_alu instid0(VALU_DEP_1) | instskip(NEXT) | instid1(VALU_DEP_1)
	v_lshrrev_b32_e32 v6, 16, v6
	v_cndmask_b32_e32 v3, 0x7fc0, v6, vcc_lo
.LBB761_84:
	s_or_b32 exec_lo, exec_lo, s1
	v_add_co_u32 v0, vcc_lo, s12, v0
	v_add_co_ci_u32_e32 v1, vcc_lo, s13, v1, vcc_lo
	global_store_b16 v[0:1], v3, off
	s_and_b32 exec_lo, exec_lo, s8
	s_cbranch_execz .LBB761_106
; %bb.85:
	v_mov_b32_e32 v3, 0x7fc0
	s_and_saveexec_b32 s1, s0
	s_cbranch_execz .LBB761_87
; %bb.86:
	v_div_scale_f32 v3, null, v2, v2, v4
	s_delay_alu instid0(VALU_DEP_1) | instskip(SKIP_2) | instid1(VALU_DEP_1)
	v_rcp_f32_e32 v6, v3
	s_waitcnt_depctr 0xfff
	v_fma_f32 v7, -v3, v6, 1.0
	v_fmac_f32_e32 v6, v7, v6
	v_div_scale_f32 v7, vcc_lo, v4, v2, v4
	s_delay_alu instid0(VALU_DEP_1) | instskip(NEXT) | instid1(VALU_DEP_1)
	v_mul_f32_e32 v8, v7, v6
	v_fma_f32 v9, -v3, v8, v7
	s_delay_alu instid0(VALU_DEP_1) | instskip(NEXT) | instid1(VALU_DEP_1)
	v_fmac_f32_e32 v8, v9, v6
	v_fma_f32 v3, -v3, v8, v7
	s_delay_alu instid0(VALU_DEP_1) | instskip(NEXT) | instid1(VALU_DEP_1)
	v_div_fmas_f32 v3, v3, v6, v8
	v_div_fixup_f32 v3, v3, v2, v4
	s_delay_alu instid0(VALU_DEP_1) | instskip(SKIP_1) | instid1(VALU_DEP_2)
	v_bfe_u32 v4, v3, 16, 1
	v_cmp_o_f32_e32 vcc_lo, v3, v3
	v_add3_u32 v4, v3, v4, 0x7fff
	s_delay_alu instid0(VALU_DEP_1) | instskip(NEXT) | instid1(VALU_DEP_1)
	v_lshrrev_b32_e32 v4, 16, v4
	v_cndmask_b32_e32 v3, 0x7fc0, v4, vcc_lo
.LBB761_87:
	s_or_b32 exec_lo, exec_lo, s1
	global_store_b16 v[0:1], v3, off offset:64
	s_and_b32 exec_lo, exec_lo, s7
	s_cbranch_execz .LBB761_106
; %bb.88:
	v_mov_b32_e32 v3, 0x7fc0
	s_and_saveexec_b32 s1, s0
	s_cbranch_execz .LBB761_90
; %bb.89:
	v_div_scale_f32 v3, null, v2, v2, v14
	s_delay_alu instid0(VALU_DEP_1) | instskip(SKIP_2) | instid1(VALU_DEP_1)
	v_rcp_f32_e32 v4, v3
	s_waitcnt_depctr 0xfff
	v_fma_f32 v6, -v3, v4, 1.0
	v_fmac_f32_e32 v4, v6, v4
	v_div_scale_f32 v6, vcc_lo, v14, v2, v14
	s_delay_alu instid0(VALU_DEP_1) | instskip(NEXT) | instid1(VALU_DEP_1)
	v_mul_f32_e32 v7, v6, v4
	v_fma_f32 v8, -v3, v7, v6
	s_delay_alu instid0(VALU_DEP_1) | instskip(NEXT) | instid1(VALU_DEP_1)
	v_fmac_f32_e32 v7, v8, v4
	v_fma_f32 v3, -v3, v7, v6
	s_delay_alu instid0(VALU_DEP_1) | instskip(NEXT) | instid1(VALU_DEP_1)
	v_div_fmas_f32 v3, v3, v4, v7
	v_div_fixup_f32 v3, v3, v2, v14
	s_delay_alu instid0(VALU_DEP_1) | instskip(SKIP_1) | instid1(VALU_DEP_2)
	v_bfe_u32 v4, v3, 16, 1
	v_cmp_o_f32_e32 vcc_lo, v3, v3
	v_add3_u32 v4, v3, v4, 0x7fff
	s_delay_alu instid0(VALU_DEP_1) | instskip(NEXT) | instid1(VALU_DEP_1)
	v_lshrrev_b32_e32 v4, 16, v4
	v_cndmask_b32_e32 v3, 0x7fc0, v4, vcc_lo
.LBB761_90:
	s_or_b32 exec_lo, exec_lo, s1
	global_store_b16 v[0:1], v3, off offset:128
	;; [unrolled: 33-line block ×7, first 2 shown]
.LBB761_106:
	s_nop 0
	s_sendmsg sendmsg(MSG_DEALLOC_VGPRS)
	s_endpgm
	.section	.rodata,"a",@progbits
	.p2align	6, 0x0
	.amdhsa_kernel _ZN12_GLOBAL__N_120softmax_warp_forwardIN3c108BFloat16ES2_fLi8ELb0ELb1ELi32EEEvPT0_PKT_iiiPKbib
		.amdhsa_group_segment_fixed_size 0
		.amdhsa_private_segment_fixed_size 0
		.amdhsa_kernarg_size 304
		.amdhsa_user_sgpr_count 15
		.amdhsa_user_sgpr_dispatch_ptr 0
		.amdhsa_user_sgpr_queue_ptr 0
		.amdhsa_user_sgpr_kernarg_segment_ptr 1
		.amdhsa_user_sgpr_dispatch_id 0
		.amdhsa_user_sgpr_private_segment_size 0
		.amdhsa_wavefront_size32 1
		.amdhsa_uses_dynamic_stack 0
		.amdhsa_enable_private_segment 0
		.amdhsa_system_sgpr_workgroup_id_x 1
		.amdhsa_system_sgpr_workgroup_id_y 0
		.amdhsa_system_sgpr_workgroup_id_z 0
		.amdhsa_system_sgpr_workgroup_info 0
		.amdhsa_system_vgpr_workitem_id 1
		.amdhsa_next_free_vgpr 24
		.amdhsa_next_free_sgpr 22
		.amdhsa_reserve_vcc 1
		.amdhsa_float_round_mode_32 0
		.amdhsa_float_round_mode_16_64 0
		.amdhsa_float_denorm_mode_32 3
		.amdhsa_float_denorm_mode_16_64 3
		.amdhsa_dx10_clamp 1
		.amdhsa_ieee_mode 1
		.amdhsa_fp16_overflow 0
		.amdhsa_workgroup_processor_mode 1
		.amdhsa_memory_ordered 1
		.amdhsa_forward_progress 0
		.amdhsa_shared_vgpr_count 0
		.amdhsa_exception_fp_ieee_invalid_op 0
		.amdhsa_exception_fp_denorm_src 0
		.amdhsa_exception_fp_ieee_div_zero 0
		.amdhsa_exception_fp_ieee_overflow 0
		.amdhsa_exception_fp_ieee_underflow 0
		.amdhsa_exception_fp_ieee_inexact 0
		.amdhsa_exception_int_div_zero 0
	.end_amdhsa_kernel
	.section	.text._ZN12_GLOBAL__N_120softmax_warp_forwardIN3c108BFloat16ES2_fLi8ELb0ELb1ELi32EEEvPT0_PKT_iiiPKbib,"axG",@progbits,_ZN12_GLOBAL__N_120softmax_warp_forwardIN3c108BFloat16ES2_fLi8ELb0ELb1ELi32EEEvPT0_PKT_iiiPKbib,comdat
.Lfunc_end761:
	.size	_ZN12_GLOBAL__N_120softmax_warp_forwardIN3c108BFloat16ES2_fLi8ELb0ELb1ELi32EEEvPT0_PKT_iiiPKbib, .Lfunc_end761-_ZN12_GLOBAL__N_120softmax_warp_forwardIN3c108BFloat16ES2_fLi8ELb0ELb1ELi32EEEvPT0_PKT_iiiPKbib
                                        ; -- End function
	.section	.AMDGPU.csdata,"",@progbits
; Kernel info:
; codeLenInByte = 5128
; NumSgprs: 24
; NumVgprs: 24
; ScratchSize: 0
; MemoryBound: 0
; FloatMode: 240
; IeeeMode: 1
; LDSByteSize: 0 bytes/workgroup (compile time only)
; SGPRBlocks: 2
; VGPRBlocks: 2
; NumSGPRsForWavesPerEU: 24
; NumVGPRsForWavesPerEU: 24
; Occupancy: 16
; WaveLimiterHint : 0
; COMPUTE_PGM_RSRC2:SCRATCH_EN: 0
; COMPUTE_PGM_RSRC2:USER_SGPR: 15
; COMPUTE_PGM_RSRC2:TRAP_HANDLER: 0
; COMPUTE_PGM_RSRC2:TGID_X_EN: 1
; COMPUTE_PGM_RSRC2:TGID_Y_EN: 0
; COMPUTE_PGM_RSRC2:TGID_Z_EN: 0
; COMPUTE_PGM_RSRC2:TIDIG_COMP_CNT: 1
	.section	.text._ZN12_GLOBAL__N_120softmax_warp_forwardIN3c108BFloat16ES2_fLi9ELb0ELb1ELi64EEEvPT0_PKT_iiiPKbib,"axG",@progbits,_ZN12_GLOBAL__N_120softmax_warp_forwardIN3c108BFloat16ES2_fLi9ELb0ELb1ELi64EEEvPT0_PKT_iiiPKbib,comdat
	.globl	_ZN12_GLOBAL__N_120softmax_warp_forwardIN3c108BFloat16ES2_fLi9ELb0ELb1ELi64EEEvPT0_PKT_iiiPKbib ; -- Begin function _ZN12_GLOBAL__N_120softmax_warp_forwardIN3c108BFloat16ES2_fLi9ELb0ELb1ELi64EEEvPT0_PKT_iiiPKbib
	.p2align	8
	.type	_ZN12_GLOBAL__N_120softmax_warp_forwardIN3c108BFloat16ES2_fLi9ELb0ELb1ELi64EEEvPT0_PKT_iiiPKbib,@function
_ZN12_GLOBAL__N_120softmax_warp_forwardIN3c108BFloat16ES2_fLi9ELb0ELb1ELi64EEEvPT0_PKT_iiiPKbib: ; @_ZN12_GLOBAL__N_120softmax_warp_forwardIN3c108BFloat16ES2_fLi9ELb0ELb1ELi64EEEvPT0_PKT_iiiPKbib
; %bb.0:
	s_clause 0x1
	s_load_b32 s2, s[0:1], 0x3c
	s_load_b128 s[8:11], s[0:1], 0x10
	v_bfe_u32 v3, v0, 10, 10
	s_waitcnt lgkmcnt(0)
	s_lshr_b32 s2, s2, 16
	s_delay_alu instid0(VALU_DEP_1) | instid1(SALU_CYCLE_1)
	v_mad_u64_u32 v[1:2], null, s15, s2, v[3:4]
	s_load_b64 s[2:3], s[0:1], 0x28
	v_and_b32_e32 v2, 0x3ff, v0
	s_delay_alu instid0(VALU_DEP_2) | instskip(NEXT) | instid1(VALU_DEP_1)
	v_mul_lo_u32 v7, v1, s9
	v_add_nc_u32_e32 v5, v7, v2
	s_delay_alu instid0(VALU_DEP_1) | instskip(SKIP_3) | instid1(VALU_DEP_2)
	v_ashrrev_i32_e32 v6, 31, v5
	v_mov_b32_e32 v3, v5
	s_waitcnt lgkmcnt(0)
	s_bitcmp0_b32 s3, 0
	v_mov_b32_e32 v4, v6
	s_cbranch_scc1 .LBB762_2
; %bb.1:
	s_abs_i32 s3, s2
	v_sub_nc_u32_e32 v4, 0, v7
	v_cvt_f32_u32_e32 v0, s3
	s_sub_i32 s4, 0, s3
	s_delay_alu instid0(VALU_DEP_2) | instskip(NEXT) | instid1(VALU_DEP_2)
	v_max_i32_e32 v4, v7, v4
	v_rcp_iflag_f32_e32 v0, v0
	s_waitcnt_depctr 0xfff
	v_mul_f32_e32 v0, 0x4f7ffffe, v0
	s_delay_alu instid0(VALU_DEP_1) | instskip(NEXT) | instid1(VALU_DEP_1)
	v_cvt_u32_f32_e32 v0, v0
	v_mul_lo_u32 v3, s4, v0
	s_delay_alu instid0(VALU_DEP_1) | instskip(NEXT) | instid1(VALU_DEP_1)
	v_mul_hi_u32 v3, v0, v3
	v_add_nc_u32_e32 v0, v0, v3
	s_delay_alu instid0(VALU_DEP_1) | instskip(NEXT) | instid1(VALU_DEP_1)
	v_mul_hi_u32 v0, v4, v0
	v_mul_lo_u32 v3, v0, s3
	s_delay_alu instid0(VALU_DEP_1) | instskip(SKIP_1) | instid1(VALU_DEP_2)
	v_sub_nc_u32_e32 v3, v4, v3
	v_add_nc_u32_e32 v4, 1, v0
	v_subrev_nc_u32_e32 v8, s3, v3
	v_cmp_le_u32_e32 vcc_lo, s3, v3
	s_delay_alu instid0(VALU_DEP_2) | instskip(NEXT) | instid1(VALU_DEP_4)
	v_cndmask_b32_e32 v3, v3, v8, vcc_lo
	v_cndmask_b32_e32 v0, v0, v4, vcc_lo
	v_xor_b32_e32 v4, s2, v7
	s_delay_alu instid0(VALU_DEP_3) | instskip(NEXT) | instid1(VALU_DEP_3)
	v_cmp_le_u32_e32 vcc_lo, s3, v3
	v_add_nc_u32_e32 v7, 1, v0
	s_delay_alu instid0(VALU_DEP_3) | instskip(NEXT) | instid1(VALU_DEP_2)
	v_ashrrev_i32_e32 v4, 31, v4
	v_cndmask_b32_e32 v0, v0, v7, vcc_lo
	s_delay_alu instid0(VALU_DEP_1) | instskip(NEXT) | instid1(VALU_DEP_1)
	v_xor_b32_e32 v0, v0, v4
	v_sub_nc_u32_e32 v0, v0, v4
	s_delay_alu instid0(VALU_DEP_1) | instskip(NEXT) | instid1(VALU_DEP_1)
	v_mad_u64_u32 v[3:4], null, v0, s9, v[2:3]
	v_ashrrev_i32_e32 v4, 31, v3
.LBB762_2:
	s_load_b128 s[12:15], s[0:1], 0x0
	v_sub_nc_u32_e32 v7, s8, v1
	v_lshlrev_b64 v[0:1], 1, v[5:6]
	v_cmp_gt_i32_e32 vcc_lo, s10, v2
	v_dual_mov_b32 v14, 0xff800000 :: v_dual_mov_b32 v15, 0xff800000
	s_delay_alu instid0(VALU_DEP_4) | instskip(NEXT) | instid1(VALU_DEP_1)
	v_cmp_lt_i32_e64 s9, 0, v7
	s_and_b32 s19, s9, vcc_lo
	s_waitcnt lgkmcnt(0)
	v_add_co_u32 v5, s2, s14, v0
	s_delay_alu instid0(VALU_DEP_1)
	v_add_co_ci_u32_e64 v6, s2, s15, v1, s2
	s_and_saveexec_b32 s2, s19
	s_cbranch_execz .LBB762_4
; %bb.3:
	global_load_u16 v8, v[5:6], off
	s_waitcnt vmcnt(0)
	v_lshlrev_b32_e32 v15, 16, v8
.LBB762_4:
	s_or_b32 exec_lo, exec_lo, s2
	v_add_nc_u32_e32 v8, 64, v2
	s_delay_alu instid0(VALU_DEP_1) | instskip(NEXT) | instid1(VALU_DEP_1)
	v_cmp_gt_i32_e64 s8, s10, v8
	s_and_b32 s18, s9, s8
	s_delay_alu instid0(SALU_CYCLE_1)
	s_and_saveexec_b32 s2, s18
	s_cbranch_execz .LBB762_6
; %bb.5:
	global_load_u16 v8, v[5:6], off offset:128
	s_waitcnt vmcnt(0)
	v_lshlrev_b32_e32 v14, 16, v8
.LBB762_6:
	s_or_b32 exec_lo, exec_lo, s2
	v_add_nc_u32_e32 v8, 0x80, v2
	v_dual_mov_b32 v12, 0xff800000 :: v_dual_mov_b32 v13, 0xff800000
	s_delay_alu instid0(VALU_DEP_2) | instskip(NEXT) | instid1(VALU_DEP_1)
	v_cmp_gt_i32_e64 s7, s10, v8
	s_and_b32 s17, s9, s7
	s_delay_alu instid0(SALU_CYCLE_1)
	s_and_saveexec_b32 s2, s17
	s_cbranch_execz .LBB762_8
; %bb.7:
	global_load_u16 v8, v[5:6], off offset:256
	s_waitcnt vmcnt(0)
	v_lshlrev_b32_e32 v13, 16, v8
.LBB762_8:
	s_or_b32 exec_lo, exec_lo, s2
	v_add_nc_u32_e32 v8, 0xc0, v2
	s_delay_alu instid0(VALU_DEP_1) | instskip(NEXT) | instid1(VALU_DEP_1)
	v_cmp_gt_i32_e64 s6, s10, v8
	s_and_b32 s16, s9, s6
	s_delay_alu instid0(SALU_CYCLE_1)
	s_and_saveexec_b32 s2, s16
	s_cbranch_execz .LBB762_10
; %bb.9:
	global_load_u16 v8, v[5:6], off offset:384
	s_waitcnt vmcnt(0)
	v_lshlrev_b32_e32 v12, 16, v8
.LBB762_10:
	s_or_b32 exec_lo, exec_lo, s2
	v_add_nc_u32_e32 v8, 0x100, v2
	v_dual_mov_b32 v10, 0xff800000 :: v_dual_mov_b32 v11, 0xff800000
	s_delay_alu instid0(VALU_DEP_2) | instskip(NEXT) | instid1(VALU_DEP_1)
	v_cmp_gt_i32_e64 s5, s10, v8
	s_and_b32 s15, s9, s5
	s_delay_alu instid0(SALU_CYCLE_1)
	s_and_saveexec_b32 s2, s15
	s_cbranch_execz .LBB762_12
; %bb.11:
	global_load_u16 v8, v[5:6], off offset:512
	s_waitcnt vmcnt(0)
	v_lshlrev_b32_e32 v11, 16, v8
.LBB762_12:
	s_or_b32 exec_lo, exec_lo, s2
	v_add_nc_u32_e32 v8, 0x140, v2
	s_delay_alu instid0(VALU_DEP_1) | instskip(NEXT) | instid1(VALU_DEP_1)
	v_cmp_gt_i32_e64 s4, s10, v8
	s_and_b32 s14, s9, s4
	s_delay_alu instid0(SALU_CYCLE_1)
	s_and_saveexec_b32 s2, s14
	s_cbranch_execz .LBB762_14
; %bb.13:
	global_load_u16 v8, v[5:6], off offset:640
	s_waitcnt vmcnt(0)
	v_lshlrev_b32_e32 v10, 16, v8
.LBB762_14:
	s_or_b32 exec_lo, exec_lo, s2
	v_add_nc_u32_e32 v8, 0x180, v2
	v_mov_b32_e32 v9, 0xff800000
	s_delay_alu instid0(VALU_DEP_2) | instskip(SKIP_1) | instid1(VALU_DEP_2)
	v_cmp_gt_i32_e64 s3, s10, v8
	v_mov_b32_e32 v8, 0xff800000
	s_and_b32 s11, s9, s3
	s_delay_alu instid0(SALU_CYCLE_1)
	s_and_saveexec_b32 s2, s11
	s_cbranch_execz .LBB762_16
; %bb.15:
	global_load_u16 v9, v[5:6], off offset:768
	s_waitcnt vmcnt(0)
	v_lshlrev_b32_e32 v9, 16, v9
.LBB762_16:
	s_or_b32 exec_lo, exec_lo, s2
	v_add_nc_u32_e32 v2, 0x1c0, v2
	s_delay_alu instid0(VALU_DEP_1) | instskip(NEXT) | instid1(VALU_DEP_1)
	v_cmp_gt_i32_e64 s2, s10, v2
	s_and_b32 s9, s9, s2
	s_delay_alu instid0(SALU_CYCLE_1)
	s_and_saveexec_b32 s10, s9
	s_cbranch_execz .LBB762_18
; %bb.17:
	global_load_u16 v2, v[5:6], off offset:896
	s_waitcnt vmcnt(0)
	v_lshlrev_b32_e32 v8, 16, v2
.LBB762_18:
	s_or_b32 exec_lo, exec_lo, s10
	s_load_b64 s[0:1], s[0:1], 0x20
	s_waitcnt lgkmcnt(0)
	v_add_co_u32 v2, s0, s0, v3
	s_delay_alu instid0(VALU_DEP_1)
	v_add_co_ci_u32_e64 v3, s0, s1, v4, s0
	s_mov_b32 s1, 0
	s_and_saveexec_b32 s10, s19
	s_cbranch_execnz .LBB762_26
; %bb.19:
	s_or_b32 exec_lo, exec_lo, s10
	v_mov_b32_e32 v4, v15
	s_and_saveexec_b32 s10, s18
	s_cbranch_execnz .LBB762_27
.LBB762_20:
	s_or_b32 exec_lo, exec_lo, s10
	s_and_saveexec_b32 s10, s17
	s_cbranch_execnz .LBB762_30
.LBB762_21:
	s_or_b32 exec_lo, exec_lo, s10
	s_and_saveexec_b32 s10, s16
	s_cbranch_execnz .LBB762_33
.LBB762_22:
	s_or_b32 exec_lo, exec_lo, s10
	s_and_saveexec_b32 s10, s15
	s_cbranch_execnz .LBB762_36
.LBB762_23:
	s_or_b32 exec_lo, exec_lo, s10
	s_and_saveexec_b32 s10, s14
	s_cbranch_execnz .LBB762_39
.LBB762_24:
	s_or_b32 exec_lo, exec_lo, s10
	s_and_saveexec_b32 s10, s11
	s_cbranch_execnz .LBB762_42
.LBB762_25:
	s_or_b32 exec_lo, exec_lo, s10
	s_and_saveexec_b32 s10, s9
	s_cbranch_execnz .LBB762_45
	s_branch .LBB762_48
.LBB762_26:
	global_load_u8 v4, v[2:3], off
	s_waitcnt vmcnt(0)
	v_and_b32_e32 v4, 1, v4
	s_delay_alu instid0(VALU_DEP_1) | instskip(NEXT) | instid1(VALU_DEP_1)
	v_cmp_eq_u32_e64 s0, 1, v4
	s_xor_b32 s0, s0, -1
	s_delay_alu instid0(SALU_CYCLE_1)
	s_and_b32 s1, s0, exec_lo
	s_or_b32 exec_lo, exec_lo, s10
	v_mov_b32_e32 v4, v15
	s_and_saveexec_b32 s10, s18
	s_cbranch_execz .LBB762_20
.LBB762_27:
	global_load_u8 v4, v[2:3], off offset:64
	s_waitcnt vmcnt(0)
	v_and_b32_e32 v4, 1, v4
	s_delay_alu instid0(VALU_DEP_1) | instskip(SKIP_1) | instid1(VALU_DEP_2)
	v_cmp_eq_u32_e64 s0, 1, v4
	v_mov_b32_e32 v4, v15
	s_xor_b32 s21, s0, -1
	s_mov_b32 s0, s1
	s_and_saveexec_b32 s20, s21
; %bb.28:
	v_cmp_gt_f32_e64 s0, v15, v14
	s_delay_alu instid0(VALU_DEP_1) | instskip(NEXT) | instid1(SALU_CYCLE_1)
	s_and_b32 s0, s1, s0
	v_cndmask_b32_e64 v4, v14, v15, s0
	s_or_b32 s0, s1, exec_lo
; %bb.29:
	s_or_b32 exec_lo, exec_lo, s20
	s_delay_alu instid0(SALU_CYCLE_1) | instskip(SKIP_1) | instid1(SALU_CYCLE_1)
	s_and_not1_b32 s1, s1, exec_lo
	s_and_b32 s0, s0, exec_lo
	s_or_b32 s1, s1, s0
	s_or_b32 exec_lo, exec_lo, s10
	s_and_saveexec_b32 s10, s17
	s_cbranch_execz .LBB762_21
.LBB762_30:
	global_load_u8 v5, v[2:3], off offset:128
	s_waitcnt vmcnt(0)
	v_and_b32_e32 v5, 1, v5
	s_delay_alu instid0(VALU_DEP_1) | instskip(NEXT) | instid1(VALU_DEP_1)
	v_cmp_eq_u32_e64 s0, 1, v5
	s_xor_b32 s21, s0, -1
	s_mov_b32 s0, s1
	s_and_saveexec_b32 s20, s21
; %bb.31:
	v_cmp_gt_f32_e64 s0, v4, v13
	s_delay_alu instid0(VALU_DEP_1) | instskip(NEXT) | instid1(SALU_CYCLE_1)
	s_and_b32 s0, s1, s0
	v_cndmask_b32_e64 v4, v13, v4, s0
	s_or_b32 s0, s1, exec_lo
; %bb.32:
	s_or_b32 exec_lo, exec_lo, s20
	s_delay_alu instid0(SALU_CYCLE_1) | instskip(SKIP_1) | instid1(SALU_CYCLE_1)
	s_and_not1_b32 s1, s1, exec_lo
	s_and_b32 s0, s0, exec_lo
	s_or_b32 s1, s1, s0
	s_or_b32 exec_lo, exec_lo, s10
	s_and_saveexec_b32 s10, s16
	s_cbranch_execz .LBB762_22
.LBB762_33:
	global_load_u8 v5, v[2:3], off offset:192
	s_waitcnt vmcnt(0)
	v_and_b32_e32 v5, 1, v5
	s_delay_alu instid0(VALU_DEP_1) | instskip(NEXT) | instid1(VALU_DEP_1)
	v_cmp_eq_u32_e64 s0, 1, v5
	s_xor_b32 s21, s0, -1
	s_mov_b32 s0, s1
	s_and_saveexec_b32 s20, s21
; %bb.34:
	v_cmp_gt_f32_e64 s0, v4, v12
	s_delay_alu instid0(VALU_DEP_1) | instskip(NEXT) | instid1(SALU_CYCLE_1)
	s_and_b32 s0, s1, s0
	v_cndmask_b32_e64 v4, v12, v4, s0
	s_or_b32 s0, s1, exec_lo
; %bb.35:
	s_or_b32 exec_lo, exec_lo, s20
	s_delay_alu instid0(SALU_CYCLE_1) | instskip(SKIP_1) | instid1(SALU_CYCLE_1)
	s_and_not1_b32 s1, s1, exec_lo
	s_and_b32 s0, s0, exec_lo
	s_or_b32 s1, s1, s0
	s_or_b32 exec_lo, exec_lo, s10
	s_and_saveexec_b32 s10, s15
	s_cbranch_execz .LBB762_23
.LBB762_36:
	global_load_u8 v5, v[2:3], off offset:256
	s_waitcnt vmcnt(0)
	v_and_b32_e32 v5, 1, v5
	s_delay_alu instid0(VALU_DEP_1) | instskip(NEXT) | instid1(VALU_DEP_1)
	v_cmp_eq_u32_e64 s0, 1, v5
	s_xor_b32 s21, s0, -1
	s_mov_b32 s0, s1
	s_and_saveexec_b32 s20, s21
; %bb.37:
	v_cmp_gt_f32_e64 s0, v4, v11
	s_delay_alu instid0(VALU_DEP_1) | instskip(NEXT) | instid1(SALU_CYCLE_1)
	s_and_b32 s0, s1, s0
	v_cndmask_b32_e64 v4, v11, v4, s0
	s_or_b32 s0, s1, exec_lo
; %bb.38:
	s_or_b32 exec_lo, exec_lo, s20
	s_delay_alu instid0(SALU_CYCLE_1) | instskip(SKIP_1) | instid1(SALU_CYCLE_1)
	s_and_not1_b32 s1, s1, exec_lo
	s_and_b32 s0, s0, exec_lo
	s_or_b32 s1, s1, s0
	s_or_b32 exec_lo, exec_lo, s10
	s_and_saveexec_b32 s10, s14
	s_cbranch_execz .LBB762_24
.LBB762_39:
	global_load_u8 v5, v[2:3], off offset:320
	s_waitcnt vmcnt(0)
	v_and_b32_e32 v5, 1, v5
	s_delay_alu instid0(VALU_DEP_1) | instskip(NEXT) | instid1(VALU_DEP_1)
	v_cmp_eq_u32_e64 s0, 1, v5
	s_xor_b32 s21, s0, -1
	s_mov_b32 s0, s1
	s_and_saveexec_b32 s20, s21
; %bb.40:
	v_cmp_gt_f32_e64 s0, v4, v10
	s_delay_alu instid0(VALU_DEP_1) | instskip(NEXT) | instid1(SALU_CYCLE_1)
	s_and_b32 s0, s1, s0
	v_cndmask_b32_e64 v4, v10, v4, s0
	s_or_b32 s0, s1, exec_lo
; %bb.41:
	s_or_b32 exec_lo, exec_lo, s20
	s_delay_alu instid0(SALU_CYCLE_1) | instskip(SKIP_1) | instid1(SALU_CYCLE_1)
	s_and_not1_b32 s1, s1, exec_lo
	s_and_b32 s0, s0, exec_lo
	s_or_b32 s1, s1, s0
	s_or_b32 exec_lo, exec_lo, s10
	s_and_saveexec_b32 s10, s11
	s_cbranch_execz .LBB762_25
.LBB762_42:
	global_load_u8 v5, v[2:3], off offset:384
	s_waitcnt vmcnt(0)
	v_and_b32_e32 v5, 1, v5
	s_delay_alu instid0(VALU_DEP_1) | instskip(NEXT) | instid1(VALU_DEP_1)
	v_cmp_eq_u32_e64 s0, 1, v5
	s_xor_b32 s21, s0, -1
	s_mov_b32 s0, s1
	s_and_saveexec_b32 s20, s21
; %bb.43:
	v_cmp_gt_f32_e64 s0, v4, v9
	s_delay_alu instid0(VALU_DEP_1) | instskip(NEXT) | instid1(SALU_CYCLE_1)
	s_and_b32 s0, s1, s0
	v_cndmask_b32_e64 v4, v9, v4, s0
	s_or_b32 s0, s1, exec_lo
; %bb.44:
	s_or_b32 exec_lo, exec_lo, s20
	s_delay_alu instid0(SALU_CYCLE_1) | instskip(SKIP_1) | instid1(SALU_CYCLE_1)
	s_and_not1_b32 s1, s1, exec_lo
	s_and_b32 s0, s0, exec_lo
	s_or_b32 s1, s1, s0
	s_or_b32 exec_lo, exec_lo, s10
	s_and_saveexec_b32 s10, s9
	s_cbranch_execz .LBB762_48
.LBB762_45:
	global_load_u8 v5, v[2:3], off offset:448
	s_waitcnt vmcnt(0)
	v_and_b32_e32 v5, 1, v5
	s_delay_alu instid0(VALU_DEP_1) | instskip(NEXT) | instid1(VALU_DEP_1)
	v_cmp_eq_u32_e64 s0, 1, v5
	s_xor_b32 s21, s0, -1
	s_mov_b32 s0, s1
	s_and_saveexec_b32 s20, s21
; %bb.46:
	v_cmp_gt_f32_e64 s0, v4, v8
	s_delay_alu instid0(VALU_DEP_1) | instskip(NEXT) | instid1(SALU_CYCLE_1)
	s_and_b32 s0, s1, s0
	v_cndmask_b32_e64 v4, v8, v4, s0
	s_or_b32 s0, s1, exec_lo
; %bb.47:
	s_or_b32 exec_lo, exec_lo, s20
	s_delay_alu instid0(SALU_CYCLE_1) | instskip(SKIP_1) | instid1(SALU_CYCLE_1)
	s_and_not1_b32 s1, s1, exec_lo
	s_and_b32 s0, s0, exec_lo
	s_or_b32 s1, s1, s0
.LBB762_48:
	s_or_b32 exec_lo, exec_lo, s10
	v_mbcnt_lo_u32_b32 v5, -1, 0
	v_cndmask_b32_e64 v4, 0xff800000, v4, s1
	s_delay_alu instid0(VALU_DEP_2) | instskip(SKIP_3) | instid1(VALU_DEP_4)
	v_or_b32_e32 v6, 32, v5
	v_xor_b32_e32 v16, 16, v5
	v_xor_b32_e32 v20, 2, v5
	;; [unrolled: 1-line block ×3, first 2 shown]
	v_cmp_gt_i32_e64 s0, 64, v6
	s_delay_alu instid0(VALU_DEP_1) | instskip(SKIP_1) | instid1(VALU_DEP_2)
	v_cndmask_b32_e64 v6, v5, v6, s0
	v_cmp_gt_i32_e64 s0, 64, v16
	v_lshlrev_b32_e32 v6, 2, v6
	s_delay_alu instid0(VALU_DEP_2) | instskip(SKIP_4) | instid1(VALU_DEP_1)
	v_cndmask_b32_e64 v16, v5, v16, s0
	ds_bpermute_b32 v17, v6, v4
	v_lshlrev_b32_e32 v16, 2, v16
	s_waitcnt lgkmcnt(0)
	v_cmp_lt_f32_e64 s0, v4, v17
	v_cndmask_b32_e64 v4, v4, v17, s0
	v_xor_b32_e32 v17, 8, v5
	ds_bpermute_b32 v18, v16, v4
	v_cmp_gt_i32_e64 s0, 64, v17
	s_delay_alu instid0(VALU_DEP_1) | instskip(NEXT) | instid1(VALU_DEP_1)
	v_cndmask_b32_e64 v17, v5, v17, s0
	v_lshlrev_b32_e32 v17, 2, v17
	s_waitcnt lgkmcnt(0)
	v_cmp_lt_f32_e64 s0, v4, v18
	s_delay_alu instid0(VALU_DEP_1) | instskip(SKIP_3) | instid1(VALU_DEP_1)
	v_cndmask_b32_e64 v4, v4, v18, s0
	v_xor_b32_e32 v18, 4, v5
	ds_bpermute_b32 v19, v17, v4
	v_cmp_gt_i32_e64 s0, 64, v18
	v_cndmask_b32_e64 v18, v5, v18, s0
	s_delay_alu instid0(VALU_DEP_1) | instskip(SKIP_2) | instid1(VALU_DEP_1)
	v_lshlrev_b32_e32 v18, 2, v18
	s_waitcnt lgkmcnt(0)
	v_cmp_lt_f32_e64 s0, v4, v19
	v_cndmask_b32_e64 v4, v4, v19, s0
	v_cmp_gt_i32_e64 s0, 64, v20
	ds_bpermute_b32 v19, v18, v4
	v_cndmask_b32_e64 v20, v5, v20, s0
	s_delay_alu instid0(VALU_DEP_1) | instskip(SKIP_2) | instid1(VALU_DEP_1)
	v_lshlrev_b32_e32 v20, 2, v20
	s_waitcnt lgkmcnt(0)
	v_cmp_lt_f32_e64 s0, v4, v19
	v_cndmask_b32_e64 v4, v4, v19, s0
	v_cmp_gt_i32_e64 s0, 64, v21
	ds_bpermute_b32 v19, v20, v4
	v_cndmask_b32_e64 v5, v5, v21, s0
	s_delay_alu instid0(VALU_DEP_1) | instskip(SKIP_2) | instid1(VALU_DEP_1)
	v_lshlrev_b32_e32 v21, 2, v5
	s_waitcnt lgkmcnt(0)
	v_cmp_lt_f32_e64 s0, v4, v19
	v_cndmask_b32_e64 v5, v4, v19, s0
	v_mov_b32_e32 v4, 0
	ds_bpermute_b32 v19, v21, v5
	s_waitcnt lgkmcnt(0)
	v_cmp_lt_f32_e64 s0, v5, v19
	s_delay_alu instid0(VALU_DEP_1)
	v_cndmask_b32_e64 v22, v5, v19, s0
	v_mov_b32_e32 v19, 0
	s_and_saveexec_b32 s1, s19
	s_cbranch_execz .LBB762_52
; %bb.49:
	global_load_u8 v5, v[2:3], off
	v_mov_b32_e32 v19, 0
	s_waitcnt vmcnt(0)
	v_and_b32_e32 v5, 1, v5
	s_delay_alu instid0(VALU_DEP_1) | instskip(NEXT) | instid1(VALU_DEP_1)
	v_cmp_eq_u32_e64 s0, 1, v5
	s_xor_b32 s0, s0, -1
	s_delay_alu instid0(SALU_CYCLE_1)
	s_and_saveexec_b32 s10, s0
	s_cbranch_execz .LBB762_51
; %bb.50:
	v_sub_f32_e32 v5, v15, v22
	s_delay_alu instid0(VALU_DEP_1) | instskip(SKIP_1) | instid1(VALU_DEP_2)
	v_mul_f32_e32 v15, 0x3fb8aa3b, v5
	v_cmp_ngt_f32_e64 s0, 0xc2ce8ed0, v5
	v_fma_f32 v19, 0x3fb8aa3b, v5, -v15
	v_rndne_f32_e32 v23, v15
	s_delay_alu instid0(VALU_DEP_2) | instskip(NEXT) | instid1(VALU_DEP_2)
	v_fmamk_f32 v19, v5, 0x32a5705f, v19
	v_sub_f32_e32 v15, v15, v23
	s_delay_alu instid0(VALU_DEP_1) | instskip(SKIP_1) | instid1(VALU_DEP_2)
	v_add_f32_e32 v15, v15, v19
	v_cvt_i32_f32_e32 v19, v23
	v_exp_f32_e32 v15, v15
	s_waitcnt_depctr 0xfff
	v_ldexp_f32 v15, v15, v19
	s_delay_alu instid0(VALU_DEP_1) | instskip(SKIP_1) | instid1(VALU_DEP_1)
	v_cndmask_b32_e64 v15, 0, v15, s0
	v_cmp_nlt_f32_e64 s0, 0x42b17218, v5
	v_cndmask_b32_e64 v19, 0x7f800000, v15, s0
.LBB762_51:
	s_or_b32 exec_lo, exec_lo, s10
.LBB762_52:
	s_delay_alu instid0(SALU_CYCLE_1) | instskip(NEXT) | instid1(VALU_DEP_1)
	s_or_b32 exec_lo, exec_lo, s1
	v_mov_b32_e32 v15, v19
	s_and_saveexec_b32 s1, s18
	s_cbranch_execz .LBB762_56
; %bb.53:
	global_load_u8 v4, v[2:3], off offset:64
	s_waitcnt vmcnt(0)
	v_dual_mov_b32 v15, v19 :: v_dual_and_b32 v4, 1, v4
	s_delay_alu instid0(VALU_DEP_1) | instskip(SKIP_1) | instid1(VALU_DEP_2)
	v_cmp_eq_u32_e64 s0, 1, v4
	v_mov_b32_e32 v4, 0
	s_xor_b32 s0, s0, -1
	s_delay_alu instid0(SALU_CYCLE_1)
	s_and_saveexec_b32 s10, s0
	s_cbranch_execz .LBB762_55
; %bb.54:
	v_sub_f32_e32 v4, v14, v22
	s_delay_alu instid0(VALU_DEP_1) | instskip(NEXT) | instid1(VALU_DEP_1)
	v_mul_f32_e32 v5, 0x3fb8aa3b, v4
	v_fma_f32 v14, 0x3fb8aa3b, v4, -v5
	v_rndne_f32_e32 v15, v5
	s_delay_alu instid0(VALU_DEP_1) | instskip(SKIP_1) | instid1(VALU_DEP_2)
	v_dual_sub_f32 v5, v5, v15 :: v_dual_fmamk_f32 v14, v4, 0x32a5705f, v14
	v_cmp_ngt_f32_e64 s0, 0xc2ce8ed0, v4
	v_add_f32_e32 v5, v5, v14
	v_cvt_i32_f32_e32 v14, v15
	s_delay_alu instid0(VALU_DEP_2) | instskip(SKIP_2) | instid1(VALU_DEP_1)
	v_exp_f32_e32 v5, v5
	s_waitcnt_depctr 0xfff
	v_ldexp_f32 v5, v5, v14
	v_cndmask_b32_e64 v5, 0, v5, s0
	v_cmp_nlt_f32_e64 s0, 0x42b17218, v4
	s_delay_alu instid0(VALU_DEP_1) | instskip(NEXT) | instid1(VALU_DEP_1)
	v_cndmask_b32_e64 v4, 0x7f800000, v5, s0
	v_add_f32_e32 v15, v19, v4
.LBB762_55:
	s_or_b32 exec_lo, exec_lo, s10
.LBB762_56:
	s_delay_alu instid0(SALU_CYCLE_1)
	s_or_b32 exec_lo, exec_lo, s1
	v_dual_mov_b32 v5, 0 :: v_dual_mov_b32 v14, 0
	s_and_saveexec_b32 s1, s17
	s_cbranch_execz .LBB762_60
; %bb.57:
	global_load_u8 v14, v[2:3], off offset:128
	s_waitcnt vmcnt(0)
	v_and_b32_e32 v14, 1, v14
	s_delay_alu instid0(VALU_DEP_1) | instskip(SKIP_1) | instid1(VALU_DEP_2)
	v_cmp_eq_u32_e64 s0, 1, v14
	v_mov_b32_e32 v14, 0
	s_xor_b32 s0, s0, -1
	s_delay_alu instid0(SALU_CYCLE_1)
	s_and_saveexec_b32 s10, s0
	s_cbranch_execz .LBB762_59
; %bb.58:
	v_sub_f32_e32 v13, v13, v22
	s_delay_alu instid0(VALU_DEP_1) | instskip(NEXT) | instid1(VALU_DEP_1)
	v_mul_f32_e32 v14, 0x3fb8aa3b, v13
	v_fma_f32 v23, 0x3fb8aa3b, v13, -v14
	v_rndne_f32_e32 v24, v14
	s_delay_alu instid0(VALU_DEP_1) | instskip(SKIP_1) | instid1(VALU_DEP_2)
	v_dual_sub_f32 v14, v14, v24 :: v_dual_fmamk_f32 v23, v13, 0x32a5705f, v23
	v_cmp_ngt_f32_e64 s0, 0xc2ce8ed0, v13
	v_add_f32_e32 v14, v14, v23
	v_cvt_i32_f32_e32 v23, v24
	s_delay_alu instid0(VALU_DEP_2) | instskip(SKIP_2) | instid1(VALU_DEP_1)
	v_exp_f32_e32 v14, v14
	s_waitcnt_depctr 0xfff
	v_ldexp_f32 v14, v14, v23
	v_cndmask_b32_e64 v14, 0, v14, s0
	v_cmp_nlt_f32_e64 s0, 0x42b17218, v13
	s_delay_alu instid0(VALU_DEP_1) | instskip(NEXT) | instid1(VALU_DEP_1)
	v_cndmask_b32_e64 v14, 0x7f800000, v14, s0
	v_add_f32_e32 v15, v15, v14
.LBB762_59:
	s_or_b32 exec_lo, exec_lo, s10
.LBB762_60:
	s_delay_alu instid0(SALU_CYCLE_1)
	s_or_b32 exec_lo, exec_lo, s1
	s_and_saveexec_b32 s1, s16
	s_cbranch_execz .LBB762_64
; %bb.61:
	global_load_u8 v5, v[2:3], off offset:192
	s_waitcnt vmcnt(0)
	v_and_b32_e32 v5, 1, v5
	s_delay_alu instid0(VALU_DEP_1) | instskip(SKIP_1) | instid1(VALU_DEP_2)
	v_cmp_eq_u32_e64 s0, 1, v5
	v_mov_b32_e32 v5, 0
	s_xor_b32 s0, s0, -1
	s_delay_alu instid0(SALU_CYCLE_1)
	s_and_saveexec_b32 s10, s0
	s_cbranch_execz .LBB762_63
; %bb.62:
	v_sub_f32_e32 v5, v12, v22
	s_delay_alu instid0(VALU_DEP_1) | instskip(SKIP_1) | instid1(VALU_DEP_2)
	v_mul_f32_e32 v12, 0x3fb8aa3b, v5
	v_cmp_ngt_f32_e64 s0, 0xc2ce8ed0, v5
	v_fma_f32 v13, 0x3fb8aa3b, v5, -v12
	v_rndne_f32_e32 v23, v12
	s_delay_alu instid0(VALU_DEP_1) | instskip(NEXT) | instid1(VALU_DEP_1)
	v_dual_fmamk_f32 v13, v5, 0x32a5705f, v13 :: v_dual_sub_f32 v12, v12, v23
	v_add_f32_e32 v12, v12, v13
	v_cvt_i32_f32_e32 v13, v23
	s_delay_alu instid0(VALU_DEP_2) | instskip(SKIP_2) | instid1(VALU_DEP_1)
	v_exp_f32_e32 v12, v12
	s_waitcnt_depctr 0xfff
	v_ldexp_f32 v12, v12, v13
	v_cndmask_b32_e64 v12, 0, v12, s0
	v_cmp_nlt_f32_e64 s0, 0x42b17218, v5
	s_delay_alu instid0(VALU_DEP_1) | instskip(NEXT) | instid1(VALU_DEP_1)
	v_cndmask_b32_e64 v5, 0x7f800000, v12, s0
	v_add_f32_e32 v15, v15, v5
.LBB762_63:
	s_or_b32 exec_lo, exec_lo, s10
.LBB762_64:
	s_delay_alu instid0(SALU_CYCLE_1)
	s_or_b32 exec_lo, exec_lo, s1
	v_dual_mov_b32 v12, 0 :: v_dual_mov_b32 v13, 0
	s_and_saveexec_b32 s1, s15
	s_cbranch_execz .LBB762_68
; %bb.65:
	global_load_u8 v13, v[2:3], off offset:256
	s_waitcnt vmcnt(0)
	v_and_b32_e32 v13, 1, v13
	s_delay_alu instid0(VALU_DEP_1) | instskip(SKIP_1) | instid1(VALU_DEP_2)
	v_cmp_eq_u32_e64 s0, 1, v13
	v_mov_b32_e32 v13, 0
	s_xor_b32 s0, s0, -1
	s_delay_alu instid0(SALU_CYCLE_1)
	s_and_saveexec_b32 s10, s0
	s_cbranch_execz .LBB762_67
; %bb.66:
	v_sub_f32_e32 v11, v11, v22
	s_delay_alu instid0(VALU_DEP_1) | instskip(SKIP_1) | instid1(VALU_DEP_2)
	v_mul_f32_e32 v13, 0x3fb8aa3b, v11
	v_cmp_ngt_f32_e64 s0, 0xc2ce8ed0, v11
	v_fma_f32 v23, 0x3fb8aa3b, v11, -v13
	v_rndne_f32_e32 v24, v13
	s_delay_alu instid0(VALU_DEP_2) | instskip(NEXT) | instid1(VALU_DEP_2)
	v_fmamk_f32 v23, v11, 0x32a5705f, v23
	v_sub_f32_e32 v13, v13, v24
	s_delay_alu instid0(VALU_DEP_1) | instskip(SKIP_1) | instid1(VALU_DEP_2)
	v_add_f32_e32 v13, v13, v23
	v_cvt_i32_f32_e32 v23, v24
	v_exp_f32_e32 v13, v13
	s_waitcnt_depctr 0xfff
	v_ldexp_f32 v13, v13, v23
	s_delay_alu instid0(VALU_DEP_1) | instskip(SKIP_1) | instid1(VALU_DEP_1)
	v_cndmask_b32_e64 v13, 0, v13, s0
	v_cmp_nlt_f32_e64 s0, 0x42b17218, v11
	v_cndmask_b32_e64 v13, 0x7f800000, v13, s0
	s_delay_alu instid0(VALU_DEP_1)
	v_add_f32_e32 v15, v15, v13
.LBB762_67:
	s_or_b32 exec_lo, exec_lo, s10
.LBB762_68:
	s_delay_alu instid0(SALU_CYCLE_1)
	s_or_b32 exec_lo, exec_lo, s1
	s_and_saveexec_b32 s1, s14
	s_cbranch_execz .LBB762_72
; %bb.69:
	global_load_u8 v11, v[2:3], off offset:320
	s_waitcnt vmcnt(0)
	v_dual_mov_b32 v12, 0 :: v_dual_and_b32 v11, 1, v11
	s_delay_alu instid0(VALU_DEP_1) | instskip(NEXT) | instid1(VALU_DEP_1)
	v_cmp_eq_u32_e64 s0, 1, v11
	s_xor_b32 s0, s0, -1
	s_delay_alu instid0(SALU_CYCLE_1)
	s_and_saveexec_b32 s10, s0
	s_cbranch_execz .LBB762_71
; %bb.70:
	v_sub_f32_e32 v10, v10, v22
	s_delay_alu instid0(VALU_DEP_1) | instskip(NEXT) | instid1(VALU_DEP_1)
	v_mul_f32_e32 v11, 0x3fb8aa3b, v10
	v_fma_f32 v12, 0x3fb8aa3b, v10, -v11
	v_rndne_f32_e32 v23, v11
	s_delay_alu instid0(VALU_DEP_1) | instskip(SKIP_1) | instid1(VALU_DEP_2)
	v_dual_sub_f32 v11, v11, v23 :: v_dual_fmamk_f32 v12, v10, 0x32a5705f, v12
	v_cmp_ngt_f32_e64 s0, 0xc2ce8ed0, v10
	v_add_f32_e32 v11, v11, v12
	v_cvt_i32_f32_e32 v12, v23
	s_delay_alu instid0(VALU_DEP_2) | instskip(SKIP_2) | instid1(VALU_DEP_1)
	v_exp_f32_e32 v11, v11
	s_waitcnt_depctr 0xfff
	v_ldexp_f32 v11, v11, v12
	v_cndmask_b32_e64 v11, 0, v11, s0
	v_cmp_nlt_f32_e64 s0, 0x42b17218, v10
	s_delay_alu instid0(VALU_DEP_1) | instskip(NEXT) | instid1(VALU_DEP_1)
	v_cndmask_b32_e64 v12, 0x7f800000, v11, s0
	v_add_f32_e32 v15, v15, v12
.LBB762_71:
	s_or_b32 exec_lo, exec_lo, s10
.LBB762_72:
	s_delay_alu instid0(SALU_CYCLE_1)
	s_or_b32 exec_lo, exec_lo, s1
	v_dual_mov_b32 v10, 0 :: v_dual_mov_b32 v11, 0
	s_and_saveexec_b32 s1, s11
	s_cbranch_execz .LBB762_76
; %bb.73:
	global_load_u8 v11, v[2:3], off offset:384
	s_waitcnt vmcnt(0)
	v_and_b32_e32 v11, 1, v11
	s_delay_alu instid0(VALU_DEP_1) | instskip(SKIP_1) | instid1(VALU_DEP_2)
	v_cmp_eq_u32_e64 s0, 1, v11
	v_mov_b32_e32 v11, 0
	s_xor_b32 s0, s0, -1
	s_delay_alu instid0(SALU_CYCLE_1)
	s_and_saveexec_b32 s10, s0
	s_cbranch_execz .LBB762_75
; %bb.74:
	v_sub_f32_e32 v9, v9, v22
	s_delay_alu instid0(VALU_DEP_1) | instskip(SKIP_1) | instid1(VALU_DEP_2)
	v_mul_f32_e32 v11, 0x3fb8aa3b, v9
	v_cmp_ngt_f32_e64 s0, 0xc2ce8ed0, v9
	v_fma_f32 v23, 0x3fb8aa3b, v9, -v11
	v_rndne_f32_e32 v24, v11
	s_delay_alu instid0(VALU_DEP_2) | instskip(NEXT) | instid1(VALU_DEP_2)
	v_fmamk_f32 v23, v9, 0x32a5705f, v23
	v_sub_f32_e32 v11, v11, v24
	s_delay_alu instid0(VALU_DEP_1) | instskip(SKIP_1) | instid1(VALU_DEP_2)
	v_add_f32_e32 v11, v11, v23
	v_cvt_i32_f32_e32 v23, v24
	v_exp_f32_e32 v11, v11
	s_waitcnt_depctr 0xfff
	v_ldexp_f32 v11, v11, v23
	s_delay_alu instid0(VALU_DEP_1) | instskip(SKIP_1) | instid1(VALU_DEP_1)
	v_cndmask_b32_e64 v11, 0, v11, s0
	v_cmp_nlt_f32_e64 s0, 0x42b17218, v9
	v_cndmask_b32_e64 v11, 0x7f800000, v11, s0
	s_delay_alu instid0(VALU_DEP_1)
	v_add_f32_e32 v15, v15, v11
.LBB762_75:
	s_or_b32 exec_lo, exec_lo, s10
.LBB762_76:
	s_delay_alu instid0(SALU_CYCLE_1)
	s_or_b32 exec_lo, exec_lo, s1
	s_and_saveexec_b32 s1, s9
	s_cbranch_execz .LBB762_80
; %bb.77:
	global_load_u8 v2, v[2:3], off offset:448
	v_mov_b32_e32 v10, 0
	s_waitcnt vmcnt(0)
	v_and_b32_e32 v2, 1, v2
	s_delay_alu instid0(VALU_DEP_1) | instskip(NEXT) | instid1(VALU_DEP_1)
	v_cmp_eq_u32_e64 s0, 1, v2
	s_xor_b32 s0, s0, -1
	s_delay_alu instid0(SALU_CYCLE_1)
	s_and_saveexec_b32 s9, s0
	s_cbranch_execz .LBB762_79
; %bb.78:
	v_sub_f32_e32 v2, v8, v22
	s_delay_alu instid0(VALU_DEP_1) | instskip(NEXT) | instid1(VALU_DEP_1)
	v_mul_f32_e32 v3, 0x3fb8aa3b, v2
	v_fma_f32 v8, 0x3fb8aa3b, v2, -v3
	v_rndne_f32_e32 v9, v3
	s_delay_alu instid0(VALU_DEP_1) | instskip(SKIP_1) | instid1(VALU_DEP_2)
	v_dual_sub_f32 v3, v3, v9 :: v_dual_fmamk_f32 v8, v2, 0x32a5705f, v8
	v_cmp_ngt_f32_e64 s0, 0xc2ce8ed0, v2
	v_add_f32_e32 v3, v3, v8
	v_cvt_i32_f32_e32 v8, v9
	s_delay_alu instid0(VALU_DEP_2) | instskip(SKIP_2) | instid1(VALU_DEP_1)
	v_exp_f32_e32 v3, v3
	s_waitcnt_depctr 0xfff
	v_ldexp_f32 v3, v3, v8
	v_cndmask_b32_e64 v3, 0, v3, s0
	v_cmp_nlt_f32_e64 s0, 0x42b17218, v2
	s_delay_alu instid0(VALU_DEP_1) | instskip(NEXT) | instid1(VALU_DEP_1)
	v_cndmask_b32_e64 v10, 0x7f800000, v3, s0
	v_add_f32_e32 v15, v15, v10
.LBB762_79:
	s_or_b32 exec_lo, exec_lo, s9
.LBB762_80:
	s_delay_alu instid0(SALU_CYCLE_1)
	s_or_b32 exec_lo, exec_lo, s1
	ds_bpermute_b32 v2, v6, v15
	s_mov_b32 s1, exec_lo
	s_waitcnt lgkmcnt(0)
	v_add_f32_e32 v2, v15, v2
	ds_bpermute_b32 v3, v16, v2
	s_waitcnt lgkmcnt(0)
	v_add_f32_e32 v2, v2, v3
	ds_bpermute_b32 v3, v17, v2
	;; [unrolled: 3-line block ×5, first 2 shown]
	v_cmpx_lt_i32_e32 0, v7
	s_cbranch_execz .LBB762_106
; %bb.81:
	s_and_b32 exec_lo, exec_lo, vcc_lo
	s_cbranch_execz .LBB762_106
; %bb.82:
	s_waitcnt lgkmcnt(0)
	v_dual_add_f32 v2, v2, v3 :: v_dual_mov_b32 v3, 0x7fc0
	s_delay_alu instid0(VALU_DEP_1) | instskip(NEXT) | instid1(VALU_DEP_1)
	v_cmp_neq_f32_e64 s0, 0, v2
	s_and_saveexec_b32 s1, s0
	s_cbranch_execz .LBB762_84
; %bb.83:
	v_div_scale_f32 v3, null, v2, v2, v19
	s_delay_alu instid0(VALU_DEP_1) | instskip(SKIP_2) | instid1(VALU_DEP_1)
	v_rcp_f32_e32 v6, v3
	s_waitcnt_depctr 0xfff
	v_fma_f32 v7, -v3, v6, 1.0
	v_fmac_f32_e32 v6, v7, v6
	v_div_scale_f32 v7, vcc_lo, v19, v2, v19
	s_delay_alu instid0(VALU_DEP_1) | instskip(NEXT) | instid1(VALU_DEP_1)
	v_mul_f32_e32 v8, v7, v6
	v_fma_f32 v9, -v3, v8, v7
	s_delay_alu instid0(VALU_DEP_1) | instskip(NEXT) | instid1(VALU_DEP_1)
	v_fmac_f32_e32 v8, v9, v6
	v_fma_f32 v3, -v3, v8, v7
	s_delay_alu instid0(VALU_DEP_1) | instskip(NEXT) | instid1(VALU_DEP_1)
	v_div_fmas_f32 v3, v3, v6, v8
	v_div_fixup_f32 v3, v3, v2, v19
	s_delay_alu instid0(VALU_DEP_1) | instskip(SKIP_1) | instid1(VALU_DEP_2)
	v_bfe_u32 v6, v3, 16, 1
	v_cmp_o_f32_e32 vcc_lo, v3, v3
	v_add3_u32 v6, v3, v6, 0x7fff
	s_delay_alu instid0(VALU_DEP_1) | instskip(NEXT) | instid1(VALU_DEP_1)
	v_lshrrev_b32_e32 v6, 16, v6
	v_cndmask_b32_e32 v3, 0x7fc0, v6, vcc_lo
.LBB762_84:
	s_or_b32 exec_lo, exec_lo, s1
	v_add_co_u32 v0, vcc_lo, s12, v0
	v_add_co_ci_u32_e32 v1, vcc_lo, s13, v1, vcc_lo
	global_store_b16 v[0:1], v3, off
	s_and_b32 exec_lo, exec_lo, s8
	s_cbranch_execz .LBB762_106
; %bb.85:
	v_mov_b32_e32 v3, 0x7fc0
	s_and_saveexec_b32 s1, s0
	s_cbranch_execz .LBB762_87
; %bb.86:
	v_div_scale_f32 v3, null, v2, v2, v4
	s_delay_alu instid0(VALU_DEP_1) | instskip(SKIP_2) | instid1(VALU_DEP_1)
	v_rcp_f32_e32 v6, v3
	s_waitcnt_depctr 0xfff
	v_fma_f32 v7, -v3, v6, 1.0
	v_fmac_f32_e32 v6, v7, v6
	v_div_scale_f32 v7, vcc_lo, v4, v2, v4
	s_delay_alu instid0(VALU_DEP_1) | instskip(NEXT) | instid1(VALU_DEP_1)
	v_mul_f32_e32 v8, v7, v6
	v_fma_f32 v9, -v3, v8, v7
	s_delay_alu instid0(VALU_DEP_1) | instskip(NEXT) | instid1(VALU_DEP_1)
	v_fmac_f32_e32 v8, v9, v6
	v_fma_f32 v3, -v3, v8, v7
	s_delay_alu instid0(VALU_DEP_1) | instskip(NEXT) | instid1(VALU_DEP_1)
	v_div_fmas_f32 v3, v3, v6, v8
	v_div_fixup_f32 v3, v3, v2, v4
	s_delay_alu instid0(VALU_DEP_1) | instskip(SKIP_1) | instid1(VALU_DEP_2)
	v_bfe_u32 v4, v3, 16, 1
	v_cmp_o_f32_e32 vcc_lo, v3, v3
	v_add3_u32 v4, v3, v4, 0x7fff
	s_delay_alu instid0(VALU_DEP_1) | instskip(NEXT) | instid1(VALU_DEP_1)
	v_lshrrev_b32_e32 v4, 16, v4
	v_cndmask_b32_e32 v3, 0x7fc0, v4, vcc_lo
.LBB762_87:
	s_or_b32 exec_lo, exec_lo, s1
	global_store_b16 v[0:1], v3, off offset:128
	s_and_b32 exec_lo, exec_lo, s7
	s_cbranch_execz .LBB762_106
; %bb.88:
	v_mov_b32_e32 v3, 0x7fc0
	s_and_saveexec_b32 s1, s0
	s_cbranch_execz .LBB762_90
; %bb.89:
	v_div_scale_f32 v3, null, v2, v2, v14
	s_delay_alu instid0(VALU_DEP_1) | instskip(SKIP_2) | instid1(VALU_DEP_1)
	v_rcp_f32_e32 v4, v3
	s_waitcnt_depctr 0xfff
	v_fma_f32 v6, -v3, v4, 1.0
	v_fmac_f32_e32 v4, v6, v4
	v_div_scale_f32 v6, vcc_lo, v14, v2, v14
	s_delay_alu instid0(VALU_DEP_1) | instskip(NEXT) | instid1(VALU_DEP_1)
	v_mul_f32_e32 v7, v6, v4
	v_fma_f32 v8, -v3, v7, v6
	s_delay_alu instid0(VALU_DEP_1) | instskip(NEXT) | instid1(VALU_DEP_1)
	v_fmac_f32_e32 v7, v8, v4
	v_fma_f32 v3, -v3, v7, v6
	s_delay_alu instid0(VALU_DEP_1) | instskip(NEXT) | instid1(VALU_DEP_1)
	v_div_fmas_f32 v3, v3, v4, v7
	v_div_fixup_f32 v3, v3, v2, v14
	s_delay_alu instid0(VALU_DEP_1) | instskip(SKIP_1) | instid1(VALU_DEP_2)
	v_bfe_u32 v4, v3, 16, 1
	v_cmp_o_f32_e32 vcc_lo, v3, v3
	v_add3_u32 v4, v3, v4, 0x7fff
	s_delay_alu instid0(VALU_DEP_1) | instskip(NEXT) | instid1(VALU_DEP_1)
	v_lshrrev_b32_e32 v4, 16, v4
	v_cndmask_b32_e32 v3, 0x7fc0, v4, vcc_lo
.LBB762_90:
	s_or_b32 exec_lo, exec_lo, s1
	global_store_b16 v[0:1], v3, off offset:256
	;; [unrolled: 33-line block ×7, first 2 shown]
.LBB762_106:
	s_nop 0
	s_sendmsg sendmsg(MSG_DEALLOC_VGPRS)
	s_endpgm
	.section	.rodata,"a",@progbits
	.p2align	6, 0x0
	.amdhsa_kernel _ZN12_GLOBAL__N_120softmax_warp_forwardIN3c108BFloat16ES2_fLi9ELb0ELb1ELi64EEEvPT0_PKT_iiiPKbib
		.amdhsa_group_segment_fixed_size 0
		.amdhsa_private_segment_fixed_size 0
		.amdhsa_kernarg_size 304
		.amdhsa_user_sgpr_count 15
		.amdhsa_user_sgpr_dispatch_ptr 0
		.amdhsa_user_sgpr_queue_ptr 0
		.amdhsa_user_sgpr_kernarg_segment_ptr 1
		.amdhsa_user_sgpr_dispatch_id 0
		.amdhsa_user_sgpr_private_segment_size 0
		.amdhsa_wavefront_size32 1
		.amdhsa_uses_dynamic_stack 0
		.amdhsa_enable_private_segment 0
		.amdhsa_system_sgpr_workgroup_id_x 1
		.amdhsa_system_sgpr_workgroup_id_y 0
		.amdhsa_system_sgpr_workgroup_id_z 0
		.amdhsa_system_sgpr_workgroup_info 0
		.amdhsa_system_vgpr_workitem_id 1
		.amdhsa_next_free_vgpr 25
		.amdhsa_next_free_sgpr 22
		.amdhsa_reserve_vcc 1
		.amdhsa_float_round_mode_32 0
		.amdhsa_float_round_mode_16_64 0
		.amdhsa_float_denorm_mode_32 3
		.amdhsa_float_denorm_mode_16_64 3
		.amdhsa_dx10_clamp 1
		.amdhsa_ieee_mode 1
		.amdhsa_fp16_overflow 0
		.amdhsa_workgroup_processor_mode 1
		.amdhsa_memory_ordered 1
		.amdhsa_forward_progress 0
		.amdhsa_shared_vgpr_count 0
		.amdhsa_exception_fp_ieee_invalid_op 0
		.amdhsa_exception_fp_denorm_src 0
		.amdhsa_exception_fp_ieee_div_zero 0
		.amdhsa_exception_fp_ieee_overflow 0
		.amdhsa_exception_fp_ieee_underflow 0
		.amdhsa_exception_fp_ieee_inexact 0
		.amdhsa_exception_int_div_zero 0
	.end_amdhsa_kernel
	.section	.text._ZN12_GLOBAL__N_120softmax_warp_forwardIN3c108BFloat16ES2_fLi9ELb0ELb1ELi64EEEvPT0_PKT_iiiPKbib,"axG",@progbits,_ZN12_GLOBAL__N_120softmax_warp_forwardIN3c108BFloat16ES2_fLi9ELb0ELb1ELi64EEEvPT0_PKT_iiiPKbib,comdat
.Lfunc_end762:
	.size	_ZN12_GLOBAL__N_120softmax_warp_forwardIN3c108BFloat16ES2_fLi9ELb0ELb1ELi64EEEvPT0_PKT_iiiPKbib, .Lfunc_end762-_ZN12_GLOBAL__N_120softmax_warp_forwardIN3c108BFloat16ES2_fLi9ELb0ELb1ELi64EEEvPT0_PKT_iiiPKbib
                                        ; -- End function
	.section	.AMDGPU.csdata,"",@progbits
; Kernel info:
; codeLenInByte = 5208
; NumSgprs: 24
; NumVgprs: 25
; ScratchSize: 0
; MemoryBound: 0
; FloatMode: 240
; IeeeMode: 1
; LDSByteSize: 0 bytes/workgroup (compile time only)
; SGPRBlocks: 2
; VGPRBlocks: 3
; NumSGPRsForWavesPerEU: 24
; NumVGPRsForWavesPerEU: 25
; Occupancy: 16
; WaveLimiterHint : 0
; COMPUTE_PGM_RSRC2:SCRATCH_EN: 0
; COMPUTE_PGM_RSRC2:USER_SGPR: 15
; COMPUTE_PGM_RSRC2:TRAP_HANDLER: 0
; COMPUTE_PGM_RSRC2:TGID_X_EN: 1
; COMPUTE_PGM_RSRC2:TGID_Y_EN: 0
; COMPUTE_PGM_RSRC2:TGID_Z_EN: 0
; COMPUTE_PGM_RSRC2:TIDIG_COMP_CNT: 1
	.section	.text._ZN12_GLOBAL__N_120softmax_warp_forwardIN3c108BFloat16ES2_fLi9ELb0ELb1ELi32EEEvPT0_PKT_iiiPKbib,"axG",@progbits,_ZN12_GLOBAL__N_120softmax_warp_forwardIN3c108BFloat16ES2_fLi9ELb0ELb1ELi32EEEvPT0_PKT_iiiPKbib,comdat
	.globl	_ZN12_GLOBAL__N_120softmax_warp_forwardIN3c108BFloat16ES2_fLi9ELb0ELb1ELi32EEEvPT0_PKT_iiiPKbib ; -- Begin function _ZN12_GLOBAL__N_120softmax_warp_forwardIN3c108BFloat16ES2_fLi9ELb0ELb1ELi32EEEvPT0_PKT_iiiPKbib
	.p2align	8
	.type	_ZN12_GLOBAL__N_120softmax_warp_forwardIN3c108BFloat16ES2_fLi9ELb0ELb1ELi32EEEvPT0_PKT_iiiPKbib,@function
_ZN12_GLOBAL__N_120softmax_warp_forwardIN3c108BFloat16ES2_fLi9ELb0ELb1ELi32EEEvPT0_PKT_iiiPKbib: ; @_ZN12_GLOBAL__N_120softmax_warp_forwardIN3c108BFloat16ES2_fLi9ELb0ELb1ELi32EEEvPT0_PKT_iiiPKbib
; %bb.0:
	s_clause 0x1
	s_load_b32 s2, s[0:1], 0x3c
	s_load_b128 s[16:19], s[0:1], 0x10
	v_bfe_u32 v3, v0, 10, 10
	s_waitcnt lgkmcnt(0)
	s_lshr_b32 s2, s2, 16
	s_delay_alu instid0(VALU_DEP_1) | instid1(SALU_CYCLE_1)
	v_mad_u64_u32 v[1:2], null, s15, s2, v[3:4]
	s_load_b64 s[2:3], s[0:1], 0x28
	v_and_b32_e32 v2, 0x3ff, v0
	s_delay_alu instid0(VALU_DEP_2) | instskip(NEXT) | instid1(VALU_DEP_1)
	v_mul_lo_u32 v7, v1, s17
	v_add_nc_u32_e32 v5, v7, v2
	s_delay_alu instid0(VALU_DEP_1) | instskip(SKIP_3) | instid1(VALU_DEP_2)
	v_ashrrev_i32_e32 v6, 31, v5
	v_mov_b32_e32 v3, v5
	s_waitcnt lgkmcnt(0)
	s_bitcmp0_b32 s3, 0
	v_mov_b32_e32 v4, v6
	s_cbranch_scc1 .LBB763_2
; %bb.1:
	s_abs_i32 s3, s2
	v_sub_nc_u32_e32 v4, 0, v7
	v_cvt_f32_u32_e32 v0, s3
	s_sub_i32 s4, 0, s3
	s_delay_alu instid0(VALU_DEP_2) | instskip(NEXT) | instid1(VALU_DEP_2)
	v_max_i32_e32 v4, v7, v4
	v_rcp_iflag_f32_e32 v0, v0
	s_waitcnt_depctr 0xfff
	v_mul_f32_e32 v0, 0x4f7ffffe, v0
	s_delay_alu instid0(VALU_DEP_1) | instskip(NEXT) | instid1(VALU_DEP_1)
	v_cvt_u32_f32_e32 v0, v0
	v_mul_lo_u32 v3, s4, v0
	s_delay_alu instid0(VALU_DEP_1) | instskip(NEXT) | instid1(VALU_DEP_1)
	v_mul_hi_u32 v3, v0, v3
	v_add_nc_u32_e32 v0, v0, v3
	s_delay_alu instid0(VALU_DEP_1) | instskip(NEXT) | instid1(VALU_DEP_1)
	v_mul_hi_u32 v0, v4, v0
	v_mul_lo_u32 v3, v0, s3
	s_delay_alu instid0(VALU_DEP_1) | instskip(SKIP_1) | instid1(VALU_DEP_2)
	v_sub_nc_u32_e32 v3, v4, v3
	v_add_nc_u32_e32 v4, 1, v0
	v_subrev_nc_u32_e32 v8, s3, v3
	v_cmp_le_u32_e32 vcc_lo, s3, v3
	s_delay_alu instid0(VALU_DEP_2) | instskip(NEXT) | instid1(VALU_DEP_4)
	v_cndmask_b32_e32 v3, v3, v8, vcc_lo
	v_cndmask_b32_e32 v0, v0, v4, vcc_lo
	v_xor_b32_e32 v4, s2, v7
	s_delay_alu instid0(VALU_DEP_3) | instskip(NEXT) | instid1(VALU_DEP_3)
	v_cmp_le_u32_e32 vcc_lo, s3, v3
	v_add_nc_u32_e32 v7, 1, v0
	s_delay_alu instid0(VALU_DEP_3) | instskip(NEXT) | instid1(VALU_DEP_2)
	v_ashrrev_i32_e32 v4, 31, v4
	v_cndmask_b32_e32 v0, v0, v7, vcc_lo
	s_delay_alu instid0(VALU_DEP_1) | instskip(NEXT) | instid1(VALU_DEP_1)
	v_xor_b32_e32 v0, v0, v4
	v_sub_nc_u32_e32 v0, v0, v4
	s_delay_alu instid0(VALU_DEP_1) | instskip(NEXT) | instid1(VALU_DEP_1)
	v_mad_u64_u32 v[3:4], null, v0, s17, v[2:3]
	v_ashrrev_i32_e32 v4, 31, v3
.LBB763_2:
	s_load_b128 s[20:23], s[0:1], 0x0
	v_sub_nc_u32_e32 v7, s16, v1
	v_lshlrev_b64 v[0:1], 1, v[5:6]
	v_cmp_gt_i32_e32 vcc_lo, s18, v2
	v_dual_mov_b32 v22, 0xff800000 :: v_dual_mov_b32 v23, 0xff800000
	s_delay_alu instid0(VALU_DEP_4) | instskip(NEXT) | instid1(VALU_DEP_1)
	v_cmp_lt_i32_e64 s17, 0, v7
	s_and_b32 s36, s17, vcc_lo
	s_waitcnt lgkmcnt(0)
	v_add_co_u32 v5, s2, s22, v0
	s_delay_alu instid0(VALU_DEP_1)
	v_add_co_ci_u32_e64 v6, s2, s23, v1, s2
	s_and_saveexec_b32 s2, s36
	s_cbranch_execz .LBB763_4
; %bb.3:
	global_load_u16 v8, v[5:6], off
	s_waitcnt vmcnt(0)
	v_lshlrev_b32_e32 v23, 16, v8
.LBB763_4:
	s_or_b32 exec_lo, exec_lo, s2
	v_add_nc_u32_e32 v8, 32, v2
	s_delay_alu instid0(VALU_DEP_1) | instskip(NEXT) | instid1(VALU_DEP_1)
	v_cmp_gt_i32_e64 s16, s18, v8
	s_and_b32 s35, s17, s16
	s_delay_alu instid0(SALU_CYCLE_1)
	s_and_saveexec_b32 s2, s35
	s_cbranch_execz .LBB763_6
; %bb.5:
	global_load_u16 v8, v[5:6], off offset:64
	s_waitcnt vmcnt(0)
	v_lshlrev_b32_e32 v22, 16, v8
.LBB763_6:
	s_or_b32 exec_lo, exec_lo, s2
	v_dual_mov_b32 v21, 0xff800000 :: v_dual_add_nc_u32 v8, 64, v2
	v_mov_b32_e32 v20, 0xff800000
	s_delay_alu instid0(VALU_DEP_2) | instskip(NEXT) | instid1(VALU_DEP_1)
	v_cmp_gt_i32_e64 s15, s18, v8
	s_and_b32 s34, s17, s15
	s_delay_alu instid0(SALU_CYCLE_1)
	s_and_saveexec_b32 s2, s34
	s_cbranch_execz .LBB763_8
; %bb.7:
	global_load_u16 v8, v[5:6], off offset:128
	s_waitcnt vmcnt(0)
	v_lshlrev_b32_e32 v21, 16, v8
.LBB763_8:
	s_or_b32 exec_lo, exec_lo, s2
	v_add_nc_u32_e32 v8, 0x60, v2
	s_delay_alu instid0(VALU_DEP_1) | instskip(NEXT) | instid1(VALU_DEP_1)
	v_cmp_gt_i32_e64 s14, s18, v8
	s_and_b32 s33, s17, s14
	s_delay_alu instid0(SALU_CYCLE_1)
	s_and_saveexec_b32 s2, s33
	s_cbranch_execz .LBB763_10
; %bb.9:
	global_load_u16 v8, v[5:6], off offset:192
	s_waitcnt vmcnt(0)
	v_lshlrev_b32_e32 v20, 16, v8
.LBB763_10:
	s_or_b32 exec_lo, exec_lo, s2
	v_add_nc_u32_e32 v8, 0x80, v2
	v_dual_mov_b32 v18, 0xff800000 :: v_dual_mov_b32 v19, 0xff800000
	s_delay_alu instid0(VALU_DEP_2) | instskip(NEXT) | instid1(VALU_DEP_1)
	v_cmp_gt_i32_e64 s13, s18, v8
	s_and_b32 s31, s17, s13
	s_delay_alu instid0(SALU_CYCLE_1)
	s_and_saveexec_b32 s2, s31
	s_cbranch_execz .LBB763_12
; %bb.11:
	global_load_u16 v8, v[5:6], off offset:256
	s_waitcnt vmcnt(0)
	v_lshlrev_b32_e32 v19, 16, v8
.LBB763_12:
	s_or_b32 exec_lo, exec_lo, s2
	v_add_nc_u32_e32 v8, 0xa0, v2
	s_delay_alu instid0(VALU_DEP_1) | instskip(NEXT) | instid1(VALU_DEP_1)
	v_cmp_gt_i32_e64 s12, s18, v8
	s_and_b32 s30, s17, s12
	s_delay_alu instid0(SALU_CYCLE_1)
	s_and_saveexec_b32 s2, s30
	s_cbranch_execz .LBB763_14
; %bb.13:
	global_load_u16 v8, v[5:6], off offset:320
	s_waitcnt vmcnt(0)
	v_lshlrev_b32_e32 v18, 16, v8
.LBB763_14:
	s_or_b32 exec_lo, exec_lo, s2
	v_add_nc_u32_e32 v8, 0xc0, v2
	v_dual_mov_b32 v16, 0xff800000 :: v_dual_mov_b32 v17, 0xff800000
	;; [unrolled: 27-line block ×5, first 2 shown]
	s_delay_alu instid0(VALU_DEP_2) | instskip(NEXT) | instid1(VALU_DEP_1)
	v_cmp_gt_i32_e64 s5, s18, v8
	s_and_b32 s23, s17, s5
	s_delay_alu instid0(SALU_CYCLE_1)
	s_and_saveexec_b32 s2, s23
	s_cbranch_execz .LBB763_28
; %bb.27:
	global_load_u16 v8, v[5:6], off offset:768
	s_waitcnt vmcnt(0)
	v_lshlrev_b32_e32 v11, 16, v8
.LBB763_28:
	s_or_b32 exec_lo, exec_lo, s2
	v_add_nc_u32_e32 v8, 0x1a0, v2
	s_delay_alu instid0(VALU_DEP_1) | instskip(NEXT) | instid1(VALU_DEP_1)
	v_cmp_gt_i32_e64 s4, s18, v8
	s_and_b32 s22, s17, s4
	s_delay_alu instid0(SALU_CYCLE_1)
	s_and_saveexec_b32 s2, s22
	s_cbranch_execz .LBB763_30
; %bb.29:
	global_load_u16 v8, v[5:6], off offset:832
	s_waitcnt vmcnt(0)
	v_lshlrev_b32_e32 v10, 16, v8
.LBB763_30:
	s_or_b32 exec_lo, exec_lo, s2
	v_add_nc_u32_e32 v8, 0x1c0, v2
	v_mov_b32_e32 v9, 0xff800000
	s_delay_alu instid0(VALU_DEP_2) | instskip(SKIP_1) | instid1(VALU_DEP_2)
	v_cmp_gt_i32_e64 s3, s18, v8
	v_mov_b32_e32 v8, 0xff800000
	s_and_b32 s19, s17, s3
	s_delay_alu instid0(SALU_CYCLE_1)
	s_and_saveexec_b32 s2, s19
	s_cbranch_execz .LBB763_32
; %bb.31:
	global_load_u16 v9, v[5:6], off offset:896
	s_waitcnt vmcnt(0)
	v_lshlrev_b32_e32 v9, 16, v9
.LBB763_32:
	s_or_b32 exec_lo, exec_lo, s2
	v_add_nc_u32_e32 v2, 0x1e0, v2
	s_delay_alu instid0(VALU_DEP_1) | instskip(NEXT) | instid1(VALU_DEP_1)
	v_cmp_gt_i32_e64 s2, s18, v2
	s_and_b32 s17, s17, s2
	s_delay_alu instid0(SALU_CYCLE_1)
	s_and_saveexec_b32 s18, s17
	s_cbranch_execz .LBB763_34
; %bb.33:
	global_load_u16 v2, v[5:6], off offset:960
	s_waitcnt vmcnt(0)
	v_lshlrev_b32_e32 v8, 16, v2
.LBB763_34:
	s_or_b32 exec_lo, exec_lo, s18
	s_load_b64 s[0:1], s[0:1], 0x20
	s_waitcnt lgkmcnt(0)
	v_add_co_u32 v2, s0, s0, v3
	s_delay_alu instid0(VALU_DEP_1)
	v_add_co_ci_u32_e64 v3, s0, s1, v4, s0
	s_mov_b32 s1, 0
	s_and_saveexec_b32 s18, s36
	s_cbranch_execnz .LBB763_50
; %bb.35:
	s_or_b32 exec_lo, exec_lo, s18
	v_mov_b32_e32 v4, v23
	s_and_saveexec_b32 s18, s35
	s_cbranch_execnz .LBB763_51
.LBB763_36:
	s_or_b32 exec_lo, exec_lo, s18
	s_and_saveexec_b32 s18, s34
	s_cbranch_execnz .LBB763_54
.LBB763_37:
	s_or_b32 exec_lo, exec_lo, s18
	s_and_saveexec_b32 s18, s33
	s_cbranch_execnz .LBB763_57
.LBB763_38:
	s_or_b32 exec_lo, exec_lo, s18
	s_and_saveexec_b32 s18, s31
	s_cbranch_execnz .LBB763_60
.LBB763_39:
	s_or_b32 exec_lo, exec_lo, s18
	s_and_saveexec_b32 s18, s30
	s_cbranch_execnz .LBB763_63
.LBB763_40:
	s_or_b32 exec_lo, exec_lo, s18
	s_and_saveexec_b32 s18, s29
	s_cbranch_execnz .LBB763_66
.LBB763_41:
	s_or_b32 exec_lo, exec_lo, s18
	s_and_saveexec_b32 s18, s28
	s_cbranch_execnz .LBB763_69
.LBB763_42:
	s_or_b32 exec_lo, exec_lo, s18
	s_and_saveexec_b32 s18, s27
	s_cbranch_execnz .LBB763_72
.LBB763_43:
	s_or_b32 exec_lo, exec_lo, s18
	s_and_saveexec_b32 s18, s26
	s_cbranch_execnz .LBB763_75
.LBB763_44:
	s_or_b32 exec_lo, exec_lo, s18
	s_and_saveexec_b32 s18, s25
	s_cbranch_execnz .LBB763_78
.LBB763_45:
	s_or_b32 exec_lo, exec_lo, s18
	s_and_saveexec_b32 s18, s24
	s_cbranch_execnz .LBB763_81
.LBB763_46:
	s_or_b32 exec_lo, exec_lo, s18
	s_and_saveexec_b32 s18, s23
	s_cbranch_execnz .LBB763_84
.LBB763_47:
	s_or_b32 exec_lo, exec_lo, s18
	s_and_saveexec_b32 s18, s22
	s_cbranch_execnz .LBB763_87
.LBB763_48:
	s_or_b32 exec_lo, exec_lo, s18
	s_and_saveexec_b32 s18, s19
	s_cbranch_execnz .LBB763_90
.LBB763_49:
	s_or_b32 exec_lo, exec_lo, s18
	s_and_saveexec_b32 s18, s17
	s_cbranch_execnz .LBB763_93
	s_branch .LBB763_96
.LBB763_50:
	global_load_u8 v4, v[2:3], off
	s_waitcnt vmcnt(0)
	v_and_b32_e32 v4, 1, v4
	s_delay_alu instid0(VALU_DEP_1) | instskip(NEXT) | instid1(VALU_DEP_1)
	v_cmp_eq_u32_e64 s0, 1, v4
	s_xor_b32 s0, s0, -1
	s_delay_alu instid0(SALU_CYCLE_1)
	s_and_b32 s1, s0, exec_lo
	s_or_b32 exec_lo, exec_lo, s18
	v_mov_b32_e32 v4, v23
	s_and_saveexec_b32 s18, s35
	s_cbranch_execz .LBB763_36
.LBB763_51:
	global_load_u8 v4, v[2:3], off offset:32
	s_waitcnt vmcnt(0)
	v_and_b32_e32 v4, 1, v4
	s_delay_alu instid0(VALU_DEP_1) | instskip(SKIP_1) | instid1(VALU_DEP_2)
	v_cmp_eq_u32_e64 s0, 1, v4
	v_mov_b32_e32 v4, v23
	s_xor_b32 s38, s0, -1
	s_mov_b32 s0, s1
	s_and_saveexec_b32 s37, s38
; %bb.52:
	v_cmp_gt_f32_e64 s0, v23, v22
	s_delay_alu instid0(VALU_DEP_1) | instskip(NEXT) | instid1(SALU_CYCLE_1)
	s_and_b32 s0, s1, s0
	v_cndmask_b32_e64 v4, v22, v23, s0
	s_or_b32 s0, s1, exec_lo
; %bb.53:
	s_or_b32 exec_lo, exec_lo, s37
	s_delay_alu instid0(SALU_CYCLE_1) | instskip(SKIP_1) | instid1(SALU_CYCLE_1)
	s_and_not1_b32 s1, s1, exec_lo
	s_and_b32 s0, s0, exec_lo
	s_or_b32 s1, s1, s0
	s_or_b32 exec_lo, exec_lo, s18
	s_and_saveexec_b32 s18, s34
	s_cbranch_execz .LBB763_37
.LBB763_54:
	global_load_u8 v5, v[2:3], off offset:64
	s_waitcnt vmcnt(0)
	v_and_b32_e32 v5, 1, v5
	s_delay_alu instid0(VALU_DEP_1) | instskip(NEXT) | instid1(VALU_DEP_1)
	v_cmp_eq_u32_e64 s0, 1, v5
	s_xor_b32 s38, s0, -1
	s_mov_b32 s0, s1
	s_and_saveexec_b32 s37, s38
; %bb.55:
	v_cmp_gt_f32_e64 s0, v4, v21
	s_delay_alu instid0(VALU_DEP_1) | instskip(NEXT) | instid1(SALU_CYCLE_1)
	s_and_b32 s0, s1, s0
	v_cndmask_b32_e64 v4, v21, v4, s0
	s_or_b32 s0, s1, exec_lo
; %bb.56:
	s_or_b32 exec_lo, exec_lo, s37
	s_delay_alu instid0(SALU_CYCLE_1) | instskip(SKIP_1) | instid1(SALU_CYCLE_1)
	s_and_not1_b32 s1, s1, exec_lo
	s_and_b32 s0, s0, exec_lo
	s_or_b32 s1, s1, s0
	s_or_b32 exec_lo, exec_lo, s18
	s_and_saveexec_b32 s18, s33
	s_cbranch_execz .LBB763_38
.LBB763_57:
	global_load_u8 v5, v[2:3], off offset:96
	s_waitcnt vmcnt(0)
	v_and_b32_e32 v5, 1, v5
	s_delay_alu instid0(VALU_DEP_1) | instskip(NEXT) | instid1(VALU_DEP_1)
	v_cmp_eq_u32_e64 s0, 1, v5
	s_xor_b32 s38, s0, -1
	s_mov_b32 s0, s1
	s_and_saveexec_b32 s37, s38
; %bb.58:
	v_cmp_gt_f32_e64 s0, v4, v20
	s_delay_alu instid0(VALU_DEP_1) | instskip(NEXT) | instid1(SALU_CYCLE_1)
	s_and_b32 s0, s1, s0
	v_cndmask_b32_e64 v4, v20, v4, s0
	s_or_b32 s0, s1, exec_lo
; %bb.59:
	s_or_b32 exec_lo, exec_lo, s37
	s_delay_alu instid0(SALU_CYCLE_1) | instskip(SKIP_1) | instid1(SALU_CYCLE_1)
	s_and_not1_b32 s1, s1, exec_lo
	s_and_b32 s0, s0, exec_lo
	s_or_b32 s1, s1, s0
	s_or_b32 exec_lo, exec_lo, s18
	s_and_saveexec_b32 s18, s31
	s_cbranch_execz .LBB763_39
.LBB763_60:
	global_load_u8 v5, v[2:3], off offset:128
	s_waitcnt vmcnt(0)
	v_and_b32_e32 v5, 1, v5
	s_delay_alu instid0(VALU_DEP_1) | instskip(NEXT) | instid1(VALU_DEP_1)
	v_cmp_eq_u32_e64 s0, 1, v5
	s_xor_b32 s38, s0, -1
	s_mov_b32 s0, s1
	s_and_saveexec_b32 s37, s38
; %bb.61:
	v_cmp_gt_f32_e64 s0, v4, v19
	s_delay_alu instid0(VALU_DEP_1) | instskip(NEXT) | instid1(SALU_CYCLE_1)
	s_and_b32 s0, s1, s0
	v_cndmask_b32_e64 v4, v19, v4, s0
	s_or_b32 s0, s1, exec_lo
; %bb.62:
	s_or_b32 exec_lo, exec_lo, s37
	s_delay_alu instid0(SALU_CYCLE_1) | instskip(SKIP_1) | instid1(SALU_CYCLE_1)
	s_and_not1_b32 s1, s1, exec_lo
	s_and_b32 s0, s0, exec_lo
	s_or_b32 s1, s1, s0
	s_or_b32 exec_lo, exec_lo, s18
	s_and_saveexec_b32 s18, s30
	s_cbranch_execz .LBB763_40
.LBB763_63:
	global_load_u8 v5, v[2:3], off offset:160
	s_waitcnt vmcnt(0)
	v_and_b32_e32 v5, 1, v5
	s_delay_alu instid0(VALU_DEP_1) | instskip(NEXT) | instid1(VALU_DEP_1)
	v_cmp_eq_u32_e64 s0, 1, v5
	s_xor_b32 s38, s0, -1
	s_mov_b32 s0, s1
	s_and_saveexec_b32 s37, s38
; %bb.64:
	v_cmp_gt_f32_e64 s0, v4, v18
	s_delay_alu instid0(VALU_DEP_1) | instskip(NEXT) | instid1(SALU_CYCLE_1)
	s_and_b32 s0, s1, s0
	v_cndmask_b32_e64 v4, v18, v4, s0
	s_or_b32 s0, s1, exec_lo
; %bb.65:
	s_or_b32 exec_lo, exec_lo, s37
	s_delay_alu instid0(SALU_CYCLE_1) | instskip(SKIP_1) | instid1(SALU_CYCLE_1)
	s_and_not1_b32 s1, s1, exec_lo
	s_and_b32 s0, s0, exec_lo
	s_or_b32 s1, s1, s0
	s_or_b32 exec_lo, exec_lo, s18
	s_and_saveexec_b32 s18, s29
	s_cbranch_execz .LBB763_41
.LBB763_66:
	global_load_u8 v5, v[2:3], off offset:192
	s_waitcnt vmcnt(0)
	v_and_b32_e32 v5, 1, v5
	s_delay_alu instid0(VALU_DEP_1) | instskip(NEXT) | instid1(VALU_DEP_1)
	v_cmp_eq_u32_e64 s0, 1, v5
	s_xor_b32 s38, s0, -1
	s_mov_b32 s0, s1
	s_and_saveexec_b32 s37, s38
; %bb.67:
	v_cmp_gt_f32_e64 s0, v4, v17
	s_delay_alu instid0(VALU_DEP_1) | instskip(NEXT) | instid1(SALU_CYCLE_1)
	s_and_b32 s0, s1, s0
	v_cndmask_b32_e64 v4, v17, v4, s0
	s_or_b32 s0, s1, exec_lo
; %bb.68:
	s_or_b32 exec_lo, exec_lo, s37
	s_delay_alu instid0(SALU_CYCLE_1) | instskip(SKIP_1) | instid1(SALU_CYCLE_1)
	s_and_not1_b32 s1, s1, exec_lo
	s_and_b32 s0, s0, exec_lo
	s_or_b32 s1, s1, s0
	s_or_b32 exec_lo, exec_lo, s18
	s_and_saveexec_b32 s18, s28
	s_cbranch_execz .LBB763_42
.LBB763_69:
	global_load_u8 v5, v[2:3], off offset:224
	s_waitcnt vmcnt(0)
	v_and_b32_e32 v5, 1, v5
	s_delay_alu instid0(VALU_DEP_1) | instskip(NEXT) | instid1(VALU_DEP_1)
	v_cmp_eq_u32_e64 s0, 1, v5
	s_xor_b32 s38, s0, -1
	s_mov_b32 s0, s1
	s_and_saveexec_b32 s37, s38
; %bb.70:
	v_cmp_gt_f32_e64 s0, v4, v16
	s_delay_alu instid0(VALU_DEP_1) | instskip(NEXT) | instid1(SALU_CYCLE_1)
	s_and_b32 s0, s1, s0
	v_cndmask_b32_e64 v4, v16, v4, s0
	s_or_b32 s0, s1, exec_lo
; %bb.71:
	s_or_b32 exec_lo, exec_lo, s37
	s_delay_alu instid0(SALU_CYCLE_1) | instskip(SKIP_1) | instid1(SALU_CYCLE_1)
	s_and_not1_b32 s1, s1, exec_lo
	s_and_b32 s0, s0, exec_lo
	s_or_b32 s1, s1, s0
	s_or_b32 exec_lo, exec_lo, s18
	s_and_saveexec_b32 s18, s27
	s_cbranch_execz .LBB763_43
.LBB763_72:
	global_load_u8 v5, v[2:3], off offset:256
	s_waitcnt vmcnt(0)
	v_and_b32_e32 v5, 1, v5
	s_delay_alu instid0(VALU_DEP_1) | instskip(NEXT) | instid1(VALU_DEP_1)
	v_cmp_eq_u32_e64 s0, 1, v5
	s_xor_b32 s38, s0, -1
	s_mov_b32 s0, s1
	s_and_saveexec_b32 s37, s38
; %bb.73:
	v_cmp_gt_f32_e64 s0, v4, v15
	s_delay_alu instid0(VALU_DEP_1) | instskip(NEXT) | instid1(SALU_CYCLE_1)
	s_and_b32 s0, s1, s0
	v_cndmask_b32_e64 v4, v15, v4, s0
	s_or_b32 s0, s1, exec_lo
; %bb.74:
	s_or_b32 exec_lo, exec_lo, s37
	s_delay_alu instid0(SALU_CYCLE_1) | instskip(SKIP_1) | instid1(SALU_CYCLE_1)
	s_and_not1_b32 s1, s1, exec_lo
	s_and_b32 s0, s0, exec_lo
	s_or_b32 s1, s1, s0
	s_or_b32 exec_lo, exec_lo, s18
	s_and_saveexec_b32 s18, s26
	s_cbranch_execz .LBB763_44
.LBB763_75:
	global_load_u8 v5, v[2:3], off offset:288
	s_waitcnt vmcnt(0)
	v_and_b32_e32 v5, 1, v5
	s_delay_alu instid0(VALU_DEP_1) | instskip(NEXT) | instid1(VALU_DEP_1)
	v_cmp_eq_u32_e64 s0, 1, v5
	s_xor_b32 s38, s0, -1
	s_mov_b32 s0, s1
	s_and_saveexec_b32 s37, s38
; %bb.76:
	v_cmp_gt_f32_e64 s0, v4, v14
	s_delay_alu instid0(VALU_DEP_1) | instskip(NEXT) | instid1(SALU_CYCLE_1)
	s_and_b32 s0, s1, s0
	v_cndmask_b32_e64 v4, v14, v4, s0
	s_or_b32 s0, s1, exec_lo
; %bb.77:
	s_or_b32 exec_lo, exec_lo, s37
	s_delay_alu instid0(SALU_CYCLE_1) | instskip(SKIP_1) | instid1(SALU_CYCLE_1)
	s_and_not1_b32 s1, s1, exec_lo
	s_and_b32 s0, s0, exec_lo
	s_or_b32 s1, s1, s0
	s_or_b32 exec_lo, exec_lo, s18
	s_and_saveexec_b32 s18, s25
	s_cbranch_execz .LBB763_45
.LBB763_78:
	global_load_u8 v5, v[2:3], off offset:320
	s_waitcnt vmcnt(0)
	v_and_b32_e32 v5, 1, v5
	s_delay_alu instid0(VALU_DEP_1) | instskip(NEXT) | instid1(VALU_DEP_1)
	v_cmp_eq_u32_e64 s0, 1, v5
	s_xor_b32 s38, s0, -1
	s_mov_b32 s0, s1
	s_and_saveexec_b32 s37, s38
; %bb.79:
	v_cmp_gt_f32_e64 s0, v4, v13
	s_delay_alu instid0(VALU_DEP_1) | instskip(NEXT) | instid1(SALU_CYCLE_1)
	s_and_b32 s0, s1, s0
	v_cndmask_b32_e64 v4, v13, v4, s0
	s_or_b32 s0, s1, exec_lo
; %bb.80:
	s_or_b32 exec_lo, exec_lo, s37
	s_delay_alu instid0(SALU_CYCLE_1) | instskip(SKIP_1) | instid1(SALU_CYCLE_1)
	s_and_not1_b32 s1, s1, exec_lo
	s_and_b32 s0, s0, exec_lo
	s_or_b32 s1, s1, s0
	s_or_b32 exec_lo, exec_lo, s18
	s_and_saveexec_b32 s18, s24
	s_cbranch_execz .LBB763_46
.LBB763_81:
	global_load_u8 v5, v[2:3], off offset:352
	s_waitcnt vmcnt(0)
	v_and_b32_e32 v5, 1, v5
	s_delay_alu instid0(VALU_DEP_1) | instskip(NEXT) | instid1(VALU_DEP_1)
	v_cmp_eq_u32_e64 s0, 1, v5
	s_xor_b32 s38, s0, -1
	s_mov_b32 s0, s1
	s_and_saveexec_b32 s37, s38
; %bb.82:
	v_cmp_gt_f32_e64 s0, v4, v12
	s_delay_alu instid0(VALU_DEP_1) | instskip(NEXT) | instid1(SALU_CYCLE_1)
	s_and_b32 s0, s1, s0
	v_cndmask_b32_e64 v4, v12, v4, s0
	s_or_b32 s0, s1, exec_lo
; %bb.83:
	s_or_b32 exec_lo, exec_lo, s37
	s_delay_alu instid0(SALU_CYCLE_1) | instskip(SKIP_1) | instid1(SALU_CYCLE_1)
	s_and_not1_b32 s1, s1, exec_lo
	s_and_b32 s0, s0, exec_lo
	s_or_b32 s1, s1, s0
	s_or_b32 exec_lo, exec_lo, s18
	s_and_saveexec_b32 s18, s23
	s_cbranch_execz .LBB763_47
.LBB763_84:
	global_load_u8 v5, v[2:3], off offset:384
	s_waitcnt vmcnt(0)
	v_and_b32_e32 v5, 1, v5
	s_delay_alu instid0(VALU_DEP_1) | instskip(NEXT) | instid1(VALU_DEP_1)
	v_cmp_eq_u32_e64 s0, 1, v5
	s_xor_b32 s38, s0, -1
	s_mov_b32 s0, s1
	s_and_saveexec_b32 s37, s38
; %bb.85:
	v_cmp_gt_f32_e64 s0, v4, v11
	s_delay_alu instid0(VALU_DEP_1) | instskip(NEXT) | instid1(SALU_CYCLE_1)
	s_and_b32 s0, s1, s0
	v_cndmask_b32_e64 v4, v11, v4, s0
	s_or_b32 s0, s1, exec_lo
; %bb.86:
	s_or_b32 exec_lo, exec_lo, s37
	s_delay_alu instid0(SALU_CYCLE_1) | instskip(SKIP_1) | instid1(SALU_CYCLE_1)
	s_and_not1_b32 s1, s1, exec_lo
	s_and_b32 s0, s0, exec_lo
	s_or_b32 s1, s1, s0
	s_or_b32 exec_lo, exec_lo, s18
	s_and_saveexec_b32 s18, s22
	s_cbranch_execz .LBB763_48
.LBB763_87:
	global_load_u8 v5, v[2:3], off offset:416
	s_waitcnt vmcnt(0)
	v_and_b32_e32 v5, 1, v5
	s_delay_alu instid0(VALU_DEP_1) | instskip(NEXT) | instid1(VALU_DEP_1)
	v_cmp_eq_u32_e64 s0, 1, v5
	s_xor_b32 s38, s0, -1
	s_mov_b32 s0, s1
	s_and_saveexec_b32 s37, s38
; %bb.88:
	v_cmp_gt_f32_e64 s0, v4, v10
	s_delay_alu instid0(VALU_DEP_1) | instskip(NEXT) | instid1(SALU_CYCLE_1)
	s_and_b32 s0, s1, s0
	v_cndmask_b32_e64 v4, v10, v4, s0
	s_or_b32 s0, s1, exec_lo
; %bb.89:
	s_or_b32 exec_lo, exec_lo, s37
	s_delay_alu instid0(SALU_CYCLE_1) | instskip(SKIP_1) | instid1(SALU_CYCLE_1)
	s_and_not1_b32 s1, s1, exec_lo
	s_and_b32 s0, s0, exec_lo
	s_or_b32 s1, s1, s0
	s_or_b32 exec_lo, exec_lo, s18
	s_and_saveexec_b32 s18, s19
	s_cbranch_execz .LBB763_49
.LBB763_90:
	global_load_u8 v5, v[2:3], off offset:448
	s_waitcnt vmcnt(0)
	v_and_b32_e32 v5, 1, v5
	s_delay_alu instid0(VALU_DEP_1) | instskip(NEXT) | instid1(VALU_DEP_1)
	v_cmp_eq_u32_e64 s0, 1, v5
	s_xor_b32 s38, s0, -1
	s_mov_b32 s0, s1
	s_and_saveexec_b32 s37, s38
; %bb.91:
	v_cmp_gt_f32_e64 s0, v4, v9
	s_delay_alu instid0(VALU_DEP_1) | instskip(NEXT) | instid1(SALU_CYCLE_1)
	s_and_b32 s0, s1, s0
	v_cndmask_b32_e64 v4, v9, v4, s0
	s_or_b32 s0, s1, exec_lo
; %bb.92:
	s_or_b32 exec_lo, exec_lo, s37
	s_delay_alu instid0(SALU_CYCLE_1) | instskip(SKIP_1) | instid1(SALU_CYCLE_1)
	s_and_not1_b32 s1, s1, exec_lo
	s_and_b32 s0, s0, exec_lo
	s_or_b32 s1, s1, s0
	s_or_b32 exec_lo, exec_lo, s18
	s_and_saveexec_b32 s18, s17
	s_cbranch_execz .LBB763_96
.LBB763_93:
	global_load_u8 v5, v[2:3], off offset:480
	s_waitcnt vmcnt(0)
	v_and_b32_e32 v5, 1, v5
	s_delay_alu instid0(VALU_DEP_1) | instskip(NEXT) | instid1(VALU_DEP_1)
	v_cmp_eq_u32_e64 s0, 1, v5
	s_xor_b32 s38, s0, -1
	s_mov_b32 s0, s1
	s_and_saveexec_b32 s37, s38
; %bb.94:
	v_cmp_gt_f32_e64 s0, v4, v8
	s_delay_alu instid0(VALU_DEP_1) | instskip(NEXT) | instid1(SALU_CYCLE_1)
	s_and_b32 s0, s1, s0
	v_cndmask_b32_e64 v4, v8, v4, s0
	s_or_b32 s0, s1, exec_lo
; %bb.95:
	s_or_b32 exec_lo, exec_lo, s37
	s_delay_alu instid0(SALU_CYCLE_1) | instskip(SKIP_1) | instid1(SALU_CYCLE_1)
	s_and_not1_b32 s1, s1, exec_lo
	s_and_b32 s0, s0, exec_lo
	s_or_b32 s1, s1, s0
.LBB763_96:
	s_or_b32 exec_lo, exec_lo, s18
	v_mbcnt_lo_u32_b32 v5, -1, 0
	v_cndmask_b32_e64 v4, 0xff800000, v4, s1
	s_delay_alu instid0(VALU_DEP_2) | instskip(SKIP_3) | instid1(VALU_DEP_4)
	v_xor_b32_e32 v6, 16, v5
	v_xor_b32_e32 v24, 8, v5
	;; [unrolled: 1-line block ×4, first 2 shown]
	v_cmp_gt_i32_e64 s0, 32, v6
	s_delay_alu instid0(VALU_DEP_1) | instskip(SKIP_1) | instid1(VALU_DEP_2)
	v_cndmask_b32_e64 v6, v5, v6, s0
	v_cmp_gt_i32_e64 s0, 32, v24
	v_lshlrev_b32_e32 v6, 2, v6
	s_delay_alu instid0(VALU_DEP_2) | instskip(SKIP_4) | instid1(VALU_DEP_1)
	v_cndmask_b32_e64 v24, v5, v24, s0
	ds_bpermute_b32 v25, v6, v4
	v_lshlrev_b32_e32 v24, 2, v24
	s_waitcnt lgkmcnt(0)
	v_cmp_lt_f32_e64 s0, v4, v25
	v_cndmask_b32_e64 v4, v4, v25, s0
	v_xor_b32_e32 v25, 4, v5
	ds_bpermute_b32 v26, v24, v4
	v_cmp_gt_i32_e64 s0, 32, v25
	s_delay_alu instid0(VALU_DEP_1) | instskip(NEXT) | instid1(VALU_DEP_1)
	v_cndmask_b32_e64 v25, v5, v25, s0
	v_lshlrev_b32_e32 v25, 2, v25
	s_waitcnt lgkmcnt(0)
	v_cmp_lt_f32_e64 s0, v4, v26
	s_delay_alu instid0(VALU_DEP_1) | instskip(SKIP_3) | instid1(VALU_DEP_1)
	v_cndmask_b32_e64 v4, v4, v26, s0
	v_cmp_gt_i32_e64 s0, 32, v27
	ds_bpermute_b32 v26, v25, v4
	v_cndmask_b32_e64 v27, v5, v27, s0
	v_lshlrev_b32_e32 v27, 2, v27
	s_waitcnt lgkmcnt(0)
	v_cmp_lt_f32_e64 s0, v4, v26
	s_delay_alu instid0(VALU_DEP_1) | instskip(SKIP_3) | instid1(VALU_DEP_1)
	v_cndmask_b32_e64 v4, v4, v26, s0
	v_cmp_gt_i32_e64 s0, 32, v28
	ds_bpermute_b32 v26, v27, v4
	v_cndmask_b32_e64 v5, v5, v28, s0
	v_lshlrev_b32_e32 v28, 2, v5
	s_waitcnt lgkmcnt(0)
	v_cmp_lt_f32_e64 s0, v4, v26
	s_delay_alu instid0(VALU_DEP_1) | instskip(SKIP_4) | instid1(VALU_DEP_1)
	v_cndmask_b32_e64 v5, v4, v26, s0
	v_mov_b32_e32 v4, 0
	ds_bpermute_b32 v26, v28, v5
	s_waitcnt lgkmcnt(0)
	v_cmp_lt_f32_e64 s0, v5, v26
	v_cndmask_b32_e64 v29, v5, v26, s0
	v_mov_b32_e32 v26, 0
	s_and_saveexec_b32 s1, s36
	s_cbranch_execz .LBB763_100
; %bb.97:
	global_load_u8 v5, v[2:3], off
	s_waitcnt vmcnt(0)
	v_dual_mov_b32 v26, 0 :: v_dual_and_b32 v5, 1, v5
	s_delay_alu instid0(VALU_DEP_1) | instskip(NEXT) | instid1(VALU_DEP_1)
	v_cmp_eq_u32_e64 s0, 1, v5
	s_xor_b32 s0, s0, -1
	s_delay_alu instid0(SALU_CYCLE_1)
	s_and_saveexec_b32 s18, s0
	s_cbranch_execz .LBB763_99
; %bb.98:
	v_sub_f32_e32 v5, v23, v29
	s_delay_alu instid0(VALU_DEP_1) | instskip(SKIP_1) | instid1(VALU_DEP_2)
	v_mul_f32_e32 v23, 0x3fb8aa3b, v5
	v_cmp_ngt_f32_e64 s0, 0xc2ce8ed0, v5
	v_fma_f32 v26, 0x3fb8aa3b, v5, -v23
	v_rndne_f32_e32 v30, v23
	s_delay_alu instid0(VALU_DEP_1) | instskip(NEXT) | instid1(VALU_DEP_1)
	v_dual_fmamk_f32 v26, v5, 0x32a5705f, v26 :: v_dual_sub_f32 v23, v23, v30
	v_add_f32_e32 v23, v23, v26
	v_cvt_i32_f32_e32 v26, v30
	s_delay_alu instid0(VALU_DEP_2) | instskip(SKIP_2) | instid1(VALU_DEP_1)
	v_exp_f32_e32 v23, v23
	s_waitcnt_depctr 0xfff
	v_ldexp_f32 v23, v23, v26
	v_cndmask_b32_e64 v23, 0, v23, s0
	v_cmp_nlt_f32_e64 s0, 0x42b17218, v5
	s_delay_alu instid0(VALU_DEP_1)
	v_cndmask_b32_e64 v26, 0x7f800000, v23, s0
.LBB763_99:
	s_or_b32 exec_lo, exec_lo, s18
.LBB763_100:
	s_delay_alu instid0(SALU_CYCLE_1) | instskip(NEXT) | instid1(VALU_DEP_1)
	s_or_b32 exec_lo, exec_lo, s1
	v_mov_b32_e32 v23, v26
	s_and_saveexec_b32 s1, s35
	s_cbranch_execz .LBB763_104
; %bb.101:
	global_load_u8 v4, v[2:3], off offset:32
	s_waitcnt vmcnt(0)
	v_dual_mov_b32 v23, v26 :: v_dual_and_b32 v4, 1, v4
	s_delay_alu instid0(VALU_DEP_1) | instskip(SKIP_1) | instid1(VALU_DEP_2)
	v_cmp_eq_u32_e64 s0, 1, v4
	v_mov_b32_e32 v4, 0
	s_xor_b32 s0, s0, -1
	s_delay_alu instid0(SALU_CYCLE_1)
	s_and_saveexec_b32 s18, s0
	s_cbranch_execz .LBB763_103
; %bb.102:
	v_sub_f32_e32 v4, v22, v29
	s_delay_alu instid0(VALU_DEP_1) | instskip(NEXT) | instid1(VALU_DEP_1)
	v_mul_f32_e32 v5, 0x3fb8aa3b, v4
	v_fma_f32 v22, 0x3fb8aa3b, v4, -v5
	v_rndne_f32_e32 v23, v5
	s_delay_alu instid0(VALU_DEP_1) | instskip(SKIP_1) | instid1(VALU_DEP_2)
	v_dual_sub_f32 v5, v5, v23 :: v_dual_fmamk_f32 v22, v4, 0x32a5705f, v22
	v_cmp_ngt_f32_e64 s0, 0xc2ce8ed0, v4
	v_add_f32_e32 v5, v5, v22
	v_cvt_i32_f32_e32 v22, v23
	s_delay_alu instid0(VALU_DEP_2) | instskip(SKIP_2) | instid1(VALU_DEP_1)
	v_exp_f32_e32 v5, v5
	s_waitcnt_depctr 0xfff
	v_ldexp_f32 v5, v5, v22
	v_cndmask_b32_e64 v5, 0, v5, s0
	v_cmp_nlt_f32_e64 s0, 0x42b17218, v4
	s_delay_alu instid0(VALU_DEP_1) | instskip(NEXT) | instid1(VALU_DEP_1)
	v_cndmask_b32_e64 v4, 0x7f800000, v5, s0
	v_add_f32_e32 v23, v26, v4
.LBB763_103:
	s_or_b32 exec_lo, exec_lo, s18
.LBB763_104:
	s_delay_alu instid0(SALU_CYCLE_1)
	s_or_b32 exec_lo, exec_lo, s1
	v_dual_mov_b32 v5, 0 :: v_dual_mov_b32 v22, 0
	s_and_saveexec_b32 s1, s34
	s_cbranch_execz .LBB763_108
; %bb.105:
	global_load_u8 v22, v[2:3], off offset:64
	s_waitcnt vmcnt(0)
	v_and_b32_e32 v22, 1, v22
	s_delay_alu instid0(VALU_DEP_1) | instskip(SKIP_1) | instid1(VALU_DEP_2)
	v_cmp_eq_u32_e64 s0, 1, v22
	v_mov_b32_e32 v22, 0
	s_xor_b32 s0, s0, -1
	s_delay_alu instid0(SALU_CYCLE_1)
	s_and_saveexec_b32 s18, s0
	s_cbranch_execz .LBB763_107
; %bb.106:
	v_sub_f32_e32 v21, v21, v29
	s_delay_alu instid0(VALU_DEP_1) | instskip(NEXT) | instid1(VALU_DEP_1)
	v_mul_f32_e32 v22, 0x3fb8aa3b, v21
	v_fma_f32 v30, 0x3fb8aa3b, v21, -v22
	v_rndne_f32_e32 v31, v22
	s_delay_alu instid0(VALU_DEP_1) | instskip(NEXT) | instid1(VALU_DEP_3)
	v_sub_f32_e32 v22, v22, v31
	v_fmamk_f32 v30, v21, 0x32a5705f, v30
	v_cmp_ngt_f32_e64 s0, 0xc2ce8ed0, v21
	s_delay_alu instid0(VALU_DEP_2) | instskip(SKIP_1) | instid1(VALU_DEP_2)
	v_add_f32_e32 v22, v22, v30
	v_cvt_i32_f32_e32 v30, v31
	v_exp_f32_e32 v22, v22
	s_waitcnt_depctr 0xfff
	v_ldexp_f32 v22, v22, v30
	s_delay_alu instid0(VALU_DEP_1) | instskip(SKIP_1) | instid1(VALU_DEP_1)
	v_cndmask_b32_e64 v22, 0, v22, s0
	v_cmp_nlt_f32_e64 s0, 0x42b17218, v21
	v_cndmask_b32_e64 v22, 0x7f800000, v22, s0
	s_delay_alu instid0(VALU_DEP_1)
	v_add_f32_e32 v23, v23, v22
.LBB763_107:
	s_or_b32 exec_lo, exec_lo, s18
.LBB763_108:
	s_delay_alu instid0(SALU_CYCLE_1)
	s_or_b32 exec_lo, exec_lo, s1
	s_and_saveexec_b32 s1, s33
	s_cbranch_execz .LBB763_112
; %bb.109:
	global_load_u8 v5, v[2:3], off offset:96
	s_waitcnt vmcnt(0)
	v_and_b32_e32 v5, 1, v5
	s_delay_alu instid0(VALU_DEP_1) | instskip(SKIP_1) | instid1(VALU_DEP_2)
	v_cmp_eq_u32_e64 s0, 1, v5
	v_mov_b32_e32 v5, 0
	s_xor_b32 s0, s0, -1
	s_delay_alu instid0(SALU_CYCLE_1)
	s_and_saveexec_b32 s18, s0
	s_cbranch_execz .LBB763_111
; %bb.110:
	v_sub_f32_e32 v5, v20, v29
	s_delay_alu instid0(VALU_DEP_1) | instskip(SKIP_1) | instid1(VALU_DEP_2)
	v_mul_f32_e32 v20, 0x3fb8aa3b, v5
	v_cmp_ngt_f32_e64 s0, 0xc2ce8ed0, v5
	v_fma_f32 v21, 0x3fb8aa3b, v5, -v20
	v_rndne_f32_e32 v30, v20
	s_delay_alu instid0(VALU_DEP_1) | instskip(NEXT) | instid1(VALU_DEP_1)
	v_dual_fmamk_f32 v21, v5, 0x32a5705f, v21 :: v_dual_sub_f32 v20, v20, v30
	v_add_f32_e32 v20, v20, v21
	v_cvt_i32_f32_e32 v21, v30
	s_delay_alu instid0(VALU_DEP_2) | instskip(SKIP_2) | instid1(VALU_DEP_1)
	v_exp_f32_e32 v20, v20
	s_waitcnt_depctr 0xfff
	v_ldexp_f32 v20, v20, v21
	v_cndmask_b32_e64 v20, 0, v20, s0
	v_cmp_nlt_f32_e64 s0, 0x42b17218, v5
	s_delay_alu instid0(VALU_DEP_1) | instskip(NEXT) | instid1(VALU_DEP_1)
	v_cndmask_b32_e64 v5, 0x7f800000, v20, s0
	v_add_f32_e32 v23, v23, v5
.LBB763_111:
	s_or_b32 exec_lo, exec_lo, s18
.LBB763_112:
	s_delay_alu instid0(SALU_CYCLE_1)
	s_or_b32 exec_lo, exec_lo, s1
	v_dual_mov_b32 v20, 0 :: v_dual_mov_b32 v21, 0
	s_and_saveexec_b32 s1, s31
	s_cbranch_execz .LBB763_116
; %bb.113:
	global_load_u8 v21, v[2:3], off offset:128
	s_waitcnt vmcnt(0)
	v_and_b32_e32 v21, 1, v21
	s_delay_alu instid0(VALU_DEP_1) | instskip(SKIP_1) | instid1(VALU_DEP_2)
	v_cmp_eq_u32_e64 s0, 1, v21
	v_mov_b32_e32 v21, 0
	s_xor_b32 s0, s0, -1
	s_delay_alu instid0(SALU_CYCLE_1)
	s_and_saveexec_b32 s18, s0
	s_cbranch_execz .LBB763_115
; %bb.114:
	v_sub_f32_e32 v19, v19, v29
	s_delay_alu instid0(VALU_DEP_1) | instskip(SKIP_1) | instid1(VALU_DEP_2)
	v_mul_f32_e32 v21, 0x3fb8aa3b, v19
	v_cmp_ngt_f32_e64 s0, 0xc2ce8ed0, v19
	v_fma_f32 v30, 0x3fb8aa3b, v19, -v21
	v_rndne_f32_e32 v31, v21
	s_delay_alu instid0(VALU_DEP_1) | instskip(NEXT) | instid1(VALU_DEP_1)
	v_dual_fmamk_f32 v30, v19, 0x32a5705f, v30 :: v_dual_sub_f32 v21, v21, v31
	v_add_f32_e32 v21, v21, v30
	v_cvt_i32_f32_e32 v30, v31
	s_delay_alu instid0(VALU_DEP_2) | instskip(SKIP_2) | instid1(VALU_DEP_1)
	v_exp_f32_e32 v21, v21
	s_waitcnt_depctr 0xfff
	v_ldexp_f32 v21, v21, v30
	v_cndmask_b32_e64 v21, 0, v21, s0
	v_cmp_nlt_f32_e64 s0, 0x42b17218, v19
	s_delay_alu instid0(VALU_DEP_1) | instskip(NEXT) | instid1(VALU_DEP_1)
	v_cndmask_b32_e64 v21, 0x7f800000, v21, s0
	v_add_f32_e32 v23, v23, v21
.LBB763_115:
	s_or_b32 exec_lo, exec_lo, s18
.LBB763_116:
	s_delay_alu instid0(SALU_CYCLE_1)
	s_or_b32 exec_lo, exec_lo, s1
	s_and_saveexec_b32 s1, s30
	s_cbranch_execz .LBB763_120
; %bb.117:
	global_load_u8 v19, v[2:3], off offset:160
	s_waitcnt vmcnt(0)
	v_dual_mov_b32 v20, 0 :: v_dual_and_b32 v19, 1, v19
	s_delay_alu instid0(VALU_DEP_1) | instskip(NEXT) | instid1(VALU_DEP_1)
	v_cmp_eq_u32_e64 s0, 1, v19
	s_xor_b32 s0, s0, -1
	s_delay_alu instid0(SALU_CYCLE_1)
	s_and_saveexec_b32 s18, s0
	s_cbranch_execz .LBB763_119
; %bb.118:
	v_sub_f32_e32 v18, v18, v29
	s_delay_alu instid0(VALU_DEP_1) | instskip(NEXT) | instid1(VALU_DEP_1)
	v_mul_f32_e32 v19, 0x3fb8aa3b, v18
	v_fma_f32 v20, 0x3fb8aa3b, v18, -v19
	v_rndne_f32_e32 v30, v19
	s_delay_alu instid0(VALU_DEP_1) | instskip(SKIP_1) | instid1(VALU_DEP_2)
	v_dual_sub_f32 v19, v19, v30 :: v_dual_fmamk_f32 v20, v18, 0x32a5705f, v20
	v_cmp_ngt_f32_e64 s0, 0xc2ce8ed0, v18
	v_add_f32_e32 v19, v19, v20
	v_cvt_i32_f32_e32 v20, v30
	s_delay_alu instid0(VALU_DEP_2) | instskip(SKIP_2) | instid1(VALU_DEP_1)
	v_exp_f32_e32 v19, v19
	s_waitcnt_depctr 0xfff
	v_ldexp_f32 v19, v19, v20
	v_cndmask_b32_e64 v19, 0, v19, s0
	v_cmp_nlt_f32_e64 s0, 0x42b17218, v18
	s_delay_alu instid0(VALU_DEP_1) | instskip(NEXT) | instid1(VALU_DEP_1)
	v_cndmask_b32_e64 v20, 0x7f800000, v19, s0
	v_add_f32_e32 v23, v23, v20
.LBB763_119:
	s_or_b32 exec_lo, exec_lo, s18
.LBB763_120:
	s_delay_alu instid0(SALU_CYCLE_1)
	s_or_b32 exec_lo, exec_lo, s1
	v_dual_mov_b32 v18, 0 :: v_dual_mov_b32 v19, 0
	s_and_saveexec_b32 s1, s29
	s_cbranch_execz .LBB763_124
; %bb.121:
	global_load_u8 v19, v[2:3], off offset:192
	s_waitcnt vmcnt(0)
	v_and_b32_e32 v19, 1, v19
	s_delay_alu instid0(VALU_DEP_1) | instskip(SKIP_1) | instid1(VALU_DEP_2)
	v_cmp_eq_u32_e64 s0, 1, v19
	v_mov_b32_e32 v19, 0
	s_xor_b32 s0, s0, -1
	s_delay_alu instid0(SALU_CYCLE_1)
	s_and_saveexec_b32 s18, s0
	s_cbranch_execz .LBB763_123
; %bb.122:
	v_sub_f32_e32 v17, v17, v29
	s_delay_alu instid0(VALU_DEP_1) | instskip(SKIP_1) | instid1(VALU_DEP_2)
	v_mul_f32_e32 v19, 0x3fb8aa3b, v17
	v_cmp_ngt_f32_e64 s0, 0xc2ce8ed0, v17
	v_fma_f32 v30, 0x3fb8aa3b, v17, -v19
	v_rndne_f32_e32 v31, v19
	s_delay_alu instid0(VALU_DEP_1) | instskip(NEXT) | instid1(VALU_DEP_1)
	v_dual_fmamk_f32 v30, v17, 0x32a5705f, v30 :: v_dual_sub_f32 v19, v19, v31
	v_add_f32_e32 v19, v19, v30
	v_cvt_i32_f32_e32 v30, v31
	s_delay_alu instid0(VALU_DEP_2) | instskip(SKIP_2) | instid1(VALU_DEP_1)
	v_exp_f32_e32 v19, v19
	s_waitcnt_depctr 0xfff
	v_ldexp_f32 v19, v19, v30
	v_cndmask_b32_e64 v19, 0, v19, s0
	v_cmp_nlt_f32_e64 s0, 0x42b17218, v17
	s_delay_alu instid0(VALU_DEP_1) | instskip(NEXT) | instid1(VALU_DEP_1)
	v_cndmask_b32_e64 v19, 0x7f800000, v19, s0
	v_add_f32_e32 v23, v23, v19
.LBB763_123:
	s_or_b32 exec_lo, exec_lo, s18
.LBB763_124:
	s_delay_alu instid0(SALU_CYCLE_1)
	s_or_b32 exec_lo, exec_lo, s1
	s_and_saveexec_b32 s1, s28
	s_cbranch_execz .LBB763_128
; %bb.125:
	global_load_u8 v17, v[2:3], off offset:224
	s_waitcnt vmcnt(0)
	v_dual_mov_b32 v18, 0 :: v_dual_and_b32 v17, 1, v17
	s_delay_alu instid0(VALU_DEP_1) | instskip(NEXT) | instid1(VALU_DEP_1)
	v_cmp_eq_u32_e64 s0, 1, v17
	s_xor_b32 s0, s0, -1
	s_delay_alu instid0(SALU_CYCLE_1)
	s_and_saveexec_b32 s18, s0
	s_cbranch_execz .LBB763_127
; %bb.126:
	v_sub_f32_e32 v16, v16, v29
	s_delay_alu instid0(VALU_DEP_1) | instskip(NEXT) | instid1(VALU_DEP_1)
	v_mul_f32_e32 v17, 0x3fb8aa3b, v16
	v_fma_f32 v18, 0x3fb8aa3b, v16, -v17
	v_rndne_f32_e32 v30, v17
	s_delay_alu instid0(VALU_DEP_1) | instskip(SKIP_1) | instid1(VALU_DEP_2)
	v_dual_sub_f32 v17, v17, v30 :: v_dual_fmamk_f32 v18, v16, 0x32a5705f, v18
	v_cmp_ngt_f32_e64 s0, 0xc2ce8ed0, v16
	v_add_f32_e32 v17, v17, v18
	v_cvt_i32_f32_e32 v18, v30
	s_delay_alu instid0(VALU_DEP_2) | instskip(SKIP_2) | instid1(VALU_DEP_1)
	v_exp_f32_e32 v17, v17
	s_waitcnt_depctr 0xfff
	v_ldexp_f32 v17, v17, v18
	v_cndmask_b32_e64 v17, 0, v17, s0
	v_cmp_nlt_f32_e64 s0, 0x42b17218, v16
	s_delay_alu instid0(VALU_DEP_1) | instskip(NEXT) | instid1(VALU_DEP_1)
	v_cndmask_b32_e64 v18, 0x7f800000, v17, s0
	v_add_f32_e32 v23, v23, v18
.LBB763_127:
	s_or_b32 exec_lo, exec_lo, s18
.LBB763_128:
	s_delay_alu instid0(SALU_CYCLE_1)
	s_or_b32 exec_lo, exec_lo, s1
	v_dual_mov_b32 v16, 0 :: v_dual_mov_b32 v17, 0
	s_and_saveexec_b32 s1, s27
	s_cbranch_execz .LBB763_132
; %bb.129:
	global_load_u8 v17, v[2:3], off offset:256
	s_waitcnt vmcnt(0)
	v_and_b32_e32 v17, 1, v17
	s_delay_alu instid0(VALU_DEP_1) | instskip(SKIP_1) | instid1(VALU_DEP_2)
	v_cmp_eq_u32_e64 s0, 1, v17
	v_mov_b32_e32 v17, 0
	s_xor_b32 s0, s0, -1
	s_delay_alu instid0(SALU_CYCLE_1)
	s_and_saveexec_b32 s18, s0
	s_cbranch_execz .LBB763_131
; %bb.130:
	v_sub_f32_e32 v15, v15, v29
	s_delay_alu instid0(VALU_DEP_1) | instskip(SKIP_1) | instid1(VALU_DEP_2)
	v_mul_f32_e32 v17, 0x3fb8aa3b, v15
	v_cmp_ngt_f32_e64 s0, 0xc2ce8ed0, v15
	v_fma_f32 v30, 0x3fb8aa3b, v15, -v17
	v_rndne_f32_e32 v31, v17
	s_delay_alu instid0(VALU_DEP_1) | instskip(NEXT) | instid1(VALU_DEP_1)
	v_dual_fmamk_f32 v30, v15, 0x32a5705f, v30 :: v_dual_sub_f32 v17, v17, v31
	v_add_f32_e32 v17, v17, v30
	v_cvt_i32_f32_e32 v30, v31
	s_delay_alu instid0(VALU_DEP_2) | instskip(SKIP_2) | instid1(VALU_DEP_1)
	v_exp_f32_e32 v17, v17
	s_waitcnt_depctr 0xfff
	v_ldexp_f32 v17, v17, v30
	v_cndmask_b32_e64 v17, 0, v17, s0
	v_cmp_nlt_f32_e64 s0, 0x42b17218, v15
	s_delay_alu instid0(VALU_DEP_1) | instskip(NEXT) | instid1(VALU_DEP_1)
	v_cndmask_b32_e64 v17, 0x7f800000, v17, s0
	v_add_f32_e32 v23, v23, v17
.LBB763_131:
	s_or_b32 exec_lo, exec_lo, s18
.LBB763_132:
	s_delay_alu instid0(SALU_CYCLE_1)
	s_or_b32 exec_lo, exec_lo, s1
	s_and_saveexec_b32 s1, s26
	s_cbranch_execz .LBB763_136
; %bb.133:
	global_load_u8 v15, v[2:3], off offset:288
	s_waitcnt vmcnt(0)
	v_dual_mov_b32 v16, 0 :: v_dual_and_b32 v15, 1, v15
	s_delay_alu instid0(VALU_DEP_1) | instskip(NEXT) | instid1(VALU_DEP_1)
	v_cmp_eq_u32_e64 s0, 1, v15
	s_xor_b32 s0, s0, -1
	s_delay_alu instid0(SALU_CYCLE_1)
	s_and_saveexec_b32 s18, s0
	s_cbranch_execz .LBB763_135
; %bb.134:
	v_sub_f32_e32 v14, v14, v29
	s_delay_alu instid0(VALU_DEP_1) | instskip(NEXT) | instid1(VALU_DEP_1)
	v_mul_f32_e32 v15, 0x3fb8aa3b, v14
	v_fma_f32 v16, 0x3fb8aa3b, v14, -v15
	v_rndne_f32_e32 v30, v15
	s_delay_alu instid0(VALU_DEP_1) | instskip(SKIP_1) | instid1(VALU_DEP_2)
	v_dual_sub_f32 v15, v15, v30 :: v_dual_fmamk_f32 v16, v14, 0x32a5705f, v16
	v_cmp_ngt_f32_e64 s0, 0xc2ce8ed0, v14
	v_add_f32_e32 v15, v15, v16
	v_cvt_i32_f32_e32 v16, v30
	s_delay_alu instid0(VALU_DEP_2) | instskip(SKIP_2) | instid1(VALU_DEP_1)
	v_exp_f32_e32 v15, v15
	s_waitcnt_depctr 0xfff
	v_ldexp_f32 v15, v15, v16
	v_cndmask_b32_e64 v15, 0, v15, s0
	v_cmp_nlt_f32_e64 s0, 0x42b17218, v14
	s_delay_alu instid0(VALU_DEP_1) | instskip(NEXT) | instid1(VALU_DEP_1)
	v_cndmask_b32_e64 v16, 0x7f800000, v15, s0
	v_add_f32_e32 v23, v23, v16
.LBB763_135:
	s_or_b32 exec_lo, exec_lo, s18
.LBB763_136:
	s_delay_alu instid0(SALU_CYCLE_1)
	s_or_b32 exec_lo, exec_lo, s1
	v_dual_mov_b32 v14, 0 :: v_dual_mov_b32 v15, 0
	s_and_saveexec_b32 s1, s25
	s_cbranch_execz .LBB763_140
; %bb.137:
	global_load_u8 v15, v[2:3], off offset:320
	s_waitcnt vmcnt(0)
	v_and_b32_e32 v15, 1, v15
	s_delay_alu instid0(VALU_DEP_1) | instskip(SKIP_1) | instid1(VALU_DEP_2)
	v_cmp_eq_u32_e64 s0, 1, v15
	v_mov_b32_e32 v15, 0
	s_xor_b32 s0, s0, -1
	s_delay_alu instid0(SALU_CYCLE_1)
	s_and_saveexec_b32 s18, s0
	s_cbranch_execz .LBB763_139
; %bb.138:
	v_sub_f32_e32 v13, v13, v29
	s_delay_alu instid0(VALU_DEP_1) | instskip(SKIP_1) | instid1(VALU_DEP_2)
	v_mul_f32_e32 v15, 0x3fb8aa3b, v13
	v_cmp_ngt_f32_e64 s0, 0xc2ce8ed0, v13
	v_fma_f32 v30, 0x3fb8aa3b, v13, -v15
	v_rndne_f32_e32 v31, v15
	s_delay_alu instid0(VALU_DEP_1) | instskip(NEXT) | instid1(VALU_DEP_1)
	v_dual_fmamk_f32 v30, v13, 0x32a5705f, v30 :: v_dual_sub_f32 v15, v15, v31
	v_add_f32_e32 v15, v15, v30
	v_cvt_i32_f32_e32 v30, v31
	s_delay_alu instid0(VALU_DEP_2) | instskip(SKIP_2) | instid1(VALU_DEP_1)
	v_exp_f32_e32 v15, v15
	s_waitcnt_depctr 0xfff
	v_ldexp_f32 v15, v15, v30
	v_cndmask_b32_e64 v15, 0, v15, s0
	v_cmp_nlt_f32_e64 s0, 0x42b17218, v13
	s_delay_alu instid0(VALU_DEP_1) | instskip(NEXT) | instid1(VALU_DEP_1)
	v_cndmask_b32_e64 v15, 0x7f800000, v15, s0
	v_add_f32_e32 v23, v23, v15
.LBB763_139:
	s_or_b32 exec_lo, exec_lo, s18
.LBB763_140:
	s_delay_alu instid0(SALU_CYCLE_1)
	s_or_b32 exec_lo, exec_lo, s1
	s_and_saveexec_b32 s1, s24
	s_cbranch_execz .LBB763_144
; %bb.141:
	global_load_u8 v13, v[2:3], off offset:352
	s_waitcnt vmcnt(0)
	v_dual_mov_b32 v14, 0 :: v_dual_and_b32 v13, 1, v13
	s_delay_alu instid0(VALU_DEP_1) | instskip(NEXT) | instid1(VALU_DEP_1)
	v_cmp_eq_u32_e64 s0, 1, v13
	s_xor_b32 s0, s0, -1
	s_delay_alu instid0(SALU_CYCLE_1)
	s_and_saveexec_b32 s18, s0
	s_cbranch_execz .LBB763_143
; %bb.142:
	v_sub_f32_e32 v12, v12, v29
	s_delay_alu instid0(VALU_DEP_1) | instskip(NEXT) | instid1(VALU_DEP_1)
	v_mul_f32_e32 v13, 0x3fb8aa3b, v12
	v_fma_f32 v14, 0x3fb8aa3b, v12, -v13
	v_rndne_f32_e32 v30, v13
	s_delay_alu instid0(VALU_DEP_1) | instskip(SKIP_1) | instid1(VALU_DEP_2)
	v_dual_sub_f32 v13, v13, v30 :: v_dual_fmamk_f32 v14, v12, 0x32a5705f, v14
	v_cmp_ngt_f32_e64 s0, 0xc2ce8ed0, v12
	v_add_f32_e32 v13, v13, v14
	v_cvt_i32_f32_e32 v14, v30
	s_delay_alu instid0(VALU_DEP_2) | instskip(SKIP_2) | instid1(VALU_DEP_1)
	v_exp_f32_e32 v13, v13
	s_waitcnt_depctr 0xfff
	v_ldexp_f32 v13, v13, v14
	v_cndmask_b32_e64 v13, 0, v13, s0
	v_cmp_nlt_f32_e64 s0, 0x42b17218, v12
	s_delay_alu instid0(VALU_DEP_1) | instskip(NEXT) | instid1(VALU_DEP_1)
	v_cndmask_b32_e64 v14, 0x7f800000, v13, s0
	v_add_f32_e32 v23, v23, v14
.LBB763_143:
	s_or_b32 exec_lo, exec_lo, s18
.LBB763_144:
	s_delay_alu instid0(SALU_CYCLE_1)
	s_or_b32 exec_lo, exec_lo, s1
	v_dual_mov_b32 v12, 0 :: v_dual_mov_b32 v13, 0
	s_and_saveexec_b32 s1, s23
	s_cbranch_execz .LBB763_148
; %bb.145:
	global_load_u8 v13, v[2:3], off offset:384
	s_waitcnt vmcnt(0)
	v_and_b32_e32 v13, 1, v13
	s_delay_alu instid0(VALU_DEP_1) | instskip(SKIP_1) | instid1(VALU_DEP_2)
	v_cmp_eq_u32_e64 s0, 1, v13
	v_mov_b32_e32 v13, 0
	s_xor_b32 s0, s0, -1
	s_delay_alu instid0(SALU_CYCLE_1)
	s_and_saveexec_b32 s18, s0
	s_cbranch_execz .LBB763_147
; %bb.146:
	v_sub_f32_e32 v11, v11, v29
	s_delay_alu instid0(VALU_DEP_1) | instskip(SKIP_1) | instid1(VALU_DEP_2)
	v_mul_f32_e32 v13, 0x3fb8aa3b, v11
	v_cmp_ngt_f32_e64 s0, 0xc2ce8ed0, v11
	v_fma_f32 v30, 0x3fb8aa3b, v11, -v13
	v_rndne_f32_e32 v31, v13
	s_delay_alu instid0(VALU_DEP_1) | instskip(NEXT) | instid1(VALU_DEP_1)
	v_dual_fmamk_f32 v30, v11, 0x32a5705f, v30 :: v_dual_sub_f32 v13, v13, v31
	v_add_f32_e32 v13, v13, v30
	v_cvt_i32_f32_e32 v30, v31
	s_delay_alu instid0(VALU_DEP_2) | instskip(SKIP_2) | instid1(VALU_DEP_1)
	v_exp_f32_e32 v13, v13
	s_waitcnt_depctr 0xfff
	v_ldexp_f32 v13, v13, v30
	v_cndmask_b32_e64 v13, 0, v13, s0
	v_cmp_nlt_f32_e64 s0, 0x42b17218, v11
	s_delay_alu instid0(VALU_DEP_1) | instskip(NEXT) | instid1(VALU_DEP_1)
	v_cndmask_b32_e64 v13, 0x7f800000, v13, s0
	v_add_f32_e32 v23, v23, v13
.LBB763_147:
	s_or_b32 exec_lo, exec_lo, s18
.LBB763_148:
	s_delay_alu instid0(SALU_CYCLE_1)
	s_or_b32 exec_lo, exec_lo, s1
	s_and_saveexec_b32 s1, s22
	s_cbranch_execz .LBB763_152
; %bb.149:
	global_load_u8 v11, v[2:3], off offset:416
	s_waitcnt vmcnt(0)
	v_dual_mov_b32 v12, 0 :: v_dual_and_b32 v11, 1, v11
	s_delay_alu instid0(VALU_DEP_1) | instskip(NEXT) | instid1(VALU_DEP_1)
	v_cmp_eq_u32_e64 s0, 1, v11
	s_xor_b32 s0, s0, -1
	s_delay_alu instid0(SALU_CYCLE_1)
	s_and_saveexec_b32 s18, s0
	s_cbranch_execz .LBB763_151
; %bb.150:
	v_sub_f32_e32 v10, v10, v29
	s_delay_alu instid0(VALU_DEP_1) | instskip(NEXT) | instid1(VALU_DEP_1)
	v_mul_f32_e32 v11, 0x3fb8aa3b, v10
	v_fma_f32 v12, 0x3fb8aa3b, v10, -v11
	v_rndne_f32_e32 v30, v11
	s_delay_alu instid0(VALU_DEP_1) | instskip(SKIP_1) | instid1(VALU_DEP_2)
	v_dual_sub_f32 v11, v11, v30 :: v_dual_fmamk_f32 v12, v10, 0x32a5705f, v12
	v_cmp_ngt_f32_e64 s0, 0xc2ce8ed0, v10
	v_add_f32_e32 v11, v11, v12
	v_cvt_i32_f32_e32 v12, v30
	s_delay_alu instid0(VALU_DEP_2) | instskip(SKIP_2) | instid1(VALU_DEP_1)
	v_exp_f32_e32 v11, v11
	s_waitcnt_depctr 0xfff
	v_ldexp_f32 v11, v11, v12
	v_cndmask_b32_e64 v11, 0, v11, s0
	v_cmp_nlt_f32_e64 s0, 0x42b17218, v10
	s_delay_alu instid0(VALU_DEP_1) | instskip(NEXT) | instid1(VALU_DEP_1)
	v_cndmask_b32_e64 v12, 0x7f800000, v11, s0
	v_add_f32_e32 v23, v23, v12
.LBB763_151:
	s_or_b32 exec_lo, exec_lo, s18
.LBB763_152:
	s_delay_alu instid0(SALU_CYCLE_1)
	s_or_b32 exec_lo, exec_lo, s1
	v_dual_mov_b32 v10, 0 :: v_dual_mov_b32 v11, 0
	s_and_saveexec_b32 s1, s19
	s_cbranch_execz .LBB763_156
; %bb.153:
	global_load_u8 v11, v[2:3], off offset:448
	s_waitcnt vmcnt(0)
	v_and_b32_e32 v11, 1, v11
	s_delay_alu instid0(VALU_DEP_1) | instskip(SKIP_1) | instid1(VALU_DEP_2)
	v_cmp_eq_u32_e64 s0, 1, v11
	v_mov_b32_e32 v11, 0
	s_xor_b32 s0, s0, -1
	s_delay_alu instid0(SALU_CYCLE_1)
	s_and_saveexec_b32 s18, s0
	s_cbranch_execz .LBB763_155
; %bb.154:
	v_sub_f32_e32 v9, v9, v29
	s_delay_alu instid0(VALU_DEP_1) | instskip(SKIP_1) | instid1(VALU_DEP_2)
	v_mul_f32_e32 v11, 0x3fb8aa3b, v9
	v_cmp_ngt_f32_e64 s0, 0xc2ce8ed0, v9
	v_fma_f32 v30, 0x3fb8aa3b, v9, -v11
	v_rndne_f32_e32 v31, v11
	s_delay_alu instid0(VALU_DEP_1) | instskip(NEXT) | instid1(VALU_DEP_1)
	v_dual_fmamk_f32 v30, v9, 0x32a5705f, v30 :: v_dual_sub_f32 v11, v11, v31
	v_add_f32_e32 v11, v11, v30
	v_cvt_i32_f32_e32 v30, v31
	s_delay_alu instid0(VALU_DEP_2) | instskip(SKIP_2) | instid1(VALU_DEP_1)
	v_exp_f32_e32 v11, v11
	s_waitcnt_depctr 0xfff
	v_ldexp_f32 v11, v11, v30
	v_cndmask_b32_e64 v11, 0, v11, s0
	v_cmp_nlt_f32_e64 s0, 0x42b17218, v9
	s_delay_alu instid0(VALU_DEP_1) | instskip(NEXT) | instid1(VALU_DEP_1)
	v_cndmask_b32_e64 v11, 0x7f800000, v11, s0
	v_add_f32_e32 v23, v23, v11
.LBB763_155:
	s_or_b32 exec_lo, exec_lo, s18
.LBB763_156:
	s_delay_alu instid0(SALU_CYCLE_1)
	s_or_b32 exec_lo, exec_lo, s1
	s_and_saveexec_b32 s1, s17
	s_cbranch_execz .LBB763_160
; %bb.157:
	global_load_u8 v2, v[2:3], off offset:480
	v_mov_b32_e32 v10, 0
	s_waitcnt vmcnt(0)
	v_and_b32_e32 v2, 1, v2
	s_delay_alu instid0(VALU_DEP_1) | instskip(NEXT) | instid1(VALU_DEP_1)
	v_cmp_eq_u32_e64 s0, 1, v2
	s_xor_b32 s0, s0, -1
	s_delay_alu instid0(SALU_CYCLE_1)
	s_and_saveexec_b32 s17, s0
	s_cbranch_execz .LBB763_159
; %bb.158:
	v_sub_f32_e32 v2, v8, v29
	s_delay_alu instid0(VALU_DEP_1) | instskip(NEXT) | instid1(VALU_DEP_1)
	v_mul_f32_e32 v3, 0x3fb8aa3b, v2
	v_fma_f32 v8, 0x3fb8aa3b, v2, -v3
	v_rndne_f32_e32 v9, v3
	s_delay_alu instid0(VALU_DEP_1) | instskip(NEXT) | instid1(VALU_DEP_1)
	v_dual_fmamk_f32 v8, v2, 0x32a5705f, v8 :: v_dual_sub_f32 v3, v3, v9
	v_add_f32_e32 v3, v3, v8
	v_cvt_i32_f32_e32 v8, v9
	v_cmp_ngt_f32_e64 s0, 0xc2ce8ed0, v2
	s_delay_alu instid0(VALU_DEP_3) | instskip(SKIP_2) | instid1(VALU_DEP_1)
	v_exp_f32_e32 v3, v3
	s_waitcnt_depctr 0xfff
	v_ldexp_f32 v3, v3, v8
	v_cndmask_b32_e64 v3, 0, v3, s0
	v_cmp_nlt_f32_e64 s0, 0x42b17218, v2
	s_delay_alu instid0(VALU_DEP_1) | instskip(NEXT) | instid1(VALU_DEP_1)
	v_cndmask_b32_e64 v10, 0x7f800000, v3, s0
	v_add_f32_e32 v23, v23, v10
.LBB763_159:
	s_or_b32 exec_lo, exec_lo, s17
.LBB763_160:
	s_delay_alu instid0(SALU_CYCLE_1)
	s_or_b32 exec_lo, exec_lo, s1
	ds_bpermute_b32 v2, v6, v23
	s_mov_b32 s1, exec_lo
	s_waitcnt lgkmcnt(0)
	v_add_f32_e32 v2, v23, v2
	ds_bpermute_b32 v3, v24, v2
	s_waitcnt lgkmcnt(0)
	v_add_f32_e32 v2, v2, v3
	ds_bpermute_b32 v3, v25, v2
	;; [unrolled: 3-line block ×4, first 2 shown]
	v_cmpx_lt_i32_e32 0, v7
	s_cbranch_execz .LBB763_210
; %bb.161:
	s_and_b32 exec_lo, exec_lo, vcc_lo
	s_cbranch_execz .LBB763_210
; %bb.162:
	s_waitcnt lgkmcnt(0)
	v_dual_add_f32 v2, v2, v3 :: v_dual_mov_b32 v3, 0x7fc0
	s_delay_alu instid0(VALU_DEP_1) | instskip(NEXT) | instid1(VALU_DEP_1)
	v_cmp_neq_f32_e64 s0, 0, v2
	s_and_saveexec_b32 s1, s0
	s_cbranch_execz .LBB763_164
; %bb.163:
	v_div_scale_f32 v3, null, v2, v2, v26
	s_delay_alu instid0(VALU_DEP_1) | instskip(SKIP_2) | instid1(VALU_DEP_1)
	v_rcp_f32_e32 v6, v3
	s_waitcnt_depctr 0xfff
	v_fma_f32 v7, -v3, v6, 1.0
	v_fmac_f32_e32 v6, v7, v6
	v_div_scale_f32 v7, vcc_lo, v26, v2, v26
	s_delay_alu instid0(VALU_DEP_1) | instskip(NEXT) | instid1(VALU_DEP_1)
	v_mul_f32_e32 v8, v7, v6
	v_fma_f32 v9, -v3, v8, v7
	s_delay_alu instid0(VALU_DEP_1) | instskip(NEXT) | instid1(VALU_DEP_1)
	v_fmac_f32_e32 v8, v9, v6
	v_fma_f32 v3, -v3, v8, v7
	s_delay_alu instid0(VALU_DEP_1) | instskip(NEXT) | instid1(VALU_DEP_1)
	v_div_fmas_f32 v3, v3, v6, v8
	v_div_fixup_f32 v3, v3, v2, v26
	s_delay_alu instid0(VALU_DEP_1) | instskip(SKIP_1) | instid1(VALU_DEP_2)
	v_bfe_u32 v6, v3, 16, 1
	v_cmp_o_f32_e32 vcc_lo, v3, v3
	v_add3_u32 v6, v3, v6, 0x7fff
	s_delay_alu instid0(VALU_DEP_1) | instskip(NEXT) | instid1(VALU_DEP_1)
	v_lshrrev_b32_e32 v6, 16, v6
	v_cndmask_b32_e32 v3, 0x7fc0, v6, vcc_lo
.LBB763_164:
	s_or_b32 exec_lo, exec_lo, s1
	v_add_co_u32 v0, vcc_lo, s20, v0
	v_add_co_ci_u32_e32 v1, vcc_lo, s21, v1, vcc_lo
	global_store_b16 v[0:1], v3, off
	s_and_b32 exec_lo, exec_lo, s16
	s_cbranch_execz .LBB763_210
; %bb.165:
	v_mov_b32_e32 v3, 0x7fc0
	s_and_saveexec_b32 s1, s0
	s_cbranch_execz .LBB763_167
; %bb.166:
	v_div_scale_f32 v3, null, v2, v2, v4
	s_delay_alu instid0(VALU_DEP_1) | instskip(SKIP_2) | instid1(VALU_DEP_1)
	v_rcp_f32_e32 v6, v3
	s_waitcnt_depctr 0xfff
	v_fma_f32 v7, -v3, v6, 1.0
	v_fmac_f32_e32 v6, v7, v6
	v_div_scale_f32 v7, vcc_lo, v4, v2, v4
	s_delay_alu instid0(VALU_DEP_1) | instskip(NEXT) | instid1(VALU_DEP_1)
	v_mul_f32_e32 v8, v7, v6
	v_fma_f32 v9, -v3, v8, v7
	s_delay_alu instid0(VALU_DEP_1) | instskip(NEXT) | instid1(VALU_DEP_1)
	v_fmac_f32_e32 v8, v9, v6
	v_fma_f32 v3, -v3, v8, v7
	s_delay_alu instid0(VALU_DEP_1) | instskip(NEXT) | instid1(VALU_DEP_1)
	v_div_fmas_f32 v3, v3, v6, v8
	v_div_fixup_f32 v3, v3, v2, v4
	s_delay_alu instid0(VALU_DEP_1) | instskip(SKIP_1) | instid1(VALU_DEP_2)
	v_bfe_u32 v4, v3, 16, 1
	v_cmp_o_f32_e32 vcc_lo, v3, v3
	v_add3_u32 v4, v3, v4, 0x7fff
	s_delay_alu instid0(VALU_DEP_1) | instskip(NEXT) | instid1(VALU_DEP_1)
	v_lshrrev_b32_e32 v4, 16, v4
	v_cndmask_b32_e32 v3, 0x7fc0, v4, vcc_lo
.LBB763_167:
	s_or_b32 exec_lo, exec_lo, s1
	global_store_b16 v[0:1], v3, off offset:64
	s_and_b32 exec_lo, exec_lo, s15
	s_cbranch_execz .LBB763_210
; %bb.168:
	v_mov_b32_e32 v3, 0x7fc0
	s_and_saveexec_b32 s1, s0
	s_cbranch_execz .LBB763_170
; %bb.169:
	v_div_scale_f32 v3, null, v2, v2, v22
	s_delay_alu instid0(VALU_DEP_1) | instskip(SKIP_2) | instid1(VALU_DEP_1)
	v_rcp_f32_e32 v4, v3
	s_waitcnt_depctr 0xfff
	v_fma_f32 v6, -v3, v4, 1.0
	v_fmac_f32_e32 v4, v6, v4
	v_div_scale_f32 v6, vcc_lo, v22, v2, v22
	s_delay_alu instid0(VALU_DEP_1) | instskip(NEXT) | instid1(VALU_DEP_1)
	v_mul_f32_e32 v7, v6, v4
	v_fma_f32 v8, -v3, v7, v6
	s_delay_alu instid0(VALU_DEP_1) | instskip(NEXT) | instid1(VALU_DEP_1)
	v_fmac_f32_e32 v7, v8, v4
	v_fma_f32 v3, -v3, v7, v6
	s_delay_alu instid0(VALU_DEP_1) | instskip(NEXT) | instid1(VALU_DEP_1)
	v_div_fmas_f32 v3, v3, v4, v7
	v_div_fixup_f32 v3, v3, v2, v22
	s_delay_alu instid0(VALU_DEP_1) | instskip(SKIP_1) | instid1(VALU_DEP_2)
	v_bfe_u32 v4, v3, 16, 1
	v_cmp_o_f32_e32 vcc_lo, v3, v3
	v_add3_u32 v4, v3, v4, 0x7fff
	s_delay_alu instid0(VALU_DEP_1) | instskip(NEXT) | instid1(VALU_DEP_1)
	v_lshrrev_b32_e32 v4, 16, v4
	v_cndmask_b32_e32 v3, 0x7fc0, v4, vcc_lo
.LBB763_170:
	s_or_b32 exec_lo, exec_lo, s1
	global_store_b16 v[0:1], v3, off offset:128
	;; [unrolled: 33-line block ×15, first 2 shown]
.LBB763_210:
	s_nop 0
	s_sendmsg sendmsg(MSG_DEALLOC_VGPRS)
	s_endpgm
	.section	.rodata,"a",@progbits
	.p2align	6, 0x0
	.amdhsa_kernel _ZN12_GLOBAL__N_120softmax_warp_forwardIN3c108BFloat16ES2_fLi9ELb0ELb1ELi32EEEvPT0_PKT_iiiPKbib
		.amdhsa_group_segment_fixed_size 0
		.amdhsa_private_segment_fixed_size 0
		.amdhsa_kernarg_size 304
		.amdhsa_user_sgpr_count 15
		.amdhsa_user_sgpr_dispatch_ptr 0
		.amdhsa_user_sgpr_queue_ptr 0
		.amdhsa_user_sgpr_kernarg_segment_ptr 1
		.amdhsa_user_sgpr_dispatch_id 0
		.amdhsa_user_sgpr_private_segment_size 0
		.amdhsa_wavefront_size32 1
		.amdhsa_uses_dynamic_stack 0
		.amdhsa_enable_private_segment 0
		.amdhsa_system_sgpr_workgroup_id_x 1
		.amdhsa_system_sgpr_workgroup_id_y 0
		.amdhsa_system_sgpr_workgroup_id_z 0
		.amdhsa_system_sgpr_workgroup_info 0
		.amdhsa_system_vgpr_workitem_id 1
		.amdhsa_next_free_vgpr 32
		.amdhsa_next_free_sgpr 39
		.amdhsa_reserve_vcc 1
		.amdhsa_float_round_mode_32 0
		.amdhsa_float_round_mode_16_64 0
		.amdhsa_float_denorm_mode_32 3
		.amdhsa_float_denorm_mode_16_64 3
		.amdhsa_dx10_clamp 1
		.amdhsa_ieee_mode 1
		.amdhsa_fp16_overflow 0
		.amdhsa_workgroup_processor_mode 1
		.amdhsa_memory_ordered 1
		.amdhsa_forward_progress 0
		.amdhsa_shared_vgpr_count 0
		.amdhsa_exception_fp_ieee_invalid_op 0
		.amdhsa_exception_fp_denorm_src 0
		.amdhsa_exception_fp_ieee_div_zero 0
		.amdhsa_exception_fp_ieee_overflow 0
		.amdhsa_exception_fp_ieee_underflow 0
		.amdhsa_exception_fp_ieee_inexact 0
		.amdhsa_exception_int_div_zero 0
	.end_amdhsa_kernel
	.section	.text._ZN12_GLOBAL__N_120softmax_warp_forwardIN3c108BFloat16ES2_fLi9ELb0ELb1ELi32EEEvPT0_PKT_iiiPKbib,"axG",@progbits,_ZN12_GLOBAL__N_120softmax_warp_forwardIN3c108BFloat16ES2_fLi9ELb0ELb1ELi32EEEvPT0_PKT_iiiPKbib,comdat
.Lfunc_end763:
	.size	_ZN12_GLOBAL__N_120softmax_warp_forwardIN3c108BFloat16ES2_fLi9ELb0ELb1ELi32EEEvPT0_PKT_iiiPKbib, .Lfunc_end763-_ZN12_GLOBAL__N_120softmax_warp_forwardIN3c108BFloat16ES2_fLi9ELb0ELb1ELi32EEEvPT0_PKT_iiiPKbib
                                        ; -- End function
	.section	.AMDGPU.csdata,"",@progbits
; Kernel info:
; codeLenInByte = 9496
; NumSgprs: 41
; NumVgprs: 32
; ScratchSize: 0
; MemoryBound: 0
; FloatMode: 240
; IeeeMode: 1
; LDSByteSize: 0 bytes/workgroup (compile time only)
; SGPRBlocks: 5
; VGPRBlocks: 3
; NumSGPRsForWavesPerEU: 41
; NumVGPRsForWavesPerEU: 32
; Occupancy: 16
; WaveLimiterHint : 0
; COMPUTE_PGM_RSRC2:SCRATCH_EN: 0
; COMPUTE_PGM_RSRC2:USER_SGPR: 15
; COMPUTE_PGM_RSRC2:TRAP_HANDLER: 0
; COMPUTE_PGM_RSRC2:TGID_X_EN: 1
; COMPUTE_PGM_RSRC2:TGID_Y_EN: 0
; COMPUTE_PGM_RSRC2:TGID_Z_EN: 0
; COMPUTE_PGM_RSRC2:TIDIG_COMP_CNT: 1
	.section	.text._ZN12_GLOBAL__N_120softmax_warp_forwardIN3c108BFloat16ES2_fLi10ELb0ELb1ELi64EEEvPT0_PKT_iiiPKbib,"axG",@progbits,_ZN12_GLOBAL__N_120softmax_warp_forwardIN3c108BFloat16ES2_fLi10ELb0ELb1ELi64EEEvPT0_PKT_iiiPKbib,comdat
	.globl	_ZN12_GLOBAL__N_120softmax_warp_forwardIN3c108BFloat16ES2_fLi10ELb0ELb1ELi64EEEvPT0_PKT_iiiPKbib ; -- Begin function _ZN12_GLOBAL__N_120softmax_warp_forwardIN3c108BFloat16ES2_fLi10ELb0ELb1ELi64EEEvPT0_PKT_iiiPKbib
	.p2align	8
	.type	_ZN12_GLOBAL__N_120softmax_warp_forwardIN3c108BFloat16ES2_fLi10ELb0ELb1ELi64EEEvPT0_PKT_iiiPKbib,@function
_ZN12_GLOBAL__N_120softmax_warp_forwardIN3c108BFloat16ES2_fLi10ELb0ELb1ELi64EEEvPT0_PKT_iiiPKbib: ; @_ZN12_GLOBAL__N_120softmax_warp_forwardIN3c108BFloat16ES2_fLi10ELb0ELb1ELi64EEEvPT0_PKT_iiiPKbib
; %bb.0:
	s_clause 0x1
	s_load_b32 s2, s[0:1], 0x3c
	s_load_b128 s[16:19], s[0:1], 0x10
	v_bfe_u32 v3, v0, 10, 10
	s_waitcnt lgkmcnt(0)
	s_lshr_b32 s2, s2, 16
	s_delay_alu instid0(VALU_DEP_1) | instid1(SALU_CYCLE_1)
	v_mad_u64_u32 v[1:2], null, s15, s2, v[3:4]
	s_load_b64 s[2:3], s[0:1], 0x28
	v_and_b32_e32 v2, 0x3ff, v0
	s_delay_alu instid0(VALU_DEP_2) | instskip(NEXT) | instid1(VALU_DEP_1)
	v_mul_lo_u32 v7, v1, s17
	v_add_nc_u32_e32 v5, v7, v2
	s_delay_alu instid0(VALU_DEP_1) | instskip(SKIP_3) | instid1(VALU_DEP_2)
	v_ashrrev_i32_e32 v6, 31, v5
	v_mov_b32_e32 v3, v5
	s_waitcnt lgkmcnt(0)
	s_bitcmp0_b32 s3, 0
	v_mov_b32_e32 v4, v6
	s_cbranch_scc1 .LBB764_2
; %bb.1:
	s_abs_i32 s3, s2
	v_sub_nc_u32_e32 v4, 0, v7
	v_cvt_f32_u32_e32 v0, s3
	s_sub_i32 s4, 0, s3
	s_delay_alu instid0(VALU_DEP_2) | instskip(NEXT) | instid1(VALU_DEP_2)
	v_max_i32_e32 v4, v7, v4
	v_rcp_iflag_f32_e32 v0, v0
	s_waitcnt_depctr 0xfff
	v_mul_f32_e32 v0, 0x4f7ffffe, v0
	s_delay_alu instid0(VALU_DEP_1) | instskip(NEXT) | instid1(VALU_DEP_1)
	v_cvt_u32_f32_e32 v0, v0
	v_mul_lo_u32 v3, s4, v0
	s_delay_alu instid0(VALU_DEP_1) | instskip(NEXT) | instid1(VALU_DEP_1)
	v_mul_hi_u32 v3, v0, v3
	v_add_nc_u32_e32 v0, v0, v3
	s_delay_alu instid0(VALU_DEP_1) | instskip(NEXT) | instid1(VALU_DEP_1)
	v_mul_hi_u32 v0, v4, v0
	v_mul_lo_u32 v3, v0, s3
	s_delay_alu instid0(VALU_DEP_1) | instskip(SKIP_1) | instid1(VALU_DEP_2)
	v_sub_nc_u32_e32 v3, v4, v3
	v_add_nc_u32_e32 v4, 1, v0
	v_subrev_nc_u32_e32 v8, s3, v3
	v_cmp_le_u32_e32 vcc_lo, s3, v3
	s_delay_alu instid0(VALU_DEP_2) | instskip(NEXT) | instid1(VALU_DEP_4)
	v_cndmask_b32_e32 v3, v3, v8, vcc_lo
	v_cndmask_b32_e32 v0, v0, v4, vcc_lo
	v_xor_b32_e32 v4, s2, v7
	s_delay_alu instid0(VALU_DEP_3) | instskip(NEXT) | instid1(VALU_DEP_3)
	v_cmp_le_u32_e32 vcc_lo, s3, v3
	v_add_nc_u32_e32 v7, 1, v0
	s_delay_alu instid0(VALU_DEP_3) | instskip(NEXT) | instid1(VALU_DEP_2)
	v_ashrrev_i32_e32 v4, 31, v4
	v_cndmask_b32_e32 v0, v0, v7, vcc_lo
	s_delay_alu instid0(VALU_DEP_1) | instskip(NEXT) | instid1(VALU_DEP_1)
	v_xor_b32_e32 v0, v0, v4
	v_sub_nc_u32_e32 v0, v0, v4
	s_delay_alu instid0(VALU_DEP_1) | instskip(NEXT) | instid1(VALU_DEP_1)
	v_mad_u64_u32 v[3:4], null, v0, s17, v[2:3]
	v_ashrrev_i32_e32 v4, 31, v3
.LBB764_2:
	s_load_b128 s[20:23], s[0:1], 0x0
	v_sub_nc_u32_e32 v7, s16, v1
	v_lshlrev_b64 v[0:1], 1, v[5:6]
	v_cmp_gt_i32_e32 vcc_lo, s18, v2
	v_dual_mov_b32 v22, 0xff800000 :: v_dual_mov_b32 v23, 0xff800000
	s_delay_alu instid0(VALU_DEP_4) | instskip(NEXT) | instid1(VALU_DEP_1)
	v_cmp_lt_i32_e64 s17, 0, v7
	s_and_b32 s36, s17, vcc_lo
	s_waitcnt lgkmcnt(0)
	v_add_co_u32 v5, s2, s22, v0
	s_delay_alu instid0(VALU_DEP_1)
	v_add_co_ci_u32_e64 v6, s2, s23, v1, s2
	s_and_saveexec_b32 s2, s36
	s_cbranch_execz .LBB764_4
; %bb.3:
	global_load_u16 v8, v[5:6], off
	s_waitcnt vmcnt(0)
	v_lshlrev_b32_e32 v23, 16, v8
.LBB764_4:
	s_or_b32 exec_lo, exec_lo, s2
	v_add_nc_u32_e32 v8, 64, v2
	s_delay_alu instid0(VALU_DEP_1) | instskip(NEXT) | instid1(VALU_DEP_1)
	v_cmp_gt_i32_e64 s16, s18, v8
	s_and_b32 s35, s17, s16
	s_delay_alu instid0(SALU_CYCLE_1)
	s_and_saveexec_b32 s2, s35
	s_cbranch_execz .LBB764_6
; %bb.5:
	global_load_u16 v8, v[5:6], off offset:128
	s_waitcnt vmcnt(0)
	v_lshlrev_b32_e32 v22, 16, v8
.LBB764_6:
	s_or_b32 exec_lo, exec_lo, s2
	v_add_nc_u32_e32 v8, 0x80, v2
	v_dual_mov_b32 v20, 0xff800000 :: v_dual_mov_b32 v21, 0xff800000
	s_delay_alu instid0(VALU_DEP_2) | instskip(NEXT) | instid1(VALU_DEP_1)
	v_cmp_gt_i32_e64 s15, s18, v8
	s_and_b32 s34, s17, s15
	s_delay_alu instid0(SALU_CYCLE_1)
	s_and_saveexec_b32 s2, s34
	s_cbranch_execz .LBB764_8
; %bb.7:
	global_load_u16 v8, v[5:6], off offset:256
	s_waitcnt vmcnt(0)
	v_lshlrev_b32_e32 v21, 16, v8
.LBB764_8:
	s_or_b32 exec_lo, exec_lo, s2
	v_add_nc_u32_e32 v8, 0xc0, v2
	s_delay_alu instid0(VALU_DEP_1) | instskip(NEXT) | instid1(VALU_DEP_1)
	v_cmp_gt_i32_e64 s14, s18, v8
	s_and_b32 s33, s17, s14
	s_delay_alu instid0(SALU_CYCLE_1)
	s_and_saveexec_b32 s2, s33
	s_cbranch_execz .LBB764_10
; %bb.9:
	global_load_u16 v8, v[5:6], off offset:384
	s_waitcnt vmcnt(0)
	v_lshlrev_b32_e32 v20, 16, v8
.LBB764_10:
	s_or_b32 exec_lo, exec_lo, s2
	v_add_nc_u32_e32 v8, 0x100, v2
	v_dual_mov_b32 v18, 0xff800000 :: v_dual_mov_b32 v19, 0xff800000
	s_delay_alu instid0(VALU_DEP_2) | instskip(NEXT) | instid1(VALU_DEP_1)
	v_cmp_gt_i32_e64 s13, s18, v8
	s_and_b32 s31, s17, s13
	s_delay_alu instid0(SALU_CYCLE_1)
	s_and_saveexec_b32 s2, s31
	s_cbranch_execz .LBB764_12
; %bb.11:
	global_load_u16 v8, v[5:6], off offset:512
	s_waitcnt vmcnt(0)
	v_lshlrev_b32_e32 v19, 16, v8
.LBB764_12:
	;; [unrolled: 27-line block ×6, first 2 shown]
	s_or_b32 exec_lo, exec_lo, s2
	v_add_nc_u32_e32 v8, 0x340, v2
	s_delay_alu instid0(VALU_DEP_1) | instskip(NEXT) | instid1(VALU_DEP_1)
	v_cmp_gt_i32_e64 s4, s18, v8
	s_and_b32 s22, s17, s4
	s_delay_alu instid0(SALU_CYCLE_1)
	s_and_saveexec_b32 s2, s22
	s_cbranch_execz .LBB764_30
; %bb.29:
	global_load_u16 v8, v[5:6], off offset:1664
	s_waitcnt vmcnt(0)
	v_lshlrev_b32_e32 v10, 16, v8
.LBB764_30:
	s_or_b32 exec_lo, exec_lo, s2
	v_add_nc_u32_e32 v8, 0x380, v2
	v_mov_b32_e32 v9, 0xff800000
	s_delay_alu instid0(VALU_DEP_2) | instskip(SKIP_1) | instid1(VALU_DEP_2)
	v_cmp_gt_i32_e64 s3, s18, v8
	v_mov_b32_e32 v8, 0xff800000
	s_and_b32 s19, s17, s3
	s_delay_alu instid0(SALU_CYCLE_1)
	s_and_saveexec_b32 s2, s19
	s_cbranch_execz .LBB764_32
; %bb.31:
	global_load_u16 v9, v[5:6], off offset:1792
	s_waitcnt vmcnt(0)
	v_lshlrev_b32_e32 v9, 16, v9
.LBB764_32:
	s_or_b32 exec_lo, exec_lo, s2
	v_add_nc_u32_e32 v2, 0x3c0, v2
	s_delay_alu instid0(VALU_DEP_1) | instskip(NEXT) | instid1(VALU_DEP_1)
	v_cmp_gt_i32_e64 s2, s18, v2
	s_and_b32 s17, s17, s2
	s_delay_alu instid0(SALU_CYCLE_1)
	s_and_saveexec_b32 s18, s17
	s_cbranch_execz .LBB764_34
; %bb.33:
	global_load_u16 v2, v[5:6], off offset:1920
	s_waitcnt vmcnt(0)
	v_lshlrev_b32_e32 v8, 16, v2
.LBB764_34:
	s_or_b32 exec_lo, exec_lo, s18
	s_load_b64 s[0:1], s[0:1], 0x20
	s_waitcnt lgkmcnt(0)
	v_add_co_u32 v2, s0, s0, v3
	s_delay_alu instid0(VALU_DEP_1)
	v_add_co_ci_u32_e64 v3, s0, s1, v4, s0
	s_mov_b32 s1, 0
	s_and_saveexec_b32 s18, s36
	s_cbranch_execnz .LBB764_50
; %bb.35:
	s_or_b32 exec_lo, exec_lo, s18
	v_mov_b32_e32 v4, v23
	s_and_saveexec_b32 s18, s35
	s_cbranch_execnz .LBB764_51
.LBB764_36:
	s_or_b32 exec_lo, exec_lo, s18
	s_and_saveexec_b32 s18, s34
	s_cbranch_execnz .LBB764_54
.LBB764_37:
	s_or_b32 exec_lo, exec_lo, s18
	s_and_saveexec_b32 s18, s33
	s_cbranch_execnz .LBB764_57
.LBB764_38:
	s_or_b32 exec_lo, exec_lo, s18
	s_and_saveexec_b32 s18, s31
	s_cbranch_execnz .LBB764_60
.LBB764_39:
	s_or_b32 exec_lo, exec_lo, s18
	s_and_saveexec_b32 s18, s30
	s_cbranch_execnz .LBB764_63
.LBB764_40:
	s_or_b32 exec_lo, exec_lo, s18
	s_and_saveexec_b32 s18, s29
	s_cbranch_execnz .LBB764_66
.LBB764_41:
	s_or_b32 exec_lo, exec_lo, s18
	s_and_saveexec_b32 s18, s28
	s_cbranch_execnz .LBB764_69
.LBB764_42:
	s_or_b32 exec_lo, exec_lo, s18
	s_and_saveexec_b32 s18, s27
	s_cbranch_execnz .LBB764_72
.LBB764_43:
	s_or_b32 exec_lo, exec_lo, s18
	s_and_saveexec_b32 s18, s26
	s_cbranch_execnz .LBB764_75
.LBB764_44:
	s_or_b32 exec_lo, exec_lo, s18
	s_and_saveexec_b32 s18, s25
	s_cbranch_execnz .LBB764_78
.LBB764_45:
	s_or_b32 exec_lo, exec_lo, s18
	s_and_saveexec_b32 s18, s24
	s_cbranch_execnz .LBB764_81
.LBB764_46:
	s_or_b32 exec_lo, exec_lo, s18
	s_and_saveexec_b32 s18, s23
	s_cbranch_execnz .LBB764_84
.LBB764_47:
	s_or_b32 exec_lo, exec_lo, s18
	s_and_saveexec_b32 s18, s22
	s_cbranch_execnz .LBB764_87
.LBB764_48:
	s_or_b32 exec_lo, exec_lo, s18
	s_and_saveexec_b32 s18, s19
	s_cbranch_execnz .LBB764_90
.LBB764_49:
	s_or_b32 exec_lo, exec_lo, s18
	s_and_saveexec_b32 s18, s17
	s_cbranch_execnz .LBB764_93
	s_branch .LBB764_96
.LBB764_50:
	global_load_u8 v4, v[2:3], off
	s_waitcnt vmcnt(0)
	v_and_b32_e32 v4, 1, v4
	s_delay_alu instid0(VALU_DEP_1) | instskip(NEXT) | instid1(VALU_DEP_1)
	v_cmp_eq_u32_e64 s0, 1, v4
	s_xor_b32 s0, s0, -1
	s_delay_alu instid0(SALU_CYCLE_1)
	s_and_b32 s1, s0, exec_lo
	s_or_b32 exec_lo, exec_lo, s18
	v_mov_b32_e32 v4, v23
	s_and_saveexec_b32 s18, s35
	s_cbranch_execz .LBB764_36
.LBB764_51:
	global_load_u8 v4, v[2:3], off offset:64
	s_waitcnt vmcnt(0)
	v_and_b32_e32 v4, 1, v4
	s_delay_alu instid0(VALU_DEP_1) | instskip(SKIP_1) | instid1(VALU_DEP_2)
	v_cmp_eq_u32_e64 s0, 1, v4
	v_mov_b32_e32 v4, v23
	s_xor_b32 s38, s0, -1
	s_mov_b32 s0, s1
	s_and_saveexec_b32 s37, s38
; %bb.52:
	v_cmp_gt_f32_e64 s0, v23, v22
	s_delay_alu instid0(VALU_DEP_1) | instskip(NEXT) | instid1(SALU_CYCLE_1)
	s_and_b32 s0, s1, s0
	v_cndmask_b32_e64 v4, v22, v23, s0
	s_or_b32 s0, s1, exec_lo
; %bb.53:
	s_or_b32 exec_lo, exec_lo, s37
	s_delay_alu instid0(SALU_CYCLE_1) | instskip(SKIP_1) | instid1(SALU_CYCLE_1)
	s_and_not1_b32 s1, s1, exec_lo
	s_and_b32 s0, s0, exec_lo
	s_or_b32 s1, s1, s0
	s_or_b32 exec_lo, exec_lo, s18
	s_and_saveexec_b32 s18, s34
	s_cbranch_execz .LBB764_37
.LBB764_54:
	global_load_u8 v5, v[2:3], off offset:128
	s_waitcnt vmcnt(0)
	v_and_b32_e32 v5, 1, v5
	s_delay_alu instid0(VALU_DEP_1) | instskip(NEXT) | instid1(VALU_DEP_1)
	v_cmp_eq_u32_e64 s0, 1, v5
	s_xor_b32 s38, s0, -1
	s_mov_b32 s0, s1
	s_and_saveexec_b32 s37, s38
; %bb.55:
	v_cmp_gt_f32_e64 s0, v4, v21
	s_delay_alu instid0(VALU_DEP_1) | instskip(NEXT) | instid1(SALU_CYCLE_1)
	s_and_b32 s0, s1, s0
	v_cndmask_b32_e64 v4, v21, v4, s0
	s_or_b32 s0, s1, exec_lo
; %bb.56:
	s_or_b32 exec_lo, exec_lo, s37
	s_delay_alu instid0(SALU_CYCLE_1) | instskip(SKIP_1) | instid1(SALU_CYCLE_1)
	s_and_not1_b32 s1, s1, exec_lo
	s_and_b32 s0, s0, exec_lo
	s_or_b32 s1, s1, s0
	s_or_b32 exec_lo, exec_lo, s18
	s_and_saveexec_b32 s18, s33
	s_cbranch_execz .LBB764_38
.LBB764_57:
	global_load_u8 v5, v[2:3], off offset:192
	s_waitcnt vmcnt(0)
	v_and_b32_e32 v5, 1, v5
	s_delay_alu instid0(VALU_DEP_1) | instskip(NEXT) | instid1(VALU_DEP_1)
	v_cmp_eq_u32_e64 s0, 1, v5
	s_xor_b32 s38, s0, -1
	s_mov_b32 s0, s1
	s_and_saveexec_b32 s37, s38
; %bb.58:
	v_cmp_gt_f32_e64 s0, v4, v20
	s_delay_alu instid0(VALU_DEP_1) | instskip(NEXT) | instid1(SALU_CYCLE_1)
	s_and_b32 s0, s1, s0
	v_cndmask_b32_e64 v4, v20, v4, s0
	s_or_b32 s0, s1, exec_lo
; %bb.59:
	s_or_b32 exec_lo, exec_lo, s37
	s_delay_alu instid0(SALU_CYCLE_1) | instskip(SKIP_1) | instid1(SALU_CYCLE_1)
	s_and_not1_b32 s1, s1, exec_lo
	s_and_b32 s0, s0, exec_lo
	s_or_b32 s1, s1, s0
	s_or_b32 exec_lo, exec_lo, s18
	s_and_saveexec_b32 s18, s31
	s_cbranch_execz .LBB764_39
.LBB764_60:
	global_load_u8 v5, v[2:3], off offset:256
	s_waitcnt vmcnt(0)
	v_and_b32_e32 v5, 1, v5
	s_delay_alu instid0(VALU_DEP_1) | instskip(NEXT) | instid1(VALU_DEP_1)
	v_cmp_eq_u32_e64 s0, 1, v5
	s_xor_b32 s38, s0, -1
	s_mov_b32 s0, s1
	s_and_saveexec_b32 s37, s38
; %bb.61:
	v_cmp_gt_f32_e64 s0, v4, v19
	s_delay_alu instid0(VALU_DEP_1) | instskip(NEXT) | instid1(SALU_CYCLE_1)
	s_and_b32 s0, s1, s0
	v_cndmask_b32_e64 v4, v19, v4, s0
	s_or_b32 s0, s1, exec_lo
; %bb.62:
	s_or_b32 exec_lo, exec_lo, s37
	s_delay_alu instid0(SALU_CYCLE_1) | instskip(SKIP_1) | instid1(SALU_CYCLE_1)
	s_and_not1_b32 s1, s1, exec_lo
	s_and_b32 s0, s0, exec_lo
	s_or_b32 s1, s1, s0
	s_or_b32 exec_lo, exec_lo, s18
	s_and_saveexec_b32 s18, s30
	s_cbranch_execz .LBB764_40
.LBB764_63:
	global_load_u8 v5, v[2:3], off offset:320
	s_waitcnt vmcnt(0)
	v_and_b32_e32 v5, 1, v5
	s_delay_alu instid0(VALU_DEP_1) | instskip(NEXT) | instid1(VALU_DEP_1)
	v_cmp_eq_u32_e64 s0, 1, v5
	s_xor_b32 s38, s0, -1
	s_mov_b32 s0, s1
	s_and_saveexec_b32 s37, s38
; %bb.64:
	v_cmp_gt_f32_e64 s0, v4, v18
	s_delay_alu instid0(VALU_DEP_1) | instskip(NEXT) | instid1(SALU_CYCLE_1)
	s_and_b32 s0, s1, s0
	v_cndmask_b32_e64 v4, v18, v4, s0
	s_or_b32 s0, s1, exec_lo
; %bb.65:
	s_or_b32 exec_lo, exec_lo, s37
	s_delay_alu instid0(SALU_CYCLE_1) | instskip(SKIP_1) | instid1(SALU_CYCLE_1)
	s_and_not1_b32 s1, s1, exec_lo
	s_and_b32 s0, s0, exec_lo
	s_or_b32 s1, s1, s0
	s_or_b32 exec_lo, exec_lo, s18
	s_and_saveexec_b32 s18, s29
	s_cbranch_execz .LBB764_41
.LBB764_66:
	global_load_u8 v5, v[2:3], off offset:384
	s_waitcnt vmcnt(0)
	v_and_b32_e32 v5, 1, v5
	s_delay_alu instid0(VALU_DEP_1) | instskip(NEXT) | instid1(VALU_DEP_1)
	v_cmp_eq_u32_e64 s0, 1, v5
	s_xor_b32 s38, s0, -1
	s_mov_b32 s0, s1
	s_and_saveexec_b32 s37, s38
; %bb.67:
	v_cmp_gt_f32_e64 s0, v4, v17
	s_delay_alu instid0(VALU_DEP_1) | instskip(NEXT) | instid1(SALU_CYCLE_1)
	s_and_b32 s0, s1, s0
	v_cndmask_b32_e64 v4, v17, v4, s0
	s_or_b32 s0, s1, exec_lo
; %bb.68:
	s_or_b32 exec_lo, exec_lo, s37
	s_delay_alu instid0(SALU_CYCLE_1) | instskip(SKIP_1) | instid1(SALU_CYCLE_1)
	s_and_not1_b32 s1, s1, exec_lo
	s_and_b32 s0, s0, exec_lo
	s_or_b32 s1, s1, s0
	s_or_b32 exec_lo, exec_lo, s18
	s_and_saveexec_b32 s18, s28
	s_cbranch_execz .LBB764_42
.LBB764_69:
	global_load_u8 v5, v[2:3], off offset:448
	s_waitcnt vmcnt(0)
	v_and_b32_e32 v5, 1, v5
	s_delay_alu instid0(VALU_DEP_1) | instskip(NEXT) | instid1(VALU_DEP_1)
	v_cmp_eq_u32_e64 s0, 1, v5
	s_xor_b32 s38, s0, -1
	s_mov_b32 s0, s1
	s_and_saveexec_b32 s37, s38
; %bb.70:
	v_cmp_gt_f32_e64 s0, v4, v16
	s_delay_alu instid0(VALU_DEP_1) | instskip(NEXT) | instid1(SALU_CYCLE_1)
	s_and_b32 s0, s1, s0
	v_cndmask_b32_e64 v4, v16, v4, s0
	s_or_b32 s0, s1, exec_lo
; %bb.71:
	s_or_b32 exec_lo, exec_lo, s37
	s_delay_alu instid0(SALU_CYCLE_1) | instskip(SKIP_1) | instid1(SALU_CYCLE_1)
	s_and_not1_b32 s1, s1, exec_lo
	s_and_b32 s0, s0, exec_lo
	s_or_b32 s1, s1, s0
	s_or_b32 exec_lo, exec_lo, s18
	s_and_saveexec_b32 s18, s27
	s_cbranch_execz .LBB764_43
.LBB764_72:
	global_load_u8 v5, v[2:3], off offset:512
	s_waitcnt vmcnt(0)
	v_and_b32_e32 v5, 1, v5
	s_delay_alu instid0(VALU_DEP_1) | instskip(NEXT) | instid1(VALU_DEP_1)
	v_cmp_eq_u32_e64 s0, 1, v5
	s_xor_b32 s38, s0, -1
	s_mov_b32 s0, s1
	s_and_saveexec_b32 s37, s38
; %bb.73:
	v_cmp_gt_f32_e64 s0, v4, v15
	s_delay_alu instid0(VALU_DEP_1) | instskip(NEXT) | instid1(SALU_CYCLE_1)
	s_and_b32 s0, s1, s0
	v_cndmask_b32_e64 v4, v15, v4, s0
	s_or_b32 s0, s1, exec_lo
; %bb.74:
	s_or_b32 exec_lo, exec_lo, s37
	s_delay_alu instid0(SALU_CYCLE_1) | instskip(SKIP_1) | instid1(SALU_CYCLE_1)
	s_and_not1_b32 s1, s1, exec_lo
	s_and_b32 s0, s0, exec_lo
	s_or_b32 s1, s1, s0
	s_or_b32 exec_lo, exec_lo, s18
	s_and_saveexec_b32 s18, s26
	s_cbranch_execz .LBB764_44
.LBB764_75:
	global_load_u8 v5, v[2:3], off offset:576
	s_waitcnt vmcnt(0)
	v_and_b32_e32 v5, 1, v5
	s_delay_alu instid0(VALU_DEP_1) | instskip(NEXT) | instid1(VALU_DEP_1)
	v_cmp_eq_u32_e64 s0, 1, v5
	s_xor_b32 s38, s0, -1
	s_mov_b32 s0, s1
	s_and_saveexec_b32 s37, s38
; %bb.76:
	v_cmp_gt_f32_e64 s0, v4, v14
	s_delay_alu instid0(VALU_DEP_1) | instskip(NEXT) | instid1(SALU_CYCLE_1)
	s_and_b32 s0, s1, s0
	v_cndmask_b32_e64 v4, v14, v4, s0
	s_or_b32 s0, s1, exec_lo
; %bb.77:
	s_or_b32 exec_lo, exec_lo, s37
	s_delay_alu instid0(SALU_CYCLE_1) | instskip(SKIP_1) | instid1(SALU_CYCLE_1)
	s_and_not1_b32 s1, s1, exec_lo
	s_and_b32 s0, s0, exec_lo
	s_or_b32 s1, s1, s0
	s_or_b32 exec_lo, exec_lo, s18
	s_and_saveexec_b32 s18, s25
	s_cbranch_execz .LBB764_45
.LBB764_78:
	global_load_u8 v5, v[2:3], off offset:640
	s_waitcnt vmcnt(0)
	v_and_b32_e32 v5, 1, v5
	s_delay_alu instid0(VALU_DEP_1) | instskip(NEXT) | instid1(VALU_DEP_1)
	v_cmp_eq_u32_e64 s0, 1, v5
	s_xor_b32 s38, s0, -1
	s_mov_b32 s0, s1
	s_and_saveexec_b32 s37, s38
; %bb.79:
	v_cmp_gt_f32_e64 s0, v4, v13
	s_delay_alu instid0(VALU_DEP_1) | instskip(NEXT) | instid1(SALU_CYCLE_1)
	s_and_b32 s0, s1, s0
	v_cndmask_b32_e64 v4, v13, v4, s0
	s_or_b32 s0, s1, exec_lo
; %bb.80:
	s_or_b32 exec_lo, exec_lo, s37
	s_delay_alu instid0(SALU_CYCLE_1) | instskip(SKIP_1) | instid1(SALU_CYCLE_1)
	s_and_not1_b32 s1, s1, exec_lo
	s_and_b32 s0, s0, exec_lo
	s_or_b32 s1, s1, s0
	s_or_b32 exec_lo, exec_lo, s18
	s_and_saveexec_b32 s18, s24
	s_cbranch_execz .LBB764_46
.LBB764_81:
	global_load_u8 v5, v[2:3], off offset:704
	s_waitcnt vmcnt(0)
	v_and_b32_e32 v5, 1, v5
	s_delay_alu instid0(VALU_DEP_1) | instskip(NEXT) | instid1(VALU_DEP_1)
	v_cmp_eq_u32_e64 s0, 1, v5
	s_xor_b32 s38, s0, -1
	s_mov_b32 s0, s1
	s_and_saveexec_b32 s37, s38
; %bb.82:
	v_cmp_gt_f32_e64 s0, v4, v12
	s_delay_alu instid0(VALU_DEP_1) | instskip(NEXT) | instid1(SALU_CYCLE_1)
	s_and_b32 s0, s1, s0
	v_cndmask_b32_e64 v4, v12, v4, s0
	s_or_b32 s0, s1, exec_lo
; %bb.83:
	s_or_b32 exec_lo, exec_lo, s37
	s_delay_alu instid0(SALU_CYCLE_1) | instskip(SKIP_1) | instid1(SALU_CYCLE_1)
	s_and_not1_b32 s1, s1, exec_lo
	s_and_b32 s0, s0, exec_lo
	s_or_b32 s1, s1, s0
	s_or_b32 exec_lo, exec_lo, s18
	s_and_saveexec_b32 s18, s23
	s_cbranch_execz .LBB764_47
.LBB764_84:
	global_load_u8 v5, v[2:3], off offset:768
	s_waitcnt vmcnt(0)
	v_and_b32_e32 v5, 1, v5
	s_delay_alu instid0(VALU_DEP_1) | instskip(NEXT) | instid1(VALU_DEP_1)
	v_cmp_eq_u32_e64 s0, 1, v5
	s_xor_b32 s38, s0, -1
	s_mov_b32 s0, s1
	s_and_saveexec_b32 s37, s38
; %bb.85:
	v_cmp_gt_f32_e64 s0, v4, v11
	s_delay_alu instid0(VALU_DEP_1) | instskip(NEXT) | instid1(SALU_CYCLE_1)
	s_and_b32 s0, s1, s0
	v_cndmask_b32_e64 v4, v11, v4, s0
	s_or_b32 s0, s1, exec_lo
; %bb.86:
	s_or_b32 exec_lo, exec_lo, s37
	s_delay_alu instid0(SALU_CYCLE_1) | instskip(SKIP_1) | instid1(SALU_CYCLE_1)
	s_and_not1_b32 s1, s1, exec_lo
	s_and_b32 s0, s0, exec_lo
	s_or_b32 s1, s1, s0
	s_or_b32 exec_lo, exec_lo, s18
	s_and_saveexec_b32 s18, s22
	s_cbranch_execz .LBB764_48
.LBB764_87:
	global_load_u8 v5, v[2:3], off offset:832
	s_waitcnt vmcnt(0)
	v_and_b32_e32 v5, 1, v5
	s_delay_alu instid0(VALU_DEP_1) | instskip(NEXT) | instid1(VALU_DEP_1)
	v_cmp_eq_u32_e64 s0, 1, v5
	s_xor_b32 s38, s0, -1
	s_mov_b32 s0, s1
	s_and_saveexec_b32 s37, s38
; %bb.88:
	v_cmp_gt_f32_e64 s0, v4, v10
	s_delay_alu instid0(VALU_DEP_1) | instskip(NEXT) | instid1(SALU_CYCLE_1)
	s_and_b32 s0, s1, s0
	v_cndmask_b32_e64 v4, v10, v4, s0
	s_or_b32 s0, s1, exec_lo
; %bb.89:
	s_or_b32 exec_lo, exec_lo, s37
	s_delay_alu instid0(SALU_CYCLE_1) | instskip(SKIP_1) | instid1(SALU_CYCLE_1)
	s_and_not1_b32 s1, s1, exec_lo
	s_and_b32 s0, s0, exec_lo
	s_or_b32 s1, s1, s0
	s_or_b32 exec_lo, exec_lo, s18
	s_and_saveexec_b32 s18, s19
	s_cbranch_execz .LBB764_49
.LBB764_90:
	global_load_u8 v5, v[2:3], off offset:896
	s_waitcnt vmcnt(0)
	v_and_b32_e32 v5, 1, v5
	s_delay_alu instid0(VALU_DEP_1) | instskip(NEXT) | instid1(VALU_DEP_1)
	v_cmp_eq_u32_e64 s0, 1, v5
	s_xor_b32 s38, s0, -1
	s_mov_b32 s0, s1
	s_and_saveexec_b32 s37, s38
; %bb.91:
	v_cmp_gt_f32_e64 s0, v4, v9
	s_delay_alu instid0(VALU_DEP_1) | instskip(NEXT) | instid1(SALU_CYCLE_1)
	s_and_b32 s0, s1, s0
	v_cndmask_b32_e64 v4, v9, v4, s0
	s_or_b32 s0, s1, exec_lo
; %bb.92:
	s_or_b32 exec_lo, exec_lo, s37
	s_delay_alu instid0(SALU_CYCLE_1) | instskip(SKIP_1) | instid1(SALU_CYCLE_1)
	s_and_not1_b32 s1, s1, exec_lo
	s_and_b32 s0, s0, exec_lo
	s_or_b32 s1, s1, s0
	s_or_b32 exec_lo, exec_lo, s18
	s_and_saveexec_b32 s18, s17
	s_cbranch_execz .LBB764_96
.LBB764_93:
	global_load_u8 v5, v[2:3], off offset:960
	s_waitcnt vmcnt(0)
	v_and_b32_e32 v5, 1, v5
	s_delay_alu instid0(VALU_DEP_1) | instskip(NEXT) | instid1(VALU_DEP_1)
	v_cmp_eq_u32_e64 s0, 1, v5
	s_xor_b32 s38, s0, -1
	s_mov_b32 s0, s1
	s_and_saveexec_b32 s37, s38
; %bb.94:
	v_cmp_gt_f32_e64 s0, v4, v8
	s_delay_alu instid0(VALU_DEP_1) | instskip(NEXT) | instid1(SALU_CYCLE_1)
	s_and_b32 s0, s1, s0
	v_cndmask_b32_e64 v4, v8, v4, s0
	s_or_b32 s0, s1, exec_lo
; %bb.95:
	s_or_b32 exec_lo, exec_lo, s37
	s_delay_alu instid0(SALU_CYCLE_1) | instskip(SKIP_1) | instid1(SALU_CYCLE_1)
	s_and_not1_b32 s1, s1, exec_lo
	s_and_b32 s0, s0, exec_lo
	s_or_b32 s1, s1, s0
.LBB764_96:
	s_or_b32 exec_lo, exec_lo, s18
	v_mbcnt_lo_u32_b32 v5, -1, 0
	v_cndmask_b32_e64 v4, 0xff800000, v4, s1
	s_delay_alu instid0(VALU_DEP_2) | instskip(SKIP_3) | instid1(VALU_DEP_4)
	v_or_b32_e32 v6, 32, v5
	v_xor_b32_e32 v24, 16, v5
	v_xor_b32_e32 v28, 2, v5
	;; [unrolled: 1-line block ×3, first 2 shown]
	v_cmp_gt_i32_e64 s0, 64, v6
	s_delay_alu instid0(VALU_DEP_1) | instskip(SKIP_1) | instid1(VALU_DEP_2)
	v_cndmask_b32_e64 v6, v5, v6, s0
	v_cmp_gt_i32_e64 s0, 64, v24
	v_lshlrev_b32_e32 v6, 2, v6
	s_delay_alu instid0(VALU_DEP_2) | instskip(SKIP_4) | instid1(VALU_DEP_1)
	v_cndmask_b32_e64 v24, v5, v24, s0
	ds_bpermute_b32 v25, v6, v4
	v_lshlrev_b32_e32 v24, 2, v24
	s_waitcnt lgkmcnt(0)
	v_cmp_lt_f32_e64 s0, v4, v25
	v_cndmask_b32_e64 v4, v4, v25, s0
	v_xor_b32_e32 v25, 8, v5
	ds_bpermute_b32 v26, v24, v4
	v_cmp_gt_i32_e64 s0, 64, v25
	s_delay_alu instid0(VALU_DEP_1) | instskip(NEXT) | instid1(VALU_DEP_1)
	v_cndmask_b32_e64 v25, v5, v25, s0
	v_lshlrev_b32_e32 v25, 2, v25
	s_waitcnt lgkmcnt(0)
	v_cmp_lt_f32_e64 s0, v4, v26
	s_delay_alu instid0(VALU_DEP_1) | instskip(SKIP_3) | instid1(VALU_DEP_1)
	v_cndmask_b32_e64 v4, v4, v26, s0
	v_xor_b32_e32 v26, 4, v5
	ds_bpermute_b32 v27, v25, v4
	v_cmp_gt_i32_e64 s0, 64, v26
	v_cndmask_b32_e64 v26, v5, v26, s0
	s_delay_alu instid0(VALU_DEP_1) | instskip(SKIP_2) | instid1(VALU_DEP_1)
	v_lshlrev_b32_e32 v26, 2, v26
	s_waitcnt lgkmcnt(0)
	v_cmp_lt_f32_e64 s0, v4, v27
	v_cndmask_b32_e64 v4, v4, v27, s0
	v_cmp_gt_i32_e64 s0, 64, v28
	ds_bpermute_b32 v27, v26, v4
	v_cndmask_b32_e64 v28, v5, v28, s0
	s_delay_alu instid0(VALU_DEP_1) | instskip(SKIP_2) | instid1(VALU_DEP_1)
	v_lshlrev_b32_e32 v28, 2, v28
	s_waitcnt lgkmcnt(0)
	v_cmp_lt_f32_e64 s0, v4, v27
	v_cndmask_b32_e64 v4, v4, v27, s0
	v_cmp_gt_i32_e64 s0, 64, v29
	ds_bpermute_b32 v27, v28, v4
	v_cndmask_b32_e64 v5, v5, v29, s0
	s_delay_alu instid0(VALU_DEP_1) | instskip(SKIP_2) | instid1(VALU_DEP_1)
	v_lshlrev_b32_e32 v29, 2, v5
	s_waitcnt lgkmcnt(0)
	v_cmp_lt_f32_e64 s0, v4, v27
	v_cndmask_b32_e64 v5, v4, v27, s0
	v_mov_b32_e32 v4, 0
	ds_bpermute_b32 v27, v29, v5
	s_waitcnt lgkmcnt(0)
	v_cmp_lt_f32_e64 s0, v5, v27
	s_delay_alu instid0(VALU_DEP_1)
	v_cndmask_b32_e64 v30, v5, v27, s0
	v_mov_b32_e32 v27, 0
	s_and_saveexec_b32 s1, s36
	s_cbranch_execz .LBB764_100
; %bb.97:
	global_load_u8 v5, v[2:3], off
	v_mov_b32_e32 v27, 0
	s_waitcnt vmcnt(0)
	v_and_b32_e32 v5, 1, v5
	s_delay_alu instid0(VALU_DEP_1) | instskip(NEXT) | instid1(VALU_DEP_1)
	v_cmp_eq_u32_e64 s0, 1, v5
	s_xor_b32 s0, s0, -1
	s_delay_alu instid0(SALU_CYCLE_1)
	s_and_saveexec_b32 s18, s0
	s_cbranch_execz .LBB764_99
; %bb.98:
	v_sub_f32_e32 v5, v23, v30
	s_delay_alu instid0(VALU_DEP_1) | instskip(SKIP_1) | instid1(VALU_DEP_2)
	v_mul_f32_e32 v23, 0x3fb8aa3b, v5
	v_cmp_ngt_f32_e64 s0, 0xc2ce8ed0, v5
	v_fma_f32 v27, 0x3fb8aa3b, v5, -v23
	v_rndne_f32_e32 v31, v23
	s_delay_alu instid0(VALU_DEP_2) | instskip(NEXT) | instid1(VALU_DEP_2)
	v_fmamk_f32 v27, v5, 0x32a5705f, v27
	v_sub_f32_e32 v23, v23, v31
	s_delay_alu instid0(VALU_DEP_1) | instskip(SKIP_1) | instid1(VALU_DEP_2)
	v_add_f32_e32 v23, v23, v27
	v_cvt_i32_f32_e32 v27, v31
	v_exp_f32_e32 v23, v23
	s_waitcnt_depctr 0xfff
	v_ldexp_f32 v23, v23, v27
	s_delay_alu instid0(VALU_DEP_1) | instskip(SKIP_1) | instid1(VALU_DEP_1)
	v_cndmask_b32_e64 v23, 0, v23, s0
	v_cmp_nlt_f32_e64 s0, 0x42b17218, v5
	v_cndmask_b32_e64 v27, 0x7f800000, v23, s0
.LBB764_99:
	s_or_b32 exec_lo, exec_lo, s18
.LBB764_100:
	s_delay_alu instid0(SALU_CYCLE_1) | instskip(NEXT) | instid1(VALU_DEP_1)
	s_or_b32 exec_lo, exec_lo, s1
	v_mov_b32_e32 v23, v27
	s_and_saveexec_b32 s1, s35
	s_cbranch_execz .LBB764_104
; %bb.101:
	global_load_u8 v4, v[2:3], off offset:64
	s_waitcnt vmcnt(0)
	v_dual_mov_b32 v23, v27 :: v_dual_and_b32 v4, 1, v4
	s_delay_alu instid0(VALU_DEP_1) | instskip(SKIP_1) | instid1(VALU_DEP_2)
	v_cmp_eq_u32_e64 s0, 1, v4
	v_mov_b32_e32 v4, 0
	s_xor_b32 s0, s0, -1
	s_delay_alu instid0(SALU_CYCLE_1)
	s_and_saveexec_b32 s18, s0
	s_cbranch_execz .LBB764_103
; %bb.102:
	v_sub_f32_e32 v4, v22, v30
	s_delay_alu instid0(VALU_DEP_1) | instskip(NEXT) | instid1(VALU_DEP_1)
	v_mul_f32_e32 v5, 0x3fb8aa3b, v4
	v_fma_f32 v22, 0x3fb8aa3b, v4, -v5
	v_rndne_f32_e32 v23, v5
	s_delay_alu instid0(VALU_DEP_1) | instskip(SKIP_1) | instid1(VALU_DEP_2)
	v_dual_sub_f32 v5, v5, v23 :: v_dual_fmamk_f32 v22, v4, 0x32a5705f, v22
	v_cmp_ngt_f32_e64 s0, 0xc2ce8ed0, v4
	v_add_f32_e32 v5, v5, v22
	v_cvt_i32_f32_e32 v22, v23
	s_delay_alu instid0(VALU_DEP_2) | instskip(SKIP_2) | instid1(VALU_DEP_1)
	v_exp_f32_e32 v5, v5
	s_waitcnt_depctr 0xfff
	v_ldexp_f32 v5, v5, v22
	v_cndmask_b32_e64 v5, 0, v5, s0
	v_cmp_nlt_f32_e64 s0, 0x42b17218, v4
	s_delay_alu instid0(VALU_DEP_1) | instskip(NEXT) | instid1(VALU_DEP_1)
	v_cndmask_b32_e64 v4, 0x7f800000, v5, s0
	v_add_f32_e32 v23, v27, v4
.LBB764_103:
	s_or_b32 exec_lo, exec_lo, s18
.LBB764_104:
	s_delay_alu instid0(SALU_CYCLE_1)
	s_or_b32 exec_lo, exec_lo, s1
	v_dual_mov_b32 v5, 0 :: v_dual_mov_b32 v22, 0
	s_and_saveexec_b32 s1, s34
	s_cbranch_execz .LBB764_108
; %bb.105:
	global_load_u8 v22, v[2:3], off offset:128
	s_waitcnt vmcnt(0)
	v_and_b32_e32 v22, 1, v22
	s_delay_alu instid0(VALU_DEP_1) | instskip(SKIP_1) | instid1(VALU_DEP_2)
	v_cmp_eq_u32_e64 s0, 1, v22
	v_mov_b32_e32 v22, 0
	s_xor_b32 s0, s0, -1
	s_delay_alu instid0(SALU_CYCLE_1)
	s_and_saveexec_b32 s18, s0
	s_cbranch_execz .LBB764_107
; %bb.106:
	v_sub_f32_e32 v21, v21, v30
	s_delay_alu instid0(VALU_DEP_1) | instskip(NEXT) | instid1(VALU_DEP_1)
	v_mul_f32_e32 v22, 0x3fb8aa3b, v21
	v_fma_f32 v31, 0x3fb8aa3b, v21, -v22
	v_rndne_f32_e32 v32, v22
	s_delay_alu instid0(VALU_DEP_1) | instskip(SKIP_1) | instid1(VALU_DEP_2)
	v_dual_sub_f32 v22, v22, v32 :: v_dual_fmamk_f32 v31, v21, 0x32a5705f, v31
	v_cmp_ngt_f32_e64 s0, 0xc2ce8ed0, v21
	v_add_f32_e32 v22, v22, v31
	v_cvt_i32_f32_e32 v31, v32
	s_delay_alu instid0(VALU_DEP_2) | instskip(SKIP_2) | instid1(VALU_DEP_1)
	v_exp_f32_e32 v22, v22
	s_waitcnt_depctr 0xfff
	v_ldexp_f32 v22, v22, v31
	v_cndmask_b32_e64 v22, 0, v22, s0
	v_cmp_nlt_f32_e64 s0, 0x42b17218, v21
	s_delay_alu instid0(VALU_DEP_1) | instskip(NEXT) | instid1(VALU_DEP_1)
	v_cndmask_b32_e64 v22, 0x7f800000, v22, s0
	v_add_f32_e32 v23, v23, v22
.LBB764_107:
	s_or_b32 exec_lo, exec_lo, s18
.LBB764_108:
	s_delay_alu instid0(SALU_CYCLE_1)
	s_or_b32 exec_lo, exec_lo, s1
	s_and_saveexec_b32 s1, s33
	s_cbranch_execz .LBB764_112
; %bb.109:
	global_load_u8 v5, v[2:3], off offset:192
	s_waitcnt vmcnt(0)
	v_and_b32_e32 v5, 1, v5
	s_delay_alu instid0(VALU_DEP_1) | instskip(SKIP_1) | instid1(VALU_DEP_2)
	v_cmp_eq_u32_e64 s0, 1, v5
	v_mov_b32_e32 v5, 0
	s_xor_b32 s0, s0, -1
	s_delay_alu instid0(SALU_CYCLE_1)
	s_and_saveexec_b32 s18, s0
	s_cbranch_execz .LBB764_111
; %bb.110:
	v_sub_f32_e32 v5, v20, v30
	s_delay_alu instid0(VALU_DEP_1) | instskip(SKIP_1) | instid1(VALU_DEP_2)
	v_mul_f32_e32 v20, 0x3fb8aa3b, v5
	v_cmp_ngt_f32_e64 s0, 0xc2ce8ed0, v5
	v_fma_f32 v21, 0x3fb8aa3b, v5, -v20
	v_rndne_f32_e32 v31, v20
	s_delay_alu instid0(VALU_DEP_1) | instskip(NEXT) | instid1(VALU_DEP_1)
	v_dual_fmamk_f32 v21, v5, 0x32a5705f, v21 :: v_dual_sub_f32 v20, v20, v31
	v_add_f32_e32 v20, v20, v21
	v_cvt_i32_f32_e32 v21, v31
	s_delay_alu instid0(VALU_DEP_2) | instskip(SKIP_2) | instid1(VALU_DEP_1)
	v_exp_f32_e32 v20, v20
	s_waitcnt_depctr 0xfff
	v_ldexp_f32 v20, v20, v21
	v_cndmask_b32_e64 v20, 0, v20, s0
	v_cmp_nlt_f32_e64 s0, 0x42b17218, v5
	s_delay_alu instid0(VALU_DEP_1) | instskip(NEXT) | instid1(VALU_DEP_1)
	v_cndmask_b32_e64 v5, 0x7f800000, v20, s0
	v_add_f32_e32 v23, v23, v5
.LBB764_111:
	s_or_b32 exec_lo, exec_lo, s18
.LBB764_112:
	s_delay_alu instid0(SALU_CYCLE_1)
	s_or_b32 exec_lo, exec_lo, s1
	v_dual_mov_b32 v20, 0 :: v_dual_mov_b32 v21, 0
	s_and_saveexec_b32 s1, s31
	s_cbranch_execz .LBB764_116
; %bb.113:
	global_load_u8 v21, v[2:3], off offset:256
	s_waitcnt vmcnt(0)
	v_and_b32_e32 v21, 1, v21
	s_delay_alu instid0(VALU_DEP_1) | instskip(SKIP_1) | instid1(VALU_DEP_2)
	v_cmp_eq_u32_e64 s0, 1, v21
	v_mov_b32_e32 v21, 0
	s_xor_b32 s0, s0, -1
	s_delay_alu instid0(SALU_CYCLE_1)
	s_and_saveexec_b32 s18, s0
	s_cbranch_execz .LBB764_115
; %bb.114:
	v_sub_f32_e32 v19, v19, v30
	s_delay_alu instid0(VALU_DEP_1) | instskip(SKIP_1) | instid1(VALU_DEP_2)
	v_mul_f32_e32 v21, 0x3fb8aa3b, v19
	v_cmp_ngt_f32_e64 s0, 0xc2ce8ed0, v19
	v_fma_f32 v31, 0x3fb8aa3b, v19, -v21
	v_rndne_f32_e32 v32, v21
	s_delay_alu instid0(VALU_DEP_2) | instskip(NEXT) | instid1(VALU_DEP_2)
	v_fmamk_f32 v31, v19, 0x32a5705f, v31
	v_sub_f32_e32 v21, v21, v32
	s_delay_alu instid0(VALU_DEP_1) | instskip(SKIP_1) | instid1(VALU_DEP_2)
	v_add_f32_e32 v21, v21, v31
	v_cvt_i32_f32_e32 v31, v32
	v_exp_f32_e32 v21, v21
	s_waitcnt_depctr 0xfff
	v_ldexp_f32 v21, v21, v31
	s_delay_alu instid0(VALU_DEP_1) | instskip(SKIP_1) | instid1(VALU_DEP_1)
	v_cndmask_b32_e64 v21, 0, v21, s0
	v_cmp_nlt_f32_e64 s0, 0x42b17218, v19
	v_cndmask_b32_e64 v21, 0x7f800000, v21, s0
	s_delay_alu instid0(VALU_DEP_1)
	v_add_f32_e32 v23, v23, v21
.LBB764_115:
	s_or_b32 exec_lo, exec_lo, s18
.LBB764_116:
	s_delay_alu instid0(SALU_CYCLE_1)
	s_or_b32 exec_lo, exec_lo, s1
	s_and_saveexec_b32 s1, s30
	s_cbranch_execz .LBB764_120
; %bb.117:
	global_load_u8 v19, v[2:3], off offset:320
	s_waitcnt vmcnt(0)
	v_dual_mov_b32 v20, 0 :: v_dual_and_b32 v19, 1, v19
	s_delay_alu instid0(VALU_DEP_1) | instskip(NEXT) | instid1(VALU_DEP_1)
	v_cmp_eq_u32_e64 s0, 1, v19
	s_xor_b32 s0, s0, -1
	s_delay_alu instid0(SALU_CYCLE_1)
	s_and_saveexec_b32 s18, s0
	s_cbranch_execz .LBB764_119
; %bb.118:
	v_sub_f32_e32 v18, v18, v30
	s_delay_alu instid0(VALU_DEP_1) | instskip(NEXT) | instid1(VALU_DEP_1)
	v_mul_f32_e32 v19, 0x3fb8aa3b, v18
	v_fma_f32 v20, 0x3fb8aa3b, v18, -v19
	v_rndne_f32_e32 v31, v19
	s_delay_alu instid0(VALU_DEP_1) | instskip(SKIP_1) | instid1(VALU_DEP_2)
	v_dual_sub_f32 v19, v19, v31 :: v_dual_fmamk_f32 v20, v18, 0x32a5705f, v20
	v_cmp_ngt_f32_e64 s0, 0xc2ce8ed0, v18
	v_add_f32_e32 v19, v19, v20
	v_cvt_i32_f32_e32 v20, v31
	s_delay_alu instid0(VALU_DEP_2) | instskip(SKIP_2) | instid1(VALU_DEP_1)
	v_exp_f32_e32 v19, v19
	s_waitcnt_depctr 0xfff
	v_ldexp_f32 v19, v19, v20
	v_cndmask_b32_e64 v19, 0, v19, s0
	v_cmp_nlt_f32_e64 s0, 0x42b17218, v18
	s_delay_alu instid0(VALU_DEP_1) | instskip(NEXT) | instid1(VALU_DEP_1)
	v_cndmask_b32_e64 v20, 0x7f800000, v19, s0
	v_add_f32_e32 v23, v23, v20
.LBB764_119:
	s_or_b32 exec_lo, exec_lo, s18
.LBB764_120:
	s_delay_alu instid0(SALU_CYCLE_1)
	s_or_b32 exec_lo, exec_lo, s1
	v_dual_mov_b32 v18, 0 :: v_dual_mov_b32 v19, 0
	s_and_saveexec_b32 s1, s29
	s_cbranch_execz .LBB764_124
; %bb.121:
	global_load_u8 v19, v[2:3], off offset:384
	s_waitcnt vmcnt(0)
	v_and_b32_e32 v19, 1, v19
	s_delay_alu instid0(VALU_DEP_1) | instskip(SKIP_1) | instid1(VALU_DEP_2)
	v_cmp_eq_u32_e64 s0, 1, v19
	v_mov_b32_e32 v19, 0
	s_xor_b32 s0, s0, -1
	s_delay_alu instid0(SALU_CYCLE_1)
	s_and_saveexec_b32 s18, s0
	s_cbranch_execz .LBB764_123
; %bb.122:
	v_sub_f32_e32 v17, v17, v30
	s_delay_alu instid0(VALU_DEP_1) | instskip(SKIP_1) | instid1(VALU_DEP_2)
	v_mul_f32_e32 v19, 0x3fb8aa3b, v17
	v_cmp_ngt_f32_e64 s0, 0xc2ce8ed0, v17
	v_fma_f32 v31, 0x3fb8aa3b, v17, -v19
	v_rndne_f32_e32 v32, v19
	s_delay_alu instid0(VALU_DEP_2) | instskip(NEXT) | instid1(VALU_DEP_2)
	v_fmamk_f32 v31, v17, 0x32a5705f, v31
	v_sub_f32_e32 v19, v19, v32
	s_delay_alu instid0(VALU_DEP_1) | instskip(SKIP_1) | instid1(VALU_DEP_2)
	v_add_f32_e32 v19, v19, v31
	v_cvt_i32_f32_e32 v31, v32
	v_exp_f32_e32 v19, v19
	s_waitcnt_depctr 0xfff
	v_ldexp_f32 v19, v19, v31
	s_delay_alu instid0(VALU_DEP_1) | instskip(SKIP_1) | instid1(VALU_DEP_1)
	v_cndmask_b32_e64 v19, 0, v19, s0
	v_cmp_nlt_f32_e64 s0, 0x42b17218, v17
	v_cndmask_b32_e64 v19, 0x7f800000, v19, s0
	s_delay_alu instid0(VALU_DEP_1)
	v_add_f32_e32 v23, v23, v19
.LBB764_123:
	s_or_b32 exec_lo, exec_lo, s18
.LBB764_124:
	s_delay_alu instid0(SALU_CYCLE_1)
	s_or_b32 exec_lo, exec_lo, s1
	s_and_saveexec_b32 s1, s28
	s_cbranch_execz .LBB764_128
; %bb.125:
	global_load_u8 v17, v[2:3], off offset:448
	s_waitcnt vmcnt(0)
	v_dual_mov_b32 v18, 0 :: v_dual_and_b32 v17, 1, v17
	s_delay_alu instid0(VALU_DEP_1) | instskip(NEXT) | instid1(VALU_DEP_1)
	v_cmp_eq_u32_e64 s0, 1, v17
	s_xor_b32 s0, s0, -1
	s_delay_alu instid0(SALU_CYCLE_1)
	s_and_saveexec_b32 s18, s0
	s_cbranch_execz .LBB764_127
; %bb.126:
	v_sub_f32_e32 v16, v16, v30
	s_delay_alu instid0(VALU_DEP_1) | instskip(NEXT) | instid1(VALU_DEP_1)
	v_mul_f32_e32 v17, 0x3fb8aa3b, v16
	v_fma_f32 v18, 0x3fb8aa3b, v16, -v17
	v_rndne_f32_e32 v31, v17
	s_delay_alu instid0(VALU_DEP_1) | instskip(SKIP_1) | instid1(VALU_DEP_2)
	v_dual_sub_f32 v17, v17, v31 :: v_dual_fmamk_f32 v18, v16, 0x32a5705f, v18
	v_cmp_ngt_f32_e64 s0, 0xc2ce8ed0, v16
	v_add_f32_e32 v17, v17, v18
	v_cvt_i32_f32_e32 v18, v31
	s_delay_alu instid0(VALU_DEP_2) | instskip(SKIP_2) | instid1(VALU_DEP_1)
	v_exp_f32_e32 v17, v17
	s_waitcnt_depctr 0xfff
	v_ldexp_f32 v17, v17, v18
	v_cndmask_b32_e64 v17, 0, v17, s0
	v_cmp_nlt_f32_e64 s0, 0x42b17218, v16
	s_delay_alu instid0(VALU_DEP_1) | instskip(NEXT) | instid1(VALU_DEP_1)
	v_cndmask_b32_e64 v18, 0x7f800000, v17, s0
	v_add_f32_e32 v23, v23, v18
.LBB764_127:
	s_or_b32 exec_lo, exec_lo, s18
.LBB764_128:
	s_delay_alu instid0(SALU_CYCLE_1)
	s_or_b32 exec_lo, exec_lo, s1
	v_dual_mov_b32 v16, 0 :: v_dual_mov_b32 v17, 0
	s_and_saveexec_b32 s1, s27
	s_cbranch_execz .LBB764_132
; %bb.129:
	global_load_u8 v17, v[2:3], off offset:512
	s_waitcnt vmcnt(0)
	v_and_b32_e32 v17, 1, v17
	s_delay_alu instid0(VALU_DEP_1) | instskip(SKIP_1) | instid1(VALU_DEP_2)
	v_cmp_eq_u32_e64 s0, 1, v17
	v_mov_b32_e32 v17, 0
	s_xor_b32 s0, s0, -1
	s_delay_alu instid0(SALU_CYCLE_1)
	s_and_saveexec_b32 s18, s0
	s_cbranch_execz .LBB764_131
; %bb.130:
	v_sub_f32_e32 v15, v15, v30
	s_delay_alu instid0(VALU_DEP_1) | instskip(SKIP_1) | instid1(VALU_DEP_2)
	v_mul_f32_e32 v17, 0x3fb8aa3b, v15
	v_cmp_ngt_f32_e64 s0, 0xc2ce8ed0, v15
	v_fma_f32 v31, 0x3fb8aa3b, v15, -v17
	v_rndne_f32_e32 v32, v17
	s_delay_alu instid0(VALU_DEP_2) | instskip(NEXT) | instid1(VALU_DEP_2)
	v_fmamk_f32 v31, v15, 0x32a5705f, v31
	v_sub_f32_e32 v17, v17, v32
	s_delay_alu instid0(VALU_DEP_1) | instskip(SKIP_1) | instid1(VALU_DEP_2)
	v_add_f32_e32 v17, v17, v31
	v_cvt_i32_f32_e32 v31, v32
	v_exp_f32_e32 v17, v17
	s_waitcnt_depctr 0xfff
	v_ldexp_f32 v17, v17, v31
	s_delay_alu instid0(VALU_DEP_1) | instskip(SKIP_1) | instid1(VALU_DEP_1)
	v_cndmask_b32_e64 v17, 0, v17, s0
	v_cmp_nlt_f32_e64 s0, 0x42b17218, v15
	v_cndmask_b32_e64 v17, 0x7f800000, v17, s0
	s_delay_alu instid0(VALU_DEP_1)
	v_add_f32_e32 v23, v23, v17
.LBB764_131:
	s_or_b32 exec_lo, exec_lo, s18
.LBB764_132:
	s_delay_alu instid0(SALU_CYCLE_1)
	s_or_b32 exec_lo, exec_lo, s1
	s_and_saveexec_b32 s1, s26
	s_cbranch_execz .LBB764_136
; %bb.133:
	global_load_u8 v15, v[2:3], off offset:576
	s_waitcnt vmcnt(0)
	v_dual_mov_b32 v16, 0 :: v_dual_and_b32 v15, 1, v15
	s_delay_alu instid0(VALU_DEP_1) | instskip(NEXT) | instid1(VALU_DEP_1)
	v_cmp_eq_u32_e64 s0, 1, v15
	s_xor_b32 s0, s0, -1
	s_delay_alu instid0(SALU_CYCLE_1)
	s_and_saveexec_b32 s18, s0
	s_cbranch_execz .LBB764_135
; %bb.134:
	v_sub_f32_e32 v14, v14, v30
	s_delay_alu instid0(VALU_DEP_1) | instskip(NEXT) | instid1(VALU_DEP_1)
	v_mul_f32_e32 v15, 0x3fb8aa3b, v14
	v_fma_f32 v16, 0x3fb8aa3b, v14, -v15
	v_rndne_f32_e32 v31, v15
	s_delay_alu instid0(VALU_DEP_1) | instskip(SKIP_1) | instid1(VALU_DEP_2)
	v_dual_sub_f32 v15, v15, v31 :: v_dual_fmamk_f32 v16, v14, 0x32a5705f, v16
	v_cmp_ngt_f32_e64 s0, 0xc2ce8ed0, v14
	v_add_f32_e32 v15, v15, v16
	v_cvt_i32_f32_e32 v16, v31
	s_delay_alu instid0(VALU_DEP_2) | instskip(SKIP_2) | instid1(VALU_DEP_1)
	v_exp_f32_e32 v15, v15
	s_waitcnt_depctr 0xfff
	v_ldexp_f32 v15, v15, v16
	v_cndmask_b32_e64 v15, 0, v15, s0
	v_cmp_nlt_f32_e64 s0, 0x42b17218, v14
	s_delay_alu instid0(VALU_DEP_1) | instskip(NEXT) | instid1(VALU_DEP_1)
	v_cndmask_b32_e64 v16, 0x7f800000, v15, s0
	v_add_f32_e32 v23, v23, v16
.LBB764_135:
	s_or_b32 exec_lo, exec_lo, s18
.LBB764_136:
	s_delay_alu instid0(SALU_CYCLE_1)
	s_or_b32 exec_lo, exec_lo, s1
	v_dual_mov_b32 v14, 0 :: v_dual_mov_b32 v15, 0
	s_and_saveexec_b32 s1, s25
	s_cbranch_execz .LBB764_140
; %bb.137:
	global_load_u8 v15, v[2:3], off offset:640
	s_waitcnt vmcnt(0)
	v_and_b32_e32 v15, 1, v15
	s_delay_alu instid0(VALU_DEP_1) | instskip(SKIP_1) | instid1(VALU_DEP_2)
	v_cmp_eq_u32_e64 s0, 1, v15
	v_mov_b32_e32 v15, 0
	s_xor_b32 s0, s0, -1
	s_delay_alu instid0(SALU_CYCLE_1)
	s_and_saveexec_b32 s18, s0
	s_cbranch_execz .LBB764_139
; %bb.138:
	v_sub_f32_e32 v13, v13, v30
	s_delay_alu instid0(VALU_DEP_1) | instskip(SKIP_1) | instid1(VALU_DEP_2)
	v_mul_f32_e32 v15, 0x3fb8aa3b, v13
	v_cmp_ngt_f32_e64 s0, 0xc2ce8ed0, v13
	v_fma_f32 v31, 0x3fb8aa3b, v13, -v15
	v_rndne_f32_e32 v32, v15
	s_delay_alu instid0(VALU_DEP_2) | instskip(NEXT) | instid1(VALU_DEP_2)
	v_fmamk_f32 v31, v13, 0x32a5705f, v31
	v_sub_f32_e32 v15, v15, v32
	s_delay_alu instid0(VALU_DEP_1) | instskip(SKIP_1) | instid1(VALU_DEP_2)
	v_add_f32_e32 v15, v15, v31
	v_cvt_i32_f32_e32 v31, v32
	v_exp_f32_e32 v15, v15
	s_waitcnt_depctr 0xfff
	v_ldexp_f32 v15, v15, v31
	s_delay_alu instid0(VALU_DEP_1) | instskip(SKIP_1) | instid1(VALU_DEP_1)
	v_cndmask_b32_e64 v15, 0, v15, s0
	v_cmp_nlt_f32_e64 s0, 0x42b17218, v13
	v_cndmask_b32_e64 v15, 0x7f800000, v15, s0
	s_delay_alu instid0(VALU_DEP_1)
	v_add_f32_e32 v23, v23, v15
.LBB764_139:
	s_or_b32 exec_lo, exec_lo, s18
.LBB764_140:
	s_delay_alu instid0(SALU_CYCLE_1)
	s_or_b32 exec_lo, exec_lo, s1
	s_and_saveexec_b32 s1, s24
	s_cbranch_execz .LBB764_144
; %bb.141:
	global_load_u8 v13, v[2:3], off offset:704
	s_waitcnt vmcnt(0)
	v_dual_mov_b32 v14, 0 :: v_dual_and_b32 v13, 1, v13
	s_delay_alu instid0(VALU_DEP_1) | instskip(NEXT) | instid1(VALU_DEP_1)
	v_cmp_eq_u32_e64 s0, 1, v13
	s_xor_b32 s0, s0, -1
	s_delay_alu instid0(SALU_CYCLE_1)
	s_and_saveexec_b32 s18, s0
	s_cbranch_execz .LBB764_143
; %bb.142:
	v_sub_f32_e32 v12, v12, v30
	s_delay_alu instid0(VALU_DEP_1) | instskip(NEXT) | instid1(VALU_DEP_1)
	v_mul_f32_e32 v13, 0x3fb8aa3b, v12
	v_fma_f32 v14, 0x3fb8aa3b, v12, -v13
	v_rndne_f32_e32 v31, v13
	s_delay_alu instid0(VALU_DEP_1) | instskip(SKIP_1) | instid1(VALU_DEP_2)
	v_dual_sub_f32 v13, v13, v31 :: v_dual_fmamk_f32 v14, v12, 0x32a5705f, v14
	v_cmp_ngt_f32_e64 s0, 0xc2ce8ed0, v12
	v_add_f32_e32 v13, v13, v14
	v_cvt_i32_f32_e32 v14, v31
	s_delay_alu instid0(VALU_DEP_2) | instskip(SKIP_2) | instid1(VALU_DEP_1)
	v_exp_f32_e32 v13, v13
	s_waitcnt_depctr 0xfff
	v_ldexp_f32 v13, v13, v14
	v_cndmask_b32_e64 v13, 0, v13, s0
	v_cmp_nlt_f32_e64 s0, 0x42b17218, v12
	s_delay_alu instid0(VALU_DEP_1) | instskip(NEXT) | instid1(VALU_DEP_1)
	v_cndmask_b32_e64 v14, 0x7f800000, v13, s0
	v_add_f32_e32 v23, v23, v14
.LBB764_143:
	s_or_b32 exec_lo, exec_lo, s18
.LBB764_144:
	s_delay_alu instid0(SALU_CYCLE_1)
	s_or_b32 exec_lo, exec_lo, s1
	v_dual_mov_b32 v12, 0 :: v_dual_mov_b32 v13, 0
	s_and_saveexec_b32 s1, s23
	s_cbranch_execz .LBB764_148
; %bb.145:
	global_load_u8 v13, v[2:3], off offset:768
	s_waitcnt vmcnt(0)
	v_and_b32_e32 v13, 1, v13
	s_delay_alu instid0(VALU_DEP_1) | instskip(SKIP_1) | instid1(VALU_DEP_2)
	v_cmp_eq_u32_e64 s0, 1, v13
	v_mov_b32_e32 v13, 0
	s_xor_b32 s0, s0, -1
	s_delay_alu instid0(SALU_CYCLE_1)
	s_and_saveexec_b32 s18, s0
	s_cbranch_execz .LBB764_147
; %bb.146:
	v_sub_f32_e32 v11, v11, v30
	s_delay_alu instid0(VALU_DEP_1) | instskip(SKIP_1) | instid1(VALU_DEP_2)
	v_mul_f32_e32 v13, 0x3fb8aa3b, v11
	v_cmp_ngt_f32_e64 s0, 0xc2ce8ed0, v11
	v_fma_f32 v31, 0x3fb8aa3b, v11, -v13
	v_rndne_f32_e32 v32, v13
	s_delay_alu instid0(VALU_DEP_2) | instskip(NEXT) | instid1(VALU_DEP_2)
	v_fmamk_f32 v31, v11, 0x32a5705f, v31
	v_sub_f32_e32 v13, v13, v32
	s_delay_alu instid0(VALU_DEP_1) | instskip(SKIP_1) | instid1(VALU_DEP_2)
	v_add_f32_e32 v13, v13, v31
	v_cvt_i32_f32_e32 v31, v32
	v_exp_f32_e32 v13, v13
	s_waitcnt_depctr 0xfff
	v_ldexp_f32 v13, v13, v31
	s_delay_alu instid0(VALU_DEP_1) | instskip(SKIP_1) | instid1(VALU_DEP_1)
	v_cndmask_b32_e64 v13, 0, v13, s0
	v_cmp_nlt_f32_e64 s0, 0x42b17218, v11
	v_cndmask_b32_e64 v13, 0x7f800000, v13, s0
	s_delay_alu instid0(VALU_DEP_1)
	v_add_f32_e32 v23, v23, v13
.LBB764_147:
	s_or_b32 exec_lo, exec_lo, s18
.LBB764_148:
	s_delay_alu instid0(SALU_CYCLE_1)
	s_or_b32 exec_lo, exec_lo, s1
	s_and_saveexec_b32 s1, s22
	s_cbranch_execz .LBB764_152
; %bb.149:
	global_load_u8 v11, v[2:3], off offset:832
	s_waitcnt vmcnt(0)
	v_dual_mov_b32 v12, 0 :: v_dual_and_b32 v11, 1, v11
	s_delay_alu instid0(VALU_DEP_1) | instskip(NEXT) | instid1(VALU_DEP_1)
	v_cmp_eq_u32_e64 s0, 1, v11
	s_xor_b32 s0, s0, -1
	s_delay_alu instid0(SALU_CYCLE_1)
	s_and_saveexec_b32 s18, s0
	s_cbranch_execz .LBB764_151
; %bb.150:
	v_sub_f32_e32 v10, v10, v30
	s_delay_alu instid0(VALU_DEP_1) | instskip(NEXT) | instid1(VALU_DEP_1)
	v_mul_f32_e32 v11, 0x3fb8aa3b, v10
	v_fma_f32 v12, 0x3fb8aa3b, v10, -v11
	v_rndne_f32_e32 v31, v11
	s_delay_alu instid0(VALU_DEP_1) | instskip(SKIP_1) | instid1(VALU_DEP_2)
	v_dual_sub_f32 v11, v11, v31 :: v_dual_fmamk_f32 v12, v10, 0x32a5705f, v12
	v_cmp_ngt_f32_e64 s0, 0xc2ce8ed0, v10
	v_add_f32_e32 v11, v11, v12
	v_cvt_i32_f32_e32 v12, v31
	s_delay_alu instid0(VALU_DEP_2) | instskip(SKIP_2) | instid1(VALU_DEP_1)
	v_exp_f32_e32 v11, v11
	s_waitcnt_depctr 0xfff
	v_ldexp_f32 v11, v11, v12
	v_cndmask_b32_e64 v11, 0, v11, s0
	v_cmp_nlt_f32_e64 s0, 0x42b17218, v10
	s_delay_alu instid0(VALU_DEP_1) | instskip(NEXT) | instid1(VALU_DEP_1)
	v_cndmask_b32_e64 v12, 0x7f800000, v11, s0
	v_add_f32_e32 v23, v23, v12
.LBB764_151:
	s_or_b32 exec_lo, exec_lo, s18
.LBB764_152:
	s_delay_alu instid0(SALU_CYCLE_1)
	s_or_b32 exec_lo, exec_lo, s1
	v_dual_mov_b32 v10, 0 :: v_dual_mov_b32 v11, 0
	s_and_saveexec_b32 s1, s19
	s_cbranch_execz .LBB764_156
; %bb.153:
	global_load_u8 v11, v[2:3], off offset:896
	s_waitcnt vmcnt(0)
	v_and_b32_e32 v11, 1, v11
	s_delay_alu instid0(VALU_DEP_1) | instskip(SKIP_1) | instid1(VALU_DEP_2)
	v_cmp_eq_u32_e64 s0, 1, v11
	v_mov_b32_e32 v11, 0
	s_xor_b32 s0, s0, -1
	s_delay_alu instid0(SALU_CYCLE_1)
	s_and_saveexec_b32 s18, s0
	s_cbranch_execz .LBB764_155
; %bb.154:
	v_sub_f32_e32 v9, v9, v30
	s_delay_alu instid0(VALU_DEP_1) | instskip(SKIP_1) | instid1(VALU_DEP_2)
	v_mul_f32_e32 v11, 0x3fb8aa3b, v9
	v_cmp_ngt_f32_e64 s0, 0xc2ce8ed0, v9
	v_fma_f32 v31, 0x3fb8aa3b, v9, -v11
	v_rndne_f32_e32 v32, v11
	s_delay_alu instid0(VALU_DEP_2) | instskip(NEXT) | instid1(VALU_DEP_2)
	v_fmamk_f32 v31, v9, 0x32a5705f, v31
	v_sub_f32_e32 v11, v11, v32
	s_delay_alu instid0(VALU_DEP_1) | instskip(SKIP_1) | instid1(VALU_DEP_2)
	v_add_f32_e32 v11, v11, v31
	v_cvt_i32_f32_e32 v31, v32
	v_exp_f32_e32 v11, v11
	s_waitcnt_depctr 0xfff
	v_ldexp_f32 v11, v11, v31
	s_delay_alu instid0(VALU_DEP_1) | instskip(SKIP_1) | instid1(VALU_DEP_1)
	v_cndmask_b32_e64 v11, 0, v11, s0
	v_cmp_nlt_f32_e64 s0, 0x42b17218, v9
	v_cndmask_b32_e64 v11, 0x7f800000, v11, s0
	s_delay_alu instid0(VALU_DEP_1)
	v_add_f32_e32 v23, v23, v11
.LBB764_155:
	s_or_b32 exec_lo, exec_lo, s18
.LBB764_156:
	s_delay_alu instid0(SALU_CYCLE_1)
	s_or_b32 exec_lo, exec_lo, s1
	s_and_saveexec_b32 s1, s17
	s_cbranch_execz .LBB764_160
; %bb.157:
	global_load_u8 v2, v[2:3], off offset:960
	v_mov_b32_e32 v10, 0
	s_waitcnt vmcnt(0)
	v_and_b32_e32 v2, 1, v2
	s_delay_alu instid0(VALU_DEP_1) | instskip(NEXT) | instid1(VALU_DEP_1)
	v_cmp_eq_u32_e64 s0, 1, v2
	s_xor_b32 s0, s0, -1
	s_delay_alu instid0(SALU_CYCLE_1)
	s_and_saveexec_b32 s17, s0
	s_cbranch_execz .LBB764_159
; %bb.158:
	v_sub_f32_e32 v2, v8, v30
	s_delay_alu instid0(VALU_DEP_1) | instskip(NEXT) | instid1(VALU_DEP_1)
	v_mul_f32_e32 v3, 0x3fb8aa3b, v2
	v_fma_f32 v8, 0x3fb8aa3b, v2, -v3
	v_rndne_f32_e32 v9, v3
	s_delay_alu instid0(VALU_DEP_1) | instskip(SKIP_1) | instid1(VALU_DEP_2)
	v_dual_sub_f32 v3, v3, v9 :: v_dual_fmamk_f32 v8, v2, 0x32a5705f, v8
	v_cmp_ngt_f32_e64 s0, 0xc2ce8ed0, v2
	v_add_f32_e32 v3, v3, v8
	v_cvt_i32_f32_e32 v8, v9
	s_delay_alu instid0(VALU_DEP_2) | instskip(SKIP_2) | instid1(VALU_DEP_1)
	v_exp_f32_e32 v3, v3
	s_waitcnt_depctr 0xfff
	v_ldexp_f32 v3, v3, v8
	v_cndmask_b32_e64 v3, 0, v3, s0
	v_cmp_nlt_f32_e64 s0, 0x42b17218, v2
	s_delay_alu instid0(VALU_DEP_1) | instskip(NEXT) | instid1(VALU_DEP_1)
	v_cndmask_b32_e64 v10, 0x7f800000, v3, s0
	v_add_f32_e32 v23, v23, v10
.LBB764_159:
	s_or_b32 exec_lo, exec_lo, s17
.LBB764_160:
	s_delay_alu instid0(SALU_CYCLE_1)
	s_or_b32 exec_lo, exec_lo, s1
	ds_bpermute_b32 v2, v6, v23
	s_mov_b32 s1, exec_lo
	s_waitcnt lgkmcnt(0)
	v_add_f32_e32 v2, v23, v2
	ds_bpermute_b32 v3, v24, v2
	s_waitcnt lgkmcnt(0)
	v_add_f32_e32 v2, v2, v3
	ds_bpermute_b32 v3, v25, v2
	;; [unrolled: 3-line block ×5, first 2 shown]
	v_cmpx_lt_i32_e32 0, v7
	s_cbranch_execz .LBB764_210
; %bb.161:
	s_and_b32 exec_lo, exec_lo, vcc_lo
	s_cbranch_execz .LBB764_210
; %bb.162:
	s_waitcnt lgkmcnt(0)
	v_dual_add_f32 v2, v2, v3 :: v_dual_mov_b32 v3, 0x7fc0
	s_delay_alu instid0(VALU_DEP_1) | instskip(NEXT) | instid1(VALU_DEP_1)
	v_cmp_neq_f32_e64 s0, 0, v2
	s_and_saveexec_b32 s1, s0
	s_cbranch_execz .LBB764_164
; %bb.163:
	v_div_scale_f32 v3, null, v2, v2, v27
	s_delay_alu instid0(VALU_DEP_1) | instskip(SKIP_2) | instid1(VALU_DEP_1)
	v_rcp_f32_e32 v6, v3
	s_waitcnt_depctr 0xfff
	v_fma_f32 v7, -v3, v6, 1.0
	v_fmac_f32_e32 v6, v7, v6
	v_div_scale_f32 v7, vcc_lo, v27, v2, v27
	s_delay_alu instid0(VALU_DEP_1) | instskip(NEXT) | instid1(VALU_DEP_1)
	v_mul_f32_e32 v8, v7, v6
	v_fma_f32 v9, -v3, v8, v7
	s_delay_alu instid0(VALU_DEP_1) | instskip(NEXT) | instid1(VALU_DEP_1)
	v_fmac_f32_e32 v8, v9, v6
	v_fma_f32 v3, -v3, v8, v7
	s_delay_alu instid0(VALU_DEP_1) | instskip(NEXT) | instid1(VALU_DEP_1)
	v_div_fmas_f32 v3, v3, v6, v8
	v_div_fixup_f32 v3, v3, v2, v27
	s_delay_alu instid0(VALU_DEP_1) | instskip(SKIP_1) | instid1(VALU_DEP_2)
	v_bfe_u32 v6, v3, 16, 1
	v_cmp_o_f32_e32 vcc_lo, v3, v3
	v_add3_u32 v6, v3, v6, 0x7fff
	s_delay_alu instid0(VALU_DEP_1) | instskip(NEXT) | instid1(VALU_DEP_1)
	v_lshrrev_b32_e32 v6, 16, v6
	v_cndmask_b32_e32 v3, 0x7fc0, v6, vcc_lo
.LBB764_164:
	s_or_b32 exec_lo, exec_lo, s1
	v_add_co_u32 v0, vcc_lo, s20, v0
	v_add_co_ci_u32_e32 v1, vcc_lo, s21, v1, vcc_lo
	global_store_b16 v[0:1], v3, off
	s_and_b32 exec_lo, exec_lo, s16
	s_cbranch_execz .LBB764_210
; %bb.165:
	v_mov_b32_e32 v3, 0x7fc0
	s_and_saveexec_b32 s1, s0
	s_cbranch_execz .LBB764_167
; %bb.166:
	v_div_scale_f32 v3, null, v2, v2, v4
	s_delay_alu instid0(VALU_DEP_1) | instskip(SKIP_2) | instid1(VALU_DEP_1)
	v_rcp_f32_e32 v6, v3
	s_waitcnt_depctr 0xfff
	v_fma_f32 v7, -v3, v6, 1.0
	v_fmac_f32_e32 v6, v7, v6
	v_div_scale_f32 v7, vcc_lo, v4, v2, v4
	s_delay_alu instid0(VALU_DEP_1) | instskip(NEXT) | instid1(VALU_DEP_1)
	v_mul_f32_e32 v8, v7, v6
	v_fma_f32 v9, -v3, v8, v7
	s_delay_alu instid0(VALU_DEP_1) | instskip(NEXT) | instid1(VALU_DEP_1)
	v_fmac_f32_e32 v8, v9, v6
	v_fma_f32 v3, -v3, v8, v7
	s_delay_alu instid0(VALU_DEP_1) | instskip(NEXT) | instid1(VALU_DEP_1)
	v_div_fmas_f32 v3, v3, v6, v8
	v_div_fixup_f32 v3, v3, v2, v4
	s_delay_alu instid0(VALU_DEP_1) | instskip(SKIP_1) | instid1(VALU_DEP_2)
	v_bfe_u32 v4, v3, 16, 1
	v_cmp_o_f32_e32 vcc_lo, v3, v3
	v_add3_u32 v4, v3, v4, 0x7fff
	s_delay_alu instid0(VALU_DEP_1) | instskip(NEXT) | instid1(VALU_DEP_1)
	v_lshrrev_b32_e32 v4, 16, v4
	v_cndmask_b32_e32 v3, 0x7fc0, v4, vcc_lo
.LBB764_167:
	s_or_b32 exec_lo, exec_lo, s1
	global_store_b16 v[0:1], v3, off offset:128
	s_and_b32 exec_lo, exec_lo, s15
	s_cbranch_execz .LBB764_210
; %bb.168:
	v_mov_b32_e32 v3, 0x7fc0
	s_and_saveexec_b32 s1, s0
	s_cbranch_execz .LBB764_170
; %bb.169:
	v_div_scale_f32 v3, null, v2, v2, v22
	s_delay_alu instid0(VALU_DEP_1) | instskip(SKIP_2) | instid1(VALU_DEP_1)
	v_rcp_f32_e32 v4, v3
	s_waitcnt_depctr 0xfff
	v_fma_f32 v6, -v3, v4, 1.0
	v_fmac_f32_e32 v4, v6, v4
	v_div_scale_f32 v6, vcc_lo, v22, v2, v22
	s_delay_alu instid0(VALU_DEP_1) | instskip(NEXT) | instid1(VALU_DEP_1)
	v_mul_f32_e32 v7, v6, v4
	v_fma_f32 v8, -v3, v7, v6
	s_delay_alu instid0(VALU_DEP_1) | instskip(NEXT) | instid1(VALU_DEP_1)
	v_fmac_f32_e32 v7, v8, v4
	v_fma_f32 v3, -v3, v7, v6
	s_delay_alu instid0(VALU_DEP_1) | instskip(NEXT) | instid1(VALU_DEP_1)
	v_div_fmas_f32 v3, v3, v4, v7
	v_div_fixup_f32 v3, v3, v2, v22
	s_delay_alu instid0(VALU_DEP_1) | instskip(SKIP_1) | instid1(VALU_DEP_2)
	v_bfe_u32 v4, v3, 16, 1
	v_cmp_o_f32_e32 vcc_lo, v3, v3
	v_add3_u32 v4, v3, v4, 0x7fff
	s_delay_alu instid0(VALU_DEP_1) | instskip(NEXT) | instid1(VALU_DEP_1)
	v_lshrrev_b32_e32 v4, 16, v4
	v_cndmask_b32_e32 v3, 0x7fc0, v4, vcc_lo
.LBB764_170:
	s_or_b32 exec_lo, exec_lo, s1
	global_store_b16 v[0:1], v3, off offset:256
	;; [unrolled: 33-line block ×15, first 2 shown]
.LBB764_210:
	s_nop 0
	s_sendmsg sendmsg(MSG_DEALLOC_VGPRS)
	s_endpgm
	.section	.rodata,"a",@progbits
	.p2align	6, 0x0
	.amdhsa_kernel _ZN12_GLOBAL__N_120softmax_warp_forwardIN3c108BFloat16ES2_fLi10ELb0ELb1ELi64EEEvPT0_PKT_iiiPKbib
		.amdhsa_group_segment_fixed_size 0
		.amdhsa_private_segment_fixed_size 0
		.amdhsa_kernarg_size 304
		.amdhsa_user_sgpr_count 15
		.amdhsa_user_sgpr_dispatch_ptr 0
		.amdhsa_user_sgpr_queue_ptr 0
		.amdhsa_user_sgpr_kernarg_segment_ptr 1
		.amdhsa_user_sgpr_dispatch_id 0
		.amdhsa_user_sgpr_private_segment_size 0
		.amdhsa_wavefront_size32 1
		.amdhsa_uses_dynamic_stack 0
		.amdhsa_enable_private_segment 0
		.amdhsa_system_sgpr_workgroup_id_x 1
		.amdhsa_system_sgpr_workgroup_id_y 0
		.amdhsa_system_sgpr_workgroup_id_z 0
		.amdhsa_system_sgpr_workgroup_info 0
		.amdhsa_system_vgpr_workitem_id 1
		.amdhsa_next_free_vgpr 33
		.amdhsa_next_free_sgpr 39
		.amdhsa_reserve_vcc 1
		.amdhsa_float_round_mode_32 0
		.amdhsa_float_round_mode_16_64 0
		.amdhsa_float_denorm_mode_32 3
		.amdhsa_float_denorm_mode_16_64 3
		.amdhsa_dx10_clamp 1
		.amdhsa_ieee_mode 1
		.amdhsa_fp16_overflow 0
		.amdhsa_workgroup_processor_mode 1
		.amdhsa_memory_ordered 1
		.amdhsa_forward_progress 0
		.amdhsa_shared_vgpr_count 0
		.amdhsa_exception_fp_ieee_invalid_op 0
		.amdhsa_exception_fp_denorm_src 0
		.amdhsa_exception_fp_ieee_div_zero 0
		.amdhsa_exception_fp_ieee_overflow 0
		.amdhsa_exception_fp_ieee_underflow 0
		.amdhsa_exception_fp_ieee_inexact 0
		.amdhsa_exception_int_div_zero 0
	.end_amdhsa_kernel
	.section	.text._ZN12_GLOBAL__N_120softmax_warp_forwardIN3c108BFloat16ES2_fLi10ELb0ELb1ELi64EEEvPT0_PKT_iiiPKbib,"axG",@progbits,_ZN12_GLOBAL__N_120softmax_warp_forwardIN3c108BFloat16ES2_fLi10ELb0ELb1ELi64EEEvPT0_PKT_iiiPKbib,comdat
.Lfunc_end764:
	.size	_ZN12_GLOBAL__N_120softmax_warp_forwardIN3c108BFloat16ES2_fLi10ELb0ELb1ELi64EEEvPT0_PKT_iiiPKbib, .Lfunc_end764-_ZN12_GLOBAL__N_120softmax_warp_forwardIN3c108BFloat16ES2_fLi10ELb0ELb1ELi64EEEvPT0_PKT_iiiPKbib
                                        ; -- End function
	.section	.AMDGPU.csdata,"",@progbits
; Kernel info:
; codeLenInByte = 9592
; NumSgprs: 41
; NumVgprs: 33
; ScratchSize: 0
; MemoryBound: 0
; FloatMode: 240
; IeeeMode: 1
; LDSByteSize: 0 bytes/workgroup (compile time only)
; SGPRBlocks: 5
; VGPRBlocks: 4
; NumSGPRsForWavesPerEU: 41
; NumVGPRsForWavesPerEU: 33
; Occupancy: 16
; WaveLimiterHint : 0
; COMPUTE_PGM_RSRC2:SCRATCH_EN: 0
; COMPUTE_PGM_RSRC2:USER_SGPR: 15
; COMPUTE_PGM_RSRC2:TRAP_HANDLER: 0
; COMPUTE_PGM_RSRC2:TGID_X_EN: 1
; COMPUTE_PGM_RSRC2:TGID_Y_EN: 0
; COMPUTE_PGM_RSRC2:TGID_Z_EN: 0
; COMPUTE_PGM_RSRC2:TIDIG_COMP_CNT: 1
	.section	.text._ZN12_GLOBAL__N_120softmax_warp_forwardIN3c108BFloat16ES2_fLi10ELb0ELb1ELi32EEEvPT0_PKT_iiiPKbib,"axG",@progbits,_ZN12_GLOBAL__N_120softmax_warp_forwardIN3c108BFloat16ES2_fLi10ELb0ELb1ELi32EEEvPT0_PKT_iiiPKbib,comdat
	.globl	_ZN12_GLOBAL__N_120softmax_warp_forwardIN3c108BFloat16ES2_fLi10ELb0ELb1ELi32EEEvPT0_PKT_iiiPKbib ; -- Begin function _ZN12_GLOBAL__N_120softmax_warp_forwardIN3c108BFloat16ES2_fLi10ELb0ELb1ELi32EEEvPT0_PKT_iiiPKbib
	.p2align	8
	.type	_ZN12_GLOBAL__N_120softmax_warp_forwardIN3c108BFloat16ES2_fLi10ELb0ELb1ELi32EEEvPT0_PKT_iiiPKbib,@function
_ZN12_GLOBAL__N_120softmax_warp_forwardIN3c108BFloat16ES2_fLi10ELb0ELb1ELi32EEEvPT0_PKT_iiiPKbib: ; @_ZN12_GLOBAL__N_120softmax_warp_forwardIN3c108BFloat16ES2_fLi10ELb0ELb1ELi32EEEvPT0_PKT_iiiPKbib
; %bb.0:
	s_clause 0x1
	s_load_b32 s2, s[0:1], 0x3c
	s_load_b128 s[40:43], s[0:1], 0x10
	v_bfe_u32 v3, v0, 10, 10
	s_waitcnt lgkmcnt(0)
	s_lshr_b32 s2, s2, 16
	s_delay_alu instid0(VALU_DEP_1) | instid1(SALU_CYCLE_1)
	v_mad_u64_u32 v[1:2], null, s15, s2, v[3:4]
	s_load_b64 s[2:3], s[0:1], 0x28
	v_and_b32_e32 v2, 0x3ff, v0
	s_delay_alu instid0(VALU_DEP_2) | instskip(NEXT) | instid1(VALU_DEP_1)
	v_mul_lo_u32 v7, v1, s41
	v_add_nc_u32_e32 v5, v7, v2
	s_delay_alu instid0(VALU_DEP_1) | instskip(SKIP_3) | instid1(VALU_DEP_2)
	v_ashrrev_i32_e32 v6, 31, v5
	v_mov_b32_e32 v3, v5
	s_waitcnt lgkmcnt(0)
	s_bitcmp0_b32 s3, 0
	v_mov_b32_e32 v4, v6
	s_cbranch_scc1 .LBB765_2
; %bb.1:
	s_abs_i32 s3, s2
	v_sub_nc_u32_e32 v4, 0, v7
	v_cvt_f32_u32_e32 v0, s3
	s_sub_i32 s4, 0, s3
	s_delay_alu instid0(VALU_DEP_2) | instskip(NEXT) | instid1(VALU_DEP_2)
	v_max_i32_e32 v4, v7, v4
	v_rcp_iflag_f32_e32 v0, v0
	s_waitcnt_depctr 0xfff
	v_mul_f32_e32 v0, 0x4f7ffffe, v0
	s_delay_alu instid0(VALU_DEP_1) | instskip(NEXT) | instid1(VALU_DEP_1)
	v_cvt_u32_f32_e32 v0, v0
	v_mul_lo_u32 v3, s4, v0
	s_delay_alu instid0(VALU_DEP_1) | instskip(NEXT) | instid1(VALU_DEP_1)
	v_mul_hi_u32 v3, v0, v3
	v_add_nc_u32_e32 v0, v0, v3
	s_delay_alu instid0(VALU_DEP_1) | instskip(NEXT) | instid1(VALU_DEP_1)
	v_mul_hi_u32 v0, v4, v0
	v_mul_lo_u32 v3, v0, s3
	s_delay_alu instid0(VALU_DEP_1) | instskip(SKIP_1) | instid1(VALU_DEP_2)
	v_sub_nc_u32_e32 v3, v4, v3
	v_add_nc_u32_e32 v4, 1, v0
	v_subrev_nc_u32_e32 v8, s3, v3
	v_cmp_le_u32_e32 vcc_lo, s3, v3
	s_delay_alu instid0(VALU_DEP_2) | instskip(NEXT) | instid1(VALU_DEP_4)
	v_cndmask_b32_e32 v3, v3, v8, vcc_lo
	v_cndmask_b32_e32 v0, v0, v4, vcc_lo
	v_xor_b32_e32 v4, s2, v7
	s_delay_alu instid0(VALU_DEP_3) | instskip(NEXT) | instid1(VALU_DEP_3)
	v_cmp_le_u32_e32 vcc_lo, s3, v3
	v_add_nc_u32_e32 v7, 1, v0
	s_delay_alu instid0(VALU_DEP_3) | instskip(NEXT) | instid1(VALU_DEP_2)
	v_ashrrev_i32_e32 v4, 31, v4
	v_cndmask_b32_e32 v0, v0, v7, vcc_lo
	s_delay_alu instid0(VALU_DEP_1) | instskip(NEXT) | instid1(VALU_DEP_1)
	v_xor_b32_e32 v0, v0, v4
	v_sub_nc_u32_e32 v0, v0, v4
	s_delay_alu instid0(VALU_DEP_1) | instskip(NEXT) | instid1(VALU_DEP_1)
	v_mad_u64_u32 v[3:4], null, v0, s41, v[2:3]
	v_ashrrev_i32_e32 v4, 31, v3
.LBB765_2:
	s_load_b128 s[36:39], s[0:1], 0x0
	v_sub_nc_u32_e32 v7, s40, v1
	v_lshlrev_b64 v[0:1], 1, v[5:6]
	v_cmp_gt_i32_e32 vcc_lo, s42, v2
	v_dual_mov_b32 v38, 0xff800000 :: v_dual_mov_b32 v39, 0xff800000
	s_delay_alu instid0(VALU_DEP_4) | instskip(NEXT) | instid1(VALU_DEP_1)
	v_cmp_lt_i32_e64 s34, 0, v7
	s_and_b32 s68, s34, vcc_lo
	s_waitcnt lgkmcnt(0)
	v_add_co_u32 v5, s2, s38, v0
	s_delay_alu instid0(VALU_DEP_1)
	v_add_co_ci_u32_e64 v6, s2, s39, v1, s2
	s_and_saveexec_b32 s2, s68
	s_cbranch_execz .LBB765_4
; %bb.3:
	global_load_u16 v8, v[5:6], off
	s_waitcnt vmcnt(0)
	v_lshlrev_b32_e32 v39, 16, v8
.LBB765_4:
	s_or_b32 exec_lo, exec_lo, s2
	v_add_nc_u32_e32 v8, 32, v2
	s_delay_alu instid0(VALU_DEP_1) | instskip(NEXT) | instid1(VALU_DEP_1)
	v_cmp_gt_i32_e64 s33, s42, v8
	s_and_b32 s67, s34, s33
	s_delay_alu instid0(SALU_CYCLE_1)
	s_and_saveexec_b32 s2, s67
	s_cbranch_execz .LBB765_6
; %bb.5:
	global_load_u16 v8, v[5:6], off offset:64
	s_waitcnt vmcnt(0)
	v_lshlrev_b32_e32 v38, 16, v8
.LBB765_6:
	s_or_b32 exec_lo, exec_lo, s2
	v_dual_mov_b32 v37, 0xff800000 :: v_dual_add_nc_u32 v8, 64, v2
	v_mov_b32_e32 v36, 0xff800000
	s_delay_alu instid0(VALU_DEP_2) | instskip(NEXT) | instid1(VALU_DEP_1)
	v_cmp_gt_i32_e64 s31, s42, v8
	s_and_b32 s66, s34, s31
	s_delay_alu instid0(SALU_CYCLE_1)
	s_and_saveexec_b32 s2, s66
	s_cbranch_execz .LBB765_8
; %bb.7:
	global_load_u16 v8, v[5:6], off offset:128
	s_waitcnt vmcnt(0)
	v_lshlrev_b32_e32 v37, 16, v8
.LBB765_8:
	s_or_b32 exec_lo, exec_lo, s2
	v_add_nc_u32_e32 v8, 0x60, v2
	s_delay_alu instid0(VALU_DEP_1) | instskip(NEXT) | instid1(VALU_DEP_1)
	v_cmp_gt_i32_e64 s30, s42, v8
	s_and_b32 s65, s34, s30
	s_delay_alu instid0(SALU_CYCLE_1)
	s_and_saveexec_b32 s2, s65
	s_cbranch_execz .LBB765_10
; %bb.9:
	global_load_u16 v8, v[5:6], off offset:192
	s_waitcnt vmcnt(0)
	v_lshlrev_b32_e32 v36, 16, v8
.LBB765_10:
	s_or_b32 exec_lo, exec_lo, s2
	v_add_nc_u32_e32 v8, 0x80, v2
	v_dual_mov_b32 v34, 0xff800000 :: v_dual_mov_b32 v35, 0xff800000
	s_delay_alu instid0(VALU_DEP_2) | instskip(NEXT) | instid1(VALU_DEP_1)
	v_cmp_gt_i32_e64 s29, s42, v8
	s_and_b32 s64, s34, s29
	s_delay_alu instid0(SALU_CYCLE_1)
	s_and_saveexec_b32 s2, s64
	s_cbranch_execz .LBB765_12
; %bb.11:
	global_load_u16 v8, v[5:6], off offset:256
	s_waitcnt vmcnt(0)
	v_lshlrev_b32_e32 v35, 16, v8
.LBB765_12:
	s_or_b32 exec_lo, exec_lo, s2
	v_add_nc_u32_e32 v8, 0xa0, v2
	s_delay_alu instid0(VALU_DEP_1) | instskip(NEXT) | instid1(VALU_DEP_1)
	v_cmp_gt_i32_e64 s28, s42, v8
	s_and_b32 s63, s34, s28
	s_delay_alu instid0(SALU_CYCLE_1)
	s_and_saveexec_b32 s2, s63
	s_cbranch_execz .LBB765_14
; %bb.13:
	global_load_u16 v8, v[5:6], off offset:320
	s_waitcnt vmcnt(0)
	v_lshlrev_b32_e32 v34, 16, v8
.LBB765_14:
	s_or_b32 exec_lo, exec_lo, s2
	v_add_nc_u32_e32 v8, 0xc0, v2
	v_dual_mov_b32 v32, 0xff800000 :: v_dual_mov_b32 v33, 0xff800000
	;; [unrolled: 27-line block ×13, first 2 shown]
	s_delay_alu instid0(VALU_DEP_2) | instskip(NEXT) | instid1(VALU_DEP_1)
	v_cmp_gt_i32_e64 s5, s42, v8
	s_and_b32 s39, s34, s5
	s_delay_alu instid0(SALU_CYCLE_1)
	s_and_saveexec_b32 s2, s39
	s_cbranch_execz .LBB765_60
; %bb.59:
	global_load_u16 v8, v[5:6], off offset:1792
	s_waitcnt vmcnt(0)
	v_lshlrev_b32_e32 v11, 16, v8
.LBB765_60:
	s_or_b32 exec_lo, exec_lo, s2
	v_add_nc_u32_e32 v8, 0x3a0, v2
	s_delay_alu instid0(VALU_DEP_1) | instskip(NEXT) | instid1(VALU_DEP_1)
	v_cmp_gt_i32_e64 s4, s42, v8
	s_and_b32 s38, s34, s4
	s_delay_alu instid0(SALU_CYCLE_1)
	s_and_saveexec_b32 s2, s38
	s_cbranch_execz .LBB765_62
; %bb.61:
	global_load_u16 v8, v[5:6], off offset:1856
	s_waitcnt vmcnt(0)
	v_lshlrev_b32_e32 v10, 16, v8
.LBB765_62:
	s_or_b32 exec_lo, exec_lo, s2
	v_add_nc_u32_e32 v8, 0x3c0, v2
	v_mov_b32_e32 v9, 0xff800000
	s_delay_alu instid0(VALU_DEP_2) | instskip(SKIP_1) | instid1(VALU_DEP_2)
	v_cmp_gt_i32_e64 s3, s42, v8
	v_mov_b32_e32 v8, 0xff800000
	s_and_b32 s35, s34, s3
	s_delay_alu instid0(SALU_CYCLE_1)
	s_and_saveexec_b32 s2, s35
	s_cbranch_execz .LBB765_64
; %bb.63:
	global_load_u16 v9, v[5:6], off offset:1920
	s_waitcnt vmcnt(0)
	v_lshlrev_b32_e32 v9, 16, v9
.LBB765_64:
	s_or_b32 exec_lo, exec_lo, s2
	v_add_nc_u32_e32 v2, 0x3e0, v2
	s_delay_alu instid0(VALU_DEP_1) | instskip(NEXT) | instid1(VALU_DEP_1)
	v_cmp_gt_i32_e64 s2, s42, v2
	s_and_b32 s34, s34, s2
	s_delay_alu instid0(SALU_CYCLE_1)
	s_and_saveexec_b32 s42, s34
	s_cbranch_execz .LBB765_66
; %bb.65:
	global_load_u16 v2, v[5:6], off offset:1984
	s_waitcnt vmcnt(0)
	v_lshlrev_b32_e32 v8, 16, v2
.LBB765_66:
	s_or_b32 exec_lo, exec_lo, s42
	s_load_b64 s[0:1], s[0:1], 0x20
	s_waitcnt lgkmcnt(0)
	v_add_co_u32 v2, s0, s0, v3
	s_delay_alu instid0(VALU_DEP_1)
	v_add_co_ci_u32_e64 v3, s0, s1, v4, s0
	s_mov_b32 s1, 0
	s_and_saveexec_b32 s42, s68
	s_cbranch_execnz .LBB765_98
; %bb.67:
	s_or_b32 exec_lo, exec_lo, s42
	v_mov_b32_e32 v4, v39
	s_and_saveexec_b32 s42, s67
	s_cbranch_execnz .LBB765_99
.LBB765_68:
	s_or_b32 exec_lo, exec_lo, s42
	s_and_saveexec_b32 s42, s66
	s_cbranch_execnz .LBB765_102
.LBB765_69:
	s_or_b32 exec_lo, exec_lo, s42
	s_and_saveexec_b32 s42, s65
	s_cbranch_execnz .LBB765_105
.LBB765_70:
	s_or_b32 exec_lo, exec_lo, s42
	s_and_saveexec_b32 s42, s64
	s_cbranch_execnz .LBB765_108
.LBB765_71:
	s_or_b32 exec_lo, exec_lo, s42
	s_and_saveexec_b32 s42, s63
	s_cbranch_execnz .LBB765_111
.LBB765_72:
	s_or_b32 exec_lo, exec_lo, s42
	s_and_saveexec_b32 s42, s62
	s_cbranch_execnz .LBB765_114
.LBB765_73:
	s_or_b32 exec_lo, exec_lo, s42
	s_and_saveexec_b32 s42, s61
	s_cbranch_execnz .LBB765_117
.LBB765_74:
	s_or_b32 exec_lo, exec_lo, s42
	s_and_saveexec_b32 s42, s60
	s_cbranch_execnz .LBB765_120
.LBB765_75:
	s_or_b32 exec_lo, exec_lo, s42
	s_and_saveexec_b32 s42, s59
	s_cbranch_execnz .LBB765_123
.LBB765_76:
	s_or_b32 exec_lo, exec_lo, s42
	s_and_saveexec_b32 s42, s58
	s_cbranch_execnz .LBB765_126
.LBB765_77:
	s_or_b32 exec_lo, exec_lo, s42
	s_and_saveexec_b32 s42, s57
	s_cbranch_execnz .LBB765_129
.LBB765_78:
	s_or_b32 exec_lo, exec_lo, s42
	s_and_saveexec_b32 s42, s56
	s_cbranch_execnz .LBB765_132
.LBB765_79:
	s_or_b32 exec_lo, exec_lo, s42
	s_and_saveexec_b32 s42, s55
	s_cbranch_execnz .LBB765_135
.LBB765_80:
	s_or_b32 exec_lo, exec_lo, s42
	s_and_saveexec_b32 s42, s54
	s_cbranch_execnz .LBB765_138
.LBB765_81:
	s_or_b32 exec_lo, exec_lo, s42
	s_and_saveexec_b32 s42, s53
	s_cbranch_execnz .LBB765_141
.LBB765_82:
	s_or_b32 exec_lo, exec_lo, s42
	s_and_saveexec_b32 s42, s52
	s_cbranch_execnz .LBB765_144
.LBB765_83:
	s_or_b32 exec_lo, exec_lo, s42
	s_and_saveexec_b32 s42, s51
	s_cbranch_execnz .LBB765_147
.LBB765_84:
	s_or_b32 exec_lo, exec_lo, s42
	s_and_saveexec_b32 s42, s50
	s_cbranch_execnz .LBB765_150
.LBB765_85:
	s_or_b32 exec_lo, exec_lo, s42
	s_and_saveexec_b32 s42, s49
	s_cbranch_execnz .LBB765_153
.LBB765_86:
	s_or_b32 exec_lo, exec_lo, s42
	s_and_saveexec_b32 s42, s48
	s_cbranch_execnz .LBB765_156
.LBB765_87:
	s_or_b32 exec_lo, exec_lo, s42
	s_and_saveexec_b32 s42, s47
	s_cbranch_execnz .LBB765_159
.LBB765_88:
	s_or_b32 exec_lo, exec_lo, s42
	s_and_saveexec_b32 s42, s46
	s_cbranch_execnz .LBB765_162
.LBB765_89:
	s_or_b32 exec_lo, exec_lo, s42
	s_and_saveexec_b32 s42, s45
	s_cbranch_execnz .LBB765_165
.LBB765_90:
	s_or_b32 exec_lo, exec_lo, s42
	s_and_saveexec_b32 s42, s44
	s_cbranch_execnz .LBB765_168
.LBB765_91:
	s_or_b32 exec_lo, exec_lo, s42
	s_and_saveexec_b32 s42, s43
	s_cbranch_execnz .LBB765_171
.LBB765_92:
	s_or_b32 exec_lo, exec_lo, s42
	s_and_saveexec_b32 s42, s41
	s_cbranch_execnz .LBB765_174
.LBB765_93:
	s_or_b32 exec_lo, exec_lo, s42
	s_and_saveexec_b32 s42, s40
	s_cbranch_execnz .LBB765_177
.LBB765_94:
	s_or_b32 exec_lo, exec_lo, s42
	s_and_saveexec_b32 s42, s39
	s_cbranch_execnz .LBB765_180
.LBB765_95:
	s_or_b32 exec_lo, exec_lo, s42
	s_and_saveexec_b32 s42, s38
	s_cbranch_execnz .LBB765_183
.LBB765_96:
	s_or_b32 exec_lo, exec_lo, s42
	s_and_saveexec_b32 s42, s35
	s_cbranch_execnz .LBB765_186
.LBB765_97:
	s_or_b32 exec_lo, exec_lo, s42
	s_and_saveexec_b32 s42, s34
	s_cbranch_execnz .LBB765_189
	s_branch .LBB765_192
.LBB765_98:
	global_load_u8 v4, v[2:3], off
	s_waitcnt vmcnt(0)
	v_and_b32_e32 v4, 1, v4
	s_delay_alu instid0(VALU_DEP_1) | instskip(NEXT) | instid1(VALU_DEP_1)
	v_cmp_eq_u32_e64 s0, 1, v4
	s_xor_b32 s0, s0, -1
	s_delay_alu instid0(SALU_CYCLE_1)
	s_and_b32 s1, s0, exec_lo
	s_or_b32 exec_lo, exec_lo, s42
	v_mov_b32_e32 v4, v39
	s_and_saveexec_b32 s42, s67
	s_cbranch_execz .LBB765_68
.LBB765_99:
	global_load_u8 v4, v[2:3], off offset:32
	s_waitcnt vmcnt(0)
	v_and_b32_e32 v4, 1, v4
	s_delay_alu instid0(VALU_DEP_1) | instskip(SKIP_1) | instid1(VALU_DEP_2)
	v_cmp_eq_u32_e64 s0, 1, v4
	v_mov_b32_e32 v4, v39
	s_xor_b32 s70, s0, -1
	s_mov_b32 s0, s1
	s_and_saveexec_b32 s69, s70
; %bb.100:
	v_cmp_gt_f32_e64 s0, v39, v38
	s_delay_alu instid0(VALU_DEP_1) | instskip(NEXT) | instid1(SALU_CYCLE_1)
	s_and_b32 s0, s1, s0
	v_cndmask_b32_e64 v4, v38, v39, s0
	s_or_b32 s0, s1, exec_lo
; %bb.101:
	s_or_b32 exec_lo, exec_lo, s69
	s_delay_alu instid0(SALU_CYCLE_1) | instskip(SKIP_1) | instid1(SALU_CYCLE_1)
	s_and_not1_b32 s1, s1, exec_lo
	s_and_b32 s0, s0, exec_lo
	s_or_b32 s1, s1, s0
	s_or_b32 exec_lo, exec_lo, s42
	s_and_saveexec_b32 s42, s66
	s_cbranch_execz .LBB765_69
.LBB765_102:
	global_load_u8 v5, v[2:3], off offset:64
	s_waitcnt vmcnt(0)
	v_and_b32_e32 v5, 1, v5
	s_delay_alu instid0(VALU_DEP_1) | instskip(NEXT) | instid1(VALU_DEP_1)
	v_cmp_eq_u32_e64 s0, 1, v5
	s_xor_b32 s70, s0, -1
	s_mov_b32 s0, s1
	s_and_saveexec_b32 s69, s70
; %bb.103:
	v_cmp_gt_f32_e64 s0, v4, v37
	s_delay_alu instid0(VALU_DEP_1) | instskip(NEXT) | instid1(SALU_CYCLE_1)
	s_and_b32 s0, s1, s0
	v_cndmask_b32_e64 v4, v37, v4, s0
	s_or_b32 s0, s1, exec_lo
; %bb.104:
	s_or_b32 exec_lo, exec_lo, s69
	s_delay_alu instid0(SALU_CYCLE_1) | instskip(SKIP_1) | instid1(SALU_CYCLE_1)
	s_and_not1_b32 s1, s1, exec_lo
	s_and_b32 s0, s0, exec_lo
	s_or_b32 s1, s1, s0
	s_or_b32 exec_lo, exec_lo, s42
	s_and_saveexec_b32 s42, s65
	s_cbranch_execz .LBB765_70
.LBB765_105:
	global_load_u8 v5, v[2:3], off offset:96
	s_waitcnt vmcnt(0)
	v_and_b32_e32 v5, 1, v5
	s_delay_alu instid0(VALU_DEP_1) | instskip(NEXT) | instid1(VALU_DEP_1)
	v_cmp_eq_u32_e64 s0, 1, v5
	s_xor_b32 s70, s0, -1
	s_mov_b32 s0, s1
	s_and_saveexec_b32 s69, s70
; %bb.106:
	v_cmp_gt_f32_e64 s0, v4, v36
	s_delay_alu instid0(VALU_DEP_1) | instskip(NEXT) | instid1(SALU_CYCLE_1)
	s_and_b32 s0, s1, s0
	v_cndmask_b32_e64 v4, v36, v4, s0
	s_or_b32 s0, s1, exec_lo
; %bb.107:
	s_or_b32 exec_lo, exec_lo, s69
	s_delay_alu instid0(SALU_CYCLE_1) | instskip(SKIP_1) | instid1(SALU_CYCLE_1)
	s_and_not1_b32 s1, s1, exec_lo
	s_and_b32 s0, s0, exec_lo
	s_or_b32 s1, s1, s0
	s_or_b32 exec_lo, exec_lo, s42
	s_and_saveexec_b32 s42, s64
	s_cbranch_execz .LBB765_71
.LBB765_108:
	global_load_u8 v5, v[2:3], off offset:128
	s_waitcnt vmcnt(0)
	v_and_b32_e32 v5, 1, v5
	s_delay_alu instid0(VALU_DEP_1) | instskip(NEXT) | instid1(VALU_DEP_1)
	v_cmp_eq_u32_e64 s0, 1, v5
	s_xor_b32 s70, s0, -1
	s_mov_b32 s0, s1
	s_and_saveexec_b32 s69, s70
; %bb.109:
	v_cmp_gt_f32_e64 s0, v4, v35
	s_delay_alu instid0(VALU_DEP_1) | instskip(NEXT) | instid1(SALU_CYCLE_1)
	s_and_b32 s0, s1, s0
	v_cndmask_b32_e64 v4, v35, v4, s0
	s_or_b32 s0, s1, exec_lo
; %bb.110:
	s_or_b32 exec_lo, exec_lo, s69
	s_delay_alu instid0(SALU_CYCLE_1) | instskip(SKIP_1) | instid1(SALU_CYCLE_1)
	s_and_not1_b32 s1, s1, exec_lo
	s_and_b32 s0, s0, exec_lo
	s_or_b32 s1, s1, s0
	s_or_b32 exec_lo, exec_lo, s42
	s_and_saveexec_b32 s42, s63
	s_cbranch_execz .LBB765_72
.LBB765_111:
	global_load_u8 v5, v[2:3], off offset:160
	s_waitcnt vmcnt(0)
	v_and_b32_e32 v5, 1, v5
	s_delay_alu instid0(VALU_DEP_1) | instskip(NEXT) | instid1(VALU_DEP_1)
	v_cmp_eq_u32_e64 s0, 1, v5
	s_xor_b32 s70, s0, -1
	s_mov_b32 s0, s1
	s_and_saveexec_b32 s69, s70
; %bb.112:
	v_cmp_gt_f32_e64 s0, v4, v34
	s_delay_alu instid0(VALU_DEP_1) | instskip(NEXT) | instid1(SALU_CYCLE_1)
	s_and_b32 s0, s1, s0
	v_cndmask_b32_e64 v4, v34, v4, s0
	s_or_b32 s0, s1, exec_lo
; %bb.113:
	s_or_b32 exec_lo, exec_lo, s69
	s_delay_alu instid0(SALU_CYCLE_1) | instskip(SKIP_1) | instid1(SALU_CYCLE_1)
	s_and_not1_b32 s1, s1, exec_lo
	s_and_b32 s0, s0, exec_lo
	s_or_b32 s1, s1, s0
	s_or_b32 exec_lo, exec_lo, s42
	s_and_saveexec_b32 s42, s62
	s_cbranch_execz .LBB765_73
.LBB765_114:
	global_load_u8 v5, v[2:3], off offset:192
	s_waitcnt vmcnt(0)
	v_and_b32_e32 v5, 1, v5
	s_delay_alu instid0(VALU_DEP_1) | instskip(NEXT) | instid1(VALU_DEP_1)
	v_cmp_eq_u32_e64 s0, 1, v5
	s_xor_b32 s70, s0, -1
	s_mov_b32 s0, s1
	s_and_saveexec_b32 s69, s70
; %bb.115:
	v_cmp_gt_f32_e64 s0, v4, v33
	s_delay_alu instid0(VALU_DEP_1) | instskip(NEXT) | instid1(SALU_CYCLE_1)
	s_and_b32 s0, s1, s0
	v_cndmask_b32_e64 v4, v33, v4, s0
	s_or_b32 s0, s1, exec_lo
; %bb.116:
	s_or_b32 exec_lo, exec_lo, s69
	s_delay_alu instid0(SALU_CYCLE_1) | instskip(SKIP_1) | instid1(SALU_CYCLE_1)
	s_and_not1_b32 s1, s1, exec_lo
	s_and_b32 s0, s0, exec_lo
	s_or_b32 s1, s1, s0
	s_or_b32 exec_lo, exec_lo, s42
	s_and_saveexec_b32 s42, s61
	s_cbranch_execz .LBB765_74
.LBB765_117:
	global_load_u8 v5, v[2:3], off offset:224
	s_waitcnt vmcnt(0)
	v_and_b32_e32 v5, 1, v5
	s_delay_alu instid0(VALU_DEP_1) | instskip(NEXT) | instid1(VALU_DEP_1)
	v_cmp_eq_u32_e64 s0, 1, v5
	s_xor_b32 s70, s0, -1
	s_mov_b32 s0, s1
	s_and_saveexec_b32 s69, s70
; %bb.118:
	v_cmp_gt_f32_e64 s0, v4, v32
	s_delay_alu instid0(VALU_DEP_1) | instskip(NEXT) | instid1(SALU_CYCLE_1)
	s_and_b32 s0, s1, s0
	v_cndmask_b32_e64 v4, v32, v4, s0
	s_or_b32 s0, s1, exec_lo
; %bb.119:
	s_or_b32 exec_lo, exec_lo, s69
	s_delay_alu instid0(SALU_CYCLE_1) | instskip(SKIP_1) | instid1(SALU_CYCLE_1)
	s_and_not1_b32 s1, s1, exec_lo
	s_and_b32 s0, s0, exec_lo
	s_or_b32 s1, s1, s0
	s_or_b32 exec_lo, exec_lo, s42
	s_and_saveexec_b32 s42, s60
	s_cbranch_execz .LBB765_75
.LBB765_120:
	global_load_u8 v5, v[2:3], off offset:256
	s_waitcnt vmcnt(0)
	v_and_b32_e32 v5, 1, v5
	s_delay_alu instid0(VALU_DEP_1) | instskip(NEXT) | instid1(VALU_DEP_1)
	v_cmp_eq_u32_e64 s0, 1, v5
	s_xor_b32 s70, s0, -1
	s_mov_b32 s0, s1
	s_and_saveexec_b32 s69, s70
; %bb.121:
	v_cmp_gt_f32_e64 s0, v4, v31
	s_delay_alu instid0(VALU_DEP_1) | instskip(NEXT) | instid1(SALU_CYCLE_1)
	s_and_b32 s0, s1, s0
	v_cndmask_b32_e64 v4, v31, v4, s0
	s_or_b32 s0, s1, exec_lo
; %bb.122:
	s_or_b32 exec_lo, exec_lo, s69
	s_delay_alu instid0(SALU_CYCLE_1) | instskip(SKIP_1) | instid1(SALU_CYCLE_1)
	s_and_not1_b32 s1, s1, exec_lo
	s_and_b32 s0, s0, exec_lo
	s_or_b32 s1, s1, s0
	s_or_b32 exec_lo, exec_lo, s42
	s_and_saveexec_b32 s42, s59
	s_cbranch_execz .LBB765_76
.LBB765_123:
	global_load_u8 v5, v[2:3], off offset:288
	s_waitcnt vmcnt(0)
	v_and_b32_e32 v5, 1, v5
	s_delay_alu instid0(VALU_DEP_1) | instskip(NEXT) | instid1(VALU_DEP_1)
	v_cmp_eq_u32_e64 s0, 1, v5
	s_xor_b32 s70, s0, -1
	s_mov_b32 s0, s1
	s_and_saveexec_b32 s69, s70
; %bb.124:
	v_cmp_gt_f32_e64 s0, v4, v30
	s_delay_alu instid0(VALU_DEP_1) | instskip(NEXT) | instid1(SALU_CYCLE_1)
	s_and_b32 s0, s1, s0
	v_cndmask_b32_e64 v4, v30, v4, s0
	s_or_b32 s0, s1, exec_lo
; %bb.125:
	s_or_b32 exec_lo, exec_lo, s69
	s_delay_alu instid0(SALU_CYCLE_1) | instskip(SKIP_1) | instid1(SALU_CYCLE_1)
	s_and_not1_b32 s1, s1, exec_lo
	s_and_b32 s0, s0, exec_lo
	s_or_b32 s1, s1, s0
	s_or_b32 exec_lo, exec_lo, s42
	s_and_saveexec_b32 s42, s58
	s_cbranch_execz .LBB765_77
.LBB765_126:
	global_load_u8 v5, v[2:3], off offset:320
	s_waitcnt vmcnt(0)
	v_and_b32_e32 v5, 1, v5
	s_delay_alu instid0(VALU_DEP_1) | instskip(NEXT) | instid1(VALU_DEP_1)
	v_cmp_eq_u32_e64 s0, 1, v5
	s_xor_b32 s70, s0, -1
	s_mov_b32 s0, s1
	s_and_saveexec_b32 s69, s70
; %bb.127:
	v_cmp_gt_f32_e64 s0, v4, v29
	s_delay_alu instid0(VALU_DEP_1) | instskip(NEXT) | instid1(SALU_CYCLE_1)
	s_and_b32 s0, s1, s0
	v_cndmask_b32_e64 v4, v29, v4, s0
	s_or_b32 s0, s1, exec_lo
; %bb.128:
	s_or_b32 exec_lo, exec_lo, s69
	s_delay_alu instid0(SALU_CYCLE_1) | instskip(SKIP_1) | instid1(SALU_CYCLE_1)
	s_and_not1_b32 s1, s1, exec_lo
	s_and_b32 s0, s0, exec_lo
	s_or_b32 s1, s1, s0
	s_or_b32 exec_lo, exec_lo, s42
	s_and_saveexec_b32 s42, s57
	s_cbranch_execz .LBB765_78
.LBB765_129:
	global_load_u8 v5, v[2:3], off offset:352
	s_waitcnt vmcnt(0)
	v_and_b32_e32 v5, 1, v5
	s_delay_alu instid0(VALU_DEP_1) | instskip(NEXT) | instid1(VALU_DEP_1)
	v_cmp_eq_u32_e64 s0, 1, v5
	s_xor_b32 s70, s0, -1
	s_mov_b32 s0, s1
	s_and_saveexec_b32 s69, s70
; %bb.130:
	v_cmp_gt_f32_e64 s0, v4, v28
	s_delay_alu instid0(VALU_DEP_1) | instskip(NEXT) | instid1(SALU_CYCLE_1)
	s_and_b32 s0, s1, s0
	v_cndmask_b32_e64 v4, v28, v4, s0
	s_or_b32 s0, s1, exec_lo
; %bb.131:
	s_or_b32 exec_lo, exec_lo, s69
	s_delay_alu instid0(SALU_CYCLE_1) | instskip(SKIP_1) | instid1(SALU_CYCLE_1)
	s_and_not1_b32 s1, s1, exec_lo
	s_and_b32 s0, s0, exec_lo
	s_or_b32 s1, s1, s0
	s_or_b32 exec_lo, exec_lo, s42
	s_and_saveexec_b32 s42, s56
	s_cbranch_execz .LBB765_79
.LBB765_132:
	global_load_u8 v5, v[2:3], off offset:384
	s_waitcnt vmcnt(0)
	v_and_b32_e32 v5, 1, v5
	s_delay_alu instid0(VALU_DEP_1) | instskip(NEXT) | instid1(VALU_DEP_1)
	v_cmp_eq_u32_e64 s0, 1, v5
	s_xor_b32 s70, s0, -1
	s_mov_b32 s0, s1
	s_and_saveexec_b32 s69, s70
; %bb.133:
	v_cmp_gt_f32_e64 s0, v4, v27
	s_delay_alu instid0(VALU_DEP_1) | instskip(NEXT) | instid1(SALU_CYCLE_1)
	s_and_b32 s0, s1, s0
	v_cndmask_b32_e64 v4, v27, v4, s0
	s_or_b32 s0, s1, exec_lo
; %bb.134:
	s_or_b32 exec_lo, exec_lo, s69
	s_delay_alu instid0(SALU_CYCLE_1) | instskip(SKIP_1) | instid1(SALU_CYCLE_1)
	s_and_not1_b32 s1, s1, exec_lo
	s_and_b32 s0, s0, exec_lo
	s_or_b32 s1, s1, s0
	s_or_b32 exec_lo, exec_lo, s42
	s_and_saveexec_b32 s42, s55
	s_cbranch_execz .LBB765_80
.LBB765_135:
	global_load_u8 v5, v[2:3], off offset:416
	s_waitcnt vmcnt(0)
	v_and_b32_e32 v5, 1, v5
	s_delay_alu instid0(VALU_DEP_1) | instskip(NEXT) | instid1(VALU_DEP_1)
	v_cmp_eq_u32_e64 s0, 1, v5
	s_xor_b32 s70, s0, -1
	s_mov_b32 s0, s1
	s_and_saveexec_b32 s69, s70
; %bb.136:
	v_cmp_gt_f32_e64 s0, v4, v26
	s_delay_alu instid0(VALU_DEP_1) | instskip(NEXT) | instid1(SALU_CYCLE_1)
	s_and_b32 s0, s1, s0
	v_cndmask_b32_e64 v4, v26, v4, s0
	s_or_b32 s0, s1, exec_lo
; %bb.137:
	s_or_b32 exec_lo, exec_lo, s69
	s_delay_alu instid0(SALU_CYCLE_1) | instskip(SKIP_1) | instid1(SALU_CYCLE_1)
	s_and_not1_b32 s1, s1, exec_lo
	s_and_b32 s0, s0, exec_lo
	s_or_b32 s1, s1, s0
	s_or_b32 exec_lo, exec_lo, s42
	s_and_saveexec_b32 s42, s54
	s_cbranch_execz .LBB765_81
.LBB765_138:
	global_load_u8 v5, v[2:3], off offset:448
	s_waitcnt vmcnt(0)
	v_and_b32_e32 v5, 1, v5
	s_delay_alu instid0(VALU_DEP_1) | instskip(NEXT) | instid1(VALU_DEP_1)
	v_cmp_eq_u32_e64 s0, 1, v5
	s_xor_b32 s70, s0, -1
	s_mov_b32 s0, s1
	s_and_saveexec_b32 s69, s70
; %bb.139:
	v_cmp_gt_f32_e64 s0, v4, v25
	s_delay_alu instid0(VALU_DEP_1) | instskip(NEXT) | instid1(SALU_CYCLE_1)
	s_and_b32 s0, s1, s0
	v_cndmask_b32_e64 v4, v25, v4, s0
	s_or_b32 s0, s1, exec_lo
; %bb.140:
	s_or_b32 exec_lo, exec_lo, s69
	s_delay_alu instid0(SALU_CYCLE_1) | instskip(SKIP_1) | instid1(SALU_CYCLE_1)
	s_and_not1_b32 s1, s1, exec_lo
	s_and_b32 s0, s0, exec_lo
	s_or_b32 s1, s1, s0
	s_or_b32 exec_lo, exec_lo, s42
	s_and_saveexec_b32 s42, s53
	s_cbranch_execz .LBB765_82
.LBB765_141:
	global_load_u8 v5, v[2:3], off offset:480
	s_waitcnt vmcnt(0)
	v_and_b32_e32 v5, 1, v5
	s_delay_alu instid0(VALU_DEP_1) | instskip(NEXT) | instid1(VALU_DEP_1)
	v_cmp_eq_u32_e64 s0, 1, v5
	s_xor_b32 s70, s0, -1
	s_mov_b32 s0, s1
	s_and_saveexec_b32 s69, s70
; %bb.142:
	v_cmp_gt_f32_e64 s0, v4, v24
	s_delay_alu instid0(VALU_DEP_1) | instskip(NEXT) | instid1(SALU_CYCLE_1)
	s_and_b32 s0, s1, s0
	v_cndmask_b32_e64 v4, v24, v4, s0
	s_or_b32 s0, s1, exec_lo
; %bb.143:
	s_or_b32 exec_lo, exec_lo, s69
	s_delay_alu instid0(SALU_CYCLE_1) | instskip(SKIP_1) | instid1(SALU_CYCLE_1)
	s_and_not1_b32 s1, s1, exec_lo
	s_and_b32 s0, s0, exec_lo
	s_or_b32 s1, s1, s0
	s_or_b32 exec_lo, exec_lo, s42
	s_and_saveexec_b32 s42, s52
	s_cbranch_execz .LBB765_83
.LBB765_144:
	global_load_u8 v5, v[2:3], off offset:512
	s_waitcnt vmcnt(0)
	v_and_b32_e32 v5, 1, v5
	s_delay_alu instid0(VALU_DEP_1) | instskip(NEXT) | instid1(VALU_DEP_1)
	v_cmp_eq_u32_e64 s0, 1, v5
	s_xor_b32 s70, s0, -1
	s_mov_b32 s0, s1
	s_and_saveexec_b32 s69, s70
; %bb.145:
	v_cmp_gt_f32_e64 s0, v4, v23
	s_delay_alu instid0(VALU_DEP_1) | instskip(NEXT) | instid1(SALU_CYCLE_1)
	s_and_b32 s0, s1, s0
	v_cndmask_b32_e64 v4, v23, v4, s0
	s_or_b32 s0, s1, exec_lo
; %bb.146:
	s_or_b32 exec_lo, exec_lo, s69
	s_delay_alu instid0(SALU_CYCLE_1) | instskip(SKIP_1) | instid1(SALU_CYCLE_1)
	s_and_not1_b32 s1, s1, exec_lo
	s_and_b32 s0, s0, exec_lo
	s_or_b32 s1, s1, s0
	s_or_b32 exec_lo, exec_lo, s42
	s_and_saveexec_b32 s42, s51
	s_cbranch_execz .LBB765_84
.LBB765_147:
	global_load_u8 v5, v[2:3], off offset:544
	s_waitcnt vmcnt(0)
	v_and_b32_e32 v5, 1, v5
	s_delay_alu instid0(VALU_DEP_1) | instskip(NEXT) | instid1(VALU_DEP_1)
	v_cmp_eq_u32_e64 s0, 1, v5
	s_xor_b32 s70, s0, -1
	s_mov_b32 s0, s1
	s_and_saveexec_b32 s69, s70
; %bb.148:
	v_cmp_gt_f32_e64 s0, v4, v22
	s_delay_alu instid0(VALU_DEP_1) | instskip(NEXT) | instid1(SALU_CYCLE_1)
	s_and_b32 s0, s1, s0
	v_cndmask_b32_e64 v4, v22, v4, s0
	s_or_b32 s0, s1, exec_lo
; %bb.149:
	s_or_b32 exec_lo, exec_lo, s69
	s_delay_alu instid0(SALU_CYCLE_1) | instskip(SKIP_1) | instid1(SALU_CYCLE_1)
	s_and_not1_b32 s1, s1, exec_lo
	s_and_b32 s0, s0, exec_lo
	s_or_b32 s1, s1, s0
	s_or_b32 exec_lo, exec_lo, s42
	s_and_saveexec_b32 s42, s50
	s_cbranch_execz .LBB765_85
.LBB765_150:
	global_load_u8 v5, v[2:3], off offset:576
	s_waitcnt vmcnt(0)
	v_and_b32_e32 v5, 1, v5
	s_delay_alu instid0(VALU_DEP_1) | instskip(NEXT) | instid1(VALU_DEP_1)
	v_cmp_eq_u32_e64 s0, 1, v5
	s_xor_b32 s70, s0, -1
	s_mov_b32 s0, s1
	s_and_saveexec_b32 s69, s70
; %bb.151:
	v_cmp_gt_f32_e64 s0, v4, v21
	s_delay_alu instid0(VALU_DEP_1) | instskip(NEXT) | instid1(SALU_CYCLE_1)
	s_and_b32 s0, s1, s0
	v_cndmask_b32_e64 v4, v21, v4, s0
	s_or_b32 s0, s1, exec_lo
; %bb.152:
	s_or_b32 exec_lo, exec_lo, s69
	s_delay_alu instid0(SALU_CYCLE_1) | instskip(SKIP_1) | instid1(SALU_CYCLE_1)
	s_and_not1_b32 s1, s1, exec_lo
	s_and_b32 s0, s0, exec_lo
	s_or_b32 s1, s1, s0
	s_or_b32 exec_lo, exec_lo, s42
	s_and_saveexec_b32 s42, s49
	s_cbranch_execz .LBB765_86
.LBB765_153:
	global_load_u8 v5, v[2:3], off offset:608
	s_waitcnt vmcnt(0)
	v_and_b32_e32 v5, 1, v5
	s_delay_alu instid0(VALU_DEP_1) | instskip(NEXT) | instid1(VALU_DEP_1)
	v_cmp_eq_u32_e64 s0, 1, v5
	s_xor_b32 s70, s0, -1
	s_mov_b32 s0, s1
	s_and_saveexec_b32 s69, s70
; %bb.154:
	v_cmp_gt_f32_e64 s0, v4, v20
	s_delay_alu instid0(VALU_DEP_1) | instskip(NEXT) | instid1(SALU_CYCLE_1)
	s_and_b32 s0, s1, s0
	v_cndmask_b32_e64 v4, v20, v4, s0
	s_or_b32 s0, s1, exec_lo
; %bb.155:
	s_or_b32 exec_lo, exec_lo, s69
	s_delay_alu instid0(SALU_CYCLE_1) | instskip(SKIP_1) | instid1(SALU_CYCLE_1)
	s_and_not1_b32 s1, s1, exec_lo
	s_and_b32 s0, s0, exec_lo
	s_or_b32 s1, s1, s0
	s_or_b32 exec_lo, exec_lo, s42
	s_and_saveexec_b32 s42, s48
	s_cbranch_execz .LBB765_87
.LBB765_156:
	global_load_u8 v5, v[2:3], off offset:640
	s_waitcnt vmcnt(0)
	v_and_b32_e32 v5, 1, v5
	s_delay_alu instid0(VALU_DEP_1) | instskip(NEXT) | instid1(VALU_DEP_1)
	v_cmp_eq_u32_e64 s0, 1, v5
	s_xor_b32 s70, s0, -1
	s_mov_b32 s0, s1
	s_and_saveexec_b32 s69, s70
; %bb.157:
	v_cmp_gt_f32_e64 s0, v4, v19
	s_delay_alu instid0(VALU_DEP_1) | instskip(NEXT) | instid1(SALU_CYCLE_1)
	s_and_b32 s0, s1, s0
	v_cndmask_b32_e64 v4, v19, v4, s0
	s_or_b32 s0, s1, exec_lo
; %bb.158:
	s_or_b32 exec_lo, exec_lo, s69
	s_delay_alu instid0(SALU_CYCLE_1) | instskip(SKIP_1) | instid1(SALU_CYCLE_1)
	s_and_not1_b32 s1, s1, exec_lo
	s_and_b32 s0, s0, exec_lo
	s_or_b32 s1, s1, s0
	s_or_b32 exec_lo, exec_lo, s42
	s_and_saveexec_b32 s42, s47
	s_cbranch_execz .LBB765_88
.LBB765_159:
	global_load_u8 v5, v[2:3], off offset:672
	s_waitcnt vmcnt(0)
	v_and_b32_e32 v5, 1, v5
	s_delay_alu instid0(VALU_DEP_1) | instskip(NEXT) | instid1(VALU_DEP_1)
	v_cmp_eq_u32_e64 s0, 1, v5
	s_xor_b32 s70, s0, -1
	s_mov_b32 s0, s1
	s_and_saveexec_b32 s69, s70
; %bb.160:
	v_cmp_gt_f32_e64 s0, v4, v18
	s_delay_alu instid0(VALU_DEP_1) | instskip(NEXT) | instid1(SALU_CYCLE_1)
	s_and_b32 s0, s1, s0
	v_cndmask_b32_e64 v4, v18, v4, s0
	s_or_b32 s0, s1, exec_lo
; %bb.161:
	s_or_b32 exec_lo, exec_lo, s69
	s_delay_alu instid0(SALU_CYCLE_1) | instskip(SKIP_1) | instid1(SALU_CYCLE_1)
	s_and_not1_b32 s1, s1, exec_lo
	s_and_b32 s0, s0, exec_lo
	s_or_b32 s1, s1, s0
	s_or_b32 exec_lo, exec_lo, s42
	s_and_saveexec_b32 s42, s46
	s_cbranch_execz .LBB765_89
.LBB765_162:
	global_load_u8 v5, v[2:3], off offset:704
	s_waitcnt vmcnt(0)
	v_and_b32_e32 v5, 1, v5
	s_delay_alu instid0(VALU_DEP_1) | instskip(NEXT) | instid1(VALU_DEP_1)
	v_cmp_eq_u32_e64 s0, 1, v5
	s_xor_b32 s70, s0, -1
	s_mov_b32 s0, s1
	s_and_saveexec_b32 s69, s70
; %bb.163:
	v_cmp_gt_f32_e64 s0, v4, v17
	s_delay_alu instid0(VALU_DEP_1) | instskip(NEXT) | instid1(SALU_CYCLE_1)
	s_and_b32 s0, s1, s0
	v_cndmask_b32_e64 v4, v17, v4, s0
	s_or_b32 s0, s1, exec_lo
; %bb.164:
	s_or_b32 exec_lo, exec_lo, s69
	s_delay_alu instid0(SALU_CYCLE_1) | instskip(SKIP_1) | instid1(SALU_CYCLE_1)
	s_and_not1_b32 s1, s1, exec_lo
	s_and_b32 s0, s0, exec_lo
	s_or_b32 s1, s1, s0
	s_or_b32 exec_lo, exec_lo, s42
	s_and_saveexec_b32 s42, s45
	s_cbranch_execz .LBB765_90
.LBB765_165:
	global_load_u8 v5, v[2:3], off offset:736
	s_waitcnt vmcnt(0)
	v_and_b32_e32 v5, 1, v5
	s_delay_alu instid0(VALU_DEP_1) | instskip(NEXT) | instid1(VALU_DEP_1)
	v_cmp_eq_u32_e64 s0, 1, v5
	s_xor_b32 s70, s0, -1
	s_mov_b32 s0, s1
	s_and_saveexec_b32 s69, s70
; %bb.166:
	v_cmp_gt_f32_e64 s0, v4, v16
	s_delay_alu instid0(VALU_DEP_1) | instskip(NEXT) | instid1(SALU_CYCLE_1)
	s_and_b32 s0, s1, s0
	v_cndmask_b32_e64 v4, v16, v4, s0
	s_or_b32 s0, s1, exec_lo
; %bb.167:
	s_or_b32 exec_lo, exec_lo, s69
	s_delay_alu instid0(SALU_CYCLE_1) | instskip(SKIP_1) | instid1(SALU_CYCLE_1)
	s_and_not1_b32 s1, s1, exec_lo
	s_and_b32 s0, s0, exec_lo
	s_or_b32 s1, s1, s0
	s_or_b32 exec_lo, exec_lo, s42
	s_and_saveexec_b32 s42, s44
	s_cbranch_execz .LBB765_91
.LBB765_168:
	global_load_u8 v5, v[2:3], off offset:768
	s_waitcnt vmcnt(0)
	v_and_b32_e32 v5, 1, v5
	s_delay_alu instid0(VALU_DEP_1) | instskip(NEXT) | instid1(VALU_DEP_1)
	v_cmp_eq_u32_e64 s0, 1, v5
	s_xor_b32 s70, s0, -1
	s_mov_b32 s0, s1
	s_and_saveexec_b32 s69, s70
; %bb.169:
	v_cmp_gt_f32_e64 s0, v4, v15
	s_delay_alu instid0(VALU_DEP_1) | instskip(NEXT) | instid1(SALU_CYCLE_1)
	s_and_b32 s0, s1, s0
	v_cndmask_b32_e64 v4, v15, v4, s0
	s_or_b32 s0, s1, exec_lo
; %bb.170:
	s_or_b32 exec_lo, exec_lo, s69
	s_delay_alu instid0(SALU_CYCLE_1) | instskip(SKIP_1) | instid1(SALU_CYCLE_1)
	s_and_not1_b32 s1, s1, exec_lo
	s_and_b32 s0, s0, exec_lo
	s_or_b32 s1, s1, s0
	s_or_b32 exec_lo, exec_lo, s42
	s_and_saveexec_b32 s42, s43
	s_cbranch_execz .LBB765_92
.LBB765_171:
	global_load_u8 v5, v[2:3], off offset:800
	s_waitcnt vmcnt(0)
	v_and_b32_e32 v5, 1, v5
	s_delay_alu instid0(VALU_DEP_1) | instskip(NEXT) | instid1(VALU_DEP_1)
	v_cmp_eq_u32_e64 s0, 1, v5
	s_xor_b32 s70, s0, -1
	s_mov_b32 s0, s1
	s_and_saveexec_b32 s69, s70
; %bb.172:
	v_cmp_gt_f32_e64 s0, v4, v14
	s_delay_alu instid0(VALU_DEP_1) | instskip(NEXT) | instid1(SALU_CYCLE_1)
	s_and_b32 s0, s1, s0
	v_cndmask_b32_e64 v4, v14, v4, s0
	s_or_b32 s0, s1, exec_lo
; %bb.173:
	s_or_b32 exec_lo, exec_lo, s69
	s_delay_alu instid0(SALU_CYCLE_1) | instskip(SKIP_1) | instid1(SALU_CYCLE_1)
	s_and_not1_b32 s1, s1, exec_lo
	s_and_b32 s0, s0, exec_lo
	s_or_b32 s1, s1, s0
	s_or_b32 exec_lo, exec_lo, s42
	s_and_saveexec_b32 s42, s41
	s_cbranch_execz .LBB765_93
.LBB765_174:
	global_load_u8 v5, v[2:3], off offset:832
	s_waitcnt vmcnt(0)
	v_and_b32_e32 v5, 1, v5
	s_delay_alu instid0(VALU_DEP_1) | instskip(NEXT) | instid1(VALU_DEP_1)
	v_cmp_eq_u32_e64 s0, 1, v5
	s_xor_b32 s70, s0, -1
	s_mov_b32 s0, s1
	s_and_saveexec_b32 s69, s70
; %bb.175:
	v_cmp_gt_f32_e64 s0, v4, v13
	s_delay_alu instid0(VALU_DEP_1) | instskip(NEXT) | instid1(SALU_CYCLE_1)
	s_and_b32 s0, s1, s0
	v_cndmask_b32_e64 v4, v13, v4, s0
	s_or_b32 s0, s1, exec_lo
; %bb.176:
	s_or_b32 exec_lo, exec_lo, s69
	s_delay_alu instid0(SALU_CYCLE_1) | instskip(SKIP_1) | instid1(SALU_CYCLE_1)
	s_and_not1_b32 s1, s1, exec_lo
	s_and_b32 s0, s0, exec_lo
	s_or_b32 s1, s1, s0
	s_or_b32 exec_lo, exec_lo, s42
	s_and_saveexec_b32 s42, s40
	s_cbranch_execz .LBB765_94
.LBB765_177:
	global_load_u8 v5, v[2:3], off offset:864
	s_waitcnt vmcnt(0)
	v_and_b32_e32 v5, 1, v5
	s_delay_alu instid0(VALU_DEP_1) | instskip(NEXT) | instid1(VALU_DEP_1)
	v_cmp_eq_u32_e64 s0, 1, v5
	s_xor_b32 s70, s0, -1
	s_mov_b32 s0, s1
	s_and_saveexec_b32 s69, s70
; %bb.178:
	v_cmp_gt_f32_e64 s0, v4, v12
	s_delay_alu instid0(VALU_DEP_1) | instskip(NEXT) | instid1(SALU_CYCLE_1)
	s_and_b32 s0, s1, s0
	v_cndmask_b32_e64 v4, v12, v4, s0
	s_or_b32 s0, s1, exec_lo
; %bb.179:
	s_or_b32 exec_lo, exec_lo, s69
	s_delay_alu instid0(SALU_CYCLE_1) | instskip(SKIP_1) | instid1(SALU_CYCLE_1)
	s_and_not1_b32 s1, s1, exec_lo
	s_and_b32 s0, s0, exec_lo
	s_or_b32 s1, s1, s0
	s_or_b32 exec_lo, exec_lo, s42
	s_and_saveexec_b32 s42, s39
	s_cbranch_execz .LBB765_95
.LBB765_180:
	global_load_u8 v5, v[2:3], off offset:896
	s_waitcnt vmcnt(0)
	v_and_b32_e32 v5, 1, v5
	s_delay_alu instid0(VALU_DEP_1) | instskip(NEXT) | instid1(VALU_DEP_1)
	v_cmp_eq_u32_e64 s0, 1, v5
	s_xor_b32 s70, s0, -1
	s_mov_b32 s0, s1
	s_and_saveexec_b32 s69, s70
; %bb.181:
	v_cmp_gt_f32_e64 s0, v4, v11
	s_delay_alu instid0(VALU_DEP_1) | instskip(NEXT) | instid1(SALU_CYCLE_1)
	s_and_b32 s0, s1, s0
	v_cndmask_b32_e64 v4, v11, v4, s0
	s_or_b32 s0, s1, exec_lo
; %bb.182:
	s_or_b32 exec_lo, exec_lo, s69
	s_delay_alu instid0(SALU_CYCLE_1) | instskip(SKIP_1) | instid1(SALU_CYCLE_1)
	s_and_not1_b32 s1, s1, exec_lo
	s_and_b32 s0, s0, exec_lo
	s_or_b32 s1, s1, s0
	s_or_b32 exec_lo, exec_lo, s42
	s_and_saveexec_b32 s42, s38
	s_cbranch_execz .LBB765_96
.LBB765_183:
	global_load_u8 v5, v[2:3], off offset:928
	s_waitcnt vmcnt(0)
	v_and_b32_e32 v5, 1, v5
	s_delay_alu instid0(VALU_DEP_1) | instskip(NEXT) | instid1(VALU_DEP_1)
	v_cmp_eq_u32_e64 s0, 1, v5
	s_xor_b32 s70, s0, -1
	s_mov_b32 s0, s1
	s_and_saveexec_b32 s69, s70
; %bb.184:
	v_cmp_gt_f32_e64 s0, v4, v10
	s_delay_alu instid0(VALU_DEP_1) | instskip(NEXT) | instid1(SALU_CYCLE_1)
	s_and_b32 s0, s1, s0
	v_cndmask_b32_e64 v4, v10, v4, s0
	s_or_b32 s0, s1, exec_lo
; %bb.185:
	s_or_b32 exec_lo, exec_lo, s69
	s_delay_alu instid0(SALU_CYCLE_1) | instskip(SKIP_1) | instid1(SALU_CYCLE_1)
	s_and_not1_b32 s1, s1, exec_lo
	s_and_b32 s0, s0, exec_lo
	s_or_b32 s1, s1, s0
	s_or_b32 exec_lo, exec_lo, s42
	s_and_saveexec_b32 s42, s35
	s_cbranch_execz .LBB765_97
.LBB765_186:
	global_load_u8 v5, v[2:3], off offset:960
	s_waitcnt vmcnt(0)
	v_and_b32_e32 v5, 1, v5
	s_delay_alu instid0(VALU_DEP_1) | instskip(NEXT) | instid1(VALU_DEP_1)
	v_cmp_eq_u32_e64 s0, 1, v5
	s_xor_b32 s70, s0, -1
	s_mov_b32 s0, s1
	s_and_saveexec_b32 s69, s70
; %bb.187:
	v_cmp_gt_f32_e64 s0, v4, v9
	s_delay_alu instid0(VALU_DEP_1) | instskip(NEXT) | instid1(SALU_CYCLE_1)
	s_and_b32 s0, s1, s0
	v_cndmask_b32_e64 v4, v9, v4, s0
	s_or_b32 s0, s1, exec_lo
; %bb.188:
	s_or_b32 exec_lo, exec_lo, s69
	s_delay_alu instid0(SALU_CYCLE_1) | instskip(SKIP_1) | instid1(SALU_CYCLE_1)
	s_and_not1_b32 s1, s1, exec_lo
	s_and_b32 s0, s0, exec_lo
	s_or_b32 s1, s1, s0
	s_or_b32 exec_lo, exec_lo, s42
	s_and_saveexec_b32 s42, s34
	s_cbranch_execz .LBB765_192
.LBB765_189:
	global_load_u8 v5, v[2:3], off offset:992
	s_waitcnt vmcnt(0)
	v_and_b32_e32 v5, 1, v5
	s_delay_alu instid0(VALU_DEP_1) | instskip(NEXT) | instid1(VALU_DEP_1)
	v_cmp_eq_u32_e64 s0, 1, v5
	s_xor_b32 s70, s0, -1
	s_mov_b32 s0, s1
	s_and_saveexec_b32 s69, s70
; %bb.190:
	v_cmp_gt_f32_e64 s0, v4, v8
	s_delay_alu instid0(VALU_DEP_1) | instskip(NEXT) | instid1(SALU_CYCLE_1)
	s_and_b32 s0, s1, s0
	v_cndmask_b32_e64 v4, v8, v4, s0
	s_or_b32 s0, s1, exec_lo
; %bb.191:
	s_or_b32 exec_lo, exec_lo, s69
	s_delay_alu instid0(SALU_CYCLE_1) | instskip(SKIP_1) | instid1(SALU_CYCLE_1)
	s_and_not1_b32 s1, s1, exec_lo
	s_and_b32 s0, s0, exec_lo
	s_or_b32 s1, s1, s0
.LBB765_192:
	s_or_b32 exec_lo, exec_lo, s42
	v_mbcnt_lo_u32_b32 v5, -1, 0
	v_cndmask_b32_e64 v4, 0xff800000, v4, s1
	s_delay_alu instid0(VALU_DEP_2) | instskip(SKIP_3) | instid1(VALU_DEP_4)
	v_xor_b32_e32 v6, 16, v5
	v_xor_b32_e32 v40, 8, v5
	;; [unrolled: 1-line block ×4, first 2 shown]
	v_cmp_gt_i32_e64 s0, 32, v6
	s_delay_alu instid0(VALU_DEP_1) | instskip(SKIP_1) | instid1(VALU_DEP_2)
	v_cndmask_b32_e64 v6, v5, v6, s0
	v_cmp_gt_i32_e64 s0, 32, v40
	v_lshlrev_b32_e32 v6, 2, v6
	s_delay_alu instid0(VALU_DEP_2) | instskip(SKIP_4) | instid1(VALU_DEP_1)
	v_cndmask_b32_e64 v40, v5, v40, s0
	ds_bpermute_b32 v41, v6, v4
	v_lshlrev_b32_e32 v40, 2, v40
	s_waitcnt lgkmcnt(0)
	v_cmp_lt_f32_e64 s0, v4, v41
	v_cndmask_b32_e64 v4, v4, v41, s0
	v_xor_b32_e32 v41, 4, v5
	ds_bpermute_b32 v42, v40, v4
	v_cmp_gt_i32_e64 s0, 32, v41
	s_delay_alu instid0(VALU_DEP_1) | instskip(NEXT) | instid1(VALU_DEP_1)
	v_cndmask_b32_e64 v41, v5, v41, s0
	v_lshlrev_b32_e32 v41, 2, v41
	s_waitcnt lgkmcnt(0)
	v_cmp_lt_f32_e64 s0, v4, v42
	s_delay_alu instid0(VALU_DEP_1) | instskip(SKIP_3) | instid1(VALU_DEP_1)
	v_cndmask_b32_e64 v4, v4, v42, s0
	v_cmp_gt_i32_e64 s0, 32, v43
	ds_bpermute_b32 v42, v41, v4
	v_cndmask_b32_e64 v43, v5, v43, s0
	v_lshlrev_b32_e32 v43, 2, v43
	s_waitcnt lgkmcnt(0)
	v_cmp_lt_f32_e64 s0, v4, v42
	s_delay_alu instid0(VALU_DEP_1) | instskip(SKIP_3) | instid1(VALU_DEP_1)
	v_cndmask_b32_e64 v4, v4, v42, s0
	v_cmp_gt_i32_e64 s0, 32, v44
	ds_bpermute_b32 v42, v43, v4
	v_cndmask_b32_e64 v5, v5, v44, s0
	v_lshlrev_b32_e32 v44, 2, v5
	s_waitcnt lgkmcnt(0)
	v_cmp_lt_f32_e64 s0, v4, v42
	s_delay_alu instid0(VALU_DEP_1) | instskip(SKIP_4) | instid1(VALU_DEP_1)
	v_cndmask_b32_e64 v5, v4, v42, s0
	v_mov_b32_e32 v4, 0
	ds_bpermute_b32 v42, v44, v5
	s_waitcnt lgkmcnt(0)
	v_cmp_lt_f32_e64 s0, v5, v42
	v_cndmask_b32_e64 v45, v5, v42, s0
	v_mov_b32_e32 v42, 0
	s_and_saveexec_b32 s1, s68
	s_cbranch_execz .LBB765_196
; %bb.193:
	global_load_u8 v5, v[2:3], off
	s_waitcnt vmcnt(0)
	v_dual_mov_b32 v42, 0 :: v_dual_and_b32 v5, 1, v5
	s_delay_alu instid0(VALU_DEP_1) | instskip(NEXT) | instid1(VALU_DEP_1)
	v_cmp_eq_u32_e64 s0, 1, v5
	s_xor_b32 s0, s0, -1
	s_delay_alu instid0(SALU_CYCLE_1)
	s_and_saveexec_b32 s42, s0
	s_cbranch_execz .LBB765_195
; %bb.194:
	v_sub_f32_e32 v5, v39, v45
	s_delay_alu instid0(VALU_DEP_1) | instskip(SKIP_1) | instid1(VALU_DEP_2)
	v_mul_f32_e32 v39, 0x3fb8aa3b, v5
	v_cmp_ngt_f32_e64 s0, 0xc2ce8ed0, v5
	v_fma_f32 v42, 0x3fb8aa3b, v5, -v39
	v_rndne_f32_e32 v46, v39
	s_delay_alu instid0(VALU_DEP_1) | instskip(NEXT) | instid1(VALU_DEP_1)
	v_dual_fmamk_f32 v42, v5, 0x32a5705f, v42 :: v_dual_sub_f32 v39, v39, v46
	v_add_f32_e32 v39, v39, v42
	v_cvt_i32_f32_e32 v42, v46
	s_delay_alu instid0(VALU_DEP_2) | instskip(SKIP_2) | instid1(VALU_DEP_1)
	v_exp_f32_e32 v39, v39
	s_waitcnt_depctr 0xfff
	v_ldexp_f32 v39, v39, v42
	v_cndmask_b32_e64 v39, 0, v39, s0
	v_cmp_nlt_f32_e64 s0, 0x42b17218, v5
	s_delay_alu instid0(VALU_DEP_1)
	v_cndmask_b32_e64 v42, 0x7f800000, v39, s0
.LBB765_195:
	s_or_b32 exec_lo, exec_lo, s42
.LBB765_196:
	s_delay_alu instid0(SALU_CYCLE_1) | instskip(NEXT) | instid1(VALU_DEP_1)
	s_or_b32 exec_lo, exec_lo, s1
	v_mov_b32_e32 v39, v42
	s_and_saveexec_b32 s1, s67
	s_cbranch_execz .LBB765_200
; %bb.197:
	global_load_u8 v4, v[2:3], off offset:32
	s_waitcnt vmcnt(0)
	v_dual_mov_b32 v39, v42 :: v_dual_and_b32 v4, 1, v4
	s_delay_alu instid0(VALU_DEP_1) | instskip(SKIP_1) | instid1(VALU_DEP_2)
	v_cmp_eq_u32_e64 s0, 1, v4
	v_mov_b32_e32 v4, 0
	s_xor_b32 s0, s0, -1
	s_delay_alu instid0(SALU_CYCLE_1)
	s_and_saveexec_b32 s42, s0
	s_cbranch_execz .LBB765_199
; %bb.198:
	v_sub_f32_e32 v4, v38, v45
	s_delay_alu instid0(VALU_DEP_1) | instskip(NEXT) | instid1(VALU_DEP_1)
	v_mul_f32_e32 v5, 0x3fb8aa3b, v4
	v_fma_f32 v38, 0x3fb8aa3b, v4, -v5
	v_rndne_f32_e32 v39, v5
	s_delay_alu instid0(VALU_DEP_1) | instskip(SKIP_1) | instid1(VALU_DEP_2)
	v_dual_sub_f32 v5, v5, v39 :: v_dual_fmamk_f32 v38, v4, 0x32a5705f, v38
	v_cmp_ngt_f32_e64 s0, 0xc2ce8ed0, v4
	v_add_f32_e32 v5, v5, v38
	v_cvt_i32_f32_e32 v38, v39
	s_delay_alu instid0(VALU_DEP_2) | instskip(SKIP_2) | instid1(VALU_DEP_1)
	v_exp_f32_e32 v5, v5
	s_waitcnt_depctr 0xfff
	v_ldexp_f32 v5, v5, v38
	v_cndmask_b32_e64 v5, 0, v5, s0
	v_cmp_nlt_f32_e64 s0, 0x42b17218, v4
	s_delay_alu instid0(VALU_DEP_1) | instskip(NEXT) | instid1(VALU_DEP_1)
	v_cndmask_b32_e64 v4, 0x7f800000, v5, s0
	v_add_f32_e32 v39, v42, v4
.LBB765_199:
	s_or_b32 exec_lo, exec_lo, s42
.LBB765_200:
	s_delay_alu instid0(SALU_CYCLE_1)
	s_or_b32 exec_lo, exec_lo, s1
	v_dual_mov_b32 v5, 0 :: v_dual_mov_b32 v38, 0
	s_and_saveexec_b32 s1, s66
	s_cbranch_execz .LBB765_204
; %bb.201:
	global_load_u8 v38, v[2:3], off offset:64
	s_waitcnt vmcnt(0)
	v_and_b32_e32 v38, 1, v38
	s_delay_alu instid0(VALU_DEP_1) | instskip(SKIP_1) | instid1(VALU_DEP_2)
	v_cmp_eq_u32_e64 s0, 1, v38
	v_mov_b32_e32 v38, 0
	s_xor_b32 s0, s0, -1
	s_delay_alu instid0(SALU_CYCLE_1)
	s_and_saveexec_b32 s42, s0
	s_cbranch_execz .LBB765_203
; %bb.202:
	v_sub_f32_e32 v37, v37, v45
	s_delay_alu instid0(VALU_DEP_1) | instskip(NEXT) | instid1(VALU_DEP_1)
	v_mul_f32_e32 v38, 0x3fb8aa3b, v37
	v_fma_f32 v46, 0x3fb8aa3b, v37, -v38
	v_rndne_f32_e32 v47, v38
	s_delay_alu instid0(VALU_DEP_1) | instskip(NEXT) | instid1(VALU_DEP_3)
	v_sub_f32_e32 v38, v38, v47
	v_fmamk_f32 v46, v37, 0x32a5705f, v46
	v_cmp_ngt_f32_e64 s0, 0xc2ce8ed0, v37
	s_delay_alu instid0(VALU_DEP_2) | instskip(SKIP_1) | instid1(VALU_DEP_2)
	v_add_f32_e32 v38, v38, v46
	v_cvt_i32_f32_e32 v46, v47
	v_exp_f32_e32 v38, v38
	s_waitcnt_depctr 0xfff
	v_ldexp_f32 v38, v38, v46
	s_delay_alu instid0(VALU_DEP_1) | instskip(SKIP_1) | instid1(VALU_DEP_1)
	v_cndmask_b32_e64 v38, 0, v38, s0
	v_cmp_nlt_f32_e64 s0, 0x42b17218, v37
	v_cndmask_b32_e64 v38, 0x7f800000, v38, s0
	s_delay_alu instid0(VALU_DEP_1)
	v_add_f32_e32 v39, v39, v38
.LBB765_203:
	s_or_b32 exec_lo, exec_lo, s42
.LBB765_204:
	s_delay_alu instid0(SALU_CYCLE_1)
	s_or_b32 exec_lo, exec_lo, s1
	s_and_saveexec_b32 s1, s65
	s_cbranch_execz .LBB765_208
; %bb.205:
	global_load_u8 v5, v[2:3], off offset:96
	s_waitcnt vmcnt(0)
	v_and_b32_e32 v5, 1, v5
	s_delay_alu instid0(VALU_DEP_1) | instskip(SKIP_1) | instid1(VALU_DEP_2)
	v_cmp_eq_u32_e64 s0, 1, v5
	v_mov_b32_e32 v5, 0
	s_xor_b32 s0, s0, -1
	s_delay_alu instid0(SALU_CYCLE_1)
	s_and_saveexec_b32 s42, s0
	s_cbranch_execz .LBB765_207
; %bb.206:
	v_sub_f32_e32 v5, v36, v45
	s_delay_alu instid0(VALU_DEP_1) | instskip(SKIP_1) | instid1(VALU_DEP_2)
	v_mul_f32_e32 v36, 0x3fb8aa3b, v5
	v_cmp_ngt_f32_e64 s0, 0xc2ce8ed0, v5
	v_fma_f32 v37, 0x3fb8aa3b, v5, -v36
	v_rndne_f32_e32 v46, v36
	s_delay_alu instid0(VALU_DEP_1) | instskip(NEXT) | instid1(VALU_DEP_1)
	v_dual_fmamk_f32 v37, v5, 0x32a5705f, v37 :: v_dual_sub_f32 v36, v36, v46
	v_add_f32_e32 v36, v36, v37
	v_cvt_i32_f32_e32 v37, v46
	s_delay_alu instid0(VALU_DEP_2) | instskip(SKIP_2) | instid1(VALU_DEP_1)
	v_exp_f32_e32 v36, v36
	s_waitcnt_depctr 0xfff
	v_ldexp_f32 v36, v36, v37
	v_cndmask_b32_e64 v36, 0, v36, s0
	v_cmp_nlt_f32_e64 s0, 0x42b17218, v5
	s_delay_alu instid0(VALU_DEP_1) | instskip(NEXT) | instid1(VALU_DEP_1)
	v_cndmask_b32_e64 v5, 0x7f800000, v36, s0
	v_add_f32_e32 v39, v39, v5
.LBB765_207:
	s_or_b32 exec_lo, exec_lo, s42
.LBB765_208:
	s_delay_alu instid0(SALU_CYCLE_1)
	s_or_b32 exec_lo, exec_lo, s1
	v_dual_mov_b32 v36, 0 :: v_dual_mov_b32 v37, 0
	s_and_saveexec_b32 s1, s64
	s_cbranch_execz .LBB765_212
; %bb.209:
	global_load_u8 v37, v[2:3], off offset:128
	s_waitcnt vmcnt(0)
	v_and_b32_e32 v37, 1, v37
	s_delay_alu instid0(VALU_DEP_1) | instskip(SKIP_1) | instid1(VALU_DEP_2)
	v_cmp_eq_u32_e64 s0, 1, v37
	v_mov_b32_e32 v37, 0
	s_xor_b32 s0, s0, -1
	s_delay_alu instid0(SALU_CYCLE_1)
	s_and_saveexec_b32 s42, s0
	s_cbranch_execz .LBB765_211
; %bb.210:
	v_sub_f32_e32 v35, v35, v45
	s_delay_alu instid0(VALU_DEP_1) | instskip(SKIP_1) | instid1(VALU_DEP_2)
	v_mul_f32_e32 v37, 0x3fb8aa3b, v35
	v_cmp_ngt_f32_e64 s0, 0xc2ce8ed0, v35
	v_fma_f32 v46, 0x3fb8aa3b, v35, -v37
	v_rndne_f32_e32 v47, v37
	s_delay_alu instid0(VALU_DEP_1) | instskip(NEXT) | instid1(VALU_DEP_1)
	v_dual_fmamk_f32 v46, v35, 0x32a5705f, v46 :: v_dual_sub_f32 v37, v37, v47
	v_add_f32_e32 v37, v37, v46
	v_cvt_i32_f32_e32 v46, v47
	s_delay_alu instid0(VALU_DEP_2) | instskip(SKIP_2) | instid1(VALU_DEP_1)
	v_exp_f32_e32 v37, v37
	s_waitcnt_depctr 0xfff
	v_ldexp_f32 v37, v37, v46
	v_cndmask_b32_e64 v37, 0, v37, s0
	v_cmp_nlt_f32_e64 s0, 0x42b17218, v35
	s_delay_alu instid0(VALU_DEP_1) | instskip(NEXT) | instid1(VALU_DEP_1)
	v_cndmask_b32_e64 v37, 0x7f800000, v37, s0
	v_add_f32_e32 v39, v39, v37
.LBB765_211:
	s_or_b32 exec_lo, exec_lo, s42
.LBB765_212:
	s_delay_alu instid0(SALU_CYCLE_1)
	s_or_b32 exec_lo, exec_lo, s1
	s_and_saveexec_b32 s1, s63
	s_cbranch_execz .LBB765_216
; %bb.213:
	global_load_u8 v35, v[2:3], off offset:160
	s_waitcnt vmcnt(0)
	v_dual_mov_b32 v36, 0 :: v_dual_and_b32 v35, 1, v35
	s_delay_alu instid0(VALU_DEP_1) | instskip(NEXT) | instid1(VALU_DEP_1)
	v_cmp_eq_u32_e64 s0, 1, v35
	s_xor_b32 s0, s0, -1
	s_delay_alu instid0(SALU_CYCLE_1)
	s_and_saveexec_b32 s42, s0
	s_cbranch_execz .LBB765_215
; %bb.214:
	v_sub_f32_e32 v34, v34, v45
	s_delay_alu instid0(VALU_DEP_1) | instskip(NEXT) | instid1(VALU_DEP_1)
	v_mul_f32_e32 v35, 0x3fb8aa3b, v34
	v_fma_f32 v36, 0x3fb8aa3b, v34, -v35
	v_rndne_f32_e32 v46, v35
	s_delay_alu instid0(VALU_DEP_1) | instskip(SKIP_1) | instid1(VALU_DEP_2)
	v_dual_sub_f32 v35, v35, v46 :: v_dual_fmamk_f32 v36, v34, 0x32a5705f, v36
	v_cmp_ngt_f32_e64 s0, 0xc2ce8ed0, v34
	v_add_f32_e32 v35, v35, v36
	v_cvt_i32_f32_e32 v36, v46
	s_delay_alu instid0(VALU_DEP_2) | instskip(SKIP_2) | instid1(VALU_DEP_1)
	v_exp_f32_e32 v35, v35
	s_waitcnt_depctr 0xfff
	v_ldexp_f32 v35, v35, v36
	v_cndmask_b32_e64 v35, 0, v35, s0
	v_cmp_nlt_f32_e64 s0, 0x42b17218, v34
	s_delay_alu instid0(VALU_DEP_1) | instskip(NEXT) | instid1(VALU_DEP_1)
	v_cndmask_b32_e64 v36, 0x7f800000, v35, s0
	v_add_f32_e32 v39, v39, v36
.LBB765_215:
	s_or_b32 exec_lo, exec_lo, s42
.LBB765_216:
	s_delay_alu instid0(SALU_CYCLE_1)
	s_or_b32 exec_lo, exec_lo, s1
	v_dual_mov_b32 v34, 0 :: v_dual_mov_b32 v35, 0
	s_and_saveexec_b32 s1, s62
	s_cbranch_execz .LBB765_220
; %bb.217:
	global_load_u8 v35, v[2:3], off offset:192
	s_waitcnt vmcnt(0)
	v_and_b32_e32 v35, 1, v35
	s_delay_alu instid0(VALU_DEP_1) | instskip(SKIP_1) | instid1(VALU_DEP_2)
	v_cmp_eq_u32_e64 s0, 1, v35
	v_mov_b32_e32 v35, 0
	s_xor_b32 s0, s0, -1
	s_delay_alu instid0(SALU_CYCLE_1)
	s_and_saveexec_b32 s42, s0
	s_cbranch_execz .LBB765_219
; %bb.218:
	v_sub_f32_e32 v33, v33, v45
	s_delay_alu instid0(VALU_DEP_1) | instskip(SKIP_1) | instid1(VALU_DEP_2)
	v_mul_f32_e32 v35, 0x3fb8aa3b, v33
	v_cmp_ngt_f32_e64 s0, 0xc2ce8ed0, v33
	v_fma_f32 v46, 0x3fb8aa3b, v33, -v35
	v_rndne_f32_e32 v47, v35
	s_delay_alu instid0(VALU_DEP_1) | instskip(NEXT) | instid1(VALU_DEP_1)
	v_dual_fmamk_f32 v46, v33, 0x32a5705f, v46 :: v_dual_sub_f32 v35, v35, v47
	v_add_f32_e32 v35, v35, v46
	v_cvt_i32_f32_e32 v46, v47
	s_delay_alu instid0(VALU_DEP_2) | instskip(SKIP_2) | instid1(VALU_DEP_1)
	v_exp_f32_e32 v35, v35
	s_waitcnt_depctr 0xfff
	v_ldexp_f32 v35, v35, v46
	v_cndmask_b32_e64 v35, 0, v35, s0
	v_cmp_nlt_f32_e64 s0, 0x42b17218, v33
	s_delay_alu instid0(VALU_DEP_1) | instskip(NEXT) | instid1(VALU_DEP_1)
	v_cndmask_b32_e64 v35, 0x7f800000, v35, s0
	v_add_f32_e32 v39, v39, v35
.LBB765_219:
	s_or_b32 exec_lo, exec_lo, s42
.LBB765_220:
	s_delay_alu instid0(SALU_CYCLE_1)
	s_or_b32 exec_lo, exec_lo, s1
	s_and_saveexec_b32 s1, s61
	s_cbranch_execz .LBB765_224
; %bb.221:
	global_load_u8 v33, v[2:3], off offset:224
	s_waitcnt vmcnt(0)
	v_dual_mov_b32 v34, 0 :: v_dual_and_b32 v33, 1, v33
	s_delay_alu instid0(VALU_DEP_1) | instskip(NEXT) | instid1(VALU_DEP_1)
	v_cmp_eq_u32_e64 s0, 1, v33
	s_xor_b32 s0, s0, -1
	s_delay_alu instid0(SALU_CYCLE_1)
	s_and_saveexec_b32 s42, s0
	s_cbranch_execz .LBB765_223
; %bb.222:
	v_sub_f32_e32 v32, v32, v45
	s_delay_alu instid0(VALU_DEP_1) | instskip(NEXT) | instid1(VALU_DEP_1)
	v_mul_f32_e32 v33, 0x3fb8aa3b, v32
	v_fma_f32 v34, 0x3fb8aa3b, v32, -v33
	v_rndne_f32_e32 v46, v33
	s_delay_alu instid0(VALU_DEP_1) | instskip(SKIP_1) | instid1(VALU_DEP_2)
	v_dual_sub_f32 v33, v33, v46 :: v_dual_fmamk_f32 v34, v32, 0x32a5705f, v34
	v_cmp_ngt_f32_e64 s0, 0xc2ce8ed0, v32
	v_add_f32_e32 v33, v33, v34
	v_cvt_i32_f32_e32 v34, v46
	s_delay_alu instid0(VALU_DEP_2) | instskip(SKIP_2) | instid1(VALU_DEP_1)
	v_exp_f32_e32 v33, v33
	s_waitcnt_depctr 0xfff
	v_ldexp_f32 v33, v33, v34
	v_cndmask_b32_e64 v33, 0, v33, s0
	v_cmp_nlt_f32_e64 s0, 0x42b17218, v32
	s_delay_alu instid0(VALU_DEP_1) | instskip(NEXT) | instid1(VALU_DEP_1)
	v_cndmask_b32_e64 v34, 0x7f800000, v33, s0
	v_add_f32_e32 v39, v39, v34
.LBB765_223:
	s_or_b32 exec_lo, exec_lo, s42
.LBB765_224:
	s_delay_alu instid0(SALU_CYCLE_1)
	s_or_b32 exec_lo, exec_lo, s1
	v_dual_mov_b32 v32, 0 :: v_dual_mov_b32 v33, 0
	s_and_saveexec_b32 s1, s60
	s_cbranch_execz .LBB765_228
; %bb.225:
	global_load_u8 v33, v[2:3], off offset:256
	s_waitcnt vmcnt(0)
	v_and_b32_e32 v33, 1, v33
	s_delay_alu instid0(VALU_DEP_1) | instskip(SKIP_1) | instid1(VALU_DEP_2)
	v_cmp_eq_u32_e64 s0, 1, v33
	v_mov_b32_e32 v33, 0
	s_xor_b32 s0, s0, -1
	s_delay_alu instid0(SALU_CYCLE_1)
	s_and_saveexec_b32 s42, s0
	s_cbranch_execz .LBB765_227
; %bb.226:
	v_sub_f32_e32 v31, v31, v45
	s_delay_alu instid0(VALU_DEP_1) | instskip(SKIP_1) | instid1(VALU_DEP_2)
	v_mul_f32_e32 v33, 0x3fb8aa3b, v31
	v_cmp_ngt_f32_e64 s0, 0xc2ce8ed0, v31
	v_fma_f32 v46, 0x3fb8aa3b, v31, -v33
	v_rndne_f32_e32 v47, v33
	s_delay_alu instid0(VALU_DEP_1) | instskip(NEXT) | instid1(VALU_DEP_1)
	v_dual_fmamk_f32 v46, v31, 0x32a5705f, v46 :: v_dual_sub_f32 v33, v33, v47
	v_add_f32_e32 v33, v33, v46
	v_cvt_i32_f32_e32 v46, v47
	s_delay_alu instid0(VALU_DEP_2) | instskip(SKIP_2) | instid1(VALU_DEP_1)
	v_exp_f32_e32 v33, v33
	s_waitcnt_depctr 0xfff
	v_ldexp_f32 v33, v33, v46
	v_cndmask_b32_e64 v33, 0, v33, s0
	v_cmp_nlt_f32_e64 s0, 0x42b17218, v31
	s_delay_alu instid0(VALU_DEP_1) | instskip(NEXT) | instid1(VALU_DEP_1)
	v_cndmask_b32_e64 v33, 0x7f800000, v33, s0
	v_add_f32_e32 v39, v39, v33
.LBB765_227:
	s_or_b32 exec_lo, exec_lo, s42
.LBB765_228:
	s_delay_alu instid0(SALU_CYCLE_1)
	s_or_b32 exec_lo, exec_lo, s1
	s_and_saveexec_b32 s1, s59
	s_cbranch_execz .LBB765_232
; %bb.229:
	global_load_u8 v31, v[2:3], off offset:288
	s_waitcnt vmcnt(0)
	v_dual_mov_b32 v32, 0 :: v_dual_and_b32 v31, 1, v31
	s_delay_alu instid0(VALU_DEP_1) | instskip(NEXT) | instid1(VALU_DEP_1)
	v_cmp_eq_u32_e64 s0, 1, v31
	s_xor_b32 s0, s0, -1
	s_delay_alu instid0(SALU_CYCLE_1)
	s_and_saveexec_b32 s42, s0
	s_cbranch_execz .LBB765_231
; %bb.230:
	v_sub_f32_e32 v30, v30, v45
	s_delay_alu instid0(VALU_DEP_1) | instskip(NEXT) | instid1(VALU_DEP_1)
	v_mul_f32_e32 v31, 0x3fb8aa3b, v30
	v_fma_f32 v32, 0x3fb8aa3b, v30, -v31
	v_rndne_f32_e32 v46, v31
	s_delay_alu instid0(VALU_DEP_1) | instskip(SKIP_1) | instid1(VALU_DEP_2)
	v_dual_sub_f32 v31, v31, v46 :: v_dual_fmamk_f32 v32, v30, 0x32a5705f, v32
	v_cmp_ngt_f32_e64 s0, 0xc2ce8ed0, v30
	v_add_f32_e32 v31, v31, v32
	v_cvt_i32_f32_e32 v32, v46
	s_delay_alu instid0(VALU_DEP_2) | instskip(SKIP_2) | instid1(VALU_DEP_1)
	v_exp_f32_e32 v31, v31
	s_waitcnt_depctr 0xfff
	v_ldexp_f32 v31, v31, v32
	v_cndmask_b32_e64 v31, 0, v31, s0
	v_cmp_nlt_f32_e64 s0, 0x42b17218, v30
	s_delay_alu instid0(VALU_DEP_1) | instskip(NEXT) | instid1(VALU_DEP_1)
	v_cndmask_b32_e64 v32, 0x7f800000, v31, s0
	v_add_f32_e32 v39, v39, v32
.LBB765_231:
	s_or_b32 exec_lo, exec_lo, s42
.LBB765_232:
	s_delay_alu instid0(SALU_CYCLE_1)
	s_or_b32 exec_lo, exec_lo, s1
	v_dual_mov_b32 v30, 0 :: v_dual_mov_b32 v31, 0
	s_and_saveexec_b32 s1, s58
	s_cbranch_execz .LBB765_236
; %bb.233:
	global_load_u8 v31, v[2:3], off offset:320
	s_waitcnt vmcnt(0)
	v_and_b32_e32 v31, 1, v31
	s_delay_alu instid0(VALU_DEP_1) | instskip(SKIP_1) | instid1(VALU_DEP_2)
	v_cmp_eq_u32_e64 s0, 1, v31
	v_mov_b32_e32 v31, 0
	s_xor_b32 s0, s0, -1
	s_delay_alu instid0(SALU_CYCLE_1)
	s_and_saveexec_b32 s42, s0
	s_cbranch_execz .LBB765_235
; %bb.234:
	v_sub_f32_e32 v29, v29, v45
	s_delay_alu instid0(VALU_DEP_1) | instskip(SKIP_1) | instid1(VALU_DEP_2)
	v_mul_f32_e32 v31, 0x3fb8aa3b, v29
	v_cmp_ngt_f32_e64 s0, 0xc2ce8ed0, v29
	v_fma_f32 v46, 0x3fb8aa3b, v29, -v31
	v_rndne_f32_e32 v47, v31
	s_delay_alu instid0(VALU_DEP_1) | instskip(NEXT) | instid1(VALU_DEP_1)
	v_dual_fmamk_f32 v46, v29, 0x32a5705f, v46 :: v_dual_sub_f32 v31, v31, v47
	v_add_f32_e32 v31, v31, v46
	v_cvt_i32_f32_e32 v46, v47
	s_delay_alu instid0(VALU_DEP_2) | instskip(SKIP_2) | instid1(VALU_DEP_1)
	v_exp_f32_e32 v31, v31
	s_waitcnt_depctr 0xfff
	v_ldexp_f32 v31, v31, v46
	v_cndmask_b32_e64 v31, 0, v31, s0
	v_cmp_nlt_f32_e64 s0, 0x42b17218, v29
	s_delay_alu instid0(VALU_DEP_1) | instskip(NEXT) | instid1(VALU_DEP_1)
	v_cndmask_b32_e64 v31, 0x7f800000, v31, s0
	v_add_f32_e32 v39, v39, v31
.LBB765_235:
	s_or_b32 exec_lo, exec_lo, s42
.LBB765_236:
	s_delay_alu instid0(SALU_CYCLE_1)
	s_or_b32 exec_lo, exec_lo, s1
	s_and_saveexec_b32 s1, s57
	s_cbranch_execz .LBB765_240
; %bb.237:
	global_load_u8 v29, v[2:3], off offset:352
	s_waitcnt vmcnt(0)
	v_dual_mov_b32 v30, 0 :: v_dual_and_b32 v29, 1, v29
	s_delay_alu instid0(VALU_DEP_1) | instskip(NEXT) | instid1(VALU_DEP_1)
	v_cmp_eq_u32_e64 s0, 1, v29
	s_xor_b32 s0, s0, -1
	s_delay_alu instid0(SALU_CYCLE_1)
	s_and_saveexec_b32 s42, s0
	s_cbranch_execz .LBB765_239
; %bb.238:
	v_sub_f32_e32 v28, v28, v45
	s_delay_alu instid0(VALU_DEP_1) | instskip(NEXT) | instid1(VALU_DEP_1)
	v_mul_f32_e32 v29, 0x3fb8aa3b, v28
	v_fma_f32 v30, 0x3fb8aa3b, v28, -v29
	v_rndne_f32_e32 v46, v29
	s_delay_alu instid0(VALU_DEP_1) | instskip(SKIP_1) | instid1(VALU_DEP_2)
	v_dual_sub_f32 v29, v29, v46 :: v_dual_fmamk_f32 v30, v28, 0x32a5705f, v30
	v_cmp_ngt_f32_e64 s0, 0xc2ce8ed0, v28
	v_add_f32_e32 v29, v29, v30
	v_cvt_i32_f32_e32 v30, v46
	s_delay_alu instid0(VALU_DEP_2) | instskip(SKIP_2) | instid1(VALU_DEP_1)
	v_exp_f32_e32 v29, v29
	s_waitcnt_depctr 0xfff
	v_ldexp_f32 v29, v29, v30
	v_cndmask_b32_e64 v29, 0, v29, s0
	v_cmp_nlt_f32_e64 s0, 0x42b17218, v28
	s_delay_alu instid0(VALU_DEP_1) | instskip(NEXT) | instid1(VALU_DEP_1)
	v_cndmask_b32_e64 v30, 0x7f800000, v29, s0
	v_add_f32_e32 v39, v39, v30
.LBB765_239:
	s_or_b32 exec_lo, exec_lo, s42
.LBB765_240:
	s_delay_alu instid0(SALU_CYCLE_1)
	s_or_b32 exec_lo, exec_lo, s1
	v_dual_mov_b32 v28, 0 :: v_dual_mov_b32 v29, 0
	s_and_saveexec_b32 s1, s56
	s_cbranch_execz .LBB765_244
; %bb.241:
	global_load_u8 v29, v[2:3], off offset:384
	s_waitcnt vmcnt(0)
	v_and_b32_e32 v29, 1, v29
	s_delay_alu instid0(VALU_DEP_1) | instskip(SKIP_1) | instid1(VALU_DEP_2)
	v_cmp_eq_u32_e64 s0, 1, v29
	v_mov_b32_e32 v29, 0
	s_xor_b32 s0, s0, -1
	s_delay_alu instid0(SALU_CYCLE_1)
	s_and_saveexec_b32 s42, s0
	s_cbranch_execz .LBB765_243
; %bb.242:
	v_sub_f32_e32 v27, v27, v45
	s_delay_alu instid0(VALU_DEP_1) | instskip(SKIP_1) | instid1(VALU_DEP_2)
	v_mul_f32_e32 v29, 0x3fb8aa3b, v27
	v_cmp_ngt_f32_e64 s0, 0xc2ce8ed0, v27
	v_fma_f32 v46, 0x3fb8aa3b, v27, -v29
	v_rndne_f32_e32 v47, v29
	s_delay_alu instid0(VALU_DEP_1) | instskip(NEXT) | instid1(VALU_DEP_1)
	v_dual_fmamk_f32 v46, v27, 0x32a5705f, v46 :: v_dual_sub_f32 v29, v29, v47
	v_add_f32_e32 v29, v29, v46
	v_cvt_i32_f32_e32 v46, v47
	s_delay_alu instid0(VALU_DEP_2) | instskip(SKIP_2) | instid1(VALU_DEP_1)
	v_exp_f32_e32 v29, v29
	s_waitcnt_depctr 0xfff
	v_ldexp_f32 v29, v29, v46
	v_cndmask_b32_e64 v29, 0, v29, s0
	v_cmp_nlt_f32_e64 s0, 0x42b17218, v27
	s_delay_alu instid0(VALU_DEP_1) | instskip(NEXT) | instid1(VALU_DEP_1)
	v_cndmask_b32_e64 v29, 0x7f800000, v29, s0
	v_add_f32_e32 v39, v39, v29
.LBB765_243:
	s_or_b32 exec_lo, exec_lo, s42
.LBB765_244:
	s_delay_alu instid0(SALU_CYCLE_1)
	s_or_b32 exec_lo, exec_lo, s1
	s_and_saveexec_b32 s1, s55
	s_cbranch_execz .LBB765_248
; %bb.245:
	global_load_u8 v27, v[2:3], off offset:416
	s_waitcnt vmcnt(0)
	v_dual_mov_b32 v28, 0 :: v_dual_and_b32 v27, 1, v27
	s_delay_alu instid0(VALU_DEP_1) | instskip(NEXT) | instid1(VALU_DEP_1)
	v_cmp_eq_u32_e64 s0, 1, v27
	s_xor_b32 s0, s0, -1
	s_delay_alu instid0(SALU_CYCLE_1)
	s_and_saveexec_b32 s42, s0
	s_cbranch_execz .LBB765_247
; %bb.246:
	v_sub_f32_e32 v26, v26, v45
	s_delay_alu instid0(VALU_DEP_1) | instskip(NEXT) | instid1(VALU_DEP_1)
	v_mul_f32_e32 v27, 0x3fb8aa3b, v26
	v_fma_f32 v28, 0x3fb8aa3b, v26, -v27
	v_rndne_f32_e32 v46, v27
	s_delay_alu instid0(VALU_DEP_1) | instskip(SKIP_1) | instid1(VALU_DEP_2)
	v_dual_sub_f32 v27, v27, v46 :: v_dual_fmamk_f32 v28, v26, 0x32a5705f, v28
	v_cmp_ngt_f32_e64 s0, 0xc2ce8ed0, v26
	v_add_f32_e32 v27, v27, v28
	v_cvt_i32_f32_e32 v28, v46
	s_delay_alu instid0(VALU_DEP_2) | instskip(SKIP_2) | instid1(VALU_DEP_1)
	v_exp_f32_e32 v27, v27
	s_waitcnt_depctr 0xfff
	v_ldexp_f32 v27, v27, v28
	v_cndmask_b32_e64 v27, 0, v27, s0
	v_cmp_nlt_f32_e64 s0, 0x42b17218, v26
	s_delay_alu instid0(VALU_DEP_1) | instskip(NEXT) | instid1(VALU_DEP_1)
	v_cndmask_b32_e64 v28, 0x7f800000, v27, s0
	v_add_f32_e32 v39, v39, v28
.LBB765_247:
	s_or_b32 exec_lo, exec_lo, s42
.LBB765_248:
	s_delay_alu instid0(SALU_CYCLE_1)
	s_or_b32 exec_lo, exec_lo, s1
	v_dual_mov_b32 v26, 0 :: v_dual_mov_b32 v27, 0
	s_and_saveexec_b32 s1, s54
	s_cbranch_execz .LBB765_252
; %bb.249:
	global_load_u8 v27, v[2:3], off offset:448
	s_waitcnt vmcnt(0)
	v_and_b32_e32 v27, 1, v27
	s_delay_alu instid0(VALU_DEP_1) | instskip(SKIP_1) | instid1(VALU_DEP_2)
	v_cmp_eq_u32_e64 s0, 1, v27
	v_mov_b32_e32 v27, 0
	s_xor_b32 s0, s0, -1
	s_delay_alu instid0(SALU_CYCLE_1)
	s_and_saveexec_b32 s42, s0
	s_cbranch_execz .LBB765_251
; %bb.250:
	v_sub_f32_e32 v25, v25, v45
	s_delay_alu instid0(VALU_DEP_1) | instskip(SKIP_1) | instid1(VALU_DEP_2)
	v_mul_f32_e32 v27, 0x3fb8aa3b, v25
	v_cmp_ngt_f32_e64 s0, 0xc2ce8ed0, v25
	v_fma_f32 v46, 0x3fb8aa3b, v25, -v27
	v_rndne_f32_e32 v47, v27
	s_delay_alu instid0(VALU_DEP_1) | instskip(NEXT) | instid1(VALU_DEP_1)
	v_dual_fmamk_f32 v46, v25, 0x32a5705f, v46 :: v_dual_sub_f32 v27, v27, v47
	v_add_f32_e32 v27, v27, v46
	v_cvt_i32_f32_e32 v46, v47
	s_delay_alu instid0(VALU_DEP_2) | instskip(SKIP_2) | instid1(VALU_DEP_1)
	v_exp_f32_e32 v27, v27
	s_waitcnt_depctr 0xfff
	v_ldexp_f32 v27, v27, v46
	v_cndmask_b32_e64 v27, 0, v27, s0
	v_cmp_nlt_f32_e64 s0, 0x42b17218, v25
	s_delay_alu instid0(VALU_DEP_1) | instskip(NEXT) | instid1(VALU_DEP_1)
	v_cndmask_b32_e64 v27, 0x7f800000, v27, s0
	v_add_f32_e32 v39, v39, v27
.LBB765_251:
	s_or_b32 exec_lo, exec_lo, s42
.LBB765_252:
	s_delay_alu instid0(SALU_CYCLE_1)
	s_or_b32 exec_lo, exec_lo, s1
	s_and_saveexec_b32 s1, s53
	s_cbranch_execz .LBB765_256
; %bb.253:
	global_load_u8 v25, v[2:3], off offset:480
	s_waitcnt vmcnt(0)
	v_dual_mov_b32 v26, 0 :: v_dual_and_b32 v25, 1, v25
	s_delay_alu instid0(VALU_DEP_1) | instskip(NEXT) | instid1(VALU_DEP_1)
	v_cmp_eq_u32_e64 s0, 1, v25
	s_xor_b32 s0, s0, -1
	s_delay_alu instid0(SALU_CYCLE_1)
	s_and_saveexec_b32 s42, s0
	s_cbranch_execz .LBB765_255
; %bb.254:
	v_sub_f32_e32 v24, v24, v45
	s_delay_alu instid0(VALU_DEP_1) | instskip(NEXT) | instid1(VALU_DEP_1)
	v_mul_f32_e32 v25, 0x3fb8aa3b, v24
	v_fma_f32 v26, 0x3fb8aa3b, v24, -v25
	v_rndne_f32_e32 v46, v25
	s_delay_alu instid0(VALU_DEP_1) | instskip(SKIP_1) | instid1(VALU_DEP_2)
	v_dual_sub_f32 v25, v25, v46 :: v_dual_fmamk_f32 v26, v24, 0x32a5705f, v26
	v_cmp_ngt_f32_e64 s0, 0xc2ce8ed0, v24
	v_add_f32_e32 v25, v25, v26
	v_cvt_i32_f32_e32 v26, v46
	s_delay_alu instid0(VALU_DEP_2) | instskip(SKIP_2) | instid1(VALU_DEP_1)
	v_exp_f32_e32 v25, v25
	s_waitcnt_depctr 0xfff
	v_ldexp_f32 v25, v25, v26
	v_cndmask_b32_e64 v25, 0, v25, s0
	v_cmp_nlt_f32_e64 s0, 0x42b17218, v24
	s_delay_alu instid0(VALU_DEP_1) | instskip(NEXT) | instid1(VALU_DEP_1)
	v_cndmask_b32_e64 v26, 0x7f800000, v25, s0
	v_add_f32_e32 v39, v39, v26
.LBB765_255:
	s_or_b32 exec_lo, exec_lo, s42
.LBB765_256:
	s_delay_alu instid0(SALU_CYCLE_1)
	s_or_b32 exec_lo, exec_lo, s1
	v_dual_mov_b32 v24, 0 :: v_dual_mov_b32 v25, 0
	s_and_saveexec_b32 s1, s52
	s_cbranch_execz .LBB765_260
; %bb.257:
	global_load_u8 v25, v[2:3], off offset:512
	s_waitcnt vmcnt(0)
	v_and_b32_e32 v25, 1, v25
	s_delay_alu instid0(VALU_DEP_1) | instskip(SKIP_1) | instid1(VALU_DEP_2)
	v_cmp_eq_u32_e64 s0, 1, v25
	v_mov_b32_e32 v25, 0
	s_xor_b32 s0, s0, -1
	s_delay_alu instid0(SALU_CYCLE_1)
	s_and_saveexec_b32 s42, s0
	s_cbranch_execz .LBB765_259
; %bb.258:
	v_sub_f32_e32 v23, v23, v45
	s_delay_alu instid0(VALU_DEP_1) | instskip(SKIP_1) | instid1(VALU_DEP_2)
	v_mul_f32_e32 v25, 0x3fb8aa3b, v23
	v_cmp_ngt_f32_e64 s0, 0xc2ce8ed0, v23
	v_fma_f32 v46, 0x3fb8aa3b, v23, -v25
	v_rndne_f32_e32 v47, v25
	s_delay_alu instid0(VALU_DEP_1) | instskip(NEXT) | instid1(VALU_DEP_1)
	v_dual_fmamk_f32 v46, v23, 0x32a5705f, v46 :: v_dual_sub_f32 v25, v25, v47
	v_add_f32_e32 v25, v25, v46
	v_cvt_i32_f32_e32 v46, v47
	s_delay_alu instid0(VALU_DEP_2) | instskip(SKIP_2) | instid1(VALU_DEP_1)
	v_exp_f32_e32 v25, v25
	s_waitcnt_depctr 0xfff
	v_ldexp_f32 v25, v25, v46
	v_cndmask_b32_e64 v25, 0, v25, s0
	v_cmp_nlt_f32_e64 s0, 0x42b17218, v23
	s_delay_alu instid0(VALU_DEP_1) | instskip(NEXT) | instid1(VALU_DEP_1)
	v_cndmask_b32_e64 v25, 0x7f800000, v25, s0
	v_add_f32_e32 v39, v39, v25
.LBB765_259:
	s_or_b32 exec_lo, exec_lo, s42
.LBB765_260:
	s_delay_alu instid0(SALU_CYCLE_1)
	s_or_b32 exec_lo, exec_lo, s1
	s_and_saveexec_b32 s1, s51
	s_cbranch_execz .LBB765_264
; %bb.261:
	global_load_u8 v23, v[2:3], off offset:544
	s_waitcnt vmcnt(0)
	v_dual_mov_b32 v24, 0 :: v_dual_and_b32 v23, 1, v23
	s_delay_alu instid0(VALU_DEP_1) | instskip(NEXT) | instid1(VALU_DEP_1)
	v_cmp_eq_u32_e64 s0, 1, v23
	s_xor_b32 s0, s0, -1
	s_delay_alu instid0(SALU_CYCLE_1)
	s_and_saveexec_b32 s42, s0
	s_cbranch_execz .LBB765_263
; %bb.262:
	v_sub_f32_e32 v22, v22, v45
	s_delay_alu instid0(VALU_DEP_1) | instskip(NEXT) | instid1(VALU_DEP_1)
	v_mul_f32_e32 v23, 0x3fb8aa3b, v22
	v_fma_f32 v24, 0x3fb8aa3b, v22, -v23
	v_rndne_f32_e32 v46, v23
	s_delay_alu instid0(VALU_DEP_1) | instskip(SKIP_1) | instid1(VALU_DEP_2)
	v_dual_sub_f32 v23, v23, v46 :: v_dual_fmamk_f32 v24, v22, 0x32a5705f, v24
	v_cmp_ngt_f32_e64 s0, 0xc2ce8ed0, v22
	v_add_f32_e32 v23, v23, v24
	v_cvt_i32_f32_e32 v24, v46
	s_delay_alu instid0(VALU_DEP_2) | instskip(SKIP_2) | instid1(VALU_DEP_1)
	v_exp_f32_e32 v23, v23
	s_waitcnt_depctr 0xfff
	v_ldexp_f32 v23, v23, v24
	v_cndmask_b32_e64 v23, 0, v23, s0
	v_cmp_nlt_f32_e64 s0, 0x42b17218, v22
	s_delay_alu instid0(VALU_DEP_1) | instskip(NEXT) | instid1(VALU_DEP_1)
	v_cndmask_b32_e64 v24, 0x7f800000, v23, s0
	v_add_f32_e32 v39, v39, v24
.LBB765_263:
	s_or_b32 exec_lo, exec_lo, s42
.LBB765_264:
	s_delay_alu instid0(SALU_CYCLE_1)
	s_or_b32 exec_lo, exec_lo, s1
	v_dual_mov_b32 v22, 0 :: v_dual_mov_b32 v23, 0
	s_and_saveexec_b32 s1, s50
	s_cbranch_execz .LBB765_268
; %bb.265:
	global_load_u8 v23, v[2:3], off offset:576
	s_waitcnt vmcnt(0)
	v_and_b32_e32 v23, 1, v23
	s_delay_alu instid0(VALU_DEP_1) | instskip(SKIP_1) | instid1(VALU_DEP_2)
	v_cmp_eq_u32_e64 s0, 1, v23
	v_mov_b32_e32 v23, 0
	s_xor_b32 s0, s0, -1
	s_delay_alu instid0(SALU_CYCLE_1)
	s_and_saveexec_b32 s42, s0
	s_cbranch_execz .LBB765_267
; %bb.266:
	v_sub_f32_e32 v21, v21, v45
	s_delay_alu instid0(VALU_DEP_1) | instskip(SKIP_1) | instid1(VALU_DEP_2)
	v_mul_f32_e32 v23, 0x3fb8aa3b, v21
	v_cmp_ngt_f32_e64 s0, 0xc2ce8ed0, v21
	v_fma_f32 v46, 0x3fb8aa3b, v21, -v23
	v_rndne_f32_e32 v47, v23
	s_delay_alu instid0(VALU_DEP_1) | instskip(NEXT) | instid1(VALU_DEP_1)
	v_dual_fmamk_f32 v46, v21, 0x32a5705f, v46 :: v_dual_sub_f32 v23, v23, v47
	v_add_f32_e32 v23, v23, v46
	v_cvt_i32_f32_e32 v46, v47
	s_delay_alu instid0(VALU_DEP_2) | instskip(SKIP_2) | instid1(VALU_DEP_1)
	v_exp_f32_e32 v23, v23
	s_waitcnt_depctr 0xfff
	v_ldexp_f32 v23, v23, v46
	v_cndmask_b32_e64 v23, 0, v23, s0
	v_cmp_nlt_f32_e64 s0, 0x42b17218, v21
	s_delay_alu instid0(VALU_DEP_1) | instskip(NEXT) | instid1(VALU_DEP_1)
	v_cndmask_b32_e64 v23, 0x7f800000, v23, s0
	v_add_f32_e32 v39, v39, v23
.LBB765_267:
	s_or_b32 exec_lo, exec_lo, s42
.LBB765_268:
	s_delay_alu instid0(SALU_CYCLE_1)
	s_or_b32 exec_lo, exec_lo, s1
	s_and_saveexec_b32 s1, s49
	s_cbranch_execz .LBB765_272
; %bb.269:
	global_load_u8 v21, v[2:3], off offset:608
	s_waitcnt vmcnt(0)
	v_dual_mov_b32 v22, 0 :: v_dual_and_b32 v21, 1, v21
	s_delay_alu instid0(VALU_DEP_1) | instskip(NEXT) | instid1(VALU_DEP_1)
	v_cmp_eq_u32_e64 s0, 1, v21
	s_xor_b32 s0, s0, -1
	s_delay_alu instid0(SALU_CYCLE_1)
	s_and_saveexec_b32 s42, s0
	s_cbranch_execz .LBB765_271
; %bb.270:
	v_sub_f32_e32 v20, v20, v45
	s_delay_alu instid0(VALU_DEP_1) | instskip(NEXT) | instid1(VALU_DEP_1)
	v_mul_f32_e32 v21, 0x3fb8aa3b, v20
	v_fma_f32 v22, 0x3fb8aa3b, v20, -v21
	v_rndne_f32_e32 v46, v21
	s_delay_alu instid0(VALU_DEP_1) | instskip(SKIP_1) | instid1(VALU_DEP_2)
	v_dual_sub_f32 v21, v21, v46 :: v_dual_fmamk_f32 v22, v20, 0x32a5705f, v22
	v_cmp_ngt_f32_e64 s0, 0xc2ce8ed0, v20
	v_add_f32_e32 v21, v21, v22
	v_cvt_i32_f32_e32 v22, v46
	s_delay_alu instid0(VALU_DEP_2) | instskip(SKIP_2) | instid1(VALU_DEP_1)
	v_exp_f32_e32 v21, v21
	s_waitcnt_depctr 0xfff
	v_ldexp_f32 v21, v21, v22
	v_cndmask_b32_e64 v21, 0, v21, s0
	v_cmp_nlt_f32_e64 s0, 0x42b17218, v20
	s_delay_alu instid0(VALU_DEP_1) | instskip(NEXT) | instid1(VALU_DEP_1)
	v_cndmask_b32_e64 v22, 0x7f800000, v21, s0
	v_add_f32_e32 v39, v39, v22
.LBB765_271:
	s_or_b32 exec_lo, exec_lo, s42
.LBB765_272:
	s_delay_alu instid0(SALU_CYCLE_1)
	s_or_b32 exec_lo, exec_lo, s1
	v_dual_mov_b32 v20, 0 :: v_dual_mov_b32 v21, 0
	s_and_saveexec_b32 s1, s48
	s_cbranch_execz .LBB765_276
; %bb.273:
	global_load_u8 v21, v[2:3], off offset:640
	s_waitcnt vmcnt(0)
	v_and_b32_e32 v21, 1, v21
	s_delay_alu instid0(VALU_DEP_1) | instskip(SKIP_1) | instid1(VALU_DEP_2)
	v_cmp_eq_u32_e64 s0, 1, v21
	v_mov_b32_e32 v21, 0
	s_xor_b32 s0, s0, -1
	s_delay_alu instid0(SALU_CYCLE_1)
	s_and_saveexec_b32 s42, s0
	s_cbranch_execz .LBB765_275
; %bb.274:
	v_sub_f32_e32 v19, v19, v45
	s_delay_alu instid0(VALU_DEP_1) | instskip(SKIP_1) | instid1(VALU_DEP_2)
	v_mul_f32_e32 v21, 0x3fb8aa3b, v19
	v_cmp_ngt_f32_e64 s0, 0xc2ce8ed0, v19
	v_fma_f32 v46, 0x3fb8aa3b, v19, -v21
	v_rndne_f32_e32 v47, v21
	s_delay_alu instid0(VALU_DEP_1) | instskip(NEXT) | instid1(VALU_DEP_1)
	v_dual_fmamk_f32 v46, v19, 0x32a5705f, v46 :: v_dual_sub_f32 v21, v21, v47
	v_add_f32_e32 v21, v21, v46
	v_cvt_i32_f32_e32 v46, v47
	s_delay_alu instid0(VALU_DEP_2) | instskip(SKIP_2) | instid1(VALU_DEP_1)
	v_exp_f32_e32 v21, v21
	s_waitcnt_depctr 0xfff
	v_ldexp_f32 v21, v21, v46
	v_cndmask_b32_e64 v21, 0, v21, s0
	v_cmp_nlt_f32_e64 s0, 0x42b17218, v19
	s_delay_alu instid0(VALU_DEP_1) | instskip(NEXT) | instid1(VALU_DEP_1)
	v_cndmask_b32_e64 v21, 0x7f800000, v21, s0
	v_add_f32_e32 v39, v39, v21
.LBB765_275:
	s_or_b32 exec_lo, exec_lo, s42
.LBB765_276:
	s_delay_alu instid0(SALU_CYCLE_1)
	s_or_b32 exec_lo, exec_lo, s1
	s_and_saveexec_b32 s1, s47
	s_cbranch_execz .LBB765_280
; %bb.277:
	global_load_u8 v19, v[2:3], off offset:672
	s_waitcnt vmcnt(0)
	v_dual_mov_b32 v20, 0 :: v_dual_and_b32 v19, 1, v19
	s_delay_alu instid0(VALU_DEP_1) | instskip(NEXT) | instid1(VALU_DEP_1)
	v_cmp_eq_u32_e64 s0, 1, v19
	s_xor_b32 s0, s0, -1
	s_delay_alu instid0(SALU_CYCLE_1)
	s_and_saveexec_b32 s42, s0
	s_cbranch_execz .LBB765_279
; %bb.278:
	v_sub_f32_e32 v18, v18, v45
	s_delay_alu instid0(VALU_DEP_1) | instskip(NEXT) | instid1(VALU_DEP_1)
	v_mul_f32_e32 v19, 0x3fb8aa3b, v18
	v_fma_f32 v20, 0x3fb8aa3b, v18, -v19
	v_rndne_f32_e32 v46, v19
	s_delay_alu instid0(VALU_DEP_1) | instskip(SKIP_1) | instid1(VALU_DEP_2)
	v_dual_sub_f32 v19, v19, v46 :: v_dual_fmamk_f32 v20, v18, 0x32a5705f, v20
	v_cmp_ngt_f32_e64 s0, 0xc2ce8ed0, v18
	v_add_f32_e32 v19, v19, v20
	v_cvt_i32_f32_e32 v20, v46
	s_delay_alu instid0(VALU_DEP_2) | instskip(SKIP_2) | instid1(VALU_DEP_1)
	v_exp_f32_e32 v19, v19
	s_waitcnt_depctr 0xfff
	v_ldexp_f32 v19, v19, v20
	v_cndmask_b32_e64 v19, 0, v19, s0
	v_cmp_nlt_f32_e64 s0, 0x42b17218, v18
	s_delay_alu instid0(VALU_DEP_1) | instskip(NEXT) | instid1(VALU_DEP_1)
	v_cndmask_b32_e64 v20, 0x7f800000, v19, s0
	v_add_f32_e32 v39, v39, v20
.LBB765_279:
	s_or_b32 exec_lo, exec_lo, s42
.LBB765_280:
	s_delay_alu instid0(SALU_CYCLE_1)
	s_or_b32 exec_lo, exec_lo, s1
	v_dual_mov_b32 v18, 0 :: v_dual_mov_b32 v19, 0
	s_and_saveexec_b32 s1, s46
	s_cbranch_execz .LBB765_284
; %bb.281:
	global_load_u8 v19, v[2:3], off offset:704
	s_waitcnt vmcnt(0)
	v_and_b32_e32 v19, 1, v19
	s_delay_alu instid0(VALU_DEP_1) | instskip(SKIP_1) | instid1(VALU_DEP_2)
	v_cmp_eq_u32_e64 s0, 1, v19
	v_mov_b32_e32 v19, 0
	s_xor_b32 s0, s0, -1
	s_delay_alu instid0(SALU_CYCLE_1)
	s_and_saveexec_b32 s42, s0
	s_cbranch_execz .LBB765_283
; %bb.282:
	v_sub_f32_e32 v17, v17, v45
	s_delay_alu instid0(VALU_DEP_1) | instskip(SKIP_1) | instid1(VALU_DEP_2)
	v_mul_f32_e32 v19, 0x3fb8aa3b, v17
	v_cmp_ngt_f32_e64 s0, 0xc2ce8ed0, v17
	v_fma_f32 v46, 0x3fb8aa3b, v17, -v19
	v_rndne_f32_e32 v47, v19
	s_delay_alu instid0(VALU_DEP_1) | instskip(NEXT) | instid1(VALU_DEP_1)
	v_dual_fmamk_f32 v46, v17, 0x32a5705f, v46 :: v_dual_sub_f32 v19, v19, v47
	v_add_f32_e32 v19, v19, v46
	v_cvt_i32_f32_e32 v46, v47
	s_delay_alu instid0(VALU_DEP_2) | instskip(SKIP_2) | instid1(VALU_DEP_1)
	v_exp_f32_e32 v19, v19
	s_waitcnt_depctr 0xfff
	v_ldexp_f32 v19, v19, v46
	v_cndmask_b32_e64 v19, 0, v19, s0
	v_cmp_nlt_f32_e64 s0, 0x42b17218, v17
	s_delay_alu instid0(VALU_DEP_1) | instskip(NEXT) | instid1(VALU_DEP_1)
	v_cndmask_b32_e64 v19, 0x7f800000, v19, s0
	v_add_f32_e32 v39, v39, v19
.LBB765_283:
	s_or_b32 exec_lo, exec_lo, s42
.LBB765_284:
	s_delay_alu instid0(SALU_CYCLE_1)
	s_or_b32 exec_lo, exec_lo, s1
	s_and_saveexec_b32 s1, s45
	s_cbranch_execz .LBB765_288
; %bb.285:
	global_load_u8 v17, v[2:3], off offset:736
	s_waitcnt vmcnt(0)
	v_dual_mov_b32 v18, 0 :: v_dual_and_b32 v17, 1, v17
	s_delay_alu instid0(VALU_DEP_1) | instskip(NEXT) | instid1(VALU_DEP_1)
	v_cmp_eq_u32_e64 s0, 1, v17
	s_xor_b32 s0, s0, -1
	s_delay_alu instid0(SALU_CYCLE_1)
	s_and_saveexec_b32 s42, s0
	s_cbranch_execz .LBB765_287
; %bb.286:
	v_sub_f32_e32 v16, v16, v45
	s_delay_alu instid0(VALU_DEP_1) | instskip(NEXT) | instid1(VALU_DEP_1)
	v_mul_f32_e32 v17, 0x3fb8aa3b, v16
	v_fma_f32 v18, 0x3fb8aa3b, v16, -v17
	v_rndne_f32_e32 v46, v17
	s_delay_alu instid0(VALU_DEP_1) | instskip(SKIP_1) | instid1(VALU_DEP_2)
	v_dual_sub_f32 v17, v17, v46 :: v_dual_fmamk_f32 v18, v16, 0x32a5705f, v18
	v_cmp_ngt_f32_e64 s0, 0xc2ce8ed0, v16
	v_add_f32_e32 v17, v17, v18
	v_cvt_i32_f32_e32 v18, v46
	s_delay_alu instid0(VALU_DEP_2) | instskip(SKIP_2) | instid1(VALU_DEP_1)
	v_exp_f32_e32 v17, v17
	s_waitcnt_depctr 0xfff
	v_ldexp_f32 v17, v17, v18
	v_cndmask_b32_e64 v17, 0, v17, s0
	v_cmp_nlt_f32_e64 s0, 0x42b17218, v16
	s_delay_alu instid0(VALU_DEP_1) | instskip(NEXT) | instid1(VALU_DEP_1)
	v_cndmask_b32_e64 v18, 0x7f800000, v17, s0
	v_add_f32_e32 v39, v39, v18
.LBB765_287:
	s_or_b32 exec_lo, exec_lo, s42
.LBB765_288:
	s_delay_alu instid0(SALU_CYCLE_1)
	s_or_b32 exec_lo, exec_lo, s1
	v_dual_mov_b32 v16, 0 :: v_dual_mov_b32 v17, 0
	s_and_saveexec_b32 s1, s44
	s_cbranch_execz .LBB765_292
; %bb.289:
	global_load_u8 v17, v[2:3], off offset:768
	s_waitcnt vmcnt(0)
	v_and_b32_e32 v17, 1, v17
	s_delay_alu instid0(VALU_DEP_1) | instskip(SKIP_1) | instid1(VALU_DEP_2)
	v_cmp_eq_u32_e64 s0, 1, v17
	v_mov_b32_e32 v17, 0
	s_xor_b32 s0, s0, -1
	s_delay_alu instid0(SALU_CYCLE_1)
	s_and_saveexec_b32 s42, s0
	s_cbranch_execz .LBB765_291
; %bb.290:
	v_sub_f32_e32 v15, v15, v45
	s_delay_alu instid0(VALU_DEP_1) | instskip(SKIP_1) | instid1(VALU_DEP_2)
	v_mul_f32_e32 v17, 0x3fb8aa3b, v15
	v_cmp_ngt_f32_e64 s0, 0xc2ce8ed0, v15
	v_fma_f32 v46, 0x3fb8aa3b, v15, -v17
	v_rndne_f32_e32 v47, v17
	s_delay_alu instid0(VALU_DEP_1) | instskip(NEXT) | instid1(VALU_DEP_1)
	v_dual_fmamk_f32 v46, v15, 0x32a5705f, v46 :: v_dual_sub_f32 v17, v17, v47
	v_add_f32_e32 v17, v17, v46
	v_cvt_i32_f32_e32 v46, v47
	s_delay_alu instid0(VALU_DEP_2) | instskip(SKIP_2) | instid1(VALU_DEP_1)
	v_exp_f32_e32 v17, v17
	s_waitcnt_depctr 0xfff
	v_ldexp_f32 v17, v17, v46
	v_cndmask_b32_e64 v17, 0, v17, s0
	v_cmp_nlt_f32_e64 s0, 0x42b17218, v15
	s_delay_alu instid0(VALU_DEP_1) | instskip(NEXT) | instid1(VALU_DEP_1)
	v_cndmask_b32_e64 v17, 0x7f800000, v17, s0
	v_add_f32_e32 v39, v39, v17
.LBB765_291:
	s_or_b32 exec_lo, exec_lo, s42
.LBB765_292:
	s_delay_alu instid0(SALU_CYCLE_1)
	s_or_b32 exec_lo, exec_lo, s1
	s_and_saveexec_b32 s1, s43
	s_cbranch_execz .LBB765_296
; %bb.293:
	global_load_u8 v15, v[2:3], off offset:800
	s_waitcnt vmcnt(0)
	v_dual_mov_b32 v16, 0 :: v_dual_and_b32 v15, 1, v15
	s_delay_alu instid0(VALU_DEP_1) | instskip(NEXT) | instid1(VALU_DEP_1)
	v_cmp_eq_u32_e64 s0, 1, v15
	s_xor_b32 s0, s0, -1
	s_delay_alu instid0(SALU_CYCLE_1)
	s_and_saveexec_b32 s42, s0
	s_cbranch_execz .LBB765_295
; %bb.294:
	v_sub_f32_e32 v14, v14, v45
	s_delay_alu instid0(VALU_DEP_1) | instskip(NEXT) | instid1(VALU_DEP_1)
	v_mul_f32_e32 v15, 0x3fb8aa3b, v14
	v_fma_f32 v16, 0x3fb8aa3b, v14, -v15
	v_rndne_f32_e32 v46, v15
	s_delay_alu instid0(VALU_DEP_1) | instskip(SKIP_1) | instid1(VALU_DEP_2)
	v_dual_sub_f32 v15, v15, v46 :: v_dual_fmamk_f32 v16, v14, 0x32a5705f, v16
	v_cmp_ngt_f32_e64 s0, 0xc2ce8ed0, v14
	v_add_f32_e32 v15, v15, v16
	v_cvt_i32_f32_e32 v16, v46
	s_delay_alu instid0(VALU_DEP_2) | instskip(SKIP_2) | instid1(VALU_DEP_1)
	v_exp_f32_e32 v15, v15
	s_waitcnt_depctr 0xfff
	v_ldexp_f32 v15, v15, v16
	v_cndmask_b32_e64 v15, 0, v15, s0
	v_cmp_nlt_f32_e64 s0, 0x42b17218, v14
	s_delay_alu instid0(VALU_DEP_1) | instskip(NEXT) | instid1(VALU_DEP_1)
	v_cndmask_b32_e64 v16, 0x7f800000, v15, s0
	v_add_f32_e32 v39, v39, v16
.LBB765_295:
	s_or_b32 exec_lo, exec_lo, s42
.LBB765_296:
	s_delay_alu instid0(SALU_CYCLE_1)
	s_or_b32 exec_lo, exec_lo, s1
	v_dual_mov_b32 v14, 0 :: v_dual_mov_b32 v15, 0
	s_and_saveexec_b32 s1, s41
	s_cbranch_execz .LBB765_300
; %bb.297:
	global_load_u8 v15, v[2:3], off offset:832
	s_waitcnt vmcnt(0)
	v_and_b32_e32 v15, 1, v15
	s_delay_alu instid0(VALU_DEP_1) | instskip(SKIP_1) | instid1(VALU_DEP_2)
	v_cmp_eq_u32_e64 s0, 1, v15
	v_mov_b32_e32 v15, 0
	s_xor_b32 s0, s0, -1
	s_delay_alu instid0(SALU_CYCLE_1)
	s_and_saveexec_b32 s41, s0
	s_cbranch_execz .LBB765_299
; %bb.298:
	v_sub_f32_e32 v13, v13, v45
	s_delay_alu instid0(VALU_DEP_1) | instskip(SKIP_1) | instid1(VALU_DEP_2)
	v_mul_f32_e32 v15, 0x3fb8aa3b, v13
	v_cmp_ngt_f32_e64 s0, 0xc2ce8ed0, v13
	v_fma_f32 v46, 0x3fb8aa3b, v13, -v15
	v_rndne_f32_e32 v47, v15
	s_delay_alu instid0(VALU_DEP_1) | instskip(NEXT) | instid1(VALU_DEP_1)
	v_dual_fmamk_f32 v46, v13, 0x32a5705f, v46 :: v_dual_sub_f32 v15, v15, v47
	v_add_f32_e32 v15, v15, v46
	v_cvt_i32_f32_e32 v46, v47
	s_delay_alu instid0(VALU_DEP_2) | instskip(SKIP_2) | instid1(VALU_DEP_1)
	v_exp_f32_e32 v15, v15
	s_waitcnt_depctr 0xfff
	v_ldexp_f32 v15, v15, v46
	v_cndmask_b32_e64 v15, 0, v15, s0
	v_cmp_nlt_f32_e64 s0, 0x42b17218, v13
	s_delay_alu instid0(VALU_DEP_1) | instskip(NEXT) | instid1(VALU_DEP_1)
	v_cndmask_b32_e64 v15, 0x7f800000, v15, s0
	v_add_f32_e32 v39, v39, v15
.LBB765_299:
	s_or_b32 exec_lo, exec_lo, s41
.LBB765_300:
	s_delay_alu instid0(SALU_CYCLE_1)
	s_or_b32 exec_lo, exec_lo, s1
	s_and_saveexec_b32 s1, s40
	s_cbranch_execz .LBB765_304
; %bb.301:
	global_load_u8 v13, v[2:3], off offset:864
	s_waitcnt vmcnt(0)
	v_dual_mov_b32 v14, 0 :: v_dual_and_b32 v13, 1, v13
	s_delay_alu instid0(VALU_DEP_1) | instskip(NEXT) | instid1(VALU_DEP_1)
	v_cmp_eq_u32_e64 s0, 1, v13
	s_xor_b32 s0, s0, -1
	s_delay_alu instid0(SALU_CYCLE_1)
	s_and_saveexec_b32 s40, s0
	s_cbranch_execz .LBB765_303
; %bb.302:
	v_sub_f32_e32 v12, v12, v45
	s_delay_alu instid0(VALU_DEP_1) | instskip(NEXT) | instid1(VALU_DEP_1)
	v_mul_f32_e32 v13, 0x3fb8aa3b, v12
	v_fma_f32 v14, 0x3fb8aa3b, v12, -v13
	v_rndne_f32_e32 v46, v13
	s_delay_alu instid0(VALU_DEP_1) | instskip(SKIP_1) | instid1(VALU_DEP_2)
	v_dual_sub_f32 v13, v13, v46 :: v_dual_fmamk_f32 v14, v12, 0x32a5705f, v14
	v_cmp_ngt_f32_e64 s0, 0xc2ce8ed0, v12
	v_add_f32_e32 v13, v13, v14
	v_cvt_i32_f32_e32 v14, v46
	s_delay_alu instid0(VALU_DEP_2) | instskip(SKIP_2) | instid1(VALU_DEP_1)
	v_exp_f32_e32 v13, v13
	s_waitcnt_depctr 0xfff
	v_ldexp_f32 v13, v13, v14
	v_cndmask_b32_e64 v13, 0, v13, s0
	v_cmp_nlt_f32_e64 s0, 0x42b17218, v12
	s_delay_alu instid0(VALU_DEP_1) | instskip(NEXT) | instid1(VALU_DEP_1)
	v_cndmask_b32_e64 v14, 0x7f800000, v13, s0
	v_add_f32_e32 v39, v39, v14
.LBB765_303:
	s_or_b32 exec_lo, exec_lo, s40
.LBB765_304:
	s_delay_alu instid0(SALU_CYCLE_1)
	s_or_b32 exec_lo, exec_lo, s1
	v_dual_mov_b32 v12, 0 :: v_dual_mov_b32 v13, 0
	s_and_saveexec_b32 s1, s39
	s_cbranch_execz .LBB765_308
; %bb.305:
	global_load_u8 v13, v[2:3], off offset:896
	s_waitcnt vmcnt(0)
	v_and_b32_e32 v13, 1, v13
	s_delay_alu instid0(VALU_DEP_1) | instskip(SKIP_1) | instid1(VALU_DEP_2)
	v_cmp_eq_u32_e64 s0, 1, v13
	v_mov_b32_e32 v13, 0
	s_xor_b32 s0, s0, -1
	s_delay_alu instid0(SALU_CYCLE_1)
	s_and_saveexec_b32 s39, s0
	s_cbranch_execz .LBB765_307
; %bb.306:
	v_sub_f32_e32 v11, v11, v45
	s_delay_alu instid0(VALU_DEP_1) | instskip(SKIP_1) | instid1(VALU_DEP_2)
	v_mul_f32_e32 v13, 0x3fb8aa3b, v11
	v_cmp_ngt_f32_e64 s0, 0xc2ce8ed0, v11
	v_fma_f32 v46, 0x3fb8aa3b, v11, -v13
	v_rndne_f32_e32 v47, v13
	s_delay_alu instid0(VALU_DEP_1) | instskip(NEXT) | instid1(VALU_DEP_1)
	v_dual_fmamk_f32 v46, v11, 0x32a5705f, v46 :: v_dual_sub_f32 v13, v13, v47
	v_add_f32_e32 v13, v13, v46
	v_cvt_i32_f32_e32 v46, v47
	s_delay_alu instid0(VALU_DEP_2) | instskip(SKIP_2) | instid1(VALU_DEP_1)
	v_exp_f32_e32 v13, v13
	s_waitcnt_depctr 0xfff
	v_ldexp_f32 v13, v13, v46
	v_cndmask_b32_e64 v13, 0, v13, s0
	v_cmp_nlt_f32_e64 s0, 0x42b17218, v11
	s_delay_alu instid0(VALU_DEP_1) | instskip(NEXT) | instid1(VALU_DEP_1)
	v_cndmask_b32_e64 v13, 0x7f800000, v13, s0
	v_add_f32_e32 v39, v39, v13
.LBB765_307:
	s_or_b32 exec_lo, exec_lo, s39
.LBB765_308:
	s_delay_alu instid0(SALU_CYCLE_1)
	s_or_b32 exec_lo, exec_lo, s1
	s_and_saveexec_b32 s1, s38
	s_cbranch_execz .LBB765_312
; %bb.309:
	global_load_u8 v11, v[2:3], off offset:928
	s_waitcnt vmcnt(0)
	v_dual_mov_b32 v12, 0 :: v_dual_and_b32 v11, 1, v11
	s_delay_alu instid0(VALU_DEP_1) | instskip(NEXT) | instid1(VALU_DEP_1)
	v_cmp_eq_u32_e64 s0, 1, v11
	s_xor_b32 s0, s0, -1
	s_delay_alu instid0(SALU_CYCLE_1)
	s_and_saveexec_b32 s38, s0
	s_cbranch_execz .LBB765_311
; %bb.310:
	v_sub_f32_e32 v10, v10, v45
	s_delay_alu instid0(VALU_DEP_1) | instskip(NEXT) | instid1(VALU_DEP_1)
	v_mul_f32_e32 v11, 0x3fb8aa3b, v10
	v_fma_f32 v12, 0x3fb8aa3b, v10, -v11
	v_rndne_f32_e32 v46, v11
	s_delay_alu instid0(VALU_DEP_1) | instskip(SKIP_1) | instid1(VALU_DEP_2)
	v_dual_sub_f32 v11, v11, v46 :: v_dual_fmamk_f32 v12, v10, 0x32a5705f, v12
	v_cmp_ngt_f32_e64 s0, 0xc2ce8ed0, v10
	v_add_f32_e32 v11, v11, v12
	v_cvt_i32_f32_e32 v12, v46
	s_delay_alu instid0(VALU_DEP_2) | instskip(SKIP_2) | instid1(VALU_DEP_1)
	v_exp_f32_e32 v11, v11
	s_waitcnt_depctr 0xfff
	v_ldexp_f32 v11, v11, v12
	v_cndmask_b32_e64 v11, 0, v11, s0
	v_cmp_nlt_f32_e64 s0, 0x42b17218, v10
	s_delay_alu instid0(VALU_DEP_1) | instskip(NEXT) | instid1(VALU_DEP_1)
	v_cndmask_b32_e64 v12, 0x7f800000, v11, s0
	v_add_f32_e32 v39, v39, v12
.LBB765_311:
	s_or_b32 exec_lo, exec_lo, s38
.LBB765_312:
	s_delay_alu instid0(SALU_CYCLE_1)
	s_or_b32 exec_lo, exec_lo, s1
	v_dual_mov_b32 v10, 0 :: v_dual_mov_b32 v11, 0
	s_and_saveexec_b32 s1, s35
	s_cbranch_execz .LBB765_316
; %bb.313:
	global_load_u8 v11, v[2:3], off offset:960
	s_waitcnt vmcnt(0)
	v_and_b32_e32 v11, 1, v11
	s_delay_alu instid0(VALU_DEP_1) | instskip(SKIP_1) | instid1(VALU_DEP_2)
	v_cmp_eq_u32_e64 s0, 1, v11
	v_mov_b32_e32 v11, 0
	s_xor_b32 s0, s0, -1
	s_delay_alu instid0(SALU_CYCLE_1)
	s_and_saveexec_b32 s35, s0
	s_cbranch_execz .LBB765_315
; %bb.314:
	v_sub_f32_e32 v9, v9, v45
	s_delay_alu instid0(VALU_DEP_1) | instskip(SKIP_1) | instid1(VALU_DEP_2)
	v_mul_f32_e32 v11, 0x3fb8aa3b, v9
	v_cmp_ngt_f32_e64 s0, 0xc2ce8ed0, v9
	v_fma_f32 v46, 0x3fb8aa3b, v9, -v11
	v_rndne_f32_e32 v47, v11
	s_delay_alu instid0(VALU_DEP_1) | instskip(NEXT) | instid1(VALU_DEP_1)
	v_dual_fmamk_f32 v46, v9, 0x32a5705f, v46 :: v_dual_sub_f32 v11, v11, v47
	v_add_f32_e32 v11, v11, v46
	v_cvt_i32_f32_e32 v46, v47
	s_delay_alu instid0(VALU_DEP_2) | instskip(SKIP_2) | instid1(VALU_DEP_1)
	v_exp_f32_e32 v11, v11
	s_waitcnt_depctr 0xfff
	v_ldexp_f32 v11, v11, v46
	v_cndmask_b32_e64 v11, 0, v11, s0
	v_cmp_nlt_f32_e64 s0, 0x42b17218, v9
	s_delay_alu instid0(VALU_DEP_1) | instskip(NEXT) | instid1(VALU_DEP_1)
	v_cndmask_b32_e64 v11, 0x7f800000, v11, s0
	v_add_f32_e32 v39, v39, v11
.LBB765_315:
	s_or_b32 exec_lo, exec_lo, s35
.LBB765_316:
	s_delay_alu instid0(SALU_CYCLE_1)
	s_or_b32 exec_lo, exec_lo, s1
	s_and_saveexec_b32 s1, s34
	s_cbranch_execz .LBB765_320
; %bb.317:
	global_load_u8 v2, v[2:3], off offset:992
	v_mov_b32_e32 v10, 0
	s_waitcnt vmcnt(0)
	v_and_b32_e32 v2, 1, v2
	s_delay_alu instid0(VALU_DEP_1) | instskip(NEXT) | instid1(VALU_DEP_1)
	v_cmp_eq_u32_e64 s0, 1, v2
	s_xor_b32 s0, s0, -1
	s_delay_alu instid0(SALU_CYCLE_1)
	s_and_saveexec_b32 s34, s0
	s_cbranch_execz .LBB765_319
; %bb.318:
	v_sub_f32_e32 v2, v8, v45
	s_delay_alu instid0(VALU_DEP_1) | instskip(NEXT) | instid1(VALU_DEP_1)
	v_mul_f32_e32 v3, 0x3fb8aa3b, v2
	v_fma_f32 v8, 0x3fb8aa3b, v2, -v3
	v_rndne_f32_e32 v9, v3
	s_delay_alu instid0(VALU_DEP_1) | instskip(NEXT) | instid1(VALU_DEP_1)
	v_dual_fmamk_f32 v8, v2, 0x32a5705f, v8 :: v_dual_sub_f32 v3, v3, v9
	v_add_f32_e32 v3, v3, v8
	v_cvt_i32_f32_e32 v8, v9
	v_cmp_ngt_f32_e64 s0, 0xc2ce8ed0, v2
	s_delay_alu instid0(VALU_DEP_3) | instskip(SKIP_2) | instid1(VALU_DEP_1)
	v_exp_f32_e32 v3, v3
	s_waitcnt_depctr 0xfff
	v_ldexp_f32 v3, v3, v8
	v_cndmask_b32_e64 v3, 0, v3, s0
	v_cmp_nlt_f32_e64 s0, 0x42b17218, v2
	s_delay_alu instid0(VALU_DEP_1) | instskip(NEXT) | instid1(VALU_DEP_1)
	v_cndmask_b32_e64 v10, 0x7f800000, v3, s0
	v_add_f32_e32 v39, v39, v10
.LBB765_319:
	s_or_b32 exec_lo, exec_lo, s34
.LBB765_320:
	s_delay_alu instid0(SALU_CYCLE_1)
	s_or_b32 exec_lo, exec_lo, s1
	ds_bpermute_b32 v2, v6, v39
	s_mov_b32 s1, exec_lo
	s_waitcnt lgkmcnt(0)
	v_add_f32_e32 v2, v39, v2
	ds_bpermute_b32 v3, v40, v2
	s_waitcnt lgkmcnt(0)
	v_add_f32_e32 v2, v2, v3
	ds_bpermute_b32 v3, v41, v2
	;; [unrolled: 3-line block ×4, first 2 shown]
	v_cmpx_lt_i32_e32 0, v7
	s_cbranch_execz .LBB765_418
; %bb.321:
	s_and_b32 exec_lo, exec_lo, vcc_lo
	s_cbranch_execz .LBB765_418
; %bb.322:
	s_waitcnt lgkmcnt(0)
	v_dual_add_f32 v2, v2, v3 :: v_dual_mov_b32 v3, 0x7fc0
	s_delay_alu instid0(VALU_DEP_1) | instskip(NEXT) | instid1(VALU_DEP_1)
	v_cmp_neq_f32_e64 s0, 0, v2
	s_and_saveexec_b32 s1, s0
	s_cbranch_execz .LBB765_324
; %bb.323:
	v_div_scale_f32 v3, null, v2, v2, v42
	s_delay_alu instid0(VALU_DEP_1) | instskip(SKIP_2) | instid1(VALU_DEP_1)
	v_rcp_f32_e32 v6, v3
	s_waitcnt_depctr 0xfff
	v_fma_f32 v7, -v3, v6, 1.0
	v_fmac_f32_e32 v6, v7, v6
	v_div_scale_f32 v7, vcc_lo, v42, v2, v42
	s_delay_alu instid0(VALU_DEP_1) | instskip(NEXT) | instid1(VALU_DEP_1)
	v_mul_f32_e32 v8, v7, v6
	v_fma_f32 v9, -v3, v8, v7
	s_delay_alu instid0(VALU_DEP_1) | instskip(NEXT) | instid1(VALU_DEP_1)
	v_fmac_f32_e32 v8, v9, v6
	v_fma_f32 v3, -v3, v8, v7
	s_delay_alu instid0(VALU_DEP_1) | instskip(NEXT) | instid1(VALU_DEP_1)
	v_div_fmas_f32 v3, v3, v6, v8
	v_div_fixup_f32 v3, v3, v2, v42
	s_delay_alu instid0(VALU_DEP_1) | instskip(SKIP_1) | instid1(VALU_DEP_2)
	v_bfe_u32 v6, v3, 16, 1
	v_cmp_o_f32_e32 vcc_lo, v3, v3
	v_add3_u32 v6, v3, v6, 0x7fff
	s_delay_alu instid0(VALU_DEP_1) | instskip(NEXT) | instid1(VALU_DEP_1)
	v_lshrrev_b32_e32 v6, 16, v6
	v_cndmask_b32_e32 v3, 0x7fc0, v6, vcc_lo
.LBB765_324:
	s_or_b32 exec_lo, exec_lo, s1
	v_add_co_u32 v0, vcc_lo, s36, v0
	v_add_co_ci_u32_e32 v1, vcc_lo, s37, v1, vcc_lo
	global_store_b16 v[0:1], v3, off
	s_and_b32 exec_lo, exec_lo, s33
	s_cbranch_execz .LBB765_418
; %bb.325:
	v_mov_b32_e32 v3, 0x7fc0
	s_and_saveexec_b32 s1, s0
	s_cbranch_execz .LBB765_327
; %bb.326:
	v_div_scale_f32 v3, null, v2, v2, v4
	s_delay_alu instid0(VALU_DEP_1) | instskip(SKIP_2) | instid1(VALU_DEP_1)
	v_rcp_f32_e32 v6, v3
	s_waitcnt_depctr 0xfff
	v_fma_f32 v7, -v3, v6, 1.0
	v_fmac_f32_e32 v6, v7, v6
	v_div_scale_f32 v7, vcc_lo, v4, v2, v4
	s_delay_alu instid0(VALU_DEP_1) | instskip(NEXT) | instid1(VALU_DEP_1)
	v_mul_f32_e32 v8, v7, v6
	v_fma_f32 v9, -v3, v8, v7
	s_delay_alu instid0(VALU_DEP_1) | instskip(NEXT) | instid1(VALU_DEP_1)
	v_fmac_f32_e32 v8, v9, v6
	v_fma_f32 v3, -v3, v8, v7
	s_delay_alu instid0(VALU_DEP_1) | instskip(NEXT) | instid1(VALU_DEP_1)
	v_div_fmas_f32 v3, v3, v6, v8
	v_div_fixup_f32 v3, v3, v2, v4
	s_delay_alu instid0(VALU_DEP_1) | instskip(SKIP_1) | instid1(VALU_DEP_2)
	v_bfe_u32 v4, v3, 16, 1
	v_cmp_o_f32_e32 vcc_lo, v3, v3
	v_add3_u32 v4, v3, v4, 0x7fff
	s_delay_alu instid0(VALU_DEP_1) | instskip(NEXT) | instid1(VALU_DEP_1)
	v_lshrrev_b32_e32 v4, 16, v4
	v_cndmask_b32_e32 v3, 0x7fc0, v4, vcc_lo
.LBB765_327:
	s_or_b32 exec_lo, exec_lo, s1
	global_store_b16 v[0:1], v3, off offset:64
	s_and_b32 exec_lo, exec_lo, s31
	s_cbranch_execz .LBB765_418
; %bb.328:
	v_mov_b32_e32 v3, 0x7fc0
	s_and_saveexec_b32 s1, s0
	s_cbranch_execz .LBB765_330
; %bb.329:
	v_div_scale_f32 v3, null, v2, v2, v38
	s_delay_alu instid0(VALU_DEP_1) | instskip(SKIP_2) | instid1(VALU_DEP_1)
	v_rcp_f32_e32 v4, v3
	s_waitcnt_depctr 0xfff
	v_fma_f32 v6, -v3, v4, 1.0
	v_fmac_f32_e32 v4, v6, v4
	v_div_scale_f32 v6, vcc_lo, v38, v2, v38
	s_delay_alu instid0(VALU_DEP_1) | instskip(NEXT) | instid1(VALU_DEP_1)
	v_mul_f32_e32 v7, v6, v4
	v_fma_f32 v8, -v3, v7, v6
	s_delay_alu instid0(VALU_DEP_1) | instskip(NEXT) | instid1(VALU_DEP_1)
	v_fmac_f32_e32 v7, v8, v4
	v_fma_f32 v3, -v3, v7, v6
	s_delay_alu instid0(VALU_DEP_1) | instskip(NEXT) | instid1(VALU_DEP_1)
	v_div_fmas_f32 v3, v3, v4, v7
	v_div_fixup_f32 v3, v3, v2, v38
	s_delay_alu instid0(VALU_DEP_1) | instskip(SKIP_1) | instid1(VALU_DEP_2)
	v_bfe_u32 v4, v3, 16, 1
	v_cmp_o_f32_e32 vcc_lo, v3, v3
	v_add3_u32 v4, v3, v4, 0x7fff
	s_delay_alu instid0(VALU_DEP_1) | instskip(NEXT) | instid1(VALU_DEP_1)
	v_lshrrev_b32_e32 v4, 16, v4
	v_cndmask_b32_e32 v3, 0x7fc0, v4, vcc_lo
.LBB765_330:
	s_or_b32 exec_lo, exec_lo, s1
	global_store_b16 v[0:1], v3, off offset:128
	;; [unrolled: 33-line block ×31, first 2 shown]
.LBB765_418:
	s_nop 0
	s_sendmsg sendmsg(MSG_DEALLOC_VGPRS)
	s_endpgm
	.section	.rodata,"a",@progbits
	.p2align	6, 0x0
	.amdhsa_kernel _ZN12_GLOBAL__N_120softmax_warp_forwardIN3c108BFloat16ES2_fLi10ELb0ELb1ELi32EEEvPT0_PKT_iiiPKbib
		.amdhsa_group_segment_fixed_size 0
		.amdhsa_private_segment_fixed_size 0
		.amdhsa_kernarg_size 304
		.amdhsa_user_sgpr_count 15
		.amdhsa_user_sgpr_dispatch_ptr 0
		.amdhsa_user_sgpr_queue_ptr 0
		.amdhsa_user_sgpr_kernarg_segment_ptr 1
		.amdhsa_user_sgpr_dispatch_id 0
		.amdhsa_user_sgpr_private_segment_size 0
		.amdhsa_wavefront_size32 1
		.amdhsa_uses_dynamic_stack 0
		.amdhsa_enable_private_segment 0
		.amdhsa_system_sgpr_workgroup_id_x 1
		.amdhsa_system_sgpr_workgroup_id_y 0
		.amdhsa_system_sgpr_workgroup_id_z 0
		.amdhsa_system_sgpr_workgroup_info 0
		.amdhsa_system_vgpr_workitem_id 1
		.amdhsa_next_free_vgpr 48
		.amdhsa_next_free_sgpr 71
		.amdhsa_reserve_vcc 1
		.amdhsa_float_round_mode_32 0
		.amdhsa_float_round_mode_16_64 0
		.amdhsa_float_denorm_mode_32 3
		.amdhsa_float_denorm_mode_16_64 3
		.amdhsa_dx10_clamp 1
		.amdhsa_ieee_mode 1
		.amdhsa_fp16_overflow 0
		.amdhsa_workgroup_processor_mode 1
		.amdhsa_memory_ordered 1
		.amdhsa_forward_progress 0
		.amdhsa_shared_vgpr_count 0
		.amdhsa_exception_fp_ieee_invalid_op 0
		.amdhsa_exception_fp_denorm_src 0
		.amdhsa_exception_fp_ieee_div_zero 0
		.amdhsa_exception_fp_ieee_overflow 0
		.amdhsa_exception_fp_ieee_underflow 0
		.amdhsa_exception_fp_ieee_inexact 0
		.amdhsa_exception_int_div_zero 0
	.end_amdhsa_kernel
	.section	.text._ZN12_GLOBAL__N_120softmax_warp_forwardIN3c108BFloat16ES2_fLi10ELb0ELb1ELi32EEEvPT0_PKT_iiiPKbib,"axG",@progbits,_ZN12_GLOBAL__N_120softmax_warp_forwardIN3c108BFloat16ES2_fLi10ELb0ELb1ELi32EEEvPT0_PKT_iiiPKbib,comdat
.Lfunc_end765:
	.size	_ZN12_GLOBAL__N_120softmax_warp_forwardIN3c108BFloat16ES2_fLi10ELb0ELb1ELi32EEEvPT0_PKT_iiiPKbib, .Lfunc_end765-_ZN12_GLOBAL__N_120softmax_warp_forwardIN3c108BFloat16ES2_fLi10ELb0ELb1ELi32EEEvPT0_PKT_iiiPKbib
                                        ; -- End function
	.section	.AMDGPU.csdata,"",@progbits
; Kernel info:
; codeLenInByte = 18232
; NumSgprs: 73
; NumVgprs: 48
; ScratchSize: 0
; MemoryBound: 0
; FloatMode: 240
; IeeeMode: 1
; LDSByteSize: 0 bytes/workgroup (compile time only)
; SGPRBlocks: 9
; VGPRBlocks: 5
; NumSGPRsForWavesPerEU: 73
; NumVGPRsForWavesPerEU: 48
; Occupancy: 16
; WaveLimiterHint : 0
; COMPUTE_PGM_RSRC2:SCRATCH_EN: 0
; COMPUTE_PGM_RSRC2:USER_SGPR: 15
; COMPUTE_PGM_RSRC2:TRAP_HANDLER: 0
; COMPUTE_PGM_RSRC2:TGID_X_EN: 1
; COMPUTE_PGM_RSRC2:TGID_Y_EN: 0
; COMPUTE_PGM_RSRC2:TGID_Z_EN: 0
; COMPUTE_PGM_RSRC2:TIDIG_COMP_CNT: 1
	.section	.text._ZN12_GLOBAL__N_120softmax_warp_forwardIN3c108BFloat16ES2_fLi11ELb0ELb1ELi64EEEvPT0_PKT_iiiPKbib,"axG",@progbits,_ZN12_GLOBAL__N_120softmax_warp_forwardIN3c108BFloat16ES2_fLi11ELb0ELb1ELi64EEEvPT0_PKT_iiiPKbib,comdat
	.globl	_ZN12_GLOBAL__N_120softmax_warp_forwardIN3c108BFloat16ES2_fLi11ELb0ELb1ELi64EEEvPT0_PKT_iiiPKbib ; -- Begin function _ZN12_GLOBAL__N_120softmax_warp_forwardIN3c108BFloat16ES2_fLi11ELb0ELb1ELi64EEEvPT0_PKT_iiiPKbib
	.p2align	8
	.type	_ZN12_GLOBAL__N_120softmax_warp_forwardIN3c108BFloat16ES2_fLi11ELb0ELb1ELi64EEEvPT0_PKT_iiiPKbib,@function
_ZN12_GLOBAL__N_120softmax_warp_forwardIN3c108BFloat16ES2_fLi11ELb0ELb1ELi64EEEvPT0_PKT_iiiPKbib: ; @_ZN12_GLOBAL__N_120softmax_warp_forwardIN3c108BFloat16ES2_fLi11ELb0ELb1ELi64EEEvPT0_PKT_iiiPKbib
; %bb.0:
	s_clause 0x1
	s_load_b32 s2, s[0:1], 0x3c
	s_load_b128 s[40:43], s[0:1], 0x10
	v_bfe_u32 v3, v0, 10, 10
	s_waitcnt lgkmcnt(0)
	s_lshr_b32 s2, s2, 16
	s_delay_alu instid0(VALU_DEP_1) | instid1(SALU_CYCLE_1)
	v_mad_u64_u32 v[1:2], null, s15, s2, v[3:4]
	s_load_b64 s[2:3], s[0:1], 0x28
	v_and_b32_e32 v2, 0x3ff, v0
	s_delay_alu instid0(VALU_DEP_2) | instskip(NEXT) | instid1(VALU_DEP_1)
	v_mul_lo_u32 v7, v1, s41
	v_add_nc_u32_e32 v5, v7, v2
	s_delay_alu instid0(VALU_DEP_1) | instskip(SKIP_3) | instid1(VALU_DEP_2)
	v_ashrrev_i32_e32 v6, 31, v5
	v_mov_b32_e32 v3, v5
	s_waitcnt lgkmcnt(0)
	s_bitcmp0_b32 s3, 0
	v_mov_b32_e32 v4, v6
	s_cbranch_scc1 .LBB766_2
; %bb.1:
	s_abs_i32 s3, s2
	v_sub_nc_u32_e32 v4, 0, v7
	v_cvt_f32_u32_e32 v0, s3
	s_sub_i32 s4, 0, s3
	s_delay_alu instid0(VALU_DEP_2) | instskip(NEXT) | instid1(VALU_DEP_2)
	v_max_i32_e32 v4, v7, v4
	v_rcp_iflag_f32_e32 v0, v0
	s_waitcnt_depctr 0xfff
	v_mul_f32_e32 v0, 0x4f7ffffe, v0
	s_delay_alu instid0(VALU_DEP_1) | instskip(NEXT) | instid1(VALU_DEP_1)
	v_cvt_u32_f32_e32 v0, v0
	v_mul_lo_u32 v3, s4, v0
	s_delay_alu instid0(VALU_DEP_1) | instskip(NEXT) | instid1(VALU_DEP_1)
	v_mul_hi_u32 v3, v0, v3
	v_add_nc_u32_e32 v0, v0, v3
	s_delay_alu instid0(VALU_DEP_1) | instskip(NEXT) | instid1(VALU_DEP_1)
	v_mul_hi_u32 v0, v4, v0
	v_mul_lo_u32 v3, v0, s3
	s_delay_alu instid0(VALU_DEP_1) | instskip(SKIP_1) | instid1(VALU_DEP_2)
	v_sub_nc_u32_e32 v3, v4, v3
	v_add_nc_u32_e32 v4, 1, v0
	v_subrev_nc_u32_e32 v8, s3, v3
	v_cmp_le_u32_e32 vcc_lo, s3, v3
	s_delay_alu instid0(VALU_DEP_2) | instskip(NEXT) | instid1(VALU_DEP_4)
	v_cndmask_b32_e32 v3, v3, v8, vcc_lo
	v_cndmask_b32_e32 v0, v0, v4, vcc_lo
	v_xor_b32_e32 v4, s2, v7
	s_delay_alu instid0(VALU_DEP_3) | instskip(NEXT) | instid1(VALU_DEP_3)
	v_cmp_le_u32_e32 vcc_lo, s3, v3
	v_add_nc_u32_e32 v7, 1, v0
	s_delay_alu instid0(VALU_DEP_3) | instskip(NEXT) | instid1(VALU_DEP_2)
	v_ashrrev_i32_e32 v4, 31, v4
	v_cndmask_b32_e32 v0, v0, v7, vcc_lo
	s_delay_alu instid0(VALU_DEP_1) | instskip(NEXT) | instid1(VALU_DEP_1)
	v_xor_b32_e32 v0, v0, v4
	v_sub_nc_u32_e32 v0, v0, v4
	s_delay_alu instid0(VALU_DEP_1) | instskip(NEXT) | instid1(VALU_DEP_1)
	v_mad_u64_u32 v[3:4], null, v0, s41, v[2:3]
	v_ashrrev_i32_e32 v4, 31, v3
.LBB766_2:
	s_load_b128 s[36:39], s[0:1], 0x0
	v_sub_nc_u32_e32 v7, s40, v1
	v_lshlrev_b64 v[0:1], 1, v[5:6]
	v_cmp_gt_i32_e32 vcc_lo, s42, v2
	v_dual_mov_b32 v38, 0xff800000 :: v_dual_mov_b32 v39, 0xff800000
	s_delay_alu instid0(VALU_DEP_4) | instskip(NEXT) | instid1(VALU_DEP_1)
	v_cmp_lt_i32_e64 s34, 0, v7
	s_and_b32 s68, s34, vcc_lo
	s_waitcnt lgkmcnt(0)
	v_add_co_u32 v5, s2, s38, v0
	s_delay_alu instid0(VALU_DEP_1)
	v_add_co_ci_u32_e64 v6, s2, s39, v1, s2
	s_and_saveexec_b32 s2, s68
	s_cbranch_execz .LBB766_4
; %bb.3:
	global_load_u16 v8, v[5:6], off
	s_waitcnt vmcnt(0)
	v_lshlrev_b32_e32 v39, 16, v8
.LBB766_4:
	s_or_b32 exec_lo, exec_lo, s2
	v_add_nc_u32_e32 v8, 64, v2
	s_delay_alu instid0(VALU_DEP_1) | instskip(NEXT) | instid1(VALU_DEP_1)
	v_cmp_gt_i32_e64 s33, s42, v8
	s_and_b32 s67, s34, s33
	s_delay_alu instid0(SALU_CYCLE_1)
	s_and_saveexec_b32 s2, s67
	s_cbranch_execz .LBB766_6
; %bb.5:
	global_load_u16 v8, v[5:6], off offset:128
	s_waitcnt vmcnt(0)
	v_lshlrev_b32_e32 v38, 16, v8
.LBB766_6:
	s_or_b32 exec_lo, exec_lo, s2
	v_add_nc_u32_e32 v8, 0x80, v2
	v_dual_mov_b32 v36, 0xff800000 :: v_dual_mov_b32 v37, 0xff800000
	s_delay_alu instid0(VALU_DEP_2) | instskip(NEXT) | instid1(VALU_DEP_1)
	v_cmp_gt_i32_e64 s31, s42, v8
	s_and_b32 s66, s34, s31
	s_delay_alu instid0(SALU_CYCLE_1)
	s_and_saveexec_b32 s2, s66
	s_cbranch_execz .LBB766_8
; %bb.7:
	global_load_u16 v8, v[5:6], off offset:256
	s_waitcnt vmcnt(0)
	v_lshlrev_b32_e32 v37, 16, v8
.LBB766_8:
	s_or_b32 exec_lo, exec_lo, s2
	v_add_nc_u32_e32 v8, 0xc0, v2
	s_delay_alu instid0(VALU_DEP_1) | instskip(NEXT) | instid1(VALU_DEP_1)
	v_cmp_gt_i32_e64 s30, s42, v8
	s_and_b32 s65, s34, s30
	s_delay_alu instid0(SALU_CYCLE_1)
	s_and_saveexec_b32 s2, s65
	s_cbranch_execz .LBB766_10
; %bb.9:
	global_load_u16 v8, v[5:6], off offset:384
	s_waitcnt vmcnt(0)
	v_lshlrev_b32_e32 v36, 16, v8
.LBB766_10:
	s_or_b32 exec_lo, exec_lo, s2
	v_add_nc_u32_e32 v8, 0x100, v2
	v_dual_mov_b32 v34, 0xff800000 :: v_dual_mov_b32 v35, 0xff800000
	s_delay_alu instid0(VALU_DEP_2) | instskip(NEXT) | instid1(VALU_DEP_1)
	v_cmp_gt_i32_e64 s29, s42, v8
	s_and_b32 s64, s34, s29
	s_delay_alu instid0(SALU_CYCLE_1)
	s_and_saveexec_b32 s2, s64
	s_cbranch_execz .LBB766_12
; %bb.11:
	global_load_u16 v8, v[5:6], off offset:512
	s_waitcnt vmcnt(0)
	v_lshlrev_b32_e32 v35, 16, v8
.LBB766_12:
	;; [unrolled: 27-line block ×7, first 2 shown]
	s_or_b32 exec_lo, exec_lo, s2
	v_add_nc_u32_e32 v8, 0x3c0, v2
	s_delay_alu instid0(VALU_DEP_1) | instskip(NEXT) | instid1(VALU_DEP_1)
	v_cmp_gt_i32_e64 s18, s42, v8
	s_and_b32 s53, s34, s18
	s_delay_alu instid0(SALU_CYCLE_1)
	s_and_saveexec_b32 s2, s53
	s_cbranch_execz .LBB766_34
; %bb.33:
	global_load_u16 v8, v[5:6], off offset:1920
	s_waitcnt vmcnt(0)
	v_lshlrev_b32_e32 v24, 16, v8
.LBB766_34:
	s_or_b32 exec_lo, exec_lo, s2
	v_or_b32_e32 v8, 0x400, v2
	v_dual_mov_b32 v22, 0xff800000 :: v_dual_mov_b32 v23, 0xff800000
	s_delay_alu instid0(VALU_DEP_2) | instskip(NEXT) | instid1(VALU_DEP_1)
	v_cmp_gt_i32_e64 s17, s42, v8
	s_and_b32 s52, s34, s17
	s_delay_alu instid0(SALU_CYCLE_1)
	s_and_saveexec_b32 s2, s52
	s_cbranch_execz .LBB766_36
; %bb.35:
	global_load_u16 v8, v[5:6], off offset:2048
	s_waitcnt vmcnt(0)
	v_lshlrev_b32_e32 v23, 16, v8
.LBB766_36:
	s_or_b32 exec_lo, exec_lo, s2
	v_add_nc_u32_e32 v8, 0x440, v2
	s_delay_alu instid0(VALU_DEP_1) | instskip(NEXT) | instid1(VALU_DEP_1)
	v_cmp_gt_i32_e64 s16, s42, v8
	s_and_b32 s51, s34, s16
	s_delay_alu instid0(SALU_CYCLE_1)
	s_and_saveexec_b32 s2, s51
	s_cbranch_execz .LBB766_38
; %bb.37:
	global_load_u16 v8, v[5:6], off offset:2176
	s_waitcnt vmcnt(0)
	v_lshlrev_b32_e32 v22, 16, v8
.LBB766_38:
	s_or_b32 exec_lo, exec_lo, s2
	v_add_nc_u32_e32 v8, 0x480, v2
	v_dual_mov_b32 v20, 0xff800000 :: v_dual_mov_b32 v21, 0xff800000
	s_delay_alu instid0(VALU_DEP_2) | instskip(NEXT) | instid1(VALU_DEP_1)
	v_cmp_gt_i32_e64 s15, s42, v8
	s_and_b32 s50, s34, s15
	s_delay_alu instid0(SALU_CYCLE_1)
	s_and_saveexec_b32 s2, s50
	s_cbranch_execz .LBB766_40
; %bb.39:
	global_load_u16 v8, v[5:6], off offset:2304
	s_waitcnt vmcnt(0)
	v_lshlrev_b32_e32 v21, 16, v8
.LBB766_40:
	s_or_b32 exec_lo, exec_lo, s2
	v_add_nc_u32_e32 v8, 0x4c0, v2
	s_delay_alu instid0(VALU_DEP_1) | instskip(NEXT) | instid1(VALU_DEP_1)
	v_cmp_gt_i32_e64 s14, s42, v8
	s_and_b32 s49, s34, s14
	s_delay_alu instid0(SALU_CYCLE_1)
	s_and_saveexec_b32 s2, s49
	s_cbranch_execz .LBB766_42
; %bb.41:
	global_load_u16 v8, v[5:6], off offset:2432
	s_waitcnt vmcnt(0)
	v_lshlrev_b32_e32 v20, 16, v8
.LBB766_42:
	s_or_b32 exec_lo, exec_lo, s2
	v_add_nc_u32_e32 v8, 0x500, v2
	;; [unrolled: 27-line block ×7, first 2 shown]
	v_mov_b32_e32 v9, 0xff800000
	s_delay_alu instid0(VALU_DEP_2) | instskip(SKIP_1) | instid1(VALU_DEP_2)
	v_cmp_gt_i32_e64 s3, s42, v8
	v_mov_b32_e32 v8, 0xff800000
	s_and_b32 s35, s34, s3
	s_delay_alu instid0(SALU_CYCLE_1)
	s_and_saveexec_b32 s2, s35
	s_cbranch_execz .LBB766_64
; %bb.63:
	global_load_u16 v9, v[5:6], off offset:3840
	s_waitcnt vmcnt(0)
	v_lshlrev_b32_e32 v9, 16, v9
.LBB766_64:
	s_or_b32 exec_lo, exec_lo, s2
	v_add_nc_u32_e32 v2, 0x7c0, v2
	s_delay_alu instid0(VALU_DEP_1) | instskip(NEXT) | instid1(VALU_DEP_1)
	v_cmp_gt_i32_e64 s2, s42, v2
	s_and_b32 s34, s34, s2
	s_delay_alu instid0(SALU_CYCLE_1)
	s_and_saveexec_b32 s42, s34
	s_cbranch_execz .LBB766_66
; %bb.65:
	global_load_u16 v2, v[5:6], off offset:3968
	s_waitcnt vmcnt(0)
	v_lshlrev_b32_e32 v8, 16, v2
.LBB766_66:
	s_or_b32 exec_lo, exec_lo, s42
	s_load_b64 s[0:1], s[0:1], 0x20
	s_waitcnt lgkmcnt(0)
	v_add_co_u32 v2, s0, s0, v3
	s_delay_alu instid0(VALU_DEP_1)
	v_add_co_ci_u32_e64 v3, s0, s1, v4, s0
	s_mov_b32 s1, 0
	s_and_saveexec_b32 s42, s68
	s_cbranch_execnz .LBB766_98
; %bb.67:
	s_or_b32 exec_lo, exec_lo, s42
	v_mov_b32_e32 v4, v39
	s_and_saveexec_b32 s42, s67
	s_cbranch_execnz .LBB766_99
.LBB766_68:
	s_or_b32 exec_lo, exec_lo, s42
	s_and_saveexec_b32 s42, s66
	s_cbranch_execnz .LBB766_102
.LBB766_69:
	s_or_b32 exec_lo, exec_lo, s42
	s_and_saveexec_b32 s42, s65
	s_cbranch_execnz .LBB766_105
.LBB766_70:
	s_or_b32 exec_lo, exec_lo, s42
	s_and_saveexec_b32 s42, s64
	s_cbranch_execnz .LBB766_108
.LBB766_71:
	s_or_b32 exec_lo, exec_lo, s42
	s_and_saveexec_b32 s42, s63
	s_cbranch_execnz .LBB766_111
.LBB766_72:
	s_or_b32 exec_lo, exec_lo, s42
	s_and_saveexec_b32 s42, s62
	s_cbranch_execnz .LBB766_114
.LBB766_73:
	s_or_b32 exec_lo, exec_lo, s42
	s_and_saveexec_b32 s42, s61
	s_cbranch_execnz .LBB766_117
.LBB766_74:
	s_or_b32 exec_lo, exec_lo, s42
	s_and_saveexec_b32 s42, s60
	s_cbranch_execnz .LBB766_120
.LBB766_75:
	s_or_b32 exec_lo, exec_lo, s42
	s_and_saveexec_b32 s42, s59
	s_cbranch_execnz .LBB766_123
.LBB766_76:
	s_or_b32 exec_lo, exec_lo, s42
	s_and_saveexec_b32 s42, s58
	s_cbranch_execnz .LBB766_126
.LBB766_77:
	s_or_b32 exec_lo, exec_lo, s42
	s_and_saveexec_b32 s42, s57
	s_cbranch_execnz .LBB766_129
.LBB766_78:
	s_or_b32 exec_lo, exec_lo, s42
	s_and_saveexec_b32 s42, s56
	s_cbranch_execnz .LBB766_132
.LBB766_79:
	s_or_b32 exec_lo, exec_lo, s42
	s_and_saveexec_b32 s42, s55
	s_cbranch_execnz .LBB766_135
.LBB766_80:
	s_or_b32 exec_lo, exec_lo, s42
	s_and_saveexec_b32 s42, s54
	s_cbranch_execnz .LBB766_138
.LBB766_81:
	s_or_b32 exec_lo, exec_lo, s42
	s_and_saveexec_b32 s42, s53
	s_cbranch_execnz .LBB766_141
.LBB766_82:
	s_or_b32 exec_lo, exec_lo, s42
	s_and_saveexec_b32 s42, s52
	s_cbranch_execnz .LBB766_144
.LBB766_83:
	s_or_b32 exec_lo, exec_lo, s42
	s_and_saveexec_b32 s42, s51
	s_cbranch_execnz .LBB766_147
.LBB766_84:
	s_or_b32 exec_lo, exec_lo, s42
	s_and_saveexec_b32 s42, s50
	s_cbranch_execnz .LBB766_150
.LBB766_85:
	s_or_b32 exec_lo, exec_lo, s42
	s_and_saveexec_b32 s42, s49
	s_cbranch_execnz .LBB766_153
.LBB766_86:
	s_or_b32 exec_lo, exec_lo, s42
	s_and_saveexec_b32 s42, s48
	s_cbranch_execnz .LBB766_156
.LBB766_87:
	s_or_b32 exec_lo, exec_lo, s42
	s_and_saveexec_b32 s42, s47
	s_cbranch_execnz .LBB766_159
.LBB766_88:
	s_or_b32 exec_lo, exec_lo, s42
	s_and_saveexec_b32 s42, s46
	s_cbranch_execnz .LBB766_162
.LBB766_89:
	s_or_b32 exec_lo, exec_lo, s42
	s_and_saveexec_b32 s42, s45
	s_cbranch_execnz .LBB766_165
.LBB766_90:
	s_or_b32 exec_lo, exec_lo, s42
	s_and_saveexec_b32 s42, s44
	s_cbranch_execnz .LBB766_168
.LBB766_91:
	s_or_b32 exec_lo, exec_lo, s42
	s_and_saveexec_b32 s42, s43
	s_cbranch_execnz .LBB766_171
.LBB766_92:
	s_or_b32 exec_lo, exec_lo, s42
	s_and_saveexec_b32 s42, s41
	s_cbranch_execnz .LBB766_174
.LBB766_93:
	s_or_b32 exec_lo, exec_lo, s42
	s_and_saveexec_b32 s42, s40
	s_cbranch_execnz .LBB766_177
.LBB766_94:
	s_or_b32 exec_lo, exec_lo, s42
	s_and_saveexec_b32 s42, s39
	s_cbranch_execnz .LBB766_180
.LBB766_95:
	s_or_b32 exec_lo, exec_lo, s42
	s_and_saveexec_b32 s42, s38
	s_cbranch_execnz .LBB766_183
.LBB766_96:
	s_or_b32 exec_lo, exec_lo, s42
	s_and_saveexec_b32 s42, s35
	s_cbranch_execnz .LBB766_186
.LBB766_97:
	s_or_b32 exec_lo, exec_lo, s42
	s_and_saveexec_b32 s42, s34
	s_cbranch_execnz .LBB766_189
	s_branch .LBB766_192
.LBB766_98:
	global_load_u8 v4, v[2:3], off
	s_waitcnt vmcnt(0)
	v_and_b32_e32 v4, 1, v4
	s_delay_alu instid0(VALU_DEP_1) | instskip(NEXT) | instid1(VALU_DEP_1)
	v_cmp_eq_u32_e64 s0, 1, v4
	s_xor_b32 s0, s0, -1
	s_delay_alu instid0(SALU_CYCLE_1)
	s_and_b32 s1, s0, exec_lo
	s_or_b32 exec_lo, exec_lo, s42
	v_mov_b32_e32 v4, v39
	s_and_saveexec_b32 s42, s67
	s_cbranch_execz .LBB766_68
.LBB766_99:
	global_load_u8 v4, v[2:3], off offset:64
	s_waitcnt vmcnt(0)
	v_and_b32_e32 v4, 1, v4
	s_delay_alu instid0(VALU_DEP_1) | instskip(SKIP_1) | instid1(VALU_DEP_2)
	v_cmp_eq_u32_e64 s0, 1, v4
	v_mov_b32_e32 v4, v39
	s_xor_b32 s70, s0, -1
	s_mov_b32 s0, s1
	s_and_saveexec_b32 s69, s70
; %bb.100:
	v_cmp_gt_f32_e64 s0, v39, v38
	s_delay_alu instid0(VALU_DEP_1) | instskip(NEXT) | instid1(SALU_CYCLE_1)
	s_and_b32 s0, s1, s0
	v_cndmask_b32_e64 v4, v38, v39, s0
	s_or_b32 s0, s1, exec_lo
; %bb.101:
	s_or_b32 exec_lo, exec_lo, s69
	s_delay_alu instid0(SALU_CYCLE_1) | instskip(SKIP_1) | instid1(SALU_CYCLE_1)
	s_and_not1_b32 s1, s1, exec_lo
	s_and_b32 s0, s0, exec_lo
	s_or_b32 s1, s1, s0
	s_or_b32 exec_lo, exec_lo, s42
	s_and_saveexec_b32 s42, s66
	s_cbranch_execz .LBB766_69
.LBB766_102:
	global_load_u8 v5, v[2:3], off offset:128
	s_waitcnt vmcnt(0)
	v_and_b32_e32 v5, 1, v5
	s_delay_alu instid0(VALU_DEP_1) | instskip(NEXT) | instid1(VALU_DEP_1)
	v_cmp_eq_u32_e64 s0, 1, v5
	s_xor_b32 s70, s0, -1
	s_mov_b32 s0, s1
	s_and_saveexec_b32 s69, s70
; %bb.103:
	v_cmp_gt_f32_e64 s0, v4, v37
	s_delay_alu instid0(VALU_DEP_1) | instskip(NEXT) | instid1(SALU_CYCLE_1)
	s_and_b32 s0, s1, s0
	v_cndmask_b32_e64 v4, v37, v4, s0
	s_or_b32 s0, s1, exec_lo
; %bb.104:
	s_or_b32 exec_lo, exec_lo, s69
	s_delay_alu instid0(SALU_CYCLE_1) | instskip(SKIP_1) | instid1(SALU_CYCLE_1)
	s_and_not1_b32 s1, s1, exec_lo
	s_and_b32 s0, s0, exec_lo
	s_or_b32 s1, s1, s0
	s_or_b32 exec_lo, exec_lo, s42
	s_and_saveexec_b32 s42, s65
	s_cbranch_execz .LBB766_70
.LBB766_105:
	global_load_u8 v5, v[2:3], off offset:192
	s_waitcnt vmcnt(0)
	v_and_b32_e32 v5, 1, v5
	s_delay_alu instid0(VALU_DEP_1) | instskip(NEXT) | instid1(VALU_DEP_1)
	v_cmp_eq_u32_e64 s0, 1, v5
	s_xor_b32 s70, s0, -1
	s_mov_b32 s0, s1
	s_and_saveexec_b32 s69, s70
; %bb.106:
	v_cmp_gt_f32_e64 s0, v4, v36
	s_delay_alu instid0(VALU_DEP_1) | instskip(NEXT) | instid1(SALU_CYCLE_1)
	s_and_b32 s0, s1, s0
	v_cndmask_b32_e64 v4, v36, v4, s0
	s_or_b32 s0, s1, exec_lo
; %bb.107:
	s_or_b32 exec_lo, exec_lo, s69
	s_delay_alu instid0(SALU_CYCLE_1) | instskip(SKIP_1) | instid1(SALU_CYCLE_1)
	s_and_not1_b32 s1, s1, exec_lo
	s_and_b32 s0, s0, exec_lo
	s_or_b32 s1, s1, s0
	s_or_b32 exec_lo, exec_lo, s42
	s_and_saveexec_b32 s42, s64
	s_cbranch_execz .LBB766_71
.LBB766_108:
	global_load_u8 v5, v[2:3], off offset:256
	s_waitcnt vmcnt(0)
	v_and_b32_e32 v5, 1, v5
	s_delay_alu instid0(VALU_DEP_1) | instskip(NEXT) | instid1(VALU_DEP_1)
	v_cmp_eq_u32_e64 s0, 1, v5
	s_xor_b32 s70, s0, -1
	s_mov_b32 s0, s1
	s_and_saveexec_b32 s69, s70
; %bb.109:
	v_cmp_gt_f32_e64 s0, v4, v35
	s_delay_alu instid0(VALU_DEP_1) | instskip(NEXT) | instid1(SALU_CYCLE_1)
	s_and_b32 s0, s1, s0
	v_cndmask_b32_e64 v4, v35, v4, s0
	s_or_b32 s0, s1, exec_lo
; %bb.110:
	s_or_b32 exec_lo, exec_lo, s69
	s_delay_alu instid0(SALU_CYCLE_1) | instskip(SKIP_1) | instid1(SALU_CYCLE_1)
	s_and_not1_b32 s1, s1, exec_lo
	s_and_b32 s0, s0, exec_lo
	s_or_b32 s1, s1, s0
	s_or_b32 exec_lo, exec_lo, s42
	s_and_saveexec_b32 s42, s63
	s_cbranch_execz .LBB766_72
.LBB766_111:
	global_load_u8 v5, v[2:3], off offset:320
	s_waitcnt vmcnt(0)
	v_and_b32_e32 v5, 1, v5
	s_delay_alu instid0(VALU_DEP_1) | instskip(NEXT) | instid1(VALU_DEP_1)
	v_cmp_eq_u32_e64 s0, 1, v5
	s_xor_b32 s70, s0, -1
	s_mov_b32 s0, s1
	s_and_saveexec_b32 s69, s70
; %bb.112:
	v_cmp_gt_f32_e64 s0, v4, v34
	s_delay_alu instid0(VALU_DEP_1) | instskip(NEXT) | instid1(SALU_CYCLE_1)
	s_and_b32 s0, s1, s0
	v_cndmask_b32_e64 v4, v34, v4, s0
	s_or_b32 s0, s1, exec_lo
; %bb.113:
	s_or_b32 exec_lo, exec_lo, s69
	s_delay_alu instid0(SALU_CYCLE_1) | instskip(SKIP_1) | instid1(SALU_CYCLE_1)
	s_and_not1_b32 s1, s1, exec_lo
	s_and_b32 s0, s0, exec_lo
	s_or_b32 s1, s1, s0
	s_or_b32 exec_lo, exec_lo, s42
	s_and_saveexec_b32 s42, s62
	s_cbranch_execz .LBB766_73
.LBB766_114:
	global_load_u8 v5, v[2:3], off offset:384
	s_waitcnt vmcnt(0)
	v_and_b32_e32 v5, 1, v5
	s_delay_alu instid0(VALU_DEP_1) | instskip(NEXT) | instid1(VALU_DEP_1)
	v_cmp_eq_u32_e64 s0, 1, v5
	s_xor_b32 s70, s0, -1
	s_mov_b32 s0, s1
	s_and_saveexec_b32 s69, s70
; %bb.115:
	v_cmp_gt_f32_e64 s0, v4, v33
	s_delay_alu instid0(VALU_DEP_1) | instskip(NEXT) | instid1(SALU_CYCLE_1)
	s_and_b32 s0, s1, s0
	v_cndmask_b32_e64 v4, v33, v4, s0
	s_or_b32 s0, s1, exec_lo
; %bb.116:
	s_or_b32 exec_lo, exec_lo, s69
	s_delay_alu instid0(SALU_CYCLE_1) | instskip(SKIP_1) | instid1(SALU_CYCLE_1)
	s_and_not1_b32 s1, s1, exec_lo
	s_and_b32 s0, s0, exec_lo
	s_or_b32 s1, s1, s0
	s_or_b32 exec_lo, exec_lo, s42
	s_and_saveexec_b32 s42, s61
	s_cbranch_execz .LBB766_74
.LBB766_117:
	global_load_u8 v5, v[2:3], off offset:448
	s_waitcnt vmcnt(0)
	v_and_b32_e32 v5, 1, v5
	s_delay_alu instid0(VALU_DEP_1) | instskip(NEXT) | instid1(VALU_DEP_1)
	v_cmp_eq_u32_e64 s0, 1, v5
	s_xor_b32 s70, s0, -1
	s_mov_b32 s0, s1
	s_and_saveexec_b32 s69, s70
; %bb.118:
	v_cmp_gt_f32_e64 s0, v4, v32
	s_delay_alu instid0(VALU_DEP_1) | instskip(NEXT) | instid1(SALU_CYCLE_1)
	s_and_b32 s0, s1, s0
	v_cndmask_b32_e64 v4, v32, v4, s0
	s_or_b32 s0, s1, exec_lo
; %bb.119:
	s_or_b32 exec_lo, exec_lo, s69
	s_delay_alu instid0(SALU_CYCLE_1) | instskip(SKIP_1) | instid1(SALU_CYCLE_1)
	s_and_not1_b32 s1, s1, exec_lo
	s_and_b32 s0, s0, exec_lo
	s_or_b32 s1, s1, s0
	s_or_b32 exec_lo, exec_lo, s42
	s_and_saveexec_b32 s42, s60
	s_cbranch_execz .LBB766_75
.LBB766_120:
	global_load_u8 v5, v[2:3], off offset:512
	s_waitcnt vmcnt(0)
	v_and_b32_e32 v5, 1, v5
	s_delay_alu instid0(VALU_DEP_1) | instskip(NEXT) | instid1(VALU_DEP_1)
	v_cmp_eq_u32_e64 s0, 1, v5
	s_xor_b32 s70, s0, -1
	s_mov_b32 s0, s1
	s_and_saveexec_b32 s69, s70
; %bb.121:
	v_cmp_gt_f32_e64 s0, v4, v31
	s_delay_alu instid0(VALU_DEP_1) | instskip(NEXT) | instid1(SALU_CYCLE_1)
	s_and_b32 s0, s1, s0
	v_cndmask_b32_e64 v4, v31, v4, s0
	s_or_b32 s0, s1, exec_lo
; %bb.122:
	s_or_b32 exec_lo, exec_lo, s69
	s_delay_alu instid0(SALU_CYCLE_1) | instskip(SKIP_1) | instid1(SALU_CYCLE_1)
	s_and_not1_b32 s1, s1, exec_lo
	s_and_b32 s0, s0, exec_lo
	s_or_b32 s1, s1, s0
	s_or_b32 exec_lo, exec_lo, s42
	s_and_saveexec_b32 s42, s59
	s_cbranch_execz .LBB766_76
.LBB766_123:
	global_load_u8 v5, v[2:3], off offset:576
	s_waitcnt vmcnt(0)
	v_and_b32_e32 v5, 1, v5
	s_delay_alu instid0(VALU_DEP_1) | instskip(NEXT) | instid1(VALU_DEP_1)
	v_cmp_eq_u32_e64 s0, 1, v5
	s_xor_b32 s70, s0, -1
	s_mov_b32 s0, s1
	s_and_saveexec_b32 s69, s70
; %bb.124:
	v_cmp_gt_f32_e64 s0, v4, v30
	s_delay_alu instid0(VALU_DEP_1) | instskip(NEXT) | instid1(SALU_CYCLE_1)
	s_and_b32 s0, s1, s0
	v_cndmask_b32_e64 v4, v30, v4, s0
	s_or_b32 s0, s1, exec_lo
; %bb.125:
	s_or_b32 exec_lo, exec_lo, s69
	s_delay_alu instid0(SALU_CYCLE_1) | instskip(SKIP_1) | instid1(SALU_CYCLE_1)
	s_and_not1_b32 s1, s1, exec_lo
	s_and_b32 s0, s0, exec_lo
	s_or_b32 s1, s1, s0
	s_or_b32 exec_lo, exec_lo, s42
	s_and_saveexec_b32 s42, s58
	s_cbranch_execz .LBB766_77
.LBB766_126:
	global_load_u8 v5, v[2:3], off offset:640
	s_waitcnt vmcnt(0)
	v_and_b32_e32 v5, 1, v5
	s_delay_alu instid0(VALU_DEP_1) | instskip(NEXT) | instid1(VALU_DEP_1)
	v_cmp_eq_u32_e64 s0, 1, v5
	s_xor_b32 s70, s0, -1
	s_mov_b32 s0, s1
	s_and_saveexec_b32 s69, s70
; %bb.127:
	v_cmp_gt_f32_e64 s0, v4, v29
	s_delay_alu instid0(VALU_DEP_1) | instskip(NEXT) | instid1(SALU_CYCLE_1)
	s_and_b32 s0, s1, s0
	v_cndmask_b32_e64 v4, v29, v4, s0
	s_or_b32 s0, s1, exec_lo
; %bb.128:
	s_or_b32 exec_lo, exec_lo, s69
	s_delay_alu instid0(SALU_CYCLE_1) | instskip(SKIP_1) | instid1(SALU_CYCLE_1)
	s_and_not1_b32 s1, s1, exec_lo
	s_and_b32 s0, s0, exec_lo
	s_or_b32 s1, s1, s0
	s_or_b32 exec_lo, exec_lo, s42
	s_and_saveexec_b32 s42, s57
	s_cbranch_execz .LBB766_78
.LBB766_129:
	global_load_u8 v5, v[2:3], off offset:704
	s_waitcnt vmcnt(0)
	v_and_b32_e32 v5, 1, v5
	s_delay_alu instid0(VALU_DEP_1) | instskip(NEXT) | instid1(VALU_DEP_1)
	v_cmp_eq_u32_e64 s0, 1, v5
	s_xor_b32 s70, s0, -1
	s_mov_b32 s0, s1
	s_and_saveexec_b32 s69, s70
; %bb.130:
	v_cmp_gt_f32_e64 s0, v4, v28
	s_delay_alu instid0(VALU_DEP_1) | instskip(NEXT) | instid1(SALU_CYCLE_1)
	s_and_b32 s0, s1, s0
	v_cndmask_b32_e64 v4, v28, v4, s0
	s_or_b32 s0, s1, exec_lo
; %bb.131:
	s_or_b32 exec_lo, exec_lo, s69
	s_delay_alu instid0(SALU_CYCLE_1) | instskip(SKIP_1) | instid1(SALU_CYCLE_1)
	s_and_not1_b32 s1, s1, exec_lo
	s_and_b32 s0, s0, exec_lo
	s_or_b32 s1, s1, s0
	s_or_b32 exec_lo, exec_lo, s42
	s_and_saveexec_b32 s42, s56
	s_cbranch_execz .LBB766_79
.LBB766_132:
	global_load_u8 v5, v[2:3], off offset:768
	s_waitcnt vmcnt(0)
	v_and_b32_e32 v5, 1, v5
	s_delay_alu instid0(VALU_DEP_1) | instskip(NEXT) | instid1(VALU_DEP_1)
	v_cmp_eq_u32_e64 s0, 1, v5
	s_xor_b32 s70, s0, -1
	s_mov_b32 s0, s1
	s_and_saveexec_b32 s69, s70
; %bb.133:
	v_cmp_gt_f32_e64 s0, v4, v27
	s_delay_alu instid0(VALU_DEP_1) | instskip(NEXT) | instid1(SALU_CYCLE_1)
	s_and_b32 s0, s1, s0
	v_cndmask_b32_e64 v4, v27, v4, s0
	s_or_b32 s0, s1, exec_lo
; %bb.134:
	s_or_b32 exec_lo, exec_lo, s69
	s_delay_alu instid0(SALU_CYCLE_1) | instskip(SKIP_1) | instid1(SALU_CYCLE_1)
	s_and_not1_b32 s1, s1, exec_lo
	s_and_b32 s0, s0, exec_lo
	s_or_b32 s1, s1, s0
	s_or_b32 exec_lo, exec_lo, s42
	s_and_saveexec_b32 s42, s55
	s_cbranch_execz .LBB766_80
.LBB766_135:
	global_load_u8 v5, v[2:3], off offset:832
	s_waitcnt vmcnt(0)
	v_and_b32_e32 v5, 1, v5
	s_delay_alu instid0(VALU_DEP_1) | instskip(NEXT) | instid1(VALU_DEP_1)
	v_cmp_eq_u32_e64 s0, 1, v5
	s_xor_b32 s70, s0, -1
	s_mov_b32 s0, s1
	s_and_saveexec_b32 s69, s70
; %bb.136:
	v_cmp_gt_f32_e64 s0, v4, v26
	s_delay_alu instid0(VALU_DEP_1) | instskip(NEXT) | instid1(SALU_CYCLE_1)
	s_and_b32 s0, s1, s0
	v_cndmask_b32_e64 v4, v26, v4, s0
	s_or_b32 s0, s1, exec_lo
; %bb.137:
	s_or_b32 exec_lo, exec_lo, s69
	s_delay_alu instid0(SALU_CYCLE_1) | instskip(SKIP_1) | instid1(SALU_CYCLE_1)
	s_and_not1_b32 s1, s1, exec_lo
	s_and_b32 s0, s0, exec_lo
	s_or_b32 s1, s1, s0
	s_or_b32 exec_lo, exec_lo, s42
	s_and_saveexec_b32 s42, s54
	s_cbranch_execz .LBB766_81
.LBB766_138:
	global_load_u8 v5, v[2:3], off offset:896
	s_waitcnt vmcnt(0)
	v_and_b32_e32 v5, 1, v5
	s_delay_alu instid0(VALU_DEP_1) | instskip(NEXT) | instid1(VALU_DEP_1)
	v_cmp_eq_u32_e64 s0, 1, v5
	s_xor_b32 s70, s0, -1
	s_mov_b32 s0, s1
	s_and_saveexec_b32 s69, s70
; %bb.139:
	v_cmp_gt_f32_e64 s0, v4, v25
	s_delay_alu instid0(VALU_DEP_1) | instskip(NEXT) | instid1(SALU_CYCLE_1)
	s_and_b32 s0, s1, s0
	v_cndmask_b32_e64 v4, v25, v4, s0
	s_or_b32 s0, s1, exec_lo
; %bb.140:
	s_or_b32 exec_lo, exec_lo, s69
	s_delay_alu instid0(SALU_CYCLE_1) | instskip(SKIP_1) | instid1(SALU_CYCLE_1)
	s_and_not1_b32 s1, s1, exec_lo
	s_and_b32 s0, s0, exec_lo
	s_or_b32 s1, s1, s0
	s_or_b32 exec_lo, exec_lo, s42
	s_and_saveexec_b32 s42, s53
	s_cbranch_execz .LBB766_82
.LBB766_141:
	global_load_u8 v5, v[2:3], off offset:960
	s_waitcnt vmcnt(0)
	v_and_b32_e32 v5, 1, v5
	s_delay_alu instid0(VALU_DEP_1) | instskip(NEXT) | instid1(VALU_DEP_1)
	v_cmp_eq_u32_e64 s0, 1, v5
	s_xor_b32 s70, s0, -1
	s_mov_b32 s0, s1
	s_and_saveexec_b32 s69, s70
; %bb.142:
	v_cmp_gt_f32_e64 s0, v4, v24
	s_delay_alu instid0(VALU_DEP_1) | instskip(NEXT) | instid1(SALU_CYCLE_1)
	s_and_b32 s0, s1, s0
	v_cndmask_b32_e64 v4, v24, v4, s0
	s_or_b32 s0, s1, exec_lo
; %bb.143:
	s_or_b32 exec_lo, exec_lo, s69
	s_delay_alu instid0(SALU_CYCLE_1) | instskip(SKIP_1) | instid1(SALU_CYCLE_1)
	s_and_not1_b32 s1, s1, exec_lo
	s_and_b32 s0, s0, exec_lo
	s_or_b32 s1, s1, s0
	s_or_b32 exec_lo, exec_lo, s42
	s_and_saveexec_b32 s42, s52
	s_cbranch_execz .LBB766_83
.LBB766_144:
	global_load_u8 v5, v[2:3], off offset:1024
	s_waitcnt vmcnt(0)
	v_and_b32_e32 v5, 1, v5
	s_delay_alu instid0(VALU_DEP_1) | instskip(NEXT) | instid1(VALU_DEP_1)
	v_cmp_eq_u32_e64 s0, 1, v5
	s_xor_b32 s70, s0, -1
	s_mov_b32 s0, s1
	s_and_saveexec_b32 s69, s70
; %bb.145:
	v_cmp_gt_f32_e64 s0, v4, v23
	s_delay_alu instid0(VALU_DEP_1) | instskip(NEXT) | instid1(SALU_CYCLE_1)
	s_and_b32 s0, s1, s0
	v_cndmask_b32_e64 v4, v23, v4, s0
	s_or_b32 s0, s1, exec_lo
; %bb.146:
	s_or_b32 exec_lo, exec_lo, s69
	s_delay_alu instid0(SALU_CYCLE_1) | instskip(SKIP_1) | instid1(SALU_CYCLE_1)
	s_and_not1_b32 s1, s1, exec_lo
	s_and_b32 s0, s0, exec_lo
	s_or_b32 s1, s1, s0
	s_or_b32 exec_lo, exec_lo, s42
	s_and_saveexec_b32 s42, s51
	s_cbranch_execz .LBB766_84
.LBB766_147:
	global_load_u8 v5, v[2:3], off offset:1088
	s_waitcnt vmcnt(0)
	v_and_b32_e32 v5, 1, v5
	s_delay_alu instid0(VALU_DEP_1) | instskip(NEXT) | instid1(VALU_DEP_1)
	v_cmp_eq_u32_e64 s0, 1, v5
	s_xor_b32 s70, s0, -1
	s_mov_b32 s0, s1
	s_and_saveexec_b32 s69, s70
; %bb.148:
	v_cmp_gt_f32_e64 s0, v4, v22
	s_delay_alu instid0(VALU_DEP_1) | instskip(NEXT) | instid1(SALU_CYCLE_1)
	s_and_b32 s0, s1, s0
	v_cndmask_b32_e64 v4, v22, v4, s0
	s_or_b32 s0, s1, exec_lo
; %bb.149:
	s_or_b32 exec_lo, exec_lo, s69
	s_delay_alu instid0(SALU_CYCLE_1) | instskip(SKIP_1) | instid1(SALU_CYCLE_1)
	s_and_not1_b32 s1, s1, exec_lo
	s_and_b32 s0, s0, exec_lo
	s_or_b32 s1, s1, s0
	s_or_b32 exec_lo, exec_lo, s42
	s_and_saveexec_b32 s42, s50
	s_cbranch_execz .LBB766_85
.LBB766_150:
	global_load_u8 v5, v[2:3], off offset:1152
	s_waitcnt vmcnt(0)
	v_and_b32_e32 v5, 1, v5
	s_delay_alu instid0(VALU_DEP_1) | instskip(NEXT) | instid1(VALU_DEP_1)
	v_cmp_eq_u32_e64 s0, 1, v5
	s_xor_b32 s70, s0, -1
	s_mov_b32 s0, s1
	s_and_saveexec_b32 s69, s70
; %bb.151:
	v_cmp_gt_f32_e64 s0, v4, v21
	s_delay_alu instid0(VALU_DEP_1) | instskip(NEXT) | instid1(SALU_CYCLE_1)
	s_and_b32 s0, s1, s0
	v_cndmask_b32_e64 v4, v21, v4, s0
	s_or_b32 s0, s1, exec_lo
; %bb.152:
	s_or_b32 exec_lo, exec_lo, s69
	s_delay_alu instid0(SALU_CYCLE_1) | instskip(SKIP_1) | instid1(SALU_CYCLE_1)
	s_and_not1_b32 s1, s1, exec_lo
	s_and_b32 s0, s0, exec_lo
	s_or_b32 s1, s1, s0
	s_or_b32 exec_lo, exec_lo, s42
	s_and_saveexec_b32 s42, s49
	s_cbranch_execz .LBB766_86
.LBB766_153:
	global_load_u8 v5, v[2:3], off offset:1216
	s_waitcnt vmcnt(0)
	v_and_b32_e32 v5, 1, v5
	s_delay_alu instid0(VALU_DEP_1) | instskip(NEXT) | instid1(VALU_DEP_1)
	v_cmp_eq_u32_e64 s0, 1, v5
	s_xor_b32 s70, s0, -1
	s_mov_b32 s0, s1
	s_and_saveexec_b32 s69, s70
; %bb.154:
	v_cmp_gt_f32_e64 s0, v4, v20
	s_delay_alu instid0(VALU_DEP_1) | instskip(NEXT) | instid1(SALU_CYCLE_1)
	s_and_b32 s0, s1, s0
	v_cndmask_b32_e64 v4, v20, v4, s0
	s_or_b32 s0, s1, exec_lo
; %bb.155:
	s_or_b32 exec_lo, exec_lo, s69
	s_delay_alu instid0(SALU_CYCLE_1) | instskip(SKIP_1) | instid1(SALU_CYCLE_1)
	s_and_not1_b32 s1, s1, exec_lo
	s_and_b32 s0, s0, exec_lo
	s_or_b32 s1, s1, s0
	s_or_b32 exec_lo, exec_lo, s42
	s_and_saveexec_b32 s42, s48
	s_cbranch_execz .LBB766_87
.LBB766_156:
	global_load_u8 v5, v[2:3], off offset:1280
	s_waitcnt vmcnt(0)
	v_and_b32_e32 v5, 1, v5
	s_delay_alu instid0(VALU_DEP_1) | instskip(NEXT) | instid1(VALU_DEP_1)
	v_cmp_eq_u32_e64 s0, 1, v5
	s_xor_b32 s70, s0, -1
	s_mov_b32 s0, s1
	s_and_saveexec_b32 s69, s70
; %bb.157:
	v_cmp_gt_f32_e64 s0, v4, v19
	s_delay_alu instid0(VALU_DEP_1) | instskip(NEXT) | instid1(SALU_CYCLE_1)
	s_and_b32 s0, s1, s0
	v_cndmask_b32_e64 v4, v19, v4, s0
	s_or_b32 s0, s1, exec_lo
; %bb.158:
	s_or_b32 exec_lo, exec_lo, s69
	s_delay_alu instid0(SALU_CYCLE_1) | instskip(SKIP_1) | instid1(SALU_CYCLE_1)
	s_and_not1_b32 s1, s1, exec_lo
	s_and_b32 s0, s0, exec_lo
	s_or_b32 s1, s1, s0
	s_or_b32 exec_lo, exec_lo, s42
	s_and_saveexec_b32 s42, s47
	s_cbranch_execz .LBB766_88
.LBB766_159:
	global_load_u8 v5, v[2:3], off offset:1344
	s_waitcnt vmcnt(0)
	v_and_b32_e32 v5, 1, v5
	s_delay_alu instid0(VALU_DEP_1) | instskip(NEXT) | instid1(VALU_DEP_1)
	v_cmp_eq_u32_e64 s0, 1, v5
	s_xor_b32 s70, s0, -1
	s_mov_b32 s0, s1
	s_and_saveexec_b32 s69, s70
; %bb.160:
	v_cmp_gt_f32_e64 s0, v4, v18
	s_delay_alu instid0(VALU_DEP_1) | instskip(NEXT) | instid1(SALU_CYCLE_1)
	s_and_b32 s0, s1, s0
	v_cndmask_b32_e64 v4, v18, v4, s0
	s_or_b32 s0, s1, exec_lo
; %bb.161:
	s_or_b32 exec_lo, exec_lo, s69
	s_delay_alu instid0(SALU_CYCLE_1) | instskip(SKIP_1) | instid1(SALU_CYCLE_1)
	s_and_not1_b32 s1, s1, exec_lo
	s_and_b32 s0, s0, exec_lo
	s_or_b32 s1, s1, s0
	s_or_b32 exec_lo, exec_lo, s42
	s_and_saveexec_b32 s42, s46
	s_cbranch_execz .LBB766_89
.LBB766_162:
	global_load_u8 v5, v[2:3], off offset:1408
	s_waitcnt vmcnt(0)
	v_and_b32_e32 v5, 1, v5
	s_delay_alu instid0(VALU_DEP_1) | instskip(NEXT) | instid1(VALU_DEP_1)
	v_cmp_eq_u32_e64 s0, 1, v5
	s_xor_b32 s70, s0, -1
	s_mov_b32 s0, s1
	s_and_saveexec_b32 s69, s70
; %bb.163:
	v_cmp_gt_f32_e64 s0, v4, v17
	s_delay_alu instid0(VALU_DEP_1) | instskip(NEXT) | instid1(SALU_CYCLE_1)
	s_and_b32 s0, s1, s0
	v_cndmask_b32_e64 v4, v17, v4, s0
	s_or_b32 s0, s1, exec_lo
; %bb.164:
	s_or_b32 exec_lo, exec_lo, s69
	s_delay_alu instid0(SALU_CYCLE_1) | instskip(SKIP_1) | instid1(SALU_CYCLE_1)
	s_and_not1_b32 s1, s1, exec_lo
	s_and_b32 s0, s0, exec_lo
	s_or_b32 s1, s1, s0
	s_or_b32 exec_lo, exec_lo, s42
	s_and_saveexec_b32 s42, s45
	s_cbranch_execz .LBB766_90
.LBB766_165:
	global_load_u8 v5, v[2:3], off offset:1472
	s_waitcnt vmcnt(0)
	v_and_b32_e32 v5, 1, v5
	s_delay_alu instid0(VALU_DEP_1) | instskip(NEXT) | instid1(VALU_DEP_1)
	v_cmp_eq_u32_e64 s0, 1, v5
	s_xor_b32 s70, s0, -1
	s_mov_b32 s0, s1
	s_and_saveexec_b32 s69, s70
; %bb.166:
	v_cmp_gt_f32_e64 s0, v4, v16
	s_delay_alu instid0(VALU_DEP_1) | instskip(NEXT) | instid1(SALU_CYCLE_1)
	s_and_b32 s0, s1, s0
	v_cndmask_b32_e64 v4, v16, v4, s0
	s_or_b32 s0, s1, exec_lo
; %bb.167:
	s_or_b32 exec_lo, exec_lo, s69
	s_delay_alu instid0(SALU_CYCLE_1) | instskip(SKIP_1) | instid1(SALU_CYCLE_1)
	s_and_not1_b32 s1, s1, exec_lo
	s_and_b32 s0, s0, exec_lo
	s_or_b32 s1, s1, s0
	s_or_b32 exec_lo, exec_lo, s42
	s_and_saveexec_b32 s42, s44
	s_cbranch_execz .LBB766_91
.LBB766_168:
	global_load_u8 v5, v[2:3], off offset:1536
	s_waitcnt vmcnt(0)
	v_and_b32_e32 v5, 1, v5
	s_delay_alu instid0(VALU_DEP_1) | instskip(NEXT) | instid1(VALU_DEP_1)
	v_cmp_eq_u32_e64 s0, 1, v5
	s_xor_b32 s70, s0, -1
	s_mov_b32 s0, s1
	s_and_saveexec_b32 s69, s70
; %bb.169:
	v_cmp_gt_f32_e64 s0, v4, v15
	s_delay_alu instid0(VALU_DEP_1) | instskip(NEXT) | instid1(SALU_CYCLE_1)
	s_and_b32 s0, s1, s0
	v_cndmask_b32_e64 v4, v15, v4, s0
	s_or_b32 s0, s1, exec_lo
; %bb.170:
	s_or_b32 exec_lo, exec_lo, s69
	s_delay_alu instid0(SALU_CYCLE_1) | instskip(SKIP_1) | instid1(SALU_CYCLE_1)
	s_and_not1_b32 s1, s1, exec_lo
	s_and_b32 s0, s0, exec_lo
	s_or_b32 s1, s1, s0
	s_or_b32 exec_lo, exec_lo, s42
	s_and_saveexec_b32 s42, s43
	s_cbranch_execz .LBB766_92
.LBB766_171:
	global_load_u8 v5, v[2:3], off offset:1600
	s_waitcnt vmcnt(0)
	v_and_b32_e32 v5, 1, v5
	s_delay_alu instid0(VALU_DEP_1) | instskip(NEXT) | instid1(VALU_DEP_1)
	v_cmp_eq_u32_e64 s0, 1, v5
	s_xor_b32 s70, s0, -1
	s_mov_b32 s0, s1
	s_and_saveexec_b32 s69, s70
; %bb.172:
	v_cmp_gt_f32_e64 s0, v4, v14
	s_delay_alu instid0(VALU_DEP_1) | instskip(NEXT) | instid1(SALU_CYCLE_1)
	s_and_b32 s0, s1, s0
	v_cndmask_b32_e64 v4, v14, v4, s0
	s_or_b32 s0, s1, exec_lo
; %bb.173:
	s_or_b32 exec_lo, exec_lo, s69
	s_delay_alu instid0(SALU_CYCLE_1) | instskip(SKIP_1) | instid1(SALU_CYCLE_1)
	s_and_not1_b32 s1, s1, exec_lo
	s_and_b32 s0, s0, exec_lo
	s_or_b32 s1, s1, s0
	s_or_b32 exec_lo, exec_lo, s42
	s_and_saveexec_b32 s42, s41
	s_cbranch_execz .LBB766_93
.LBB766_174:
	global_load_u8 v5, v[2:3], off offset:1664
	s_waitcnt vmcnt(0)
	v_and_b32_e32 v5, 1, v5
	s_delay_alu instid0(VALU_DEP_1) | instskip(NEXT) | instid1(VALU_DEP_1)
	v_cmp_eq_u32_e64 s0, 1, v5
	s_xor_b32 s70, s0, -1
	s_mov_b32 s0, s1
	s_and_saveexec_b32 s69, s70
; %bb.175:
	v_cmp_gt_f32_e64 s0, v4, v13
	s_delay_alu instid0(VALU_DEP_1) | instskip(NEXT) | instid1(SALU_CYCLE_1)
	s_and_b32 s0, s1, s0
	v_cndmask_b32_e64 v4, v13, v4, s0
	s_or_b32 s0, s1, exec_lo
; %bb.176:
	s_or_b32 exec_lo, exec_lo, s69
	s_delay_alu instid0(SALU_CYCLE_1) | instskip(SKIP_1) | instid1(SALU_CYCLE_1)
	s_and_not1_b32 s1, s1, exec_lo
	s_and_b32 s0, s0, exec_lo
	s_or_b32 s1, s1, s0
	s_or_b32 exec_lo, exec_lo, s42
	s_and_saveexec_b32 s42, s40
	s_cbranch_execz .LBB766_94
.LBB766_177:
	global_load_u8 v5, v[2:3], off offset:1728
	s_waitcnt vmcnt(0)
	v_and_b32_e32 v5, 1, v5
	s_delay_alu instid0(VALU_DEP_1) | instskip(NEXT) | instid1(VALU_DEP_1)
	v_cmp_eq_u32_e64 s0, 1, v5
	s_xor_b32 s70, s0, -1
	s_mov_b32 s0, s1
	s_and_saveexec_b32 s69, s70
; %bb.178:
	v_cmp_gt_f32_e64 s0, v4, v12
	s_delay_alu instid0(VALU_DEP_1) | instskip(NEXT) | instid1(SALU_CYCLE_1)
	s_and_b32 s0, s1, s0
	v_cndmask_b32_e64 v4, v12, v4, s0
	s_or_b32 s0, s1, exec_lo
; %bb.179:
	s_or_b32 exec_lo, exec_lo, s69
	s_delay_alu instid0(SALU_CYCLE_1) | instskip(SKIP_1) | instid1(SALU_CYCLE_1)
	s_and_not1_b32 s1, s1, exec_lo
	s_and_b32 s0, s0, exec_lo
	s_or_b32 s1, s1, s0
	s_or_b32 exec_lo, exec_lo, s42
	s_and_saveexec_b32 s42, s39
	s_cbranch_execz .LBB766_95
.LBB766_180:
	global_load_u8 v5, v[2:3], off offset:1792
	s_waitcnt vmcnt(0)
	v_and_b32_e32 v5, 1, v5
	s_delay_alu instid0(VALU_DEP_1) | instskip(NEXT) | instid1(VALU_DEP_1)
	v_cmp_eq_u32_e64 s0, 1, v5
	s_xor_b32 s70, s0, -1
	s_mov_b32 s0, s1
	s_and_saveexec_b32 s69, s70
; %bb.181:
	v_cmp_gt_f32_e64 s0, v4, v11
	s_delay_alu instid0(VALU_DEP_1) | instskip(NEXT) | instid1(SALU_CYCLE_1)
	s_and_b32 s0, s1, s0
	v_cndmask_b32_e64 v4, v11, v4, s0
	s_or_b32 s0, s1, exec_lo
; %bb.182:
	s_or_b32 exec_lo, exec_lo, s69
	s_delay_alu instid0(SALU_CYCLE_1) | instskip(SKIP_1) | instid1(SALU_CYCLE_1)
	s_and_not1_b32 s1, s1, exec_lo
	s_and_b32 s0, s0, exec_lo
	s_or_b32 s1, s1, s0
	s_or_b32 exec_lo, exec_lo, s42
	s_and_saveexec_b32 s42, s38
	s_cbranch_execz .LBB766_96
.LBB766_183:
	global_load_u8 v5, v[2:3], off offset:1856
	s_waitcnt vmcnt(0)
	v_and_b32_e32 v5, 1, v5
	s_delay_alu instid0(VALU_DEP_1) | instskip(NEXT) | instid1(VALU_DEP_1)
	v_cmp_eq_u32_e64 s0, 1, v5
	s_xor_b32 s70, s0, -1
	s_mov_b32 s0, s1
	s_and_saveexec_b32 s69, s70
; %bb.184:
	v_cmp_gt_f32_e64 s0, v4, v10
	s_delay_alu instid0(VALU_DEP_1) | instskip(NEXT) | instid1(SALU_CYCLE_1)
	s_and_b32 s0, s1, s0
	v_cndmask_b32_e64 v4, v10, v4, s0
	s_or_b32 s0, s1, exec_lo
; %bb.185:
	s_or_b32 exec_lo, exec_lo, s69
	s_delay_alu instid0(SALU_CYCLE_1) | instskip(SKIP_1) | instid1(SALU_CYCLE_1)
	s_and_not1_b32 s1, s1, exec_lo
	s_and_b32 s0, s0, exec_lo
	s_or_b32 s1, s1, s0
	s_or_b32 exec_lo, exec_lo, s42
	s_and_saveexec_b32 s42, s35
	s_cbranch_execz .LBB766_97
.LBB766_186:
	global_load_u8 v5, v[2:3], off offset:1920
	s_waitcnt vmcnt(0)
	v_and_b32_e32 v5, 1, v5
	s_delay_alu instid0(VALU_DEP_1) | instskip(NEXT) | instid1(VALU_DEP_1)
	v_cmp_eq_u32_e64 s0, 1, v5
	s_xor_b32 s70, s0, -1
	s_mov_b32 s0, s1
	s_and_saveexec_b32 s69, s70
; %bb.187:
	v_cmp_gt_f32_e64 s0, v4, v9
	s_delay_alu instid0(VALU_DEP_1) | instskip(NEXT) | instid1(SALU_CYCLE_1)
	s_and_b32 s0, s1, s0
	v_cndmask_b32_e64 v4, v9, v4, s0
	s_or_b32 s0, s1, exec_lo
; %bb.188:
	s_or_b32 exec_lo, exec_lo, s69
	s_delay_alu instid0(SALU_CYCLE_1) | instskip(SKIP_1) | instid1(SALU_CYCLE_1)
	s_and_not1_b32 s1, s1, exec_lo
	s_and_b32 s0, s0, exec_lo
	s_or_b32 s1, s1, s0
	s_or_b32 exec_lo, exec_lo, s42
	s_and_saveexec_b32 s42, s34
	s_cbranch_execz .LBB766_192
.LBB766_189:
	global_load_u8 v5, v[2:3], off offset:1984
	s_waitcnt vmcnt(0)
	v_and_b32_e32 v5, 1, v5
	s_delay_alu instid0(VALU_DEP_1) | instskip(NEXT) | instid1(VALU_DEP_1)
	v_cmp_eq_u32_e64 s0, 1, v5
	s_xor_b32 s70, s0, -1
	s_mov_b32 s0, s1
	s_and_saveexec_b32 s69, s70
; %bb.190:
	v_cmp_gt_f32_e64 s0, v4, v8
	s_delay_alu instid0(VALU_DEP_1) | instskip(NEXT) | instid1(SALU_CYCLE_1)
	s_and_b32 s0, s1, s0
	v_cndmask_b32_e64 v4, v8, v4, s0
	s_or_b32 s0, s1, exec_lo
; %bb.191:
	s_or_b32 exec_lo, exec_lo, s69
	s_delay_alu instid0(SALU_CYCLE_1) | instskip(SKIP_1) | instid1(SALU_CYCLE_1)
	s_and_not1_b32 s1, s1, exec_lo
	s_and_b32 s0, s0, exec_lo
	s_or_b32 s1, s1, s0
.LBB766_192:
	s_or_b32 exec_lo, exec_lo, s42
	v_mbcnt_lo_u32_b32 v5, -1, 0
	v_cndmask_b32_e64 v4, 0xff800000, v4, s1
	s_delay_alu instid0(VALU_DEP_2) | instskip(SKIP_3) | instid1(VALU_DEP_4)
	v_or_b32_e32 v6, 32, v5
	v_xor_b32_e32 v40, 16, v5
	v_xor_b32_e32 v44, 2, v5
	v_xor_b32_e32 v45, 1, v5
	v_cmp_gt_i32_e64 s0, 64, v6
	s_delay_alu instid0(VALU_DEP_1) | instskip(SKIP_1) | instid1(VALU_DEP_2)
	v_cndmask_b32_e64 v6, v5, v6, s0
	v_cmp_gt_i32_e64 s0, 64, v40
	v_lshlrev_b32_e32 v6, 2, v6
	s_delay_alu instid0(VALU_DEP_2) | instskip(SKIP_4) | instid1(VALU_DEP_1)
	v_cndmask_b32_e64 v40, v5, v40, s0
	ds_bpermute_b32 v41, v6, v4
	v_lshlrev_b32_e32 v40, 2, v40
	s_waitcnt lgkmcnt(0)
	v_cmp_lt_f32_e64 s0, v4, v41
	v_cndmask_b32_e64 v4, v4, v41, s0
	v_xor_b32_e32 v41, 8, v5
	ds_bpermute_b32 v42, v40, v4
	v_cmp_gt_i32_e64 s0, 64, v41
	s_delay_alu instid0(VALU_DEP_1) | instskip(NEXT) | instid1(VALU_DEP_1)
	v_cndmask_b32_e64 v41, v5, v41, s0
	v_lshlrev_b32_e32 v41, 2, v41
	s_waitcnt lgkmcnt(0)
	v_cmp_lt_f32_e64 s0, v4, v42
	s_delay_alu instid0(VALU_DEP_1) | instskip(SKIP_3) | instid1(VALU_DEP_1)
	v_cndmask_b32_e64 v4, v4, v42, s0
	v_xor_b32_e32 v42, 4, v5
	ds_bpermute_b32 v43, v41, v4
	v_cmp_gt_i32_e64 s0, 64, v42
	v_cndmask_b32_e64 v42, v5, v42, s0
	s_delay_alu instid0(VALU_DEP_1) | instskip(SKIP_2) | instid1(VALU_DEP_1)
	v_lshlrev_b32_e32 v42, 2, v42
	s_waitcnt lgkmcnt(0)
	v_cmp_lt_f32_e64 s0, v4, v43
	v_cndmask_b32_e64 v4, v4, v43, s0
	v_cmp_gt_i32_e64 s0, 64, v44
	ds_bpermute_b32 v43, v42, v4
	v_cndmask_b32_e64 v44, v5, v44, s0
	s_delay_alu instid0(VALU_DEP_1) | instskip(SKIP_2) | instid1(VALU_DEP_1)
	v_lshlrev_b32_e32 v44, 2, v44
	s_waitcnt lgkmcnt(0)
	v_cmp_lt_f32_e64 s0, v4, v43
	v_cndmask_b32_e64 v4, v4, v43, s0
	v_cmp_gt_i32_e64 s0, 64, v45
	ds_bpermute_b32 v43, v44, v4
	v_cndmask_b32_e64 v5, v5, v45, s0
	s_delay_alu instid0(VALU_DEP_1) | instskip(SKIP_2) | instid1(VALU_DEP_1)
	v_lshlrev_b32_e32 v45, 2, v5
	s_waitcnt lgkmcnt(0)
	v_cmp_lt_f32_e64 s0, v4, v43
	v_cndmask_b32_e64 v5, v4, v43, s0
	v_mov_b32_e32 v4, 0
	ds_bpermute_b32 v43, v45, v5
	s_waitcnt lgkmcnt(0)
	v_cmp_lt_f32_e64 s0, v5, v43
	s_delay_alu instid0(VALU_DEP_1)
	v_cndmask_b32_e64 v46, v5, v43, s0
	v_mov_b32_e32 v43, 0
	s_and_saveexec_b32 s1, s68
	s_cbranch_execz .LBB766_196
; %bb.193:
	global_load_u8 v5, v[2:3], off
	v_mov_b32_e32 v43, 0
	s_waitcnt vmcnt(0)
	v_and_b32_e32 v5, 1, v5
	s_delay_alu instid0(VALU_DEP_1) | instskip(NEXT) | instid1(VALU_DEP_1)
	v_cmp_eq_u32_e64 s0, 1, v5
	s_xor_b32 s0, s0, -1
	s_delay_alu instid0(SALU_CYCLE_1)
	s_and_saveexec_b32 s42, s0
	s_cbranch_execz .LBB766_195
; %bb.194:
	v_sub_f32_e32 v5, v39, v46
	s_delay_alu instid0(VALU_DEP_1) | instskip(SKIP_1) | instid1(VALU_DEP_2)
	v_mul_f32_e32 v39, 0x3fb8aa3b, v5
	v_cmp_ngt_f32_e64 s0, 0xc2ce8ed0, v5
	v_fma_f32 v43, 0x3fb8aa3b, v5, -v39
	v_rndne_f32_e32 v47, v39
	s_delay_alu instid0(VALU_DEP_2) | instskip(NEXT) | instid1(VALU_DEP_2)
	v_fmamk_f32 v43, v5, 0x32a5705f, v43
	v_sub_f32_e32 v39, v39, v47
	s_delay_alu instid0(VALU_DEP_1) | instskip(SKIP_1) | instid1(VALU_DEP_2)
	v_add_f32_e32 v39, v39, v43
	v_cvt_i32_f32_e32 v43, v47
	v_exp_f32_e32 v39, v39
	s_waitcnt_depctr 0xfff
	v_ldexp_f32 v39, v39, v43
	s_delay_alu instid0(VALU_DEP_1) | instskip(SKIP_1) | instid1(VALU_DEP_1)
	v_cndmask_b32_e64 v39, 0, v39, s0
	v_cmp_nlt_f32_e64 s0, 0x42b17218, v5
	v_cndmask_b32_e64 v43, 0x7f800000, v39, s0
.LBB766_195:
	s_or_b32 exec_lo, exec_lo, s42
.LBB766_196:
	s_delay_alu instid0(SALU_CYCLE_1) | instskip(NEXT) | instid1(VALU_DEP_1)
	s_or_b32 exec_lo, exec_lo, s1
	v_mov_b32_e32 v39, v43
	s_and_saveexec_b32 s1, s67
	s_cbranch_execz .LBB766_200
; %bb.197:
	global_load_u8 v4, v[2:3], off offset:64
	s_waitcnt vmcnt(0)
	v_dual_mov_b32 v39, v43 :: v_dual_and_b32 v4, 1, v4
	s_delay_alu instid0(VALU_DEP_1) | instskip(SKIP_1) | instid1(VALU_DEP_2)
	v_cmp_eq_u32_e64 s0, 1, v4
	v_mov_b32_e32 v4, 0
	s_xor_b32 s0, s0, -1
	s_delay_alu instid0(SALU_CYCLE_1)
	s_and_saveexec_b32 s42, s0
	s_cbranch_execz .LBB766_199
; %bb.198:
	v_sub_f32_e32 v4, v38, v46
	s_delay_alu instid0(VALU_DEP_1) | instskip(NEXT) | instid1(VALU_DEP_1)
	v_mul_f32_e32 v5, 0x3fb8aa3b, v4
	v_fma_f32 v38, 0x3fb8aa3b, v4, -v5
	v_rndne_f32_e32 v39, v5
	s_delay_alu instid0(VALU_DEP_1) | instskip(SKIP_1) | instid1(VALU_DEP_2)
	v_dual_sub_f32 v5, v5, v39 :: v_dual_fmamk_f32 v38, v4, 0x32a5705f, v38
	v_cmp_ngt_f32_e64 s0, 0xc2ce8ed0, v4
	v_add_f32_e32 v5, v5, v38
	v_cvt_i32_f32_e32 v38, v39
	s_delay_alu instid0(VALU_DEP_2) | instskip(SKIP_2) | instid1(VALU_DEP_1)
	v_exp_f32_e32 v5, v5
	s_waitcnt_depctr 0xfff
	v_ldexp_f32 v5, v5, v38
	v_cndmask_b32_e64 v5, 0, v5, s0
	v_cmp_nlt_f32_e64 s0, 0x42b17218, v4
	s_delay_alu instid0(VALU_DEP_1) | instskip(NEXT) | instid1(VALU_DEP_1)
	v_cndmask_b32_e64 v4, 0x7f800000, v5, s0
	v_add_f32_e32 v39, v43, v4
.LBB766_199:
	s_or_b32 exec_lo, exec_lo, s42
.LBB766_200:
	s_delay_alu instid0(SALU_CYCLE_1)
	s_or_b32 exec_lo, exec_lo, s1
	v_dual_mov_b32 v5, 0 :: v_dual_mov_b32 v38, 0
	s_and_saveexec_b32 s1, s66
	s_cbranch_execz .LBB766_204
; %bb.201:
	global_load_u8 v38, v[2:3], off offset:128
	s_waitcnt vmcnt(0)
	v_and_b32_e32 v38, 1, v38
	s_delay_alu instid0(VALU_DEP_1) | instskip(SKIP_1) | instid1(VALU_DEP_2)
	v_cmp_eq_u32_e64 s0, 1, v38
	v_mov_b32_e32 v38, 0
	s_xor_b32 s0, s0, -1
	s_delay_alu instid0(SALU_CYCLE_1)
	s_and_saveexec_b32 s42, s0
	s_cbranch_execz .LBB766_203
; %bb.202:
	v_sub_f32_e32 v37, v37, v46
	s_delay_alu instid0(VALU_DEP_1) | instskip(NEXT) | instid1(VALU_DEP_1)
	v_mul_f32_e32 v38, 0x3fb8aa3b, v37
	v_fma_f32 v47, 0x3fb8aa3b, v37, -v38
	v_rndne_f32_e32 v48, v38
	s_delay_alu instid0(VALU_DEP_1) | instskip(SKIP_1) | instid1(VALU_DEP_2)
	v_dual_sub_f32 v38, v38, v48 :: v_dual_fmamk_f32 v47, v37, 0x32a5705f, v47
	v_cmp_ngt_f32_e64 s0, 0xc2ce8ed0, v37
	v_add_f32_e32 v38, v38, v47
	v_cvt_i32_f32_e32 v47, v48
	s_delay_alu instid0(VALU_DEP_2) | instskip(SKIP_2) | instid1(VALU_DEP_1)
	v_exp_f32_e32 v38, v38
	s_waitcnt_depctr 0xfff
	v_ldexp_f32 v38, v38, v47
	v_cndmask_b32_e64 v38, 0, v38, s0
	v_cmp_nlt_f32_e64 s0, 0x42b17218, v37
	s_delay_alu instid0(VALU_DEP_1) | instskip(NEXT) | instid1(VALU_DEP_1)
	v_cndmask_b32_e64 v38, 0x7f800000, v38, s0
	v_add_f32_e32 v39, v39, v38
.LBB766_203:
	s_or_b32 exec_lo, exec_lo, s42
.LBB766_204:
	s_delay_alu instid0(SALU_CYCLE_1)
	s_or_b32 exec_lo, exec_lo, s1
	s_and_saveexec_b32 s1, s65
	s_cbranch_execz .LBB766_208
; %bb.205:
	global_load_u8 v5, v[2:3], off offset:192
	s_waitcnt vmcnt(0)
	v_and_b32_e32 v5, 1, v5
	s_delay_alu instid0(VALU_DEP_1) | instskip(SKIP_1) | instid1(VALU_DEP_2)
	v_cmp_eq_u32_e64 s0, 1, v5
	v_mov_b32_e32 v5, 0
	s_xor_b32 s0, s0, -1
	s_delay_alu instid0(SALU_CYCLE_1)
	s_and_saveexec_b32 s42, s0
	s_cbranch_execz .LBB766_207
; %bb.206:
	v_sub_f32_e32 v5, v36, v46
	s_delay_alu instid0(VALU_DEP_1) | instskip(SKIP_1) | instid1(VALU_DEP_2)
	v_mul_f32_e32 v36, 0x3fb8aa3b, v5
	v_cmp_ngt_f32_e64 s0, 0xc2ce8ed0, v5
	v_fma_f32 v37, 0x3fb8aa3b, v5, -v36
	v_rndne_f32_e32 v47, v36
	s_delay_alu instid0(VALU_DEP_1) | instskip(NEXT) | instid1(VALU_DEP_1)
	v_dual_fmamk_f32 v37, v5, 0x32a5705f, v37 :: v_dual_sub_f32 v36, v36, v47
	v_add_f32_e32 v36, v36, v37
	v_cvt_i32_f32_e32 v37, v47
	s_delay_alu instid0(VALU_DEP_2) | instskip(SKIP_2) | instid1(VALU_DEP_1)
	v_exp_f32_e32 v36, v36
	s_waitcnt_depctr 0xfff
	v_ldexp_f32 v36, v36, v37
	v_cndmask_b32_e64 v36, 0, v36, s0
	v_cmp_nlt_f32_e64 s0, 0x42b17218, v5
	s_delay_alu instid0(VALU_DEP_1) | instskip(NEXT) | instid1(VALU_DEP_1)
	v_cndmask_b32_e64 v5, 0x7f800000, v36, s0
	v_add_f32_e32 v39, v39, v5
.LBB766_207:
	s_or_b32 exec_lo, exec_lo, s42
.LBB766_208:
	s_delay_alu instid0(SALU_CYCLE_1)
	s_or_b32 exec_lo, exec_lo, s1
	v_dual_mov_b32 v36, 0 :: v_dual_mov_b32 v37, 0
	s_and_saveexec_b32 s1, s64
	s_cbranch_execz .LBB766_212
; %bb.209:
	global_load_u8 v37, v[2:3], off offset:256
	s_waitcnt vmcnt(0)
	v_and_b32_e32 v37, 1, v37
	s_delay_alu instid0(VALU_DEP_1) | instskip(SKIP_1) | instid1(VALU_DEP_2)
	v_cmp_eq_u32_e64 s0, 1, v37
	v_mov_b32_e32 v37, 0
	s_xor_b32 s0, s0, -1
	s_delay_alu instid0(SALU_CYCLE_1)
	s_and_saveexec_b32 s42, s0
	s_cbranch_execz .LBB766_211
; %bb.210:
	v_sub_f32_e32 v35, v35, v46
	s_delay_alu instid0(VALU_DEP_1) | instskip(SKIP_1) | instid1(VALU_DEP_2)
	v_mul_f32_e32 v37, 0x3fb8aa3b, v35
	v_cmp_ngt_f32_e64 s0, 0xc2ce8ed0, v35
	v_fma_f32 v47, 0x3fb8aa3b, v35, -v37
	v_rndne_f32_e32 v48, v37
	s_delay_alu instid0(VALU_DEP_2) | instskip(NEXT) | instid1(VALU_DEP_2)
	v_fmamk_f32 v47, v35, 0x32a5705f, v47
	v_sub_f32_e32 v37, v37, v48
	s_delay_alu instid0(VALU_DEP_1) | instskip(SKIP_1) | instid1(VALU_DEP_2)
	v_add_f32_e32 v37, v37, v47
	v_cvt_i32_f32_e32 v47, v48
	v_exp_f32_e32 v37, v37
	s_waitcnt_depctr 0xfff
	v_ldexp_f32 v37, v37, v47
	s_delay_alu instid0(VALU_DEP_1) | instskip(SKIP_1) | instid1(VALU_DEP_1)
	v_cndmask_b32_e64 v37, 0, v37, s0
	v_cmp_nlt_f32_e64 s0, 0x42b17218, v35
	v_cndmask_b32_e64 v37, 0x7f800000, v37, s0
	s_delay_alu instid0(VALU_DEP_1)
	v_add_f32_e32 v39, v39, v37
.LBB766_211:
	s_or_b32 exec_lo, exec_lo, s42
.LBB766_212:
	s_delay_alu instid0(SALU_CYCLE_1)
	s_or_b32 exec_lo, exec_lo, s1
	s_and_saveexec_b32 s1, s63
	s_cbranch_execz .LBB766_216
; %bb.213:
	global_load_u8 v35, v[2:3], off offset:320
	s_waitcnt vmcnt(0)
	v_dual_mov_b32 v36, 0 :: v_dual_and_b32 v35, 1, v35
	s_delay_alu instid0(VALU_DEP_1) | instskip(NEXT) | instid1(VALU_DEP_1)
	v_cmp_eq_u32_e64 s0, 1, v35
	s_xor_b32 s0, s0, -1
	s_delay_alu instid0(SALU_CYCLE_1)
	s_and_saveexec_b32 s42, s0
	s_cbranch_execz .LBB766_215
; %bb.214:
	v_sub_f32_e32 v34, v34, v46
	s_delay_alu instid0(VALU_DEP_1) | instskip(NEXT) | instid1(VALU_DEP_1)
	v_mul_f32_e32 v35, 0x3fb8aa3b, v34
	v_fma_f32 v36, 0x3fb8aa3b, v34, -v35
	v_rndne_f32_e32 v47, v35
	s_delay_alu instid0(VALU_DEP_1) | instskip(SKIP_1) | instid1(VALU_DEP_2)
	v_dual_sub_f32 v35, v35, v47 :: v_dual_fmamk_f32 v36, v34, 0x32a5705f, v36
	v_cmp_ngt_f32_e64 s0, 0xc2ce8ed0, v34
	v_add_f32_e32 v35, v35, v36
	v_cvt_i32_f32_e32 v36, v47
	s_delay_alu instid0(VALU_DEP_2) | instskip(SKIP_2) | instid1(VALU_DEP_1)
	v_exp_f32_e32 v35, v35
	s_waitcnt_depctr 0xfff
	v_ldexp_f32 v35, v35, v36
	v_cndmask_b32_e64 v35, 0, v35, s0
	v_cmp_nlt_f32_e64 s0, 0x42b17218, v34
	s_delay_alu instid0(VALU_DEP_1) | instskip(NEXT) | instid1(VALU_DEP_1)
	v_cndmask_b32_e64 v36, 0x7f800000, v35, s0
	v_add_f32_e32 v39, v39, v36
.LBB766_215:
	s_or_b32 exec_lo, exec_lo, s42
.LBB766_216:
	s_delay_alu instid0(SALU_CYCLE_1)
	s_or_b32 exec_lo, exec_lo, s1
	v_dual_mov_b32 v34, 0 :: v_dual_mov_b32 v35, 0
	s_and_saveexec_b32 s1, s62
	s_cbranch_execz .LBB766_220
; %bb.217:
	global_load_u8 v35, v[2:3], off offset:384
	s_waitcnt vmcnt(0)
	v_and_b32_e32 v35, 1, v35
	s_delay_alu instid0(VALU_DEP_1) | instskip(SKIP_1) | instid1(VALU_DEP_2)
	v_cmp_eq_u32_e64 s0, 1, v35
	v_mov_b32_e32 v35, 0
	s_xor_b32 s0, s0, -1
	s_delay_alu instid0(SALU_CYCLE_1)
	s_and_saveexec_b32 s42, s0
	s_cbranch_execz .LBB766_219
; %bb.218:
	v_sub_f32_e32 v33, v33, v46
	s_delay_alu instid0(VALU_DEP_1) | instskip(SKIP_1) | instid1(VALU_DEP_2)
	v_mul_f32_e32 v35, 0x3fb8aa3b, v33
	v_cmp_ngt_f32_e64 s0, 0xc2ce8ed0, v33
	v_fma_f32 v47, 0x3fb8aa3b, v33, -v35
	v_rndne_f32_e32 v48, v35
	s_delay_alu instid0(VALU_DEP_2) | instskip(NEXT) | instid1(VALU_DEP_2)
	v_fmamk_f32 v47, v33, 0x32a5705f, v47
	v_sub_f32_e32 v35, v35, v48
	s_delay_alu instid0(VALU_DEP_1) | instskip(SKIP_1) | instid1(VALU_DEP_2)
	v_add_f32_e32 v35, v35, v47
	v_cvt_i32_f32_e32 v47, v48
	v_exp_f32_e32 v35, v35
	s_waitcnt_depctr 0xfff
	v_ldexp_f32 v35, v35, v47
	s_delay_alu instid0(VALU_DEP_1) | instskip(SKIP_1) | instid1(VALU_DEP_1)
	v_cndmask_b32_e64 v35, 0, v35, s0
	v_cmp_nlt_f32_e64 s0, 0x42b17218, v33
	v_cndmask_b32_e64 v35, 0x7f800000, v35, s0
	s_delay_alu instid0(VALU_DEP_1)
	v_add_f32_e32 v39, v39, v35
.LBB766_219:
	s_or_b32 exec_lo, exec_lo, s42
.LBB766_220:
	s_delay_alu instid0(SALU_CYCLE_1)
	s_or_b32 exec_lo, exec_lo, s1
	s_and_saveexec_b32 s1, s61
	s_cbranch_execz .LBB766_224
; %bb.221:
	global_load_u8 v33, v[2:3], off offset:448
	s_waitcnt vmcnt(0)
	v_dual_mov_b32 v34, 0 :: v_dual_and_b32 v33, 1, v33
	s_delay_alu instid0(VALU_DEP_1) | instskip(NEXT) | instid1(VALU_DEP_1)
	v_cmp_eq_u32_e64 s0, 1, v33
	s_xor_b32 s0, s0, -1
	s_delay_alu instid0(SALU_CYCLE_1)
	s_and_saveexec_b32 s42, s0
	s_cbranch_execz .LBB766_223
; %bb.222:
	v_sub_f32_e32 v32, v32, v46
	s_delay_alu instid0(VALU_DEP_1) | instskip(NEXT) | instid1(VALU_DEP_1)
	v_mul_f32_e32 v33, 0x3fb8aa3b, v32
	v_fma_f32 v34, 0x3fb8aa3b, v32, -v33
	v_rndne_f32_e32 v47, v33
	s_delay_alu instid0(VALU_DEP_1) | instskip(SKIP_1) | instid1(VALU_DEP_2)
	v_dual_sub_f32 v33, v33, v47 :: v_dual_fmamk_f32 v34, v32, 0x32a5705f, v34
	v_cmp_ngt_f32_e64 s0, 0xc2ce8ed0, v32
	v_add_f32_e32 v33, v33, v34
	v_cvt_i32_f32_e32 v34, v47
	s_delay_alu instid0(VALU_DEP_2) | instskip(SKIP_2) | instid1(VALU_DEP_1)
	v_exp_f32_e32 v33, v33
	s_waitcnt_depctr 0xfff
	v_ldexp_f32 v33, v33, v34
	v_cndmask_b32_e64 v33, 0, v33, s0
	v_cmp_nlt_f32_e64 s0, 0x42b17218, v32
	s_delay_alu instid0(VALU_DEP_1) | instskip(NEXT) | instid1(VALU_DEP_1)
	v_cndmask_b32_e64 v34, 0x7f800000, v33, s0
	v_add_f32_e32 v39, v39, v34
.LBB766_223:
	s_or_b32 exec_lo, exec_lo, s42
.LBB766_224:
	s_delay_alu instid0(SALU_CYCLE_1)
	s_or_b32 exec_lo, exec_lo, s1
	v_dual_mov_b32 v32, 0 :: v_dual_mov_b32 v33, 0
	s_and_saveexec_b32 s1, s60
	s_cbranch_execz .LBB766_228
; %bb.225:
	global_load_u8 v33, v[2:3], off offset:512
	s_waitcnt vmcnt(0)
	v_and_b32_e32 v33, 1, v33
	s_delay_alu instid0(VALU_DEP_1) | instskip(SKIP_1) | instid1(VALU_DEP_2)
	v_cmp_eq_u32_e64 s0, 1, v33
	v_mov_b32_e32 v33, 0
	s_xor_b32 s0, s0, -1
	s_delay_alu instid0(SALU_CYCLE_1)
	s_and_saveexec_b32 s42, s0
	s_cbranch_execz .LBB766_227
; %bb.226:
	v_sub_f32_e32 v31, v31, v46
	s_delay_alu instid0(VALU_DEP_1) | instskip(SKIP_1) | instid1(VALU_DEP_2)
	v_mul_f32_e32 v33, 0x3fb8aa3b, v31
	v_cmp_ngt_f32_e64 s0, 0xc2ce8ed0, v31
	v_fma_f32 v47, 0x3fb8aa3b, v31, -v33
	v_rndne_f32_e32 v48, v33
	s_delay_alu instid0(VALU_DEP_2) | instskip(NEXT) | instid1(VALU_DEP_2)
	v_fmamk_f32 v47, v31, 0x32a5705f, v47
	v_sub_f32_e32 v33, v33, v48
	s_delay_alu instid0(VALU_DEP_1) | instskip(SKIP_1) | instid1(VALU_DEP_2)
	v_add_f32_e32 v33, v33, v47
	v_cvt_i32_f32_e32 v47, v48
	v_exp_f32_e32 v33, v33
	s_waitcnt_depctr 0xfff
	v_ldexp_f32 v33, v33, v47
	s_delay_alu instid0(VALU_DEP_1) | instskip(SKIP_1) | instid1(VALU_DEP_1)
	v_cndmask_b32_e64 v33, 0, v33, s0
	v_cmp_nlt_f32_e64 s0, 0x42b17218, v31
	v_cndmask_b32_e64 v33, 0x7f800000, v33, s0
	s_delay_alu instid0(VALU_DEP_1)
	v_add_f32_e32 v39, v39, v33
.LBB766_227:
	s_or_b32 exec_lo, exec_lo, s42
.LBB766_228:
	s_delay_alu instid0(SALU_CYCLE_1)
	s_or_b32 exec_lo, exec_lo, s1
	s_and_saveexec_b32 s1, s59
	s_cbranch_execz .LBB766_232
; %bb.229:
	global_load_u8 v31, v[2:3], off offset:576
	s_waitcnt vmcnt(0)
	v_dual_mov_b32 v32, 0 :: v_dual_and_b32 v31, 1, v31
	s_delay_alu instid0(VALU_DEP_1) | instskip(NEXT) | instid1(VALU_DEP_1)
	v_cmp_eq_u32_e64 s0, 1, v31
	s_xor_b32 s0, s0, -1
	s_delay_alu instid0(SALU_CYCLE_1)
	s_and_saveexec_b32 s42, s0
	s_cbranch_execz .LBB766_231
; %bb.230:
	v_sub_f32_e32 v30, v30, v46
	s_delay_alu instid0(VALU_DEP_1) | instskip(NEXT) | instid1(VALU_DEP_1)
	v_mul_f32_e32 v31, 0x3fb8aa3b, v30
	v_fma_f32 v32, 0x3fb8aa3b, v30, -v31
	v_rndne_f32_e32 v47, v31
	s_delay_alu instid0(VALU_DEP_1) | instskip(SKIP_1) | instid1(VALU_DEP_2)
	v_dual_sub_f32 v31, v31, v47 :: v_dual_fmamk_f32 v32, v30, 0x32a5705f, v32
	v_cmp_ngt_f32_e64 s0, 0xc2ce8ed0, v30
	v_add_f32_e32 v31, v31, v32
	v_cvt_i32_f32_e32 v32, v47
	s_delay_alu instid0(VALU_DEP_2) | instskip(SKIP_2) | instid1(VALU_DEP_1)
	v_exp_f32_e32 v31, v31
	s_waitcnt_depctr 0xfff
	v_ldexp_f32 v31, v31, v32
	v_cndmask_b32_e64 v31, 0, v31, s0
	v_cmp_nlt_f32_e64 s0, 0x42b17218, v30
	s_delay_alu instid0(VALU_DEP_1) | instskip(NEXT) | instid1(VALU_DEP_1)
	v_cndmask_b32_e64 v32, 0x7f800000, v31, s0
	v_add_f32_e32 v39, v39, v32
.LBB766_231:
	s_or_b32 exec_lo, exec_lo, s42
.LBB766_232:
	s_delay_alu instid0(SALU_CYCLE_1)
	s_or_b32 exec_lo, exec_lo, s1
	v_dual_mov_b32 v30, 0 :: v_dual_mov_b32 v31, 0
	s_and_saveexec_b32 s1, s58
	s_cbranch_execz .LBB766_236
; %bb.233:
	global_load_u8 v31, v[2:3], off offset:640
	s_waitcnt vmcnt(0)
	v_and_b32_e32 v31, 1, v31
	s_delay_alu instid0(VALU_DEP_1) | instskip(SKIP_1) | instid1(VALU_DEP_2)
	v_cmp_eq_u32_e64 s0, 1, v31
	v_mov_b32_e32 v31, 0
	s_xor_b32 s0, s0, -1
	s_delay_alu instid0(SALU_CYCLE_1)
	s_and_saveexec_b32 s42, s0
	s_cbranch_execz .LBB766_235
; %bb.234:
	v_sub_f32_e32 v29, v29, v46
	s_delay_alu instid0(VALU_DEP_1) | instskip(SKIP_1) | instid1(VALU_DEP_2)
	v_mul_f32_e32 v31, 0x3fb8aa3b, v29
	v_cmp_ngt_f32_e64 s0, 0xc2ce8ed0, v29
	v_fma_f32 v47, 0x3fb8aa3b, v29, -v31
	v_rndne_f32_e32 v48, v31
	s_delay_alu instid0(VALU_DEP_2) | instskip(NEXT) | instid1(VALU_DEP_2)
	v_fmamk_f32 v47, v29, 0x32a5705f, v47
	v_sub_f32_e32 v31, v31, v48
	s_delay_alu instid0(VALU_DEP_1) | instskip(SKIP_1) | instid1(VALU_DEP_2)
	v_add_f32_e32 v31, v31, v47
	v_cvt_i32_f32_e32 v47, v48
	v_exp_f32_e32 v31, v31
	s_waitcnt_depctr 0xfff
	v_ldexp_f32 v31, v31, v47
	s_delay_alu instid0(VALU_DEP_1) | instskip(SKIP_1) | instid1(VALU_DEP_1)
	v_cndmask_b32_e64 v31, 0, v31, s0
	v_cmp_nlt_f32_e64 s0, 0x42b17218, v29
	v_cndmask_b32_e64 v31, 0x7f800000, v31, s0
	s_delay_alu instid0(VALU_DEP_1)
	v_add_f32_e32 v39, v39, v31
.LBB766_235:
	s_or_b32 exec_lo, exec_lo, s42
.LBB766_236:
	s_delay_alu instid0(SALU_CYCLE_1)
	s_or_b32 exec_lo, exec_lo, s1
	s_and_saveexec_b32 s1, s57
	s_cbranch_execz .LBB766_240
; %bb.237:
	global_load_u8 v29, v[2:3], off offset:704
	s_waitcnt vmcnt(0)
	v_dual_mov_b32 v30, 0 :: v_dual_and_b32 v29, 1, v29
	s_delay_alu instid0(VALU_DEP_1) | instskip(NEXT) | instid1(VALU_DEP_1)
	v_cmp_eq_u32_e64 s0, 1, v29
	s_xor_b32 s0, s0, -1
	s_delay_alu instid0(SALU_CYCLE_1)
	s_and_saveexec_b32 s42, s0
	s_cbranch_execz .LBB766_239
; %bb.238:
	v_sub_f32_e32 v28, v28, v46
	s_delay_alu instid0(VALU_DEP_1) | instskip(NEXT) | instid1(VALU_DEP_1)
	v_mul_f32_e32 v29, 0x3fb8aa3b, v28
	v_fma_f32 v30, 0x3fb8aa3b, v28, -v29
	v_rndne_f32_e32 v47, v29
	s_delay_alu instid0(VALU_DEP_1) | instskip(SKIP_1) | instid1(VALU_DEP_2)
	v_dual_sub_f32 v29, v29, v47 :: v_dual_fmamk_f32 v30, v28, 0x32a5705f, v30
	v_cmp_ngt_f32_e64 s0, 0xc2ce8ed0, v28
	v_add_f32_e32 v29, v29, v30
	v_cvt_i32_f32_e32 v30, v47
	s_delay_alu instid0(VALU_DEP_2) | instskip(SKIP_2) | instid1(VALU_DEP_1)
	v_exp_f32_e32 v29, v29
	s_waitcnt_depctr 0xfff
	v_ldexp_f32 v29, v29, v30
	v_cndmask_b32_e64 v29, 0, v29, s0
	v_cmp_nlt_f32_e64 s0, 0x42b17218, v28
	s_delay_alu instid0(VALU_DEP_1) | instskip(NEXT) | instid1(VALU_DEP_1)
	v_cndmask_b32_e64 v30, 0x7f800000, v29, s0
	v_add_f32_e32 v39, v39, v30
.LBB766_239:
	s_or_b32 exec_lo, exec_lo, s42
.LBB766_240:
	s_delay_alu instid0(SALU_CYCLE_1)
	s_or_b32 exec_lo, exec_lo, s1
	v_dual_mov_b32 v28, 0 :: v_dual_mov_b32 v29, 0
	s_and_saveexec_b32 s1, s56
	s_cbranch_execz .LBB766_244
; %bb.241:
	global_load_u8 v29, v[2:3], off offset:768
	s_waitcnt vmcnt(0)
	v_and_b32_e32 v29, 1, v29
	s_delay_alu instid0(VALU_DEP_1) | instskip(SKIP_1) | instid1(VALU_DEP_2)
	v_cmp_eq_u32_e64 s0, 1, v29
	v_mov_b32_e32 v29, 0
	s_xor_b32 s0, s0, -1
	s_delay_alu instid0(SALU_CYCLE_1)
	s_and_saveexec_b32 s42, s0
	s_cbranch_execz .LBB766_243
; %bb.242:
	v_sub_f32_e32 v27, v27, v46
	s_delay_alu instid0(VALU_DEP_1) | instskip(SKIP_1) | instid1(VALU_DEP_2)
	v_mul_f32_e32 v29, 0x3fb8aa3b, v27
	v_cmp_ngt_f32_e64 s0, 0xc2ce8ed0, v27
	v_fma_f32 v47, 0x3fb8aa3b, v27, -v29
	v_rndne_f32_e32 v48, v29
	s_delay_alu instid0(VALU_DEP_2) | instskip(NEXT) | instid1(VALU_DEP_2)
	v_fmamk_f32 v47, v27, 0x32a5705f, v47
	v_sub_f32_e32 v29, v29, v48
	s_delay_alu instid0(VALU_DEP_1) | instskip(SKIP_1) | instid1(VALU_DEP_2)
	v_add_f32_e32 v29, v29, v47
	v_cvt_i32_f32_e32 v47, v48
	v_exp_f32_e32 v29, v29
	s_waitcnt_depctr 0xfff
	v_ldexp_f32 v29, v29, v47
	s_delay_alu instid0(VALU_DEP_1) | instskip(SKIP_1) | instid1(VALU_DEP_1)
	v_cndmask_b32_e64 v29, 0, v29, s0
	v_cmp_nlt_f32_e64 s0, 0x42b17218, v27
	v_cndmask_b32_e64 v29, 0x7f800000, v29, s0
	s_delay_alu instid0(VALU_DEP_1)
	v_add_f32_e32 v39, v39, v29
.LBB766_243:
	s_or_b32 exec_lo, exec_lo, s42
.LBB766_244:
	s_delay_alu instid0(SALU_CYCLE_1)
	s_or_b32 exec_lo, exec_lo, s1
	s_and_saveexec_b32 s1, s55
	s_cbranch_execz .LBB766_248
; %bb.245:
	global_load_u8 v27, v[2:3], off offset:832
	s_waitcnt vmcnt(0)
	v_dual_mov_b32 v28, 0 :: v_dual_and_b32 v27, 1, v27
	s_delay_alu instid0(VALU_DEP_1) | instskip(NEXT) | instid1(VALU_DEP_1)
	v_cmp_eq_u32_e64 s0, 1, v27
	s_xor_b32 s0, s0, -1
	s_delay_alu instid0(SALU_CYCLE_1)
	s_and_saveexec_b32 s42, s0
	s_cbranch_execz .LBB766_247
; %bb.246:
	v_sub_f32_e32 v26, v26, v46
	s_delay_alu instid0(VALU_DEP_1) | instskip(NEXT) | instid1(VALU_DEP_1)
	v_mul_f32_e32 v27, 0x3fb8aa3b, v26
	v_fma_f32 v28, 0x3fb8aa3b, v26, -v27
	v_rndne_f32_e32 v47, v27
	s_delay_alu instid0(VALU_DEP_1) | instskip(SKIP_1) | instid1(VALU_DEP_2)
	v_dual_sub_f32 v27, v27, v47 :: v_dual_fmamk_f32 v28, v26, 0x32a5705f, v28
	v_cmp_ngt_f32_e64 s0, 0xc2ce8ed0, v26
	v_add_f32_e32 v27, v27, v28
	v_cvt_i32_f32_e32 v28, v47
	s_delay_alu instid0(VALU_DEP_2) | instskip(SKIP_2) | instid1(VALU_DEP_1)
	v_exp_f32_e32 v27, v27
	s_waitcnt_depctr 0xfff
	v_ldexp_f32 v27, v27, v28
	v_cndmask_b32_e64 v27, 0, v27, s0
	v_cmp_nlt_f32_e64 s0, 0x42b17218, v26
	s_delay_alu instid0(VALU_DEP_1) | instskip(NEXT) | instid1(VALU_DEP_1)
	v_cndmask_b32_e64 v28, 0x7f800000, v27, s0
	v_add_f32_e32 v39, v39, v28
.LBB766_247:
	s_or_b32 exec_lo, exec_lo, s42
.LBB766_248:
	s_delay_alu instid0(SALU_CYCLE_1)
	s_or_b32 exec_lo, exec_lo, s1
	v_dual_mov_b32 v26, 0 :: v_dual_mov_b32 v27, 0
	s_and_saveexec_b32 s1, s54
	s_cbranch_execz .LBB766_252
; %bb.249:
	global_load_u8 v27, v[2:3], off offset:896
	s_waitcnt vmcnt(0)
	v_and_b32_e32 v27, 1, v27
	s_delay_alu instid0(VALU_DEP_1) | instskip(SKIP_1) | instid1(VALU_DEP_2)
	v_cmp_eq_u32_e64 s0, 1, v27
	v_mov_b32_e32 v27, 0
	s_xor_b32 s0, s0, -1
	s_delay_alu instid0(SALU_CYCLE_1)
	s_and_saveexec_b32 s42, s0
	s_cbranch_execz .LBB766_251
; %bb.250:
	v_sub_f32_e32 v25, v25, v46
	s_delay_alu instid0(VALU_DEP_1) | instskip(SKIP_1) | instid1(VALU_DEP_2)
	v_mul_f32_e32 v27, 0x3fb8aa3b, v25
	v_cmp_ngt_f32_e64 s0, 0xc2ce8ed0, v25
	v_fma_f32 v47, 0x3fb8aa3b, v25, -v27
	v_rndne_f32_e32 v48, v27
	s_delay_alu instid0(VALU_DEP_2) | instskip(NEXT) | instid1(VALU_DEP_2)
	v_fmamk_f32 v47, v25, 0x32a5705f, v47
	v_sub_f32_e32 v27, v27, v48
	s_delay_alu instid0(VALU_DEP_1) | instskip(SKIP_1) | instid1(VALU_DEP_2)
	v_add_f32_e32 v27, v27, v47
	v_cvt_i32_f32_e32 v47, v48
	v_exp_f32_e32 v27, v27
	s_waitcnt_depctr 0xfff
	v_ldexp_f32 v27, v27, v47
	s_delay_alu instid0(VALU_DEP_1) | instskip(SKIP_1) | instid1(VALU_DEP_1)
	v_cndmask_b32_e64 v27, 0, v27, s0
	v_cmp_nlt_f32_e64 s0, 0x42b17218, v25
	v_cndmask_b32_e64 v27, 0x7f800000, v27, s0
	s_delay_alu instid0(VALU_DEP_1)
	v_add_f32_e32 v39, v39, v27
.LBB766_251:
	s_or_b32 exec_lo, exec_lo, s42
.LBB766_252:
	s_delay_alu instid0(SALU_CYCLE_1)
	s_or_b32 exec_lo, exec_lo, s1
	s_and_saveexec_b32 s1, s53
	s_cbranch_execz .LBB766_256
; %bb.253:
	global_load_u8 v25, v[2:3], off offset:960
	s_waitcnt vmcnt(0)
	v_dual_mov_b32 v26, 0 :: v_dual_and_b32 v25, 1, v25
	s_delay_alu instid0(VALU_DEP_1) | instskip(NEXT) | instid1(VALU_DEP_1)
	v_cmp_eq_u32_e64 s0, 1, v25
	s_xor_b32 s0, s0, -1
	s_delay_alu instid0(SALU_CYCLE_1)
	s_and_saveexec_b32 s42, s0
	s_cbranch_execz .LBB766_255
; %bb.254:
	v_sub_f32_e32 v24, v24, v46
	s_delay_alu instid0(VALU_DEP_1) | instskip(NEXT) | instid1(VALU_DEP_1)
	v_mul_f32_e32 v25, 0x3fb8aa3b, v24
	v_fma_f32 v26, 0x3fb8aa3b, v24, -v25
	v_rndne_f32_e32 v47, v25
	s_delay_alu instid0(VALU_DEP_1) | instskip(SKIP_1) | instid1(VALU_DEP_2)
	v_dual_sub_f32 v25, v25, v47 :: v_dual_fmamk_f32 v26, v24, 0x32a5705f, v26
	v_cmp_ngt_f32_e64 s0, 0xc2ce8ed0, v24
	v_add_f32_e32 v25, v25, v26
	v_cvt_i32_f32_e32 v26, v47
	s_delay_alu instid0(VALU_DEP_2) | instskip(SKIP_2) | instid1(VALU_DEP_1)
	v_exp_f32_e32 v25, v25
	s_waitcnt_depctr 0xfff
	v_ldexp_f32 v25, v25, v26
	v_cndmask_b32_e64 v25, 0, v25, s0
	v_cmp_nlt_f32_e64 s0, 0x42b17218, v24
	s_delay_alu instid0(VALU_DEP_1) | instskip(NEXT) | instid1(VALU_DEP_1)
	v_cndmask_b32_e64 v26, 0x7f800000, v25, s0
	v_add_f32_e32 v39, v39, v26
.LBB766_255:
	s_or_b32 exec_lo, exec_lo, s42
.LBB766_256:
	s_delay_alu instid0(SALU_CYCLE_1)
	s_or_b32 exec_lo, exec_lo, s1
	v_dual_mov_b32 v24, 0 :: v_dual_mov_b32 v25, 0
	s_and_saveexec_b32 s1, s52
	s_cbranch_execz .LBB766_260
; %bb.257:
	global_load_u8 v25, v[2:3], off offset:1024
	s_waitcnt vmcnt(0)
	v_and_b32_e32 v25, 1, v25
	s_delay_alu instid0(VALU_DEP_1) | instskip(SKIP_1) | instid1(VALU_DEP_2)
	v_cmp_eq_u32_e64 s0, 1, v25
	v_mov_b32_e32 v25, 0
	s_xor_b32 s0, s0, -1
	s_delay_alu instid0(SALU_CYCLE_1)
	s_and_saveexec_b32 s42, s0
	s_cbranch_execz .LBB766_259
; %bb.258:
	v_sub_f32_e32 v23, v23, v46
	s_delay_alu instid0(VALU_DEP_1) | instskip(SKIP_1) | instid1(VALU_DEP_2)
	v_mul_f32_e32 v25, 0x3fb8aa3b, v23
	v_cmp_ngt_f32_e64 s0, 0xc2ce8ed0, v23
	v_fma_f32 v47, 0x3fb8aa3b, v23, -v25
	v_rndne_f32_e32 v48, v25
	s_delay_alu instid0(VALU_DEP_2) | instskip(NEXT) | instid1(VALU_DEP_2)
	v_fmamk_f32 v47, v23, 0x32a5705f, v47
	v_sub_f32_e32 v25, v25, v48
	s_delay_alu instid0(VALU_DEP_1) | instskip(SKIP_1) | instid1(VALU_DEP_2)
	v_add_f32_e32 v25, v25, v47
	v_cvt_i32_f32_e32 v47, v48
	v_exp_f32_e32 v25, v25
	s_waitcnt_depctr 0xfff
	v_ldexp_f32 v25, v25, v47
	s_delay_alu instid0(VALU_DEP_1) | instskip(SKIP_1) | instid1(VALU_DEP_1)
	v_cndmask_b32_e64 v25, 0, v25, s0
	v_cmp_nlt_f32_e64 s0, 0x42b17218, v23
	v_cndmask_b32_e64 v25, 0x7f800000, v25, s0
	s_delay_alu instid0(VALU_DEP_1)
	v_add_f32_e32 v39, v39, v25
.LBB766_259:
	s_or_b32 exec_lo, exec_lo, s42
.LBB766_260:
	s_delay_alu instid0(SALU_CYCLE_1)
	s_or_b32 exec_lo, exec_lo, s1
	s_and_saveexec_b32 s1, s51
	s_cbranch_execz .LBB766_264
; %bb.261:
	global_load_u8 v23, v[2:3], off offset:1088
	s_waitcnt vmcnt(0)
	v_dual_mov_b32 v24, 0 :: v_dual_and_b32 v23, 1, v23
	s_delay_alu instid0(VALU_DEP_1) | instskip(NEXT) | instid1(VALU_DEP_1)
	v_cmp_eq_u32_e64 s0, 1, v23
	s_xor_b32 s0, s0, -1
	s_delay_alu instid0(SALU_CYCLE_1)
	s_and_saveexec_b32 s42, s0
	s_cbranch_execz .LBB766_263
; %bb.262:
	v_sub_f32_e32 v22, v22, v46
	s_delay_alu instid0(VALU_DEP_1) | instskip(NEXT) | instid1(VALU_DEP_1)
	v_mul_f32_e32 v23, 0x3fb8aa3b, v22
	v_fma_f32 v24, 0x3fb8aa3b, v22, -v23
	v_rndne_f32_e32 v47, v23
	s_delay_alu instid0(VALU_DEP_1) | instskip(SKIP_1) | instid1(VALU_DEP_2)
	v_dual_sub_f32 v23, v23, v47 :: v_dual_fmamk_f32 v24, v22, 0x32a5705f, v24
	v_cmp_ngt_f32_e64 s0, 0xc2ce8ed0, v22
	v_add_f32_e32 v23, v23, v24
	v_cvt_i32_f32_e32 v24, v47
	s_delay_alu instid0(VALU_DEP_2) | instskip(SKIP_2) | instid1(VALU_DEP_1)
	v_exp_f32_e32 v23, v23
	s_waitcnt_depctr 0xfff
	v_ldexp_f32 v23, v23, v24
	v_cndmask_b32_e64 v23, 0, v23, s0
	v_cmp_nlt_f32_e64 s0, 0x42b17218, v22
	s_delay_alu instid0(VALU_DEP_1) | instskip(NEXT) | instid1(VALU_DEP_1)
	v_cndmask_b32_e64 v24, 0x7f800000, v23, s0
	v_add_f32_e32 v39, v39, v24
.LBB766_263:
	s_or_b32 exec_lo, exec_lo, s42
.LBB766_264:
	s_delay_alu instid0(SALU_CYCLE_1)
	s_or_b32 exec_lo, exec_lo, s1
	v_dual_mov_b32 v22, 0 :: v_dual_mov_b32 v23, 0
	s_and_saveexec_b32 s1, s50
	s_cbranch_execz .LBB766_268
; %bb.265:
	global_load_u8 v23, v[2:3], off offset:1152
	s_waitcnt vmcnt(0)
	v_and_b32_e32 v23, 1, v23
	s_delay_alu instid0(VALU_DEP_1) | instskip(SKIP_1) | instid1(VALU_DEP_2)
	v_cmp_eq_u32_e64 s0, 1, v23
	v_mov_b32_e32 v23, 0
	s_xor_b32 s0, s0, -1
	s_delay_alu instid0(SALU_CYCLE_1)
	s_and_saveexec_b32 s42, s0
	s_cbranch_execz .LBB766_267
; %bb.266:
	v_sub_f32_e32 v21, v21, v46
	s_delay_alu instid0(VALU_DEP_1) | instskip(SKIP_1) | instid1(VALU_DEP_2)
	v_mul_f32_e32 v23, 0x3fb8aa3b, v21
	v_cmp_ngt_f32_e64 s0, 0xc2ce8ed0, v21
	v_fma_f32 v47, 0x3fb8aa3b, v21, -v23
	v_rndne_f32_e32 v48, v23
	s_delay_alu instid0(VALU_DEP_2) | instskip(NEXT) | instid1(VALU_DEP_2)
	v_fmamk_f32 v47, v21, 0x32a5705f, v47
	v_sub_f32_e32 v23, v23, v48
	s_delay_alu instid0(VALU_DEP_1) | instskip(SKIP_1) | instid1(VALU_DEP_2)
	v_add_f32_e32 v23, v23, v47
	v_cvt_i32_f32_e32 v47, v48
	v_exp_f32_e32 v23, v23
	s_waitcnt_depctr 0xfff
	v_ldexp_f32 v23, v23, v47
	s_delay_alu instid0(VALU_DEP_1) | instskip(SKIP_1) | instid1(VALU_DEP_1)
	v_cndmask_b32_e64 v23, 0, v23, s0
	v_cmp_nlt_f32_e64 s0, 0x42b17218, v21
	v_cndmask_b32_e64 v23, 0x7f800000, v23, s0
	s_delay_alu instid0(VALU_DEP_1)
	v_add_f32_e32 v39, v39, v23
.LBB766_267:
	s_or_b32 exec_lo, exec_lo, s42
.LBB766_268:
	s_delay_alu instid0(SALU_CYCLE_1)
	s_or_b32 exec_lo, exec_lo, s1
	s_and_saveexec_b32 s1, s49
	s_cbranch_execz .LBB766_272
; %bb.269:
	global_load_u8 v21, v[2:3], off offset:1216
	s_waitcnt vmcnt(0)
	v_dual_mov_b32 v22, 0 :: v_dual_and_b32 v21, 1, v21
	s_delay_alu instid0(VALU_DEP_1) | instskip(NEXT) | instid1(VALU_DEP_1)
	v_cmp_eq_u32_e64 s0, 1, v21
	s_xor_b32 s0, s0, -1
	s_delay_alu instid0(SALU_CYCLE_1)
	s_and_saveexec_b32 s42, s0
	s_cbranch_execz .LBB766_271
; %bb.270:
	v_sub_f32_e32 v20, v20, v46
	s_delay_alu instid0(VALU_DEP_1) | instskip(NEXT) | instid1(VALU_DEP_1)
	v_mul_f32_e32 v21, 0x3fb8aa3b, v20
	v_fma_f32 v22, 0x3fb8aa3b, v20, -v21
	v_rndne_f32_e32 v47, v21
	s_delay_alu instid0(VALU_DEP_1) | instskip(SKIP_1) | instid1(VALU_DEP_2)
	v_dual_sub_f32 v21, v21, v47 :: v_dual_fmamk_f32 v22, v20, 0x32a5705f, v22
	v_cmp_ngt_f32_e64 s0, 0xc2ce8ed0, v20
	v_add_f32_e32 v21, v21, v22
	v_cvt_i32_f32_e32 v22, v47
	s_delay_alu instid0(VALU_DEP_2) | instskip(SKIP_2) | instid1(VALU_DEP_1)
	v_exp_f32_e32 v21, v21
	s_waitcnt_depctr 0xfff
	v_ldexp_f32 v21, v21, v22
	v_cndmask_b32_e64 v21, 0, v21, s0
	v_cmp_nlt_f32_e64 s0, 0x42b17218, v20
	s_delay_alu instid0(VALU_DEP_1) | instskip(NEXT) | instid1(VALU_DEP_1)
	v_cndmask_b32_e64 v22, 0x7f800000, v21, s0
	v_add_f32_e32 v39, v39, v22
.LBB766_271:
	s_or_b32 exec_lo, exec_lo, s42
.LBB766_272:
	s_delay_alu instid0(SALU_CYCLE_1)
	s_or_b32 exec_lo, exec_lo, s1
	v_dual_mov_b32 v20, 0 :: v_dual_mov_b32 v21, 0
	s_and_saveexec_b32 s1, s48
	s_cbranch_execz .LBB766_276
; %bb.273:
	global_load_u8 v21, v[2:3], off offset:1280
	s_waitcnt vmcnt(0)
	v_and_b32_e32 v21, 1, v21
	s_delay_alu instid0(VALU_DEP_1) | instskip(SKIP_1) | instid1(VALU_DEP_2)
	v_cmp_eq_u32_e64 s0, 1, v21
	v_mov_b32_e32 v21, 0
	s_xor_b32 s0, s0, -1
	s_delay_alu instid0(SALU_CYCLE_1)
	s_and_saveexec_b32 s42, s0
	s_cbranch_execz .LBB766_275
; %bb.274:
	v_sub_f32_e32 v19, v19, v46
	s_delay_alu instid0(VALU_DEP_1) | instskip(SKIP_1) | instid1(VALU_DEP_2)
	v_mul_f32_e32 v21, 0x3fb8aa3b, v19
	v_cmp_ngt_f32_e64 s0, 0xc2ce8ed0, v19
	v_fma_f32 v47, 0x3fb8aa3b, v19, -v21
	v_rndne_f32_e32 v48, v21
	s_delay_alu instid0(VALU_DEP_2) | instskip(NEXT) | instid1(VALU_DEP_2)
	v_fmamk_f32 v47, v19, 0x32a5705f, v47
	v_sub_f32_e32 v21, v21, v48
	s_delay_alu instid0(VALU_DEP_1) | instskip(SKIP_1) | instid1(VALU_DEP_2)
	v_add_f32_e32 v21, v21, v47
	v_cvt_i32_f32_e32 v47, v48
	v_exp_f32_e32 v21, v21
	s_waitcnt_depctr 0xfff
	v_ldexp_f32 v21, v21, v47
	s_delay_alu instid0(VALU_DEP_1) | instskip(SKIP_1) | instid1(VALU_DEP_1)
	v_cndmask_b32_e64 v21, 0, v21, s0
	v_cmp_nlt_f32_e64 s0, 0x42b17218, v19
	v_cndmask_b32_e64 v21, 0x7f800000, v21, s0
	s_delay_alu instid0(VALU_DEP_1)
	v_add_f32_e32 v39, v39, v21
.LBB766_275:
	s_or_b32 exec_lo, exec_lo, s42
.LBB766_276:
	s_delay_alu instid0(SALU_CYCLE_1)
	s_or_b32 exec_lo, exec_lo, s1
	s_and_saveexec_b32 s1, s47
	s_cbranch_execz .LBB766_280
; %bb.277:
	global_load_u8 v19, v[2:3], off offset:1344
	s_waitcnt vmcnt(0)
	v_dual_mov_b32 v20, 0 :: v_dual_and_b32 v19, 1, v19
	s_delay_alu instid0(VALU_DEP_1) | instskip(NEXT) | instid1(VALU_DEP_1)
	v_cmp_eq_u32_e64 s0, 1, v19
	s_xor_b32 s0, s0, -1
	s_delay_alu instid0(SALU_CYCLE_1)
	s_and_saveexec_b32 s42, s0
	s_cbranch_execz .LBB766_279
; %bb.278:
	v_sub_f32_e32 v18, v18, v46
	s_delay_alu instid0(VALU_DEP_1) | instskip(NEXT) | instid1(VALU_DEP_1)
	v_mul_f32_e32 v19, 0x3fb8aa3b, v18
	v_fma_f32 v20, 0x3fb8aa3b, v18, -v19
	v_rndne_f32_e32 v47, v19
	s_delay_alu instid0(VALU_DEP_1) | instskip(SKIP_1) | instid1(VALU_DEP_2)
	v_dual_sub_f32 v19, v19, v47 :: v_dual_fmamk_f32 v20, v18, 0x32a5705f, v20
	v_cmp_ngt_f32_e64 s0, 0xc2ce8ed0, v18
	v_add_f32_e32 v19, v19, v20
	v_cvt_i32_f32_e32 v20, v47
	s_delay_alu instid0(VALU_DEP_2) | instskip(SKIP_2) | instid1(VALU_DEP_1)
	v_exp_f32_e32 v19, v19
	s_waitcnt_depctr 0xfff
	v_ldexp_f32 v19, v19, v20
	v_cndmask_b32_e64 v19, 0, v19, s0
	v_cmp_nlt_f32_e64 s0, 0x42b17218, v18
	s_delay_alu instid0(VALU_DEP_1) | instskip(NEXT) | instid1(VALU_DEP_1)
	v_cndmask_b32_e64 v20, 0x7f800000, v19, s0
	v_add_f32_e32 v39, v39, v20
.LBB766_279:
	s_or_b32 exec_lo, exec_lo, s42
.LBB766_280:
	s_delay_alu instid0(SALU_CYCLE_1)
	s_or_b32 exec_lo, exec_lo, s1
	v_dual_mov_b32 v18, 0 :: v_dual_mov_b32 v19, 0
	s_and_saveexec_b32 s1, s46
	s_cbranch_execz .LBB766_284
; %bb.281:
	global_load_u8 v19, v[2:3], off offset:1408
	s_waitcnt vmcnt(0)
	v_and_b32_e32 v19, 1, v19
	s_delay_alu instid0(VALU_DEP_1) | instskip(SKIP_1) | instid1(VALU_DEP_2)
	v_cmp_eq_u32_e64 s0, 1, v19
	v_mov_b32_e32 v19, 0
	s_xor_b32 s0, s0, -1
	s_delay_alu instid0(SALU_CYCLE_1)
	s_and_saveexec_b32 s42, s0
	s_cbranch_execz .LBB766_283
; %bb.282:
	v_sub_f32_e32 v17, v17, v46
	s_delay_alu instid0(VALU_DEP_1) | instskip(SKIP_1) | instid1(VALU_DEP_2)
	v_mul_f32_e32 v19, 0x3fb8aa3b, v17
	v_cmp_ngt_f32_e64 s0, 0xc2ce8ed0, v17
	v_fma_f32 v47, 0x3fb8aa3b, v17, -v19
	v_rndne_f32_e32 v48, v19
	s_delay_alu instid0(VALU_DEP_2) | instskip(NEXT) | instid1(VALU_DEP_2)
	v_fmamk_f32 v47, v17, 0x32a5705f, v47
	v_sub_f32_e32 v19, v19, v48
	s_delay_alu instid0(VALU_DEP_1) | instskip(SKIP_1) | instid1(VALU_DEP_2)
	v_add_f32_e32 v19, v19, v47
	v_cvt_i32_f32_e32 v47, v48
	v_exp_f32_e32 v19, v19
	s_waitcnt_depctr 0xfff
	v_ldexp_f32 v19, v19, v47
	s_delay_alu instid0(VALU_DEP_1) | instskip(SKIP_1) | instid1(VALU_DEP_1)
	v_cndmask_b32_e64 v19, 0, v19, s0
	v_cmp_nlt_f32_e64 s0, 0x42b17218, v17
	v_cndmask_b32_e64 v19, 0x7f800000, v19, s0
	s_delay_alu instid0(VALU_DEP_1)
	v_add_f32_e32 v39, v39, v19
.LBB766_283:
	s_or_b32 exec_lo, exec_lo, s42
.LBB766_284:
	s_delay_alu instid0(SALU_CYCLE_1)
	s_or_b32 exec_lo, exec_lo, s1
	s_and_saveexec_b32 s1, s45
	s_cbranch_execz .LBB766_288
; %bb.285:
	global_load_u8 v17, v[2:3], off offset:1472
	s_waitcnt vmcnt(0)
	v_dual_mov_b32 v18, 0 :: v_dual_and_b32 v17, 1, v17
	s_delay_alu instid0(VALU_DEP_1) | instskip(NEXT) | instid1(VALU_DEP_1)
	v_cmp_eq_u32_e64 s0, 1, v17
	s_xor_b32 s0, s0, -1
	s_delay_alu instid0(SALU_CYCLE_1)
	s_and_saveexec_b32 s42, s0
	s_cbranch_execz .LBB766_287
; %bb.286:
	v_sub_f32_e32 v16, v16, v46
	s_delay_alu instid0(VALU_DEP_1) | instskip(NEXT) | instid1(VALU_DEP_1)
	v_mul_f32_e32 v17, 0x3fb8aa3b, v16
	v_fma_f32 v18, 0x3fb8aa3b, v16, -v17
	v_rndne_f32_e32 v47, v17
	s_delay_alu instid0(VALU_DEP_1) | instskip(SKIP_1) | instid1(VALU_DEP_2)
	v_dual_sub_f32 v17, v17, v47 :: v_dual_fmamk_f32 v18, v16, 0x32a5705f, v18
	v_cmp_ngt_f32_e64 s0, 0xc2ce8ed0, v16
	v_add_f32_e32 v17, v17, v18
	v_cvt_i32_f32_e32 v18, v47
	s_delay_alu instid0(VALU_DEP_2) | instskip(SKIP_2) | instid1(VALU_DEP_1)
	v_exp_f32_e32 v17, v17
	s_waitcnt_depctr 0xfff
	v_ldexp_f32 v17, v17, v18
	v_cndmask_b32_e64 v17, 0, v17, s0
	v_cmp_nlt_f32_e64 s0, 0x42b17218, v16
	s_delay_alu instid0(VALU_DEP_1) | instskip(NEXT) | instid1(VALU_DEP_1)
	v_cndmask_b32_e64 v18, 0x7f800000, v17, s0
	v_add_f32_e32 v39, v39, v18
.LBB766_287:
	s_or_b32 exec_lo, exec_lo, s42
.LBB766_288:
	s_delay_alu instid0(SALU_CYCLE_1)
	s_or_b32 exec_lo, exec_lo, s1
	v_dual_mov_b32 v16, 0 :: v_dual_mov_b32 v17, 0
	s_and_saveexec_b32 s1, s44
	s_cbranch_execz .LBB766_292
; %bb.289:
	global_load_u8 v17, v[2:3], off offset:1536
	s_waitcnt vmcnt(0)
	v_and_b32_e32 v17, 1, v17
	s_delay_alu instid0(VALU_DEP_1) | instskip(SKIP_1) | instid1(VALU_DEP_2)
	v_cmp_eq_u32_e64 s0, 1, v17
	v_mov_b32_e32 v17, 0
	s_xor_b32 s0, s0, -1
	s_delay_alu instid0(SALU_CYCLE_1)
	s_and_saveexec_b32 s42, s0
	s_cbranch_execz .LBB766_291
; %bb.290:
	v_sub_f32_e32 v15, v15, v46
	s_delay_alu instid0(VALU_DEP_1) | instskip(SKIP_1) | instid1(VALU_DEP_2)
	v_mul_f32_e32 v17, 0x3fb8aa3b, v15
	v_cmp_ngt_f32_e64 s0, 0xc2ce8ed0, v15
	v_fma_f32 v47, 0x3fb8aa3b, v15, -v17
	v_rndne_f32_e32 v48, v17
	s_delay_alu instid0(VALU_DEP_2) | instskip(NEXT) | instid1(VALU_DEP_2)
	v_fmamk_f32 v47, v15, 0x32a5705f, v47
	v_sub_f32_e32 v17, v17, v48
	s_delay_alu instid0(VALU_DEP_1) | instskip(SKIP_1) | instid1(VALU_DEP_2)
	v_add_f32_e32 v17, v17, v47
	v_cvt_i32_f32_e32 v47, v48
	v_exp_f32_e32 v17, v17
	s_waitcnt_depctr 0xfff
	v_ldexp_f32 v17, v17, v47
	s_delay_alu instid0(VALU_DEP_1) | instskip(SKIP_1) | instid1(VALU_DEP_1)
	v_cndmask_b32_e64 v17, 0, v17, s0
	v_cmp_nlt_f32_e64 s0, 0x42b17218, v15
	v_cndmask_b32_e64 v17, 0x7f800000, v17, s0
	s_delay_alu instid0(VALU_DEP_1)
	v_add_f32_e32 v39, v39, v17
.LBB766_291:
	s_or_b32 exec_lo, exec_lo, s42
.LBB766_292:
	s_delay_alu instid0(SALU_CYCLE_1)
	s_or_b32 exec_lo, exec_lo, s1
	s_and_saveexec_b32 s1, s43
	s_cbranch_execz .LBB766_296
; %bb.293:
	global_load_u8 v15, v[2:3], off offset:1600
	s_waitcnt vmcnt(0)
	v_dual_mov_b32 v16, 0 :: v_dual_and_b32 v15, 1, v15
	s_delay_alu instid0(VALU_DEP_1) | instskip(NEXT) | instid1(VALU_DEP_1)
	v_cmp_eq_u32_e64 s0, 1, v15
	s_xor_b32 s0, s0, -1
	s_delay_alu instid0(SALU_CYCLE_1)
	s_and_saveexec_b32 s42, s0
	s_cbranch_execz .LBB766_295
; %bb.294:
	v_sub_f32_e32 v14, v14, v46
	s_delay_alu instid0(VALU_DEP_1) | instskip(NEXT) | instid1(VALU_DEP_1)
	v_mul_f32_e32 v15, 0x3fb8aa3b, v14
	v_fma_f32 v16, 0x3fb8aa3b, v14, -v15
	v_rndne_f32_e32 v47, v15
	s_delay_alu instid0(VALU_DEP_1) | instskip(SKIP_1) | instid1(VALU_DEP_2)
	v_dual_sub_f32 v15, v15, v47 :: v_dual_fmamk_f32 v16, v14, 0x32a5705f, v16
	v_cmp_ngt_f32_e64 s0, 0xc2ce8ed0, v14
	v_add_f32_e32 v15, v15, v16
	v_cvt_i32_f32_e32 v16, v47
	s_delay_alu instid0(VALU_DEP_2) | instskip(SKIP_2) | instid1(VALU_DEP_1)
	v_exp_f32_e32 v15, v15
	s_waitcnt_depctr 0xfff
	v_ldexp_f32 v15, v15, v16
	v_cndmask_b32_e64 v15, 0, v15, s0
	v_cmp_nlt_f32_e64 s0, 0x42b17218, v14
	s_delay_alu instid0(VALU_DEP_1) | instskip(NEXT) | instid1(VALU_DEP_1)
	v_cndmask_b32_e64 v16, 0x7f800000, v15, s0
	v_add_f32_e32 v39, v39, v16
.LBB766_295:
	s_or_b32 exec_lo, exec_lo, s42
.LBB766_296:
	s_delay_alu instid0(SALU_CYCLE_1)
	s_or_b32 exec_lo, exec_lo, s1
	v_dual_mov_b32 v14, 0 :: v_dual_mov_b32 v15, 0
	s_and_saveexec_b32 s1, s41
	s_cbranch_execz .LBB766_300
; %bb.297:
	global_load_u8 v15, v[2:3], off offset:1664
	s_waitcnt vmcnt(0)
	v_and_b32_e32 v15, 1, v15
	s_delay_alu instid0(VALU_DEP_1) | instskip(SKIP_1) | instid1(VALU_DEP_2)
	v_cmp_eq_u32_e64 s0, 1, v15
	v_mov_b32_e32 v15, 0
	s_xor_b32 s0, s0, -1
	s_delay_alu instid0(SALU_CYCLE_1)
	s_and_saveexec_b32 s41, s0
	s_cbranch_execz .LBB766_299
; %bb.298:
	v_sub_f32_e32 v13, v13, v46
	s_delay_alu instid0(VALU_DEP_1) | instskip(SKIP_1) | instid1(VALU_DEP_2)
	v_mul_f32_e32 v15, 0x3fb8aa3b, v13
	v_cmp_ngt_f32_e64 s0, 0xc2ce8ed0, v13
	v_fma_f32 v47, 0x3fb8aa3b, v13, -v15
	v_rndne_f32_e32 v48, v15
	s_delay_alu instid0(VALU_DEP_2) | instskip(NEXT) | instid1(VALU_DEP_2)
	v_fmamk_f32 v47, v13, 0x32a5705f, v47
	v_sub_f32_e32 v15, v15, v48
	s_delay_alu instid0(VALU_DEP_1) | instskip(SKIP_1) | instid1(VALU_DEP_2)
	v_add_f32_e32 v15, v15, v47
	v_cvt_i32_f32_e32 v47, v48
	v_exp_f32_e32 v15, v15
	s_waitcnt_depctr 0xfff
	v_ldexp_f32 v15, v15, v47
	s_delay_alu instid0(VALU_DEP_1) | instskip(SKIP_1) | instid1(VALU_DEP_1)
	v_cndmask_b32_e64 v15, 0, v15, s0
	v_cmp_nlt_f32_e64 s0, 0x42b17218, v13
	v_cndmask_b32_e64 v15, 0x7f800000, v15, s0
	s_delay_alu instid0(VALU_DEP_1)
	v_add_f32_e32 v39, v39, v15
.LBB766_299:
	s_or_b32 exec_lo, exec_lo, s41
.LBB766_300:
	s_delay_alu instid0(SALU_CYCLE_1)
	s_or_b32 exec_lo, exec_lo, s1
	s_and_saveexec_b32 s1, s40
	s_cbranch_execz .LBB766_304
; %bb.301:
	global_load_u8 v13, v[2:3], off offset:1728
	s_waitcnt vmcnt(0)
	v_dual_mov_b32 v14, 0 :: v_dual_and_b32 v13, 1, v13
	s_delay_alu instid0(VALU_DEP_1) | instskip(NEXT) | instid1(VALU_DEP_1)
	v_cmp_eq_u32_e64 s0, 1, v13
	s_xor_b32 s0, s0, -1
	s_delay_alu instid0(SALU_CYCLE_1)
	s_and_saveexec_b32 s40, s0
	s_cbranch_execz .LBB766_303
; %bb.302:
	v_sub_f32_e32 v12, v12, v46
	s_delay_alu instid0(VALU_DEP_1) | instskip(NEXT) | instid1(VALU_DEP_1)
	v_mul_f32_e32 v13, 0x3fb8aa3b, v12
	v_fma_f32 v14, 0x3fb8aa3b, v12, -v13
	v_rndne_f32_e32 v47, v13
	s_delay_alu instid0(VALU_DEP_1) | instskip(SKIP_1) | instid1(VALU_DEP_2)
	v_dual_sub_f32 v13, v13, v47 :: v_dual_fmamk_f32 v14, v12, 0x32a5705f, v14
	v_cmp_ngt_f32_e64 s0, 0xc2ce8ed0, v12
	v_add_f32_e32 v13, v13, v14
	v_cvt_i32_f32_e32 v14, v47
	s_delay_alu instid0(VALU_DEP_2) | instskip(SKIP_2) | instid1(VALU_DEP_1)
	v_exp_f32_e32 v13, v13
	s_waitcnt_depctr 0xfff
	v_ldexp_f32 v13, v13, v14
	v_cndmask_b32_e64 v13, 0, v13, s0
	v_cmp_nlt_f32_e64 s0, 0x42b17218, v12
	s_delay_alu instid0(VALU_DEP_1) | instskip(NEXT) | instid1(VALU_DEP_1)
	v_cndmask_b32_e64 v14, 0x7f800000, v13, s0
	v_add_f32_e32 v39, v39, v14
.LBB766_303:
	s_or_b32 exec_lo, exec_lo, s40
.LBB766_304:
	s_delay_alu instid0(SALU_CYCLE_1)
	s_or_b32 exec_lo, exec_lo, s1
	v_dual_mov_b32 v12, 0 :: v_dual_mov_b32 v13, 0
	s_and_saveexec_b32 s1, s39
	s_cbranch_execz .LBB766_308
; %bb.305:
	global_load_u8 v13, v[2:3], off offset:1792
	s_waitcnt vmcnt(0)
	v_and_b32_e32 v13, 1, v13
	s_delay_alu instid0(VALU_DEP_1) | instskip(SKIP_1) | instid1(VALU_DEP_2)
	v_cmp_eq_u32_e64 s0, 1, v13
	v_mov_b32_e32 v13, 0
	s_xor_b32 s0, s0, -1
	s_delay_alu instid0(SALU_CYCLE_1)
	s_and_saveexec_b32 s39, s0
	s_cbranch_execz .LBB766_307
; %bb.306:
	v_sub_f32_e32 v11, v11, v46
	s_delay_alu instid0(VALU_DEP_1) | instskip(SKIP_1) | instid1(VALU_DEP_2)
	v_mul_f32_e32 v13, 0x3fb8aa3b, v11
	v_cmp_ngt_f32_e64 s0, 0xc2ce8ed0, v11
	v_fma_f32 v47, 0x3fb8aa3b, v11, -v13
	v_rndne_f32_e32 v48, v13
	s_delay_alu instid0(VALU_DEP_2) | instskip(NEXT) | instid1(VALU_DEP_2)
	v_fmamk_f32 v47, v11, 0x32a5705f, v47
	v_sub_f32_e32 v13, v13, v48
	s_delay_alu instid0(VALU_DEP_1) | instskip(SKIP_1) | instid1(VALU_DEP_2)
	v_add_f32_e32 v13, v13, v47
	v_cvt_i32_f32_e32 v47, v48
	v_exp_f32_e32 v13, v13
	s_waitcnt_depctr 0xfff
	v_ldexp_f32 v13, v13, v47
	s_delay_alu instid0(VALU_DEP_1) | instskip(SKIP_1) | instid1(VALU_DEP_1)
	v_cndmask_b32_e64 v13, 0, v13, s0
	v_cmp_nlt_f32_e64 s0, 0x42b17218, v11
	v_cndmask_b32_e64 v13, 0x7f800000, v13, s0
	s_delay_alu instid0(VALU_DEP_1)
	v_add_f32_e32 v39, v39, v13
.LBB766_307:
	s_or_b32 exec_lo, exec_lo, s39
.LBB766_308:
	s_delay_alu instid0(SALU_CYCLE_1)
	s_or_b32 exec_lo, exec_lo, s1
	s_and_saveexec_b32 s1, s38
	s_cbranch_execz .LBB766_312
; %bb.309:
	global_load_u8 v11, v[2:3], off offset:1856
	s_waitcnt vmcnt(0)
	v_dual_mov_b32 v12, 0 :: v_dual_and_b32 v11, 1, v11
	s_delay_alu instid0(VALU_DEP_1) | instskip(NEXT) | instid1(VALU_DEP_1)
	v_cmp_eq_u32_e64 s0, 1, v11
	s_xor_b32 s0, s0, -1
	s_delay_alu instid0(SALU_CYCLE_1)
	s_and_saveexec_b32 s38, s0
	s_cbranch_execz .LBB766_311
; %bb.310:
	v_sub_f32_e32 v10, v10, v46
	s_delay_alu instid0(VALU_DEP_1) | instskip(NEXT) | instid1(VALU_DEP_1)
	v_mul_f32_e32 v11, 0x3fb8aa3b, v10
	v_fma_f32 v12, 0x3fb8aa3b, v10, -v11
	v_rndne_f32_e32 v47, v11
	s_delay_alu instid0(VALU_DEP_1) | instskip(SKIP_1) | instid1(VALU_DEP_2)
	v_dual_sub_f32 v11, v11, v47 :: v_dual_fmamk_f32 v12, v10, 0x32a5705f, v12
	v_cmp_ngt_f32_e64 s0, 0xc2ce8ed0, v10
	v_add_f32_e32 v11, v11, v12
	v_cvt_i32_f32_e32 v12, v47
	s_delay_alu instid0(VALU_DEP_2) | instskip(SKIP_2) | instid1(VALU_DEP_1)
	v_exp_f32_e32 v11, v11
	s_waitcnt_depctr 0xfff
	v_ldexp_f32 v11, v11, v12
	v_cndmask_b32_e64 v11, 0, v11, s0
	v_cmp_nlt_f32_e64 s0, 0x42b17218, v10
	s_delay_alu instid0(VALU_DEP_1) | instskip(NEXT) | instid1(VALU_DEP_1)
	v_cndmask_b32_e64 v12, 0x7f800000, v11, s0
	v_add_f32_e32 v39, v39, v12
.LBB766_311:
	s_or_b32 exec_lo, exec_lo, s38
.LBB766_312:
	s_delay_alu instid0(SALU_CYCLE_1)
	s_or_b32 exec_lo, exec_lo, s1
	v_dual_mov_b32 v10, 0 :: v_dual_mov_b32 v11, 0
	s_and_saveexec_b32 s1, s35
	s_cbranch_execz .LBB766_316
; %bb.313:
	global_load_u8 v11, v[2:3], off offset:1920
	s_waitcnt vmcnt(0)
	v_and_b32_e32 v11, 1, v11
	s_delay_alu instid0(VALU_DEP_1) | instskip(SKIP_1) | instid1(VALU_DEP_2)
	v_cmp_eq_u32_e64 s0, 1, v11
	v_mov_b32_e32 v11, 0
	s_xor_b32 s0, s0, -1
	s_delay_alu instid0(SALU_CYCLE_1)
	s_and_saveexec_b32 s35, s0
	s_cbranch_execz .LBB766_315
; %bb.314:
	v_sub_f32_e32 v9, v9, v46
	s_delay_alu instid0(VALU_DEP_1) | instskip(SKIP_1) | instid1(VALU_DEP_2)
	v_mul_f32_e32 v11, 0x3fb8aa3b, v9
	v_cmp_ngt_f32_e64 s0, 0xc2ce8ed0, v9
	v_fma_f32 v47, 0x3fb8aa3b, v9, -v11
	v_rndne_f32_e32 v48, v11
	s_delay_alu instid0(VALU_DEP_2) | instskip(NEXT) | instid1(VALU_DEP_2)
	v_fmamk_f32 v47, v9, 0x32a5705f, v47
	v_sub_f32_e32 v11, v11, v48
	s_delay_alu instid0(VALU_DEP_1) | instskip(SKIP_1) | instid1(VALU_DEP_2)
	v_add_f32_e32 v11, v11, v47
	v_cvt_i32_f32_e32 v47, v48
	v_exp_f32_e32 v11, v11
	s_waitcnt_depctr 0xfff
	v_ldexp_f32 v11, v11, v47
	s_delay_alu instid0(VALU_DEP_1) | instskip(SKIP_1) | instid1(VALU_DEP_1)
	v_cndmask_b32_e64 v11, 0, v11, s0
	v_cmp_nlt_f32_e64 s0, 0x42b17218, v9
	v_cndmask_b32_e64 v11, 0x7f800000, v11, s0
	s_delay_alu instid0(VALU_DEP_1)
	v_add_f32_e32 v39, v39, v11
.LBB766_315:
	s_or_b32 exec_lo, exec_lo, s35
.LBB766_316:
	s_delay_alu instid0(SALU_CYCLE_1)
	s_or_b32 exec_lo, exec_lo, s1
	s_and_saveexec_b32 s1, s34
	s_cbranch_execz .LBB766_320
; %bb.317:
	global_load_u8 v2, v[2:3], off offset:1984
	v_mov_b32_e32 v10, 0
	s_waitcnt vmcnt(0)
	v_and_b32_e32 v2, 1, v2
	s_delay_alu instid0(VALU_DEP_1) | instskip(NEXT) | instid1(VALU_DEP_1)
	v_cmp_eq_u32_e64 s0, 1, v2
	s_xor_b32 s0, s0, -1
	s_delay_alu instid0(SALU_CYCLE_1)
	s_and_saveexec_b32 s34, s0
	s_cbranch_execz .LBB766_319
; %bb.318:
	v_sub_f32_e32 v2, v8, v46
	s_delay_alu instid0(VALU_DEP_1) | instskip(NEXT) | instid1(VALU_DEP_1)
	v_mul_f32_e32 v3, 0x3fb8aa3b, v2
	v_fma_f32 v8, 0x3fb8aa3b, v2, -v3
	v_rndne_f32_e32 v9, v3
	s_delay_alu instid0(VALU_DEP_1) | instskip(SKIP_1) | instid1(VALU_DEP_2)
	v_dual_sub_f32 v3, v3, v9 :: v_dual_fmamk_f32 v8, v2, 0x32a5705f, v8
	v_cmp_ngt_f32_e64 s0, 0xc2ce8ed0, v2
	v_add_f32_e32 v3, v3, v8
	v_cvt_i32_f32_e32 v8, v9
	s_delay_alu instid0(VALU_DEP_2) | instskip(SKIP_2) | instid1(VALU_DEP_1)
	v_exp_f32_e32 v3, v3
	s_waitcnt_depctr 0xfff
	v_ldexp_f32 v3, v3, v8
	v_cndmask_b32_e64 v3, 0, v3, s0
	v_cmp_nlt_f32_e64 s0, 0x42b17218, v2
	s_delay_alu instid0(VALU_DEP_1) | instskip(NEXT) | instid1(VALU_DEP_1)
	v_cndmask_b32_e64 v10, 0x7f800000, v3, s0
	v_add_f32_e32 v39, v39, v10
.LBB766_319:
	s_or_b32 exec_lo, exec_lo, s34
.LBB766_320:
	s_delay_alu instid0(SALU_CYCLE_1)
	s_or_b32 exec_lo, exec_lo, s1
	ds_bpermute_b32 v2, v6, v39
	s_mov_b32 s1, exec_lo
	s_waitcnt lgkmcnt(0)
	v_add_f32_e32 v2, v39, v2
	ds_bpermute_b32 v3, v40, v2
	s_waitcnt lgkmcnt(0)
	v_add_f32_e32 v2, v2, v3
	ds_bpermute_b32 v3, v41, v2
	;; [unrolled: 3-line block ×5, first 2 shown]
	v_cmpx_lt_i32_e32 0, v7
	s_cbranch_execz .LBB766_418
; %bb.321:
	s_and_b32 exec_lo, exec_lo, vcc_lo
	s_cbranch_execz .LBB766_418
; %bb.322:
	s_waitcnt lgkmcnt(0)
	v_dual_add_f32 v2, v2, v3 :: v_dual_mov_b32 v3, 0x7fc0
	s_delay_alu instid0(VALU_DEP_1) | instskip(NEXT) | instid1(VALU_DEP_1)
	v_cmp_neq_f32_e64 s0, 0, v2
	s_and_saveexec_b32 s1, s0
	s_cbranch_execz .LBB766_324
; %bb.323:
	v_div_scale_f32 v3, null, v2, v2, v43
	s_delay_alu instid0(VALU_DEP_1) | instskip(SKIP_2) | instid1(VALU_DEP_1)
	v_rcp_f32_e32 v6, v3
	s_waitcnt_depctr 0xfff
	v_fma_f32 v7, -v3, v6, 1.0
	v_fmac_f32_e32 v6, v7, v6
	v_div_scale_f32 v7, vcc_lo, v43, v2, v43
	s_delay_alu instid0(VALU_DEP_1) | instskip(NEXT) | instid1(VALU_DEP_1)
	v_mul_f32_e32 v8, v7, v6
	v_fma_f32 v9, -v3, v8, v7
	s_delay_alu instid0(VALU_DEP_1) | instskip(NEXT) | instid1(VALU_DEP_1)
	v_fmac_f32_e32 v8, v9, v6
	v_fma_f32 v3, -v3, v8, v7
	s_delay_alu instid0(VALU_DEP_1) | instskip(NEXT) | instid1(VALU_DEP_1)
	v_div_fmas_f32 v3, v3, v6, v8
	v_div_fixup_f32 v3, v3, v2, v43
	s_delay_alu instid0(VALU_DEP_1) | instskip(SKIP_1) | instid1(VALU_DEP_2)
	v_bfe_u32 v6, v3, 16, 1
	v_cmp_o_f32_e32 vcc_lo, v3, v3
	v_add3_u32 v6, v3, v6, 0x7fff
	s_delay_alu instid0(VALU_DEP_1) | instskip(NEXT) | instid1(VALU_DEP_1)
	v_lshrrev_b32_e32 v6, 16, v6
	v_cndmask_b32_e32 v3, 0x7fc0, v6, vcc_lo
.LBB766_324:
	s_or_b32 exec_lo, exec_lo, s1
	v_add_co_u32 v0, vcc_lo, s36, v0
	v_add_co_ci_u32_e32 v1, vcc_lo, s37, v1, vcc_lo
	global_store_b16 v[0:1], v3, off
	s_and_b32 exec_lo, exec_lo, s33
	s_cbranch_execz .LBB766_418
; %bb.325:
	v_mov_b32_e32 v3, 0x7fc0
	s_and_saveexec_b32 s1, s0
	s_cbranch_execz .LBB766_327
; %bb.326:
	v_div_scale_f32 v3, null, v2, v2, v4
	s_delay_alu instid0(VALU_DEP_1) | instskip(SKIP_2) | instid1(VALU_DEP_1)
	v_rcp_f32_e32 v6, v3
	s_waitcnt_depctr 0xfff
	v_fma_f32 v7, -v3, v6, 1.0
	v_fmac_f32_e32 v6, v7, v6
	v_div_scale_f32 v7, vcc_lo, v4, v2, v4
	s_delay_alu instid0(VALU_DEP_1) | instskip(NEXT) | instid1(VALU_DEP_1)
	v_mul_f32_e32 v8, v7, v6
	v_fma_f32 v9, -v3, v8, v7
	s_delay_alu instid0(VALU_DEP_1) | instskip(NEXT) | instid1(VALU_DEP_1)
	v_fmac_f32_e32 v8, v9, v6
	v_fma_f32 v3, -v3, v8, v7
	s_delay_alu instid0(VALU_DEP_1) | instskip(NEXT) | instid1(VALU_DEP_1)
	v_div_fmas_f32 v3, v3, v6, v8
	v_div_fixup_f32 v3, v3, v2, v4
	s_delay_alu instid0(VALU_DEP_1) | instskip(SKIP_1) | instid1(VALU_DEP_2)
	v_bfe_u32 v4, v3, 16, 1
	v_cmp_o_f32_e32 vcc_lo, v3, v3
	v_add3_u32 v4, v3, v4, 0x7fff
	s_delay_alu instid0(VALU_DEP_1) | instskip(NEXT) | instid1(VALU_DEP_1)
	v_lshrrev_b32_e32 v4, 16, v4
	v_cndmask_b32_e32 v3, 0x7fc0, v4, vcc_lo
.LBB766_327:
	s_or_b32 exec_lo, exec_lo, s1
	global_store_b16 v[0:1], v3, off offset:128
	s_and_b32 exec_lo, exec_lo, s31
	s_cbranch_execz .LBB766_418
; %bb.328:
	v_mov_b32_e32 v3, 0x7fc0
	s_and_saveexec_b32 s1, s0
	s_cbranch_execz .LBB766_330
; %bb.329:
	v_div_scale_f32 v3, null, v2, v2, v38
	s_delay_alu instid0(VALU_DEP_1) | instskip(SKIP_2) | instid1(VALU_DEP_1)
	v_rcp_f32_e32 v4, v3
	s_waitcnt_depctr 0xfff
	v_fma_f32 v6, -v3, v4, 1.0
	v_fmac_f32_e32 v4, v6, v4
	v_div_scale_f32 v6, vcc_lo, v38, v2, v38
	s_delay_alu instid0(VALU_DEP_1) | instskip(NEXT) | instid1(VALU_DEP_1)
	v_mul_f32_e32 v7, v6, v4
	v_fma_f32 v8, -v3, v7, v6
	s_delay_alu instid0(VALU_DEP_1) | instskip(NEXT) | instid1(VALU_DEP_1)
	v_fmac_f32_e32 v7, v8, v4
	v_fma_f32 v3, -v3, v7, v6
	s_delay_alu instid0(VALU_DEP_1) | instskip(NEXT) | instid1(VALU_DEP_1)
	v_div_fmas_f32 v3, v3, v4, v7
	v_div_fixup_f32 v3, v3, v2, v38
	s_delay_alu instid0(VALU_DEP_1) | instskip(SKIP_1) | instid1(VALU_DEP_2)
	v_bfe_u32 v4, v3, 16, 1
	v_cmp_o_f32_e32 vcc_lo, v3, v3
	v_add3_u32 v4, v3, v4, 0x7fff
	s_delay_alu instid0(VALU_DEP_1) | instskip(NEXT) | instid1(VALU_DEP_1)
	v_lshrrev_b32_e32 v4, 16, v4
	v_cndmask_b32_e32 v3, 0x7fc0, v4, vcc_lo
.LBB766_330:
	s_or_b32 exec_lo, exec_lo, s1
	global_store_b16 v[0:1], v3, off offset:256
	;; [unrolled: 33-line block ×31, first 2 shown]
.LBB766_418:
	s_nop 0
	s_sendmsg sendmsg(MSG_DEALLOC_VGPRS)
	s_endpgm
	.section	.rodata,"a",@progbits
	.p2align	6, 0x0
	.amdhsa_kernel _ZN12_GLOBAL__N_120softmax_warp_forwardIN3c108BFloat16ES2_fLi11ELb0ELb1ELi64EEEvPT0_PKT_iiiPKbib
		.amdhsa_group_segment_fixed_size 0
		.amdhsa_private_segment_fixed_size 0
		.amdhsa_kernarg_size 304
		.amdhsa_user_sgpr_count 15
		.amdhsa_user_sgpr_dispatch_ptr 0
		.amdhsa_user_sgpr_queue_ptr 0
		.amdhsa_user_sgpr_kernarg_segment_ptr 1
		.amdhsa_user_sgpr_dispatch_id 0
		.amdhsa_user_sgpr_private_segment_size 0
		.amdhsa_wavefront_size32 1
		.amdhsa_uses_dynamic_stack 0
		.amdhsa_enable_private_segment 0
		.amdhsa_system_sgpr_workgroup_id_x 1
		.amdhsa_system_sgpr_workgroup_id_y 0
		.amdhsa_system_sgpr_workgroup_id_z 0
		.amdhsa_system_sgpr_workgroup_info 0
		.amdhsa_system_vgpr_workitem_id 1
		.amdhsa_next_free_vgpr 49
		.amdhsa_next_free_sgpr 71
		.amdhsa_reserve_vcc 1
		.amdhsa_float_round_mode_32 0
		.amdhsa_float_round_mode_16_64 0
		.amdhsa_float_denorm_mode_32 3
		.amdhsa_float_denorm_mode_16_64 3
		.amdhsa_dx10_clamp 1
		.amdhsa_ieee_mode 1
		.amdhsa_fp16_overflow 0
		.amdhsa_workgroup_processor_mode 1
		.amdhsa_memory_ordered 1
		.amdhsa_forward_progress 0
		.amdhsa_shared_vgpr_count 0
		.amdhsa_exception_fp_ieee_invalid_op 0
		.amdhsa_exception_fp_denorm_src 0
		.amdhsa_exception_fp_ieee_div_zero 0
		.amdhsa_exception_fp_ieee_overflow 0
		.amdhsa_exception_fp_ieee_underflow 0
		.amdhsa_exception_fp_ieee_inexact 0
		.amdhsa_exception_int_div_zero 0
	.end_amdhsa_kernel
	.section	.text._ZN12_GLOBAL__N_120softmax_warp_forwardIN3c108BFloat16ES2_fLi11ELb0ELb1ELi64EEEvPT0_PKT_iiiPKbib,"axG",@progbits,_ZN12_GLOBAL__N_120softmax_warp_forwardIN3c108BFloat16ES2_fLi11ELb0ELb1ELi64EEEvPT0_PKT_iiiPKbib,comdat
.Lfunc_end766:
	.size	_ZN12_GLOBAL__N_120softmax_warp_forwardIN3c108BFloat16ES2_fLi11ELb0ELb1ELi64EEEvPT0_PKT_iiiPKbib, .Lfunc_end766-_ZN12_GLOBAL__N_120softmax_warp_forwardIN3c108BFloat16ES2_fLi11ELb0ELb1ELi64EEEvPT0_PKT_iiiPKbib
                                        ; -- End function
	.section	.AMDGPU.csdata,"",@progbits
; Kernel info:
; codeLenInByte = 18360
; NumSgprs: 73
; NumVgprs: 49
; ScratchSize: 0
; MemoryBound: 0
; FloatMode: 240
; IeeeMode: 1
; LDSByteSize: 0 bytes/workgroup (compile time only)
; SGPRBlocks: 9
; VGPRBlocks: 6
; NumSGPRsForWavesPerEU: 73
; NumVGPRsForWavesPerEU: 49
; Occupancy: 16
; WaveLimiterHint : 0
; COMPUTE_PGM_RSRC2:SCRATCH_EN: 0
; COMPUTE_PGM_RSRC2:USER_SGPR: 15
; COMPUTE_PGM_RSRC2:TRAP_HANDLER: 0
; COMPUTE_PGM_RSRC2:TGID_X_EN: 1
; COMPUTE_PGM_RSRC2:TGID_Y_EN: 0
; COMPUTE_PGM_RSRC2:TGID_Z_EN: 0
; COMPUTE_PGM_RSRC2:TIDIG_COMP_CNT: 1
	.section	.text._ZN12_GLOBAL__N_120softmax_warp_forwardIN3c108BFloat16ES2_fLi11ELb0ELb1ELi32EEEvPT0_PKT_iiiPKbib,"axG",@progbits,_ZN12_GLOBAL__N_120softmax_warp_forwardIN3c108BFloat16ES2_fLi11ELb0ELb1ELi32EEEvPT0_PKT_iiiPKbib,comdat
	.globl	_ZN12_GLOBAL__N_120softmax_warp_forwardIN3c108BFloat16ES2_fLi11ELb0ELb1ELi32EEEvPT0_PKT_iiiPKbib ; -- Begin function _ZN12_GLOBAL__N_120softmax_warp_forwardIN3c108BFloat16ES2_fLi11ELb0ELb1ELi32EEEvPT0_PKT_iiiPKbib
	.p2align	8
	.type	_ZN12_GLOBAL__N_120softmax_warp_forwardIN3c108BFloat16ES2_fLi11ELb0ELb1ELi32EEEvPT0_PKT_iiiPKbib,@function
_ZN12_GLOBAL__N_120softmax_warp_forwardIN3c108BFloat16ES2_fLi11ELb0ELb1ELi32EEEvPT0_PKT_iiiPKbib: ; @_ZN12_GLOBAL__N_120softmax_warp_forwardIN3c108BFloat16ES2_fLi11ELb0ELb1ELi32EEEvPT0_PKT_iiiPKbib
; %bb.0:
	s_clause 0x1
	s_load_b32 s2, s[0:1], 0x3c
	s_load_b128 s[72:75], s[0:1], 0x10
	v_bfe_u32 v3, v0, 10, 10
	s_waitcnt lgkmcnt(0)
	s_lshr_b32 s2, s2, 16
	s_delay_alu instid0(VALU_DEP_1) | instid1(SALU_CYCLE_1)
	v_mad_u64_u32 v[1:2], null, s15, s2, v[3:4]
	s_load_b64 s[2:3], s[0:1], 0x28
	v_and_b32_e32 v2, 0x3ff, v0
	s_delay_alu instid0(VALU_DEP_2) | instskip(NEXT) | instid1(VALU_DEP_1)
	v_mul_lo_u32 v7, v1, s73
	v_add_nc_u32_e32 v5, v7, v2
	s_delay_alu instid0(VALU_DEP_1) | instskip(SKIP_3) | instid1(VALU_DEP_2)
	v_ashrrev_i32_e32 v6, 31, v5
	v_mov_b32_e32 v3, v5
	s_waitcnt lgkmcnt(0)
	s_bitcmp0_b32 s3, 0
	v_mov_b32_e32 v4, v6
	s_cbranch_scc1 .LBB767_2
; %bb.1:
	s_abs_i32 s3, s2
	v_sub_nc_u32_e32 v4, 0, v7
	v_cvt_f32_u32_e32 v0, s3
	s_sub_i32 s4, 0, s3
	s_delay_alu instid0(VALU_DEP_2) | instskip(NEXT) | instid1(VALU_DEP_2)
	v_max_i32_e32 v4, v7, v4
	v_rcp_iflag_f32_e32 v0, v0
	s_waitcnt_depctr 0xfff
	v_mul_f32_e32 v0, 0x4f7ffffe, v0
	s_delay_alu instid0(VALU_DEP_1) | instskip(NEXT) | instid1(VALU_DEP_1)
	v_cvt_u32_f32_e32 v0, v0
	v_mul_lo_u32 v3, s4, v0
	s_delay_alu instid0(VALU_DEP_1) | instskip(NEXT) | instid1(VALU_DEP_1)
	v_mul_hi_u32 v3, v0, v3
	v_add_nc_u32_e32 v0, v0, v3
	s_delay_alu instid0(VALU_DEP_1) | instskip(NEXT) | instid1(VALU_DEP_1)
	v_mul_hi_u32 v0, v4, v0
	v_mul_lo_u32 v3, v0, s3
	s_delay_alu instid0(VALU_DEP_1) | instskip(SKIP_1) | instid1(VALU_DEP_2)
	v_sub_nc_u32_e32 v3, v4, v3
	v_add_nc_u32_e32 v4, 1, v0
	v_subrev_nc_u32_e32 v8, s3, v3
	v_cmp_le_u32_e32 vcc_lo, s3, v3
	s_delay_alu instid0(VALU_DEP_2) | instskip(NEXT) | instid1(VALU_DEP_4)
	v_cndmask_b32_e32 v3, v3, v8, vcc_lo
	v_cndmask_b32_e32 v0, v0, v4, vcc_lo
	v_xor_b32_e32 v4, s2, v7
	s_delay_alu instid0(VALU_DEP_3) | instskip(NEXT) | instid1(VALU_DEP_3)
	v_cmp_le_u32_e32 vcc_lo, s3, v3
	v_add_nc_u32_e32 v7, 1, v0
	s_delay_alu instid0(VALU_DEP_3) | instskip(NEXT) | instid1(VALU_DEP_2)
	v_ashrrev_i32_e32 v4, 31, v4
	v_cndmask_b32_e32 v0, v0, v7, vcc_lo
	s_delay_alu instid0(VALU_DEP_1) | instskip(NEXT) | instid1(VALU_DEP_1)
	v_xor_b32_e32 v0, v0, v4
	v_sub_nc_u32_e32 v0, v0, v4
	s_delay_alu instid0(VALU_DEP_1) | instskip(NEXT) | instid1(VALU_DEP_1)
	v_mad_u64_u32 v[3:4], null, v0, s73, v[2:3]
	v_ashrrev_i32_e32 v4, 31, v3
.LBB767_2:
	s_load_b128 s[4:7], s[0:1], 0x0
	v_sub_nc_u32_e32 v7, s72, v1
	v_lshlrev_b64 v[0:1], 1, v[5:6]
                                        ; implicit-def: $vgpr80 : SGPR spill to VGPR lane
	v_cmp_gt_i32_e32 vcc_lo, s74, v2
	v_dual_mov_b32 v70, 0xff800000 :: v_dual_mov_b32 v71, 0xff800000
	s_delay_alu instid0(VALU_DEP_4) | instskip(NEXT) | instid1(VALU_DEP_1)
	v_cmp_lt_i32_e64 s66, 0, v7
	s_and_b32 s26, s66, vcc_lo
	s_waitcnt lgkmcnt(0)
	v_add_co_u32 v5, s2, s6, v0
	v_writelane_b32 v80, s4, 0
	v_add_co_ci_u32_e64 v6, s2, s7, v1, s2
	v_writelane_b32 v80, s5, 1
	v_writelane_b32 v80, s6, 2
	;; [unrolled: 1-line block ×3, first 2 shown]
	s_and_saveexec_b32 s2, s26
	s_cbranch_execz .LBB767_4
; %bb.3:
	global_load_u16 v8, v[5:6], off
	s_waitcnt vmcnt(0)
	v_lshlrev_b32_e32 v71, 16, v8
.LBB767_4:
	s_or_b32 exec_lo, exec_lo, s2
	v_add_nc_u32_e32 v8, 32, v2
	s_delay_alu instid0(VALU_DEP_1) | instskip(NEXT) | instid1(VALU_DEP_1)
	v_cmp_gt_i32_e64 s65, s74, v8
	s_and_b32 s25, s66, s65
	s_delay_alu instid0(SALU_CYCLE_1)
	s_and_saveexec_b32 s2, s25
	s_cbranch_execz .LBB767_6
; %bb.5:
	global_load_u16 v8, v[5:6], off offset:64
	s_waitcnt vmcnt(0)
	v_lshlrev_b32_e32 v70, 16, v8
.LBB767_6:
	s_or_b32 exec_lo, exec_lo, s2
	v_dual_mov_b32 v69, 0xff800000 :: v_dual_add_nc_u32 v8, 64, v2
	v_mov_b32_e32 v68, 0xff800000
	s_delay_alu instid0(VALU_DEP_2) | instskip(NEXT) | instid1(VALU_DEP_1)
	v_cmp_gt_i32_e64 s64, s74, v8
	s_and_b32 s24, s66, s64
	s_delay_alu instid0(SALU_CYCLE_1)
	s_and_saveexec_b32 s2, s24
	s_cbranch_execz .LBB767_8
; %bb.7:
	global_load_u16 v8, v[5:6], off offset:128
	s_waitcnt vmcnt(0)
	v_lshlrev_b32_e32 v69, 16, v8
.LBB767_8:
	s_or_b32 exec_lo, exec_lo, s2
	v_add_nc_u32_e32 v8, 0x60, v2
	s_delay_alu instid0(VALU_DEP_1) | instskip(NEXT) | instid1(VALU_DEP_1)
	v_cmp_gt_i32_e64 s63, s74, v8
	s_and_b32 s23, s66, s63
	s_delay_alu instid0(SALU_CYCLE_1)
	s_and_saveexec_b32 s2, s23
	s_cbranch_execz .LBB767_10
; %bb.9:
	global_load_u16 v8, v[5:6], off offset:192
	s_waitcnt vmcnt(0)
	v_lshlrev_b32_e32 v68, 16, v8
.LBB767_10:
	s_or_b32 exec_lo, exec_lo, s2
	v_add_nc_u32_e32 v8, 0x80, v2
	v_dual_mov_b32 v66, 0xff800000 :: v_dual_mov_b32 v67, 0xff800000
	s_delay_alu instid0(VALU_DEP_2) | instskip(NEXT) | instid1(VALU_DEP_1)
	v_cmp_gt_i32_e64 s62, s74, v8
	s_and_b32 s22, s66, s62
	s_delay_alu instid0(SALU_CYCLE_1)
	s_and_saveexec_b32 s2, s22
	s_cbranch_execz .LBB767_12
; %bb.11:
	global_load_u16 v8, v[5:6], off offset:256
	s_waitcnt vmcnt(0)
	v_lshlrev_b32_e32 v67, 16, v8
.LBB767_12:
	s_or_b32 exec_lo, exec_lo, s2
	v_add_nc_u32_e32 v8, 0xa0, v2
	s_delay_alu instid0(VALU_DEP_1) | instskip(NEXT) | instid1(VALU_DEP_1)
	v_cmp_gt_i32_e64 s61, s74, v8
	s_and_b32 s21, s66, s61
	s_delay_alu instid0(SALU_CYCLE_1)
	s_and_saveexec_b32 s2, s21
	s_cbranch_execz .LBB767_14
; %bb.13:
	global_load_u16 v8, v[5:6], off offset:320
	s_waitcnt vmcnt(0)
	v_lshlrev_b32_e32 v66, 16, v8
.LBB767_14:
	s_or_b32 exec_lo, exec_lo, s2
	v_add_nc_u32_e32 v8, 0xc0, v2
	v_dual_mov_b32 v64, 0xff800000 :: v_dual_mov_b32 v65, 0xff800000
	;; [unrolled: 27-line block ×12, first 2 shown]
	s_delay_alu instid0(VALU_DEP_2) | instskip(NEXT) | instid1(VALU_DEP_1)
	v_cmp_gt_i32_e64 s40, s74, v8
	s_and_b32 s2, s66, s40
	s_delay_alu instid0(SALU_CYCLE_1)
	s_and_saveexec_b32 s27, s2
	s_cbranch_execz .LBB767_56
; %bb.55:
	global_load_u16 v8, v[5:6], off offset:1664
	s_waitcnt vmcnt(0)
	v_lshlrev_b32_e32 v45, 16, v8
.LBB767_56:
	s_or_b32 exec_lo, exec_lo, s27
	v_add_nc_u32_e32 v8, 0x360, v2
	s_delay_alu instid0(VALU_DEP_1) | instskip(NEXT) | instid1(VALU_DEP_1)
	v_cmp_gt_i32_e64 s39, s74, v8
	s_and_b32 vcc_hi, s66, s39
	s_delay_alu instid0(SALU_CYCLE_1)
	s_and_saveexec_b32 s27, vcc_hi
	s_cbranch_execz .LBB767_58
; %bb.57:
	global_load_u16 v8, v[5:6], off offset:1728
	s_waitcnt vmcnt(0)
	v_lshlrev_b32_e32 v44, 16, v8
.LBB767_58:
	s_or_b32 exec_lo, exec_lo, s27
	v_add_nc_u32_e32 v8, 0x380, v2
	v_dual_mov_b32 v42, 0xff800000 :: v_dual_mov_b32 v43, 0xff800000
	s_delay_alu instid0(VALU_DEP_2) | instskip(NEXT) | instid1(VALU_DEP_1)
	v_cmp_gt_i32_e64 s38, s74, v8
	s_and_b32 s104, s66, s38
	s_delay_alu instid0(SALU_CYCLE_1)
	s_and_saveexec_b32 s27, s104
	s_cbranch_execz .LBB767_60
; %bb.59:
	global_load_u16 v8, v[5:6], off offset:1792
	s_waitcnt vmcnt(0)
	v_lshlrev_b32_e32 v43, 16, v8
.LBB767_60:
	s_or_b32 exec_lo, exec_lo, s27
	v_add_nc_u32_e32 v8, 0x3a0, v2
	s_delay_alu instid0(VALU_DEP_1) | instskip(NEXT) | instid1(VALU_DEP_1)
	v_cmp_gt_i32_e64 s37, s74, v8
	s_and_b32 s103, s66, s37
	s_delay_alu instid0(SALU_CYCLE_1)
	s_and_saveexec_b32 s27, s103
	s_cbranch_execz .LBB767_62
; %bb.61:
	global_load_u16 v8, v[5:6], off offset:1856
	s_waitcnt vmcnt(0)
	v_lshlrev_b32_e32 v42, 16, v8
.LBB767_62:
	s_or_b32 exec_lo, exec_lo, s27
	v_add_nc_u32_e32 v8, 0x3c0, v2
	v_dual_mov_b32 v40, 0xff800000 :: v_dual_mov_b32 v41, 0xff800000
	s_delay_alu instid0(VALU_DEP_2) | instskip(NEXT) | instid1(VALU_DEP_1)
	v_cmp_gt_i32_e64 s36, s74, v8
	s_and_b32 s102, s66, s36
	s_delay_alu instid0(SALU_CYCLE_1)
	s_and_saveexec_b32 s27, s102
	s_cbranch_execz .LBB767_64
; %bb.63:
	global_load_u16 v8, v[5:6], off offset:1920
	s_waitcnt vmcnt(0)
	v_lshlrev_b32_e32 v41, 16, v8
.LBB767_64:
	s_or_b32 exec_lo, exec_lo, s27
	v_add_nc_u32_e32 v8, 0x3e0, v2
	s_delay_alu instid0(VALU_DEP_1) | instskip(NEXT) | instid1(VALU_DEP_1)
	v_cmp_gt_i32_e64 s35, s74, v8
	s_and_b32 s101, s66, s35
	s_delay_alu instid0(SALU_CYCLE_1)
	s_and_saveexec_b32 s27, s101
	s_cbranch_execz .LBB767_66
; %bb.65:
	global_load_u16 v8, v[5:6], off offset:1984
	s_waitcnt vmcnt(0)
	v_lshlrev_b32_e32 v40, 16, v8
.LBB767_66:
	s_or_b32 exec_lo, exec_lo, s27
	v_or_b32_e32 v8, 0x400, v2
	v_dual_mov_b32 v38, 0xff800000 :: v_dual_mov_b32 v39, 0xff800000
	s_delay_alu instid0(VALU_DEP_2) | instskip(NEXT) | instid1(VALU_DEP_1)
	v_cmp_gt_i32_e64 s34, s74, v8
	s_and_b32 s100, s66, s34
	s_delay_alu instid0(SALU_CYCLE_1)
	s_and_saveexec_b32 s27, s100
	s_cbranch_execz .LBB767_68
; %bb.67:
	global_load_u16 v8, v[5:6], off offset:2048
	s_waitcnt vmcnt(0)
	v_lshlrev_b32_e32 v39, 16, v8
.LBB767_68:
	s_or_b32 exec_lo, exec_lo, s27
	v_add_nc_u32_e32 v8, 0x420, v2
	s_delay_alu instid0(VALU_DEP_1) | instskip(NEXT) | instid1(VALU_DEP_1)
	v_cmp_gt_i32_e64 s33, s74, v8
	s_and_b32 s99, s66, s33
	s_delay_alu instid0(SALU_CYCLE_1)
	s_and_saveexec_b32 s27, s99
	s_cbranch_execz .LBB767_70
; %bb.69:
	global_load_u16 v8, v[5:6], off offset:2112
	s_waitcnt vmcnt(0)
	v_lshlrev_b32_e32 v38, 16, v8
.LBB767_70:
	s_or_b32 exec_lo, exec_lo, s27
	v_add_nc_u32_e32 v8, 0x440, v2
	v_dual_mov_b32 v36, 0xff800000 :: v_dual_mov_b32 v37, 0xff800000
	s_delay_alu instid0(VALU_DEP_2) | instskip(NEXT) | instid1(VALU_DEP_1)
	v_cmp_gt_i32_e64 s31, s74, v8
	s_and_b32 s98, s66, s31
	s_delay_alu instid0(SALU_CYCLE_1)
	s_and_saveexec_b32 s27, s98
	s_cbranch_execz .LBB767_72
; %bb.71:
	global_load_u16 v8, v[5:6], off offset:2176
	s_waitcnt vmcnt(0)
	v_lshlrev_b32_e32 v37, 16, v8
.LBB767_72:
	s_or_b32 exec_lo, exec_lo, s27
	v_add_nc_u32_e32 v8, 0x460, v2
	s_delay_alu instid0(VALU_DEP_1) | instskip(NEXT) | instid1(VALU_DEP_1)
	v_cmp_gt_i32_e64 s30, s74, v8
	s_and_b32 s97, s66, s30
	s_delay_alu instid0(SALU_CYCLE_1)
	s_and_saveexec_b32 s27, s97
	s_cbranch_execz .LBB767_74
; %bb.73:
	global_load_u16 v8, v[5:6], off offset:2240
	s_waitcnt vmcnt(0)
	v_lshlrev_b32_e32 v36, 16, v8
.LBB767_74:
	s_or_b32 exec_lo, exec_lo, s27
	v_add_nc_u32_e32 v8, 0x480, v2
	v_dual_mov_b32 v34, 0xff800000 :: v_dual_mov_b32 v35, 0xff800000
	s_delay_alu instid0(VALU_DEP_2) | instskip(NEXT) | instid1(VALU_DEP_1)
	v_cmp_gt_i32_e64 s29, s74, v8
	s_and_b32 s96, s66, s29
	s_delay_alu instid0(SALU_CYCLE_1)
	s_and_saveexec_b32 s27, s96
	s_cbranch_execz .LBB767_76
; %bb.75:
	global_load_u16 v8, v[5:6], off offset:2304
	s_waitcnt vmcnt(0)
	v_lshlrev_b32_e32 v35, 16, v8
.LBB767_76:
	s_or_b32 exec_lo, exec_lo, s27
	v_add_nc_u32_e32 v8, 0x4a0, v2
	s_delay_alu instid0(VALU_DEP_1) | instskip(NEXT) | instid1(VALU_DEP_1)
	v_cmp_gt_i32_e64 s27, s74, v8
	s_and_b32 s95, s66, s27
	v_writelane_b32 v80, s27, 4
	s_and_saveexec_b32 s27, s95
	s_cbranch_execz .LBB767_78
; %bb.77:
	global_load_u16 v8, v[5:6], off offset:2368
	s_waitcnt vmcnt(0)
	v_lshlrev_b32_e32 v34, 16, v8
.LBB767_78:
	s_or_b32 exec_lo, exec_lo, s27
	v_add_nc_u32_e32 v8, 0x4c0, v2
	v_dual_mov_b32 v32, 0xff800000 :: v_dual_mov_b32 v33, 0xff800000
	s_delay_alu instid0(VALU_DEP_2) | instskip(NEXT) | instid1(VALU_DEP_1)
	v_cmp_gt_i32_e64 s27, s74, v8
	s_and_b32 s94, s66, s27
	v_writelane_b32 v80, s27, 5
	s_and_saveexec_b32 s27, s94
	s_cbranch_execz .LBB767_80
; %bb.79:
	global_load_u16 v8, v[5:6], off offset:2432
	s_waitcnt vmcnt(0)
	v_lshlrev_b32_e32 v33, 16, v8
.LBB767_80:
	s_or_b32 exec_lo, exec_lo, s27
	v_add_nc_u32_e32 v8, 0x4e0, v2
	s_delay_alu instid0(VALU_DEP_1) | instskip(NEXT) | instid1(VALU_DEP_1)
	v_cmp_gt_i32_e64 s27, s74, v8
	s_and_b32 s93, s66, s27
	v_writelane_b32 v80, s27, 6
	s_and_saveexec_b32 s27, s93
	s_cbranch_execz .LBB767_82
; %bb.81:
	global_load_u16 v8, v[5:6], off offset:2496
	s_waitcnt vmcnt(0)
	v_lshlrev_b32_e32 v32, 16, v8
.LBB767_82:
	s_or_b32 exec_lo, exec_lo, s27
	v_add_nc_u32_e32 v8, 0x500, v2
	v_dual_mov_b32 v30, 0xff800000 :: v_dual_mov_b32 v31, 0xff800000
	s_delay_alu instid0(VALU_DEP_2) | instskip(NEXT) | instid1(VALU_DEP_1)
	v_cmp_gt_i32_e64 s27, s74, v8
	s_and_b32 s92, s66, s27
	v_writelane_b32 v80, s27, 7
	;; [unrolled: 27-line block ×12, first 2 shown]
	s_and_saveexec_b32 s27, s71
	s_cbranch_execz .LBB767_124
; %bb.123:
	global_load_u16 v8, v[5:6], off offset:3840
	s_waitcnt vmcnt(0)
	v_lshlrev_b32_e32 v11, 16, v8
.LBB767_124:
	s_or_b32 exec_lo, exec_lo, s27
	v_add_nc_u32_e32 v8, 0x7a0, v2
	s_delay_alu instid0(VALU_DEP_1) | instskip(NEXT) | instid1(VALU_DEP_1)
	v_cmp_gt_i32_e64 s27, s74, v8
	s_and_b32 s70, s66, s27
	v_writelane_b32 v80, s27, 28
	s_and_saveexec_b32 s27, s70
	s_cbranch_execz .LBB767_126
; %bb.125:
	global_load_u16 v8, v[5:6], off offset:3904
	s_waitcnt vmcnt(0)
	v_lshlrev_b32_e32 v10, 16, v8
.LBB767_126:
	s_or_b32 exec_lo, exec_lo, s27
	v_add_nc_u32_e32 v8, 0x7c0, v2
	v_mov_b32_e32 v9, 0xff800000
	s_delay_alu instid0(VALU_DEP_2) | instskip(SKIP_1) | instid1(VALU_DEP_2)
	v_cmp_gt_i32_e64 s27, s74, v8
	v_mov_b32_e32 v8, 0xff800000
	s_and_b32 s67, s66, s27
	v_writelane_b32 v80, s27, 29
	s_and_saveexec_b32 s27, s67
	s_cbranch_execz .LBB767_128
; %bb.127:
	global_load_u16 v9, v[5:6], off offset:3968
	s_waitcnt vmcnt(0)
	v_lshlrev_b32_e32 v9, 16, v9
.LBB767_128:
	s_or_b32 exec_lo, exec_lo, s27
	v_add_nc_u32_e32 v2, 0x7e0, v2
	s_delay_alu instid0(VALU_DEP_1) | instskip(NEXT) | instid1(VALU_DEP_1)
	v_cmp_gt_i32_e64 s27, s74, v2
	s_and_b32 s66, s66, s27
	v_writelane_b32 v80, s27, 30
	s_and_saveexec_b32 s27, s66
	s_cbranch_execz .LBB767_130
; %bb.129:
	global_load_u16 v2, v[5:6], off offset:4032
	s_waitcnt vmcnt(0)
	v_lshlrev_b32_e32 v8, 16, v2
.LBB767_130:
	s_or_b32 exec_lo, exec_lo, s27
	s_load_b64 s[0:1], s[0:1], 0x20
	s_waitcnt lgkmcnt(0)
	v_add_co_u32 v2, s0, s0, v3
	s_delay_alu instid0(VALU_DEP_1)
	v_add_co_ci_u32_e64 v3, s0, s1, v4, s0
	s_mov_b32 s1, 0
	s_and_saveexec_b32 s74, s26
	s_cbranch_execnz .LBB767_194
; %bb.131:
	s_or_b32 exec_lo, exec_lo, s74
	v_mov_b32_e32 v4, v71
	s_and_saveexec_b32 s74, s25
	s_cbranch_execnz .LBB767_195
.LBB767_132:
	s_or_b32 exec_lo, exec_lo, s74
	s_and_saveexec_b32 s74, s24
	s_cbranch_execnz .LBB767_198
.LBB767_133:
	s_or_b32 exec_lo, exec_lo, s74
	s_and_saveexec_b32 s74, s23
	s_cbranch_execnz .LBB767_201
.LBB767_134:
	s_or_b32 exec_lo, exec_lo, s74
	s_and_saveexec_b32 s74, s22
	s_cbranch_execnz .LBB767_204
.LBB767_135:
	s_or_b32 exec_lo, exec_lo, s74
	s_and_saveexec_b32 s74, s21
	s_cbranch_execnz .LBB767_207
.LBB767_136:
	s_or_b32 exec_lo, exec_lo, s74
	s_and_saveexec_b32 s74, s20
	s_cbranch_execnz .LBB767_210
.LBB767_137:
	s_or_b32 exec_lo, exec_lo, s74
	s_and_saveexec_b32 s74, s19
	s_cbranch_execnz .LBB767_213
.LBB767_138:
	s_or_b32 exec_lo, exec_lo, s74
	s_and_saveexec_b32 s74, s18
	s_cbranch_execnz .LBB767_216
.LBB767_139:
	s_or_b32 exec_lo, exec_lo, s74
	s_and_saveexec_b32 s74, s69
	s_cbranch_execnz .LBB767_219
.LBB767_140:
	s_or_b32 exec_lo, exec_lo, s74
	s_and_saveexec_b32 s74, s68
	s_cbranch_execnz .LBB767_222
.LBB767_141:
	s_or_b32 exec_lo, exec_lo, s74
	s_and_saveexec_b32 s74, s17
	s_cbranch_execnz .LBB767_225
.LBB767_142:
	s_or_b32 exec_lo, exec_lo, s74
	s_and_saveexec_b32 s74, s16
	s_cbranch_execnz .LBB767_228
.LBB767_143:
	s_or_b32 exec_lo, exec_lo, s74
	s_and_saveexec_b32 s74, s15
	s_cbranch_execnz .LBB767_231
.LBB767_144:
	s_or_b32 exec_lo, exec_lo, s74
	s_and_saveexec_b32 s74, s14
	s_cbranch_execnz .LBB767_234
.LBB767_145:
	s_or_b32 exec_lo, exec_lo, s74
	s_and_saveexec_b32 s74, s13
	s_cbranch_execnz .LBB767_237
.LBB767_146:
	s_or_b32 exec_lo, exec_lo, s74
	s_and_saveexec_b32 s74, s12
	s_cbranch_execnz .LBB767_240
.LBB767_147:
	s_or_b32 exec_lo, exec_lo, s74
	s_and_saveexec_b32 s74, s11
	s_cbranch_execnz .LBB767_243
.LBB767_148:
	s_or_b32 exec_lo, exec_lo, s74
	s_and_saveexec_b32 s74, s10
	s_cbranch_execnz .LBB767_246
.LBB767_149:
	s_or_b32 exec_lo, exec_lo, s74
	s_and_saveexec_b32 s74, s9
	s_cbranch_execnz .LBB767_249
.LBB767_150:
	s_or_b32 exec_lo, exec_lo, s74
	s_and_saveexec_b32 s74, s8
	s_cbranch_execnz .LBB767_252
.LBB767_151:
	s_or_b32 exec_lo, exec_lo, s74
	s_and_saveexec_b32 s74, s7
	s_cbranch_execnz .LBB767_255
.LBB767_152:
	s_or_b32 exec_lo, exec_lo, s74
	s_and_saveexec_b32 s74, s6
	s_cbranch_execnz .LBB767_258
.LBB767_153:
	s_or_b32 exec_lo, exec_lo, s74
	s_and_saveexec_b32 s74, s5
	s_cbranch_execnz .LBB767_261
.LBB767_154:
	s_or_b32 exec_lo, exec_lo, s74
	s_and_saveexec_b32 s74, s4
	s_cbranch_execnz .LBB767_264
.LBB767_155:
	s_or_b32 exec_lo, exec_lo, s74
	s_and_saveexec_b32 s74, s3
	s_cbranch_execnz .LBB767_267
.LBB767_156:
	s_or_b32 exec_lo, exec_lo, s74
	s_and_saveexec_b32 s74, s2
	s_cbranch_execnz .LBB767_270
.LBB767_157:
	s_or_b32 exec_lo, exec_lo, s74
	s_and_saveexec_b32 s74, vcc_hi
	s_cbranch_execnz .LBB767_273
.LBB767_158:
	s_or_b32 exec_lo, exec_lo, s74
	s_and_saveexec_b32 s74, s104
	s_cbranch_execnz .LBB767_276
.LBB767_159:
	s_or_b32 exec_lo, exec_lo, s74
	s_and_saveexec_b32 s74, s103
	s_cbranch_execnz .LBB767_279
.LBB767_160:
	s_or_b32 exec_lo, exec_lo, s74
	s_and_saveexec_b32 s74, s102
	s_cbranch_execnz .LBB767_282
.LBB767_161:
	s_or_b32 exec_lo, exec_lo, s74
	s_and_saveexec_b32 s74, s101
	s_cbranch_execnz .LBB767_285
.LBB767_162:
	s_or_b32 exec_lo, exec_lo, s74
	s_and_saveexec_b32 s74, s100
	s_cbranch_execnz .LBB767_288
.LBB767_163:
	s_or_b32 exec_lo, exec_lo, s74
	s_and_saveexec_b32 s74, s99
	s_cbranch_execnz .LBB767_291
.LBB767_164:
	s_or_b32 exec_lo, exec_lo, s74
	s_and_saveexec_b32 s74, s98
	s_cbranch_execnz .LBB767_294
.LBB767_165:
	s_or_b32 exec_lo, exec_lo, s74
	s_and_saveexec_b32 s74, s97
	s_cbranch_execnz .LBB767_297
.LBB767_166:
	s_or_b32 exec_lo, exec_lo, s74
	s_and_saveexec_b32 s74, s96
	s_cbranch_execnz .LBB767_300
.LBB767_167:
	s_or_b32 exec_lo, exec_lo, s74
	s_and_saveexec_b32 s74, s95
	s_cbranch_execnz .LBB767_303
.LBB767_168:
	s_or_b32 exec_lo, exec_lo, s74
	s_and_saveexec_b32 s74, s94
	s_cbranch_execnz .LBB767_306
.LBB767_169:
	s_or_b32 exec_lo, exec_lo, s74
	s_and_saveexec_b32 s74, s93
	s_cbranch_execnz .LBB767_309
.LBB767_170:
	s_or_b32 exec_lo, exec_lo, s74
	s_and_saveexec_b32 s74, s92
	s_cbranch_execnz .LBB767_312
.LBB767_171:
	s_or_b32 exec_lo, exec_lo, s74
	s_and_saveexec_b32 s74, s91
	s_cbranch_execnz .LBB767_315
.LBB767_172:
	s_or_b32 exec_lo, exec_lo, s74
	s_and_saveexec_b32 s74, s90
	s_cbranch_execnz .LBB767_318
.LBB767_173:
	s_or_b32 exec_lo, exec_lo, s74
	s_and_saveexec_b32 s74, s89
	s_cbranch_execnz .LBB767_321
.LBB767_174:
	s_or_b32 exec_lo, exec_lo, s74
	s_and_saveexec_b32 s74, s88
	s_cbranch_execnz .LBB767_324
.LBB767_175:
	s_or_b32 exec_lo, exec_lo, s74
	s_and_saveexec_b32 s74, s87
	s_cbranch_execnz .LBB767_327
.LBB767_176:
	s_or_b32 exec_lo, exec_lo, s74
	s_and_saveexec_b32 s74, s86
	s_cbranch_execnz .LBB767_330
.LBB767_177:
	s_or_b32 exec_lo, exec_lo, s74
	s_and_saveexec_b32 s74, s85
	s_cbranch_execnz .LBB767_333
.LBB767_178:
	s_or_b32 exec_lo, exec_lo, s74
	s_and_saveexec_b32 s74, s84
	s_cbranch_execnz .LBB767_336
.LBB767_179:
	s_or_b32 exec_lo, exec_lo, s74
	s_and_saveexec_b32 s74, s83
	s_cbranch_execnz .LBB767_339
.LBB767_180:
	s_or_b32 exec_lo, exec_lo, s74
	s_and_saveexec_b32 s74, s82
	s_cbranch_execnz .LBB767_342
.LBB767_181:
	s_or_b32 exec_lo, exec_lo, s74
	s_and_saveexec_b32 s74, s81
	s_cbranch_execnz .LBB767_345
.LBB767_182:
	s_or_b32 exec_lo, exec_lo, s74
	s_and_saveexec_b32 s74, s80
	s_cbranch_execnz .LBB767_348
.LBB767_183:
	s_or_b32 exec_lo, exec_lo, s74
	s_and_saveexec_b32 s74, s79
	s_cbranch_execnz .LBB767_351
.LBB767_184:
	s_or_b32 exec_lo, exec_lo, s74
	s_and_saveexec_b32 s74, s78
	s_cbranch_execnz .LBB767_354
.LBB767_185:
	s_or_b32 exec_lo, exec_lo, s74
	s_and_saveexec_b32 s74, s77
	s_cbranch_execnz .LBB767_357
.LBB767_186:
	s_or_b32 exec_lo, exec_lo, s74
	s_and_saveexec_b32 s74, s76
	s_cbranch_execnz .LBB767_360
.LBB767_187:
	s_or_b32 exec_lo, exec_lo, s74
	s_and_saveexec_b32 s74, s75
	s_cbranch_execnz .LBB767_363
.LBB767_188:
	s_or_b32 exec_lo, exec_lo, s74
	s_and_saveexec_b32 s74, s73
	s_cbranch_execnz .LBB767_366
.LBB767_189:
	s_or_b32 exec_lo, exec_lo, s74
	s_and_saveexec_b32 s74, s72
	s_cbranch_execnz .LBB767_369
.LBB767_190:
	s_or_b32 exec_lo, exec_lo, s74
	s_and_saveexec_b32 s74, s71
	s_cbranch_execnz .LBB767_372
.LBB767_191:
	s_or_b32 exec_lo, exec_lo, s74
	s_and_saveexec_b32 s74, s70
	s_cbranch_execnz .LBB767_375
.LBB767_192:
	s_or_b32 exec_lo, exec_lo, s74
	s_and_saveexec_b32 s74, s67
	s_cbranch_execnz .LBB767_378
.LBB767_193:
	s_or_b32 exec_lo, exec_lo, s74
	s_and_saveexec_b32 s74, s66
	s_cbranch_execnz .LBB767_381
	s_branch .LBB767_384
.LBB767_194:
	global_load_u8 v4, v[2:3], off
	s_waitcnt vmcnt(0)
	v_and_b32_e32 v4, 1, v4
	s_delay_alu instid0(VALU_DEP_1) | instskip(NEXT) | instid1(VALU_DEP_1)
	v_cmp_eq_u32_e64 s0, 1, v4
	s_xor_b32 s0, s0, -1
	s_delay_alu instid0(SALU_CYCLE_1)
	s_and_b32 s1, s0, exec_lo
	s_or_b32 exec_lo, exec_lo, s74
	v_mov_b32_e32 v4, v71
	s_and_saveexec_b32 s74, s25
	s_cbranch_execz .LBB767_132
.LBB767_195:
	global_load_u8 v4, v[2:3], off offset:32
	s_waitcnt vmcnt(0)
	v_and_b32_e32 v4, 1, v4
	s_delay_alu instid0(VALU_DEP_1) | instskip(SKIP_1) | instid1(VALU_DEP_2)
	v_cmp_eq_u32_e64 s0, 1, v4
	v_mov_b32_e32 v4, v71
	s_xor_b32 s28, s0, -1
	s_mov_b32 s0, s1
	s_and_saveexec_b32 s27, s28
; %bb.196:
	v_cmp_gt_f32_e64 s0, v71, v70
	s_delay_alu instid0(VALU_DEP_1) | instskip(NEXT) | instid1(SALU_CYCLE_1)
	s_and_b32 s0, s1, s0
	v_cndmask_b32_e64 v4, v70, v71, s0
	s_or_b32 s0, s1, exec_lo
; %bb.197:
	s_or_b32 exec_lo, exec_lo, s27
	s_delay_alu instid0(SALU_CYCLE_1) | instskip(SKIP_1) | instid1(SALU_CYCLE_1)
	s_and_not1_b32 s1, s1, exec_lo
	s_and_b32 s0, s0, exec_lo
	s_or_b32 s1, s1, s0
	s_or_b32 exec_lo, exec_lo, s74
	s_and_saveexec_b32 s74, s24
	s_cbranch_execz .LBB767_133
.LBB767_198:
	global_load_u8 v5, v[2:3], off offset:64
	s_waitcnt vmcnt(0)
	v_and_b32_e32 v5, 1, v5
	s_delay_alu instid0(VALU_DEP_1) | instskip(NEXT) | instid1(VALU_DEP_1)
	v_cmp_eq_u32_e64 s0, 1, v5
	s_xor_b32 s28, s0, -1
	s_mov_b32 s0, s1
	s_and_saveexec_b32 s27, s28
; %bb.199:
	v_cmp_gt_f32_e64 s0, v4, v69
	s_delay_alu instid0(VALU_DEP_1) | instskip(NEXT) | instid1(SALU_CYCLE_1)
	s_and_b32 s0, s1, s0
	v_cndmask_b32_e64 v4, v69, v4, s0
	s_or_b32 s0, s1, exec_lo
; %bb.200:
	s_or_b32 exec_lo, exec_lo, s27
	s_delay_alu instid0(SALU_CYCLE_1) | instskip(SKIP_1) | instid1(SALU_CYCLE_1)
	s_and_not1_b32 s1, s1, exec_lo
	s_and_b32 s0, s0, exec_lo
	s_or_b32 s1, s1, s0
	s_or_b32 exec_lo, exec_lo, s74
	s_and_saveexec_b32 s74, s23
	s_cbranch_execz .LBB767_134
.LBB767_201:
	global_load_u8 v5, v[2:3], off offset:96
	s_waitcnt vmcnt(0)
	v_and_b32_e32 v5, 1, v5
	s_delay_alu instid0(VALU_DEP_1) | instskip(NEXT) | instid1(VALU_DEP_1)
	v_cmp_eq_u32_e64 s0, 1, v5
	s_xor_b32 s28, s0, -1
	s_mov_b32 s0, s1
	s_and_saveexec_b32 s27, s28
; %bb.202:
	v_cmp_gt_f32_e64 s0, v4, v68
	s_delay_alu instid0(VALU_DEP_1) | instskip(NEXT) | instid1(SALU_CYCLE_1)
	s_and_b32 s0, s1, s0
	v_cndmask_b32_e64 v4, v68, v4, s0
	s_or_b32 s0, s1, exec_lo
; %bb.203:
	s_or_b32 exec_lo, exec_lo, s27
	s_delay_alu instid0(SALU_CYCLE_1) | instskip(SKIP_1) | instid1(SALU_CYCLE_1)
	s_and_not1_b32 s1, s1, exec_lo
	s_and_b32 s0, s0, exec_lo
	s_or_b32 s1, s1, s0
	s_or_b32 exec_lo, exec_lo, s74
	s_and_saveexec_b32 s74, s22
	s_cbranch_execz .LBB767_135
.LBB767_204:
	global_load_u8 v5, v[2:3], off offset:128
	s_waitcnt vmcnt(0)
	v_and_b32_e32 v5, 1, v5
	s_delay_alu instid0(VALU_DEP_1) | instskip(NEXT) | instid1(VALU_DEP_1)
	v_cmp_eq_u32_e64 s0, 1, v5
	s_xor_b32 s28, s0, -1
	s_mov_b32 s0, s1
	s_and_saveexec_b32 s27, s28
; %bb.205:
	v_cmp_gt_f32_e64 s0, v4, v67
	s_delay_alu instid0(VALU_DEP_1) | instskip(NEXT) | instid1(SALU_CYCLE_1)
	s_and_b32 s0, s1, s0
	v_cndmask_b32_e64 v4, v67, v4, s0
	s_or_b32 s0, s1, exec_lo
; %bb.206:
	s_or_b32 exec_lo, exec_lo, s27
	s_delay_alu instid0(SALU_CYCLE_1) | instskip(SKIP_1) | instid1(SALU_CYCLE_1)
	s_and_not1_b32 s1, s1, exec_lo
	s_and_b32 s0, s0, exec_lo
	s_or_b32 s1, s1, s0
	s_or_b32 exec_lo, exec_lo, s74
	s_and_saveexec_b32 s74, s21
	s_cbranch_execz .LBB767_136
.LBB767_207:
	global_load_u8 v5, v[2:3], off offset:160
	s_waitcnt vmcnt(0)
	v_and_b32_e32 v5, 1, v5
	s_delay_alu instid0(VALU_DEP_1) | instskip(NEXT) | instid1(VALU_DEP_1)
	v_cmp_eq_u32_e64 s0, 1, v5
	s_xor_b32 s28, s0, -1
	s_mov_b32 s0, s1
	s_and_saveexec_b32 s27, s28
; %bb.208:
	v_cmp_gt_f32_e64 s0, v4, v66
	s_delay_alu instid0(VALU_DEP_1) | instskip(NEXT) | instid1(SALU_CYCLE_1)
	s_and_b32 s0, s1, s0
	v_cndmask_b32_e64 v4, v66, v4, s0
	s_or_b32 s0, s1, exec_lo
; %bb.209:
	s_or_b32 exec_lo, exec_lo, s27
	s_delay_alu instid0(SALU_CYCLE_1) | instskip(SKIP_1) | instid1(SALU_CYCLE_1)
	s_and_not1_b32 s1, s1, exec_lo
	s_and_b32 s0, s0, exec_lo
	s_or_b32 s1, s1, s0
	s_or_b32 exec_lo, exec_lo, s74
	s_and_saveexec_b32 s74, s20
	s_cbranch_execz .LBB767_137
.LBB767_210:
	global_load_u8 v5, v[2:3], off offset:192
	s_waitcnt vmcnt(0)
	v_and_b32_e32 v5, 1, v5
	s_delay_alu instid0(VALU_DEP_1) | instskip(NEXT) | instid1(VALU_DEP_1)
	v_cmp_eq_u32_e64 s0, 1, v5
	s_xor_b32 s28, s0, -1
	s_mov_b32 s0, s1
	s_and_saveexec_b32 s27, s28
; %bb.211:
	v_cmp_gt_f32_e64 s0, v4, v65
	s_delay_alu instid0(VALU_DEP_1) | instskip(NEXT) | instid1(SALU_CYCLE_1)
	s_and_b32 s0, s1, s0
	v_cndmask_b32_e64 v4, v65, v4, s0
	s_or_b32 s0, s1, exec_lo
; %bb.212:
	s_or_b32 exec_lo, exec_lo, s27
	s_delay_alu instid0(SALU_CYCLE_1) | instskip(SKIP_1) | instid1(SALU_CYCLE_1)
	s_and_not1_b32 s1, s1, exec_lo
	s_and_b32 s0, s0, exec_lo
	s_or_b32 s1, s1, s0
	s_or_b32 exec_lo, exec_lo, s74
	s_and_saveexec_b32 s74, s19
	s_cbranch_execz .LBB767_138
.LBB767_213:
	global_load_u8 v5, v[2:3], off offset:224
	s_waitcnt vmcnt(0)
	v_and_b32_e32 v5, 1, v5
	s_delay_alu instid0(VALU_DEP_1) | instskip(NEXT) | instid1(VALU_DEP_1)
	v_cmp_eq_u32_e64 s0, 1, v5
	s_xor_b32 s28, s0, -1
	s_mov_b32 s0, s1
	s_and_saveexec_b32 s27, s28
; %bb.214:
	v_cmp_gt_f32_e64 s0, v4, v64
	s_delay_alu instid0(VALU_DEP_1) | instskip(NEXT) | instid1(SALU_CYCLE_1)
	s_and_b32 s0, s1, s0
	v_cndmask_b32_e64 v4, v64, v4, s0
	s_or_b32 s0, s1, exec_lo
; %bb.215:
	s_or_b32 exec_lo, exec_lo, s27
	s_delay_alu instid0(SALU_CYCLE_1) | instskip(SKIP_1) | instid1(SALU_CYCLE_1)
	s_and_not1_b32 s1, s1, exec_lo
	s_and_b32 s0, s0, exec_lo
	s_or_b32 s1, s1, s0
	s_or_b32 exec_lo, exec_lo, s74
	s_and_saveexec_b32 s74, s18
	s_cbranch_execz .LBB767_139
.LBB767_216:
	global_load_u8 v5, v[2:3], off offset:256
	s_waitcnt vmcnt(0)
	v_and_b32_e32 v5, 1, v5
	s_delay_alu instid0(VALU_DEP_1) | instskip(NEXT) | instid1(VALU_DEP_1)
	v_cmp_eq_u32_e64 s0, 1, v5
	s_xor_b32 s28, s0, -1
	s_mov_b32 s0, s1
	s_and_saveexec_b32 s27, s28
; %bb.217:
	v_cmp_gt_f32_e64 s0, v4, v63
	s_delay_alu instid0(VALU_DEP_1) | instskip(NEXT) | instid1(SALU_CYCLE_1)
	s_and_b32 s0, s1, s0
	v_cndmask_b32_e64 v4, v63, v4, s0
	s_or_b32 s0, s1, exec_lo
; %bb.218:
	s_or_b32 exec_lo, exec_lo, s27
	s_delay_alu instid0(SALU_CYCLE_1) | instskip(SKIP_1) | instid1(SALU_CYCLE_1)
	s_and_not1_b32 s1, s1, exec_lo
	s_and_b32 s0, s0, exec_lo
	s_or_b32 s1, s1, s0
	s_or_b32 exec_lo, exec_lo, s74
	s_and_saveexec_b32 s74, s69
	s_cbranch_execz .LBB767_140
.LBB767_219:
	global_load_u8 v5, v[2:3], off offset:288
	s_waitcnt vmcnt(0)
	v_and_b32_e32 v5, 1, v5
	s_delay_alu instid0(VALU_DEP_1) | instskip(NEXT) | instid1(VALU_DEP_1)
	v_cmp_eq_u32_e64 s0, 1, v5
	s_xor_b32 s28, s0, -1
	s_mov_b32 s0, s1
	s_and_saveexec_b32 s27, s28
; %bb.220:
	v_cmp_gt_f32_e64 s0, v4, v62
	s_delay_alu instid0(VALU_DEP_1) | instskip(NEXT) | instid1(SALU_CYCLE_1)
	s_and_b32 s0, s1, s0
	v_cndmask_b32_e64 v4, v62, v4, s0
	s_or_b32 s0, s1, exec_lo
; %bb.221:
	s_or_b32 exec_lo, exec_lo, s27
	s_delay_alu instid0(SALU_CYCLE_1) | instskip(SKIP_1) | instid1(SALU_CYCLE_1)
	s_and_not1_b32 s1, s1, exec_lo
	s_and_b32 s0, s0, exec_lo
	s_or_b32 s1, s1, s0
	s_or_b32 exec_lo, exec_lo, s74
	s_and_saveexec_b32 s74, s68
	s_cbranch_execz .LBB767_141
.LBB767_222:
	global_load_u8 v5, v[2:3], off offset:320
	s_waitcnt vmcnt(0)
	v_and_b32_e32 v5, 1, v5
	s_delay_alu instid0(VALU_DEP_1) | instskip(NEXT) | instid1(VALU_DEP_1)
	v_cmp_eq_u32_e64 s0, 1, v5
	s_xor_b32 s28, s0, -1
	s_mov_b32 s0, s1
	s_and_saveexec_b32 s27, s28
; %bb.223:
	v_cmp_gt_f32_e64 s0, v4, v61
	s_delay_alu instid0(VALU_DEP_1) | instskip(NEXT) | instid1(SALU_CYCLE_1)
	s_and_b32 s0, s1, s0
	v_cndmask_b32_e64 v4, v61, v4, s0
	s_or_b32 s0, s1, exec_lo
; %bb.224:
	s_or_b32 exec_lo, exec_lo, s27
	s_delay_alu instid0(SALU_CYCLE_1) | instskip(SKIP_1) | instid1(SALU_CYCLE_1)
	s_and_not1_b32 s1, s1, exec_lo
	s_and_b32 s0, s0, exec_lo
	s_or_b32 s1, s1, s0
	s_or_b32 exec_lo, exec_lo, s74
	s_and_saveexec_b32 s74, s17
	s_cbranch_execz .LBB767_142
.LBB767_225:
	global_load_u8 v5, v[2:3], off offset:352
	s_waitcnt vmcnt(0)
	v_and_b32_e32 v5, 1, v5
	s_delay_alu instid0(VALU_DEP_1) | instskip(NEXT) | instid1(VALU_DEP_1)
	v_cmp_eq_u32_e64 s0, 1, v5
	s_xor_b32 s28, s0, -1
	s_mov_b32 s0, s1
	s_and_saveexec_b32 s27, s28
; %bb.226:
	v_cmp_gt_f32_e64 s0, v4, v60
	s_delay_alu instid0(VALU_DEP_1) | instskip(NEXT) | instid1(SALU_CYCLE_1)
	s_and_b32 s0, s1, s0
	v_cndmask_b32_e64 v4, v60, v4, s0
	s_or_b32 s0, s1, exec_lo
; %bb.227:
	s_or_b32 exec_lo, exec_lo, s27
	s_delay_alu instid0(SALU_CYCLE_1) | instskip(SKIP_1) | instid1(SALU_CYCLE_1)
	s_and_not1_b32 s1, s1, exec_lo
	s_and_b32 s0, s0, exec_lo
	s_or_b32 s1, s1, s0
	s_or_b32 exec_lo, exec_lo, s74
	s_and_saveexec_b32 s74, s16
	s_cbranch_execz .LBB767_143
.LBB767_228:
	global_load_u8 v5, v[2:3], off offset:384
	s_waitcnt vmcnt(0)
	v_and_b32_e32 v5, 1, v5
	s_delay_alu instid0(VALU_DEP_1) | instskip(NEXT) | instid1(VALU_DEP_1)
	v_cmp_eq_u32_e64 s0, 1, v5
	s_xor_b32 s28, s0, -1
	s_mov_b32 s0, s1
	s_and_saveexec_b32 s27, s28
; %bb.229:
	v_cmp_gt_f32_e64 s0, v4, v59
	s_delay_alu instid0(VALU_DEP_1) | instskip(NEXT) | instid1(SALU_CYCLE_1)
	s_and_b32 s0, s1, s0
	v_cndmask_b32_e64 v4, v59, v4, s0
	s_or_b32 s0, s1, exec_lo
; %bb.230:
	s_or_b32 exec_lo, exec_lo, s27
	s_delay_alu instid0(SALU_CYCLE_1) | instskip(SKIP_1) | instid1(SALU_CYCLE_1)
	s_and_not1_b32 s1, s1, exec_lo
	s_and_b32 s0, s0, exec_lo
	s_or_b32 s1, s1, s0
	s_or_b32 exec_lo, exec_lo, s74
	s_and_saveexec_b32 s74, s15
	s_cbranch_execz .LBB767_144
.LBB767_231:
	global_load_u8 v5, v[2:3], off offset:416
	s_waitcnt vmcnt(0)
	v_and_b32_e32 v5, 1, v5
	s_delay_alu instid0(VALU_DEP_1) | instskip(NEXT) | instid1(VALU_DEP_1)
	v_cmp_eq_u32_e64 s0, 1, v5
	s_xor_b32 s28, s0, -1
	s_mov_b32 s0, s1
	s_and_saveexec_b32 s27, s28
; %bb.232:
	v_cmp_gt_f32_e64 s0, v4, v58
	s_delay_alu instid0(VALU_DEP_1) | instskip(NEXT) | instid1(SALU_CYCLE_1)
	s_and_b32 s0, s1, s0
	v_cndmask_b32_e64 v4, v58, v4, s0
	s_or_b32 s0, s1, exec_lo
; %bb.233:
	s_or_b32 exec_lo, exec_lo, s27
	s_delay_alu instid0(SALU_CYCLE_1) | instskip(SKIP_1) | instid1(SALU_CYCLE_1)
	s_and_not1_b32 s1, s1, exec_lo
	s_and_b32 s0, s0, exec_lo
	s_or_b32 s1, s1, s0
	s_or_b32 exec_lo, exec_lo, s74
	s_and_saveexec_b32 s74, s14
	s_cbranch_execz .LBB767_145
.LBB767_234:
	global_load_u8 v5, v[2:3], off offset:448
	s_waitcnt vmcnt(0)
	v_and_b32_e32 v5, 1, v5
	s_delay_alu instid0(VALU_DEP_1) | instskip(NEXT) | instid1(VALU_DEP_1)
	v_cmp_eq_u32_e64 s0, 1, v5
	s_xor_b32 s28, s0, -1
	s_mov_b32 s0, s1
	s_and_saveexec_b32 s27, s28
; %bb.235:
	v_cmp_gt_f32_e64 s0, v4, v57
	s_delay_alu instid0(VALU_DEP_1) | instskip(NEXT) | instid1(SALU_CYCLE_1)
	s_and_b32 s0, s1, s0
	v_cndmask_b32_e64 v4, v57, v4, s0
	s_or_b32 s0, s1, exec_lo
; %bb.236:
	s_or_b32 exec_lo, exec_lo, s27
	s_delay_alu instid0(SALU_CYCLE_1) | instskip(SKIP_1) | instid1(SALU_CYCLE_1)
	s_and_not1_b32 s1, s1, exec_lo
	s_and_b32 s0, s0, exec_lo
	s_or_b32 s1, s1, s0
	s_or_b32 exec_lo, exec_lo, s74
	s_and_saveexec_b32 s74, s13
	s_cbranch_execz .LBB767_146
.LBB767_237:
	global_load_u8 v5, v[2:3], off offset:480
	s_waitcnt vmcnt(0)
	v_and_b32_e32 v5, 1, v5
	s_delay_alu instid0(VALU_DEP_1) | instskip(NEXT) | instid1(VALU_DEP_1)
	v_cmp_eq_u32_e64 s0, 1, v5
	s_xor_b32 s28, s0, -1
	s_mov_b32 s0, s1
	s_and_saveexec_b32 s27, s28
; %bb.238:
	v_cmp_gt_f32_e64 s0, v4, v56
	s_delay_alu instid0(VALU_DEP_1) | instskip(NEXT) | instid1(SALU_CYCLE_1)
	s_and_b32 s0, s1, s0
	v_cndmask_b32_e64 v4, v56, v4, s0
	s_or_b32 s0, s1, exec_lo
; %bb.239:
	s_or_b32 exec_lo, exec_lo, s27
	s_delay_alu instid0(SALU_CYCLE_1) | instskip(SKIP_1) | instid1(SALU_CYCLE_1)
	s_and_not1_b32 s1, s1, exec_lo
	s_and_b32 s0, s0, exec_lo
	s_or_b32 s1, s1, s0
	s_or_b32 exec_lo, exec_lo, s74
	s_and_saveexec_b32 s74, s12
	s_cbranch_execz .LBB767_147
.LBB767_240:
	global_load_u8 v5, v[2:3], off offset:512
	s_waitcnt vmcnt(0)
	v_and_b32_e32 v5, 1, v5
	s_delay_alu instid0(VALU_DEP_1) | instskip(NEXT) | instid1(VALU_DEP_1)
	v_cmp_eq_u32_e64 s0, 1, v5
	s_xor_b32 s28, s0, -1
	s_mov_b32 s0, s1
	s_and_saveexec_b32 s27, s28
; %bb.241:
	v_cmp_gt_f32_e64 s0, v4, v55
	s_delay_alu instid0(VALU_DEP_1) | instskip(NEXT) | instid1(SALU_CYCLE_1)
	s_and_b32 s0, s1, s0
	v_cndmask_b32_e64 v4, v55, v4, s0
	s_or_b32 s0, s1, exec_lo
; %bb.242:
	s_or_b32 exec_lo, exec_lo, s27
	s_delay_alu instid0(SALU_CYCLE_1) | instskip(SKIP_1) | instid1(SALU_CYCLE_1)
	s_and_not1_b32 s1, s1, exec_lo
	s_and_b32 s0, s0, exec_lo
	s_or_b32 s1, s1, s0
	s_or_b32 exec_lo, exec_lo, s74
	s_and_saveexec_b32 s74, s11
	s_cbranch_execz .LBB767_148
.LBB767_243:
	global_load_u8 v5, v[2:3], off offset:544
	s_waitcnt vmcnt(0)
	v_and_b32_e32 v5, 1, v5
	s_delay_alu instid0(VALU_DEP_1) | instskip(NEXT) | instid1(VALU_DEP_1)
	v_cmp_eq_u32_e64 s0, 1, v5
	s_xor_b32 s28, s0, -1
	s_mov_b32 s0, s1
	s_and_saveexec_b32 s27, s28
; %bb.244:
	v_cmp_gt_f32_e64 s0, v4, v54
	s_delay_alu instid0(VALU_DEP_1) | instskip(NEXT) | instid1(SALU_CYCLE_1)
	s_and_b32 s0, s1, s0
	v_cndmask_b32_e64 v4, v54, v4, s0
	s_or_b32 s0, s1, exec_lo
; %bb.245:
	s_or_b32 exec_lo, exec_lo, s27
	s_delay_alu instid0(SALU_CYCLE_1) | instskip(SKIP_1) | instid1(SALU_CYCLE_1)
	s_and_not1_b32 s1, s1, exec_lo
	s_and_b32 s0, s0, exec_lo
	s_or_b32 s1, s1, s0
	s_or_b32 exec_lo, exec_lo, s74
	s_and_saveexec_b32 s74, s10
	s_cbranch_execz .LBB767_149
.LBB767_246:
	global_load_u8 v5, v[2:3], off offset:576
	s_waitcnt vmcnt(0)
	v_and_b32_e32 v5, 1, v5
	s_delay_alu instid0(VALU_DEP_1) | instskip(NEXT) | instid1(VALU_DEP_1)
	v_cmp_eq_u32_e64 s0, 1, v5
	s_xor_b32 s28, s0, -1
	s_mov_b32 s0, s1
	s_and_saveexec_b32 s27, s28
; %bb.247:
	v_cmp_gt_f32_e64 s0, v4, v53
	s_delay_alu instid0(VALU_DEP_1) | instskip(NEXT) | instid1(SALU_CYCLE_1)
	s_and_b32 s0, s1, s0
	v_cndmask_b32_e64 v4, v53, v4, s0
	s_or_b32 s0, s1, exec_lo
; %bb.248:
	s_or_b32 exec_lo, exec_lo, s27
	s_delay_alu instid0(SALU_CYCLE_1) | instskip(SKIP_1) | instid1(SALU_CYCLE_1)
	s_and_not1_b32 s1, s1, exec_lo
	s_and_b32 s0, s0, exec_lo
	s_or_b32 s1, s1, s0
	s_or_b32 exec_lo, exec_lo, s74
	s_and_saveexec_b32 s74, s9
	s_cbranch_execz .LBB767_150
.LBB767_249:
	global_load_u8 v5, v[2:3], off offset:608
	s_waitcnt vmcnt(0)
	v_and_b32_e32 v5, 1, v5
	s_delay_alu instid0(VALU_DEP_1) | instskip(NEXT) | instid1(VALU_DEP_1)
	v_cmp_eq_u32_e64 s0, 1, v5
	s_xor_b32 s28, s0, -1
	s_mov_b32 s0, s1
	s_and_saveexec_b32 s27, s28
; %bb.250:
	v_cmp_gt_f32_e64 s0, v4, v52
	s_delay_alu instid0(VALU_DEP_1) | instskip(NEXT) | instid1(SALU_CYCLE_1)
	s_and_b32 s0, s1, s0
	v_cndmask_b32_e64 v4, v52, v4, s0
	s_or_b32 s0, s1, exec_lo
; %bb.251:
	s_or_b32 exec_lo, exec_lo, s27
	s_delay_alu instid0(SALU_CYCLE_1) | instskip(SKIP_1) | instid1(SALU_CYCLE_1)
	s_and_not1_b32 s1, s1, exec_lo
	s_and_b32 s0, s0, exec_lo
	s_or_b32 s1, s1, s0
	s_or_b32 exec_lo, exec_lo, s74
	s_and_saveexec_b32 s74, s8
	s_cbranch_execz .LBB767_151
.LBB767_252:
	global_load_u8 v5, v[2:3], off offset:640
	s_waitcnt vmcnt(0)
	v_and_b32_e32 v5, 1, v5
	s_delay_alu instid0(VALU_DEP_1) | instskip(NEXT) | instid1(VALU_DEP_1)
	v_cmp_eq_u32_e64 s0, 1, v5
	s_xor_b32 s28, s0, -1
	s_mov_b32 s0, s1
	s_and_saveexec_b32 s27, s28
; %bb.253:
	v_cmp_gt_f32_e64 s0, v4, v51
	s_delay_alu instid0(VALU_DEP_1) | instskip(NEXT) | instid1(SALU_CYCLE_1)
	s_and_b32 s0, s1, s0
	v_cndmask_b32_e64 v4, v51, v4, s0
	s_or_b32 s0, s1, exec_lo
; %bb.254:
	s_or_b32 exec_lo, exec_lo, s27
	s_delay_alu instid0(SALU_CYCLE_1) | instskip(SKIP_1) | instid1(SALU_CYCLE_1)
	s_and_not1_b32 s1, s1, exec_lo
	s_and_b32 s0, s0, exec_lo
	s_or_b32 s1, s1, s0
	s_or_b32 exec_lo, exec_lo, s74
	s_and_saveexec_b32 s74, s7
	s_cbranch_execz .LBB767_152
.LBB767_255:
	global_load_u8 v5, v[2:3], off offset:672
	s_waitcnt vmcnt(0)
	v_and_b32_e32 v5, 1, v5
	s_delay_alu instid0(VALU_DEP_1) | instskip(NEXT) | instid1(VALU_DEP_1)
	v_cmp_eq_u32_e64 s0, 1, v5
	s_xor_b32 s28, s0, -1
	s_mov_b32 s0, s1
	s_and_saveexec_b32 s27, s28
; %bb.256:
	v_cmp_gt_f32_e64 s0, v4, v50
	s_delay_alu instid0(VALU_DEP_1) | instskip(NEXT) | instid1(SALU_CYCLE_1)
	s_and_b32 s0, s1, s0
	v_cndmask_b32_e64 v4, v50, v4, s0
	s_or_b32 s0, s1, exec_lo
; %bb.257:
	s_or_b32 exec_lo, exec_lo, s27
	s_delay_alu instid0(SALU_CYCLE_1) | instskip(SKIP_1) | instid1(SALU_CYCLE_1)
	s_and_not1_b32 s1, s1, exec_lo
	s_and_b32 s0, s0, exec_lo
	s_or_b32 s1, s1, s0
	s_or_b32 exec_lo, exec_lo, s74
	s_and_saveexec_b32 s74, s6
	s_cbranch_execz .LBB767_153
.LBB767_258:
	global_load_u8 v5, v[2:3], off offset:704
	s_waitcnt vmcnt(0)
	v_and_b32_e32 v5, 1, v5
	s_delay_alu instid0(VALU_DEP_1) | instskip(NEXT) | instid1(VALU_DEP_1)
	v_cmp_eq_u32_e64 s0, 1, v5
	s_xor_b32 s28, s0, -1
	s_mov_b32 s0, s1
	s_and_saveexec_b32 s27, s28
; %bb.259:
	v_cmp_gt_f32_e64 s0, v4, v49
	s_delay_alu instid0(VALU_DEP_1) | instskip(NEXT) | instid1(SALU_CYCLE_1)
	s_and_b32 s0, s1, s0
	v_cndmask_b32_e64 v4, v49, v4, s0
	s_or_b32 s0, s1, exec_lo
; %bb.260:
	s_or_b32 exec_lo, exec_lo, s27
	s_delay_alu instid0(SALU_CYCLE_1) | instskip(SKIP_1) | instid1(SALU_CYCLE_1)
	s_and_not1_b32 s1, s1, exec_lo
	s_and_b32 s0, s0, exec_lo
	s_or_b32 s1, s1, s0
	s_or_b32 exec_lo, exec_lo, s74
	s_and_saveexec_b32 s74, s5
	s_cbranch_execz .LBB767_154
.LBB767_261:
	global_load_u8 v5, v[2:3], off offset:736
	s_waitcnt vmcnt(0)
	v_and_b32_e32 v5, 1, v5
	s_delay_alu instid0(VALU_DEP_1) | instskip(NEXT) | instid1(VALU_DEP_1)
	v_cmp_eq_u32_e64 s0, 1, v5
	s_xor_b32 s28, s0, -1
	s_mov_b32 s0, s1
	s_and_saveexec_b32 s27, s28
; %bb.262:
	v_cmp_gt_f32_e64 s0, v4, v48
	s_delay_alu instid0(VALU_DEP_1) | instskip(NEXT) | instid1(SALU_CYCLE_1)
	s_and_b32 s0, s1, s0
	v_cndmask_b32_e64 v4, v48, v4, s0
	s_or_b32 s0, s1, exec_lo
; %bb.263:
	s_or_b32 exec_lo, exec_lo, s27
	s_delay_alu instid0(SALU_CYCLE_1) | instskip(SKIP_1) | instid1(SALU_CYCLE_1)
	s_and_not1_b32 s1, s1, exec_lo
	s_and_b32 s0, s0, exec_lo
	s_or_b32 s1, s1, s0
	s_or_b32 exec_lo, exec_lo, s74
	s_and_saveexec_b32 s74, s4
	s_cbranch_execz .LBB767_155
.LBB767_264:
	global_load_u8 v5, v[2:3], off offset:768
	s_waitcnt vmcnt(0)
	v_and_b32_e32 v5, 1, v5
	s_delay_alu instid0(VALU_DEP_1) | instskip(NEXT) | instid1(VALU_DEP_1)
	v_cmp_eq_u32_e64 s0, 1, v5
	s_xor_b32 s28, s0, -1
	s_mov_b32 s0, s1
	s_and_saveexec_b32 s27, s28
; %bb.265:
	v_cmp_gt_f32_e64 s0, v4, v47
	s_delay_alu instid0(VALU_DEP_1) | instskip(NEXT) | instid1(SALU_CYCLE_1)
	s_and_b32 s0, s1, s0
	v_cndmask_b32_e64 v4, v47, v4, s0
	s_or_b32 s0, s1, exec_lo
; %bb.266:
	s_or_b32 exec_lo, exec_lo, s27
	s_delay_alu instid0(SALU_CYCLE_1) | instskip(SKIP_1) | instid1(SALU_CYCLE_1)
	s_and_not1_b32 s1, s1, exec_lo
	s_and_b32 s0, s0, exec_lo
	s_or_b32 s1, s1, s0
	s_or_b32 exec_lo, exec_lo, s74
	s_and_saveexec_b32 s74, s3
	s_cbranch_execz .LBB767_156
.LBB767_267:
	global_load_u8 v5, v[2:3], off offset:800
	s_waitcnt vmcnt(0)
	v_and_b32_e32 v5, 1, v5
	s_delay_alu instid0(VALU_DEP_1) | instskip(NEXT) | instid1(VALU_DEP_1)
	v_cmp_eq_u32_e64 s0, 1, v5
	s_xor_b32 s28, s0, -1
	s_mov_b32 s0, s1
	s_and_saveexec_b32 s27, s28
; %bb.268:
	v_cmp_gt_f32_e64 s0, v4, v46
	s_delay_alu instid0(VALU_DEP_1) | instskip(NEXT) | instid1(SALU_CYCLE_1)
	s_and_b32 s0, s1, s0
	v_cndmask_b32_e64 v4, v46, v4, s0
	s_or_b32 s0, s1, exec_lo
; %bb.269:
	s_or_b32 exec_lo, exec_lo, s27
	s_delay_alu instid0(SALU_CYCLE_1) | instskip(SKIP_1) | instid1(SALU_CYCLE_1)
	s_and_not1_b32 s1, s1, exec_lo
	s_and_b32 s0, s0, exec_lo
	s_or_b32 s1, s1, s0
	s_or_b32 exec_lo, exec_lo, s74
	s_and_saveexec_b32 s74, s2
	s_cbranch_execz .LBB767_157
.LBB767_270:
	global_load_u8 v5, v[2:3], off offset:832
	s_waitcnt vmcnt(0)
	v_and_b32_e32 v5, 1, v5
	s_delay_alu instid0(VALU_DEP_1) | instskip(NEXT) | instid1(VALU_DEP_1)
	v_cmp_eq_u32_e64 s0, 1, v5
	s_xor_b32 s28, s0, -1
	s_mov_b32 s0, s1
	s_and_saveexec_b32 s27, s28
; %bb.271:
	v_cmp_gt_f32_e64 s0, v4, v45
	s_delay_alu instid0(VALU_DEP_1) | instskip(NEXT) | instid1(SALU_CYCLE_1)
	s_and_b32 s0, s1, s0
	v_cndmask_b32_e64 v4, v45, v4, s0
	s_or_b32 s0, s1, exec_lo
; %bb.272:
	s_or_b32 exec_lo, exec_lo, s27
	s_delay_alu instid0(SALU_CYCLE_1) | instskip(SKIP_1) | instid1(SALU_CYCLE_1)
	s_and_not1_b32 s1, s1, exec_lo
	s_and_b32 s0, s0, exec_lo
	s_or_b32 s1, s1, s0
	s_or_b32 exec_lo, exec_lo, s74
	s_and_saveexec_b32 s74, vcc_hi
	s_cbranch_execz .LBB767_158
.LBB767_273:
	global_load_u8 v5, v[2:3], off offset:864
	s_waitcnt vmcnt(0)
	v_and_b32_e32 v5, 1, v5
	s_delay_alu instid0(VALU_DEP_1) | instskip(NEXT) | instid1(VALU_DEP_1)
	v_cmp_eq_u32_e64 s0, 1, v5
	s_xor_b32 s28, s0, -1
	s_mov_b32 s0, s1
	s_and_saveexec_b32 s27, s28
; %bb.274:
	v_cmp_gt_f32_e64 s0, v4, v44
	s_delay_alu instid0(VALU_DEP_1) | instskip(NEXT) | instid1(SALU_CYCLE_1)
	s_and_b32 s0, s1, s0
	v_cndmask_b32_e64 v4, v44, v4, s0
	s_or_b32 s0, s1, exec_lo
; %bb.275:
	s_or_b32 exec_lo, exec_lo, s27
	s_delay_alu instid0(SALU_CYCLE_1) | instskip(SKIP_1) | instid1(SALU_CYCLE_1)
	s_and_not1_b32 s1, s1, exec_lo
	s_and_b32 s0, s0, exec_lo
	s_or_b32 s1, s1, s0
	s_or_b32 exec_lo, exec_lo, s74
	s_and_saveexec_b32 s74, s104
	s_cbranch_execz .LBB767_159
.LBB767_276:
	global_load_u8 v5, v[2:3], off offset:896
	s_waitcnt vmcnt(0)
	v_and_b32_e32 v5, 1, v5
	s_delay_alu instid0(VALU_DEP_1) | instskip(NEXT) | instid1(VALU_DEP_1)
	v_cmp_eq_u32_e64 s0, 1, v5
	s_xor_b32 s28, s0, -1
	s_mov_b32 s0, s1
	s_and_saveexec_b32 s27, s28
; %bb.277:
	v_cmp_gt_f32_e64 s0, v4, v43
	s_delay_alu instid0(VALU_DEP_1) | instskip(NEXT) | instid1(SALU_CYCLE_1)
	s_and_b32 s0, s1, s0
	v_cndmask_b32_e64 v4, v43, v4, s0
	s_or_b32 s0, s1, exec_lo
; %bb.278:
	s_or_b32 exec_lo, exec_lo, s27
	s_delay_alu instid0(SALU_CYCLE_1) | instskip(SKIP_1) | instid1(SALU_CYCLE_1)
	s_and_not1_b32 s1, s1, exec_lo
	s_and_b32 s0, s0, exec_lo
	s_or_b32 s1, s1, s0
	s_or_b32 exec_lo, exec_lo, s74
	s_and_saveexec_b32 s74, s103
	s_cbranch_execz .LBB767_160
.LBB767_279:
	global_load_u8 v5, v[2:3], off offset:928
	s_waitcnt vmcnt(0)
	v_and_b32_e32 v5, 1, v5
	s_delay_alu instid0(VALU_DEP_1) | instskip(NEXT) | instid1(VALU_DEP_1)
	v_cmp_eq_u32_e64 s0, 1, v5
	s_xor_b32 s28, s0, -1
	s_mov_b32 s0, s1
	s_and_saveexec_b32 s27, s28
; %bb.280:
	v_cmp_gt_f32_e64 s0, v4, v42
	s_delay_alu instid0(VALU_DEP_1) | instskip(NEXT) | instid1(SALU_CYCLE_1)
	s_and_b32 s0, s1, s0
	v_cndmask_b32_e64 v4, v42, v4, s0
	s_or_b32 s0, s1, exec_lo
; %bb.281:
	s_or_b32 exec_lo, exec_lo, s27
	s_delay_alu instid0(SALU_CYCLE_1) | instskip(SKIP_1) | instid1(SALU_CYCLE_1)
	s_and_not1_b32 s1, s1, exec_lo
	s_and_b32 s0, s0, exec_lo
	s_or_b32 s1, s1, s0
	s_or_b32 exec_lo, exec_lo, s74
	s_and_saveexec_b32 s74, s102
	s_cbranch_execz .LBB767_161
.LBB767_282:
	global_load_u8 v5, v[2:3], off offset:960
	s_waitcnt vmcnt(0)
	v_and_b32_e32 v5, 1, v5
	s_delay_alu instid0(VALU_DEP_1) | instskip(NEXT) | instid1(VALU_DEP_1)
	v_cmp_eq_u32_e64 s0, 1, v5
	s_xor_b32 s28, s0, -1
	s_mov_b32 s0, s1
	s_and_saveexec_b32 s27, s28
; %bb.283:
	v_cmp_gt_f32_e64 s0, v4, v41
	s_delay_alu instid0(VALU_DEP_1) | instskip(NEXT) | instid1(SALU_CYCLE_1)
	s_and_b32 s0, s1, s0
	v_cndmask_b32_e64 v4, v41, v4, s0
	s_or_b32 s0, s1, exec_lo
; %bb.284:
	s_or_b32 exec_lo, exec_lo, s27
	s_delay_alu instid0(SALU_CYCLE_1) | instskip(SKIP_1) | instid1(SALU_CYCLE_1)
	s_and_not1_b32 s1, s1, exec_lo
	s_and_b32 s0, s0, exec_lo
	s_or_b32 s1, s1, s0
	s_or_b32 exec_lo, exec_lo, s74
	s_and_saveexec_b32 s74, s101
	s_cbranch_execz .LBB767_162
.LBB767_285:
	global_load_u8 v5, v[2:3], off offset:992
	s_waitcnt vmcnt(0)
	v_and_b32_e32 v5, 1, v5
	s_delay_alu instid0(VALU_DEP_1) | instskip(NEXT) | instid1(VALU_DEP_1)
	v_cmp_eq_u32_e64 s0, 1, v5
	s_xor_b32 s28, s0, -1
	s_mov_b32 s0, s1
	s_and_saveexec_b32 s27, s28
; %bb.286:
	v_cmp_gt_f32_e64 s0, v4, v40
	s_delay_alu instid0(VALU_DEP_1) | instskip(NEXT) | instid1(SALU_CYCLE_1)
	s_and_b32 s0, s1, s0
	v_cndmask_b32_e64 v4, v40, v4, s0
	s_or_b32 s0, s1, exec_lo
; %bb.287:
	s_or_b32 exec_lo, exec_lo, s27
	s_delay_alu instid0(SALU_CYCLE_1) | instskip(SKIP_1) | instid1(SALU_CYCLE_1)
	s_and_not1_b32 s1, s1, exec_lo
	s_and_b32 s0, s0, exec_lo
	s_or_b32 s1, s1, s0
	s_or_b32 exec_lo, exec_lo, s74
	s_and_saveexec_b32 s74, s100
	s_cbranch_execz .LBB767_163
.LBB767_288:
	global_load_u8 v5, v[2:3], off offset:1024
	s_waitcnt vmcnt(0)
	v_and_b32_e32 v5, 1, v5
	s_delay_alu instid0(VALU_DEP_1) | instskip(NEXT) | instid1(VALU_DEP_1)
	v_cmp_eq_u32_e64 s0, 1, v5
	s_xor_b32 s28, s0, -1
	s_mov_b32 s0, s1
	s_and_saveexec_b32 s27, s28
; %bb.289:
	v_cmp_gt_f32_e64 s0, v4, v39
	s_delay_alu instid0(VALU_DEP_1) | instskip(NEXT) | instid1(SALU_CYCLE_1)
	s_and_b32 s0, s1, s0
	v_cndmask_b32_e64 v4, v39, v4, s0
	s_or_b32 s0, s1, exec_lo
; %bb.290:
	s_or_b32 exec_lo, exec_lo, s27
	s_delay_alu instid0(SALU_CYCLE_1) | instskip(SKIP_1) | instid1(SALU_CYCLE_1)
	s_and_not1_b32 s1, s1, exec_lo
	s_and_b32 s0, s0, exec_lo
	s_or_b32 s1, s1, s0
	s_or_b32 exec_lo, exec_lo, s74
	s_and_saveexec_b32 s74, s99
	s_cbranch_execz .LBB767_164
.LBB767_291:
	global_load_u8 v5, v[2:3], off offset:1056
	s_waitcnt vmcnt(0)
	v_and_b32_e32 v5, 1, v5
	s_delay_alu instid0(VALU_DEP_1) | instskip(NEXT) | instid1(VALU_DEP_1)
	v_cmp_eq_u32_e64 s0, 1, v5
	s_xor_b32 s28, s0, -1
	s_mov_b32 s0, s1
	s_and_saveexec_b32 s27, s28
; %bb.292:
	v_cmp_gt_f32_e64 s0, v4, v38
	s_delay_alu instid0(VALU_DEP_1) | instskip(NEXT) | instid1(SALU_CYCLE_1)
	s_and_b32 s0, s1, s0
	v_cndmask_b32_e64 v4, v38, v4, s0
	s_or_b32 s0, s1, exec_lo
; %bb.293:
	s_or_b32 exec_lo, exec_lo, s27
	s_delay_alu instid0(SALU_CYCLE_1) | instskip(SKIP_1) | instid1(SALU_CYCLE_1)
	s_and_not1_b32 s1, s1, exec_lo
	s_and_b32 s0, s0, exec_lo
	s_or_b32 s1, s1, s0
	s_or_b32 exec_lo, exec_lo, s74
	s_and_saveexec_b32 s74, s98
	s_cbranch_execz .LBB767_165
.LBB767_294:
	global_load_u8 v5, v[2:3], off offset:1088
	s_waitcnt vmcnt(0)
	v_and_b32_e32 v5, 1, v5
	s_delay_alu instid0(VALU_DEP_1) | instskip(NEXT) | instid1(VALU_DEP_1)
	v_cmp_eq_u32_e64 s0, 1, v5
	s_xor_b32 s28, s0, -1
	s_mov_b32 s0, s1
	s_and_saveexec_b32 s27, s28
; %bb.295:
	v_cmp_gt_f32_e64 s0, v4, v37
	s_delay_alu instid0(VALU_DEP_1) | instskip(NEXT) | instid1(SALU_CYCLE_1)
	s_and_b32 s0, s1, s0
	v_cndmask_b32_e64 v4, v37, v4, s0
	s_or_b32 s0, s1, exec_lo
; %bb.296:
	s_or_b32 exec_lo, exec_lo, s27
	s_delay_alu instid0(SALU_CYCLE_1) | instskip(SKIP_1) | instid1(SALU_CYCLE_1)
	s_and_not1_b32 s1, s1, exec_lo
	s_and_b32 s0, s0, exec_lo
	s_or_b32 s1, s1, s0
	s_or_b32 exec_lo, exec_lo, s74
	s_and_saveexec_b32 s74, s97
	s_cbranch_execz .LBB767_166
.LBB767_297:
	global_load_u8 v5, v[2:3], off offset:1120
	s_waitcnt vmcnt(0)
	v_and_b32_e32 v5, 1, v5
	s_delay_alu instid0(VALU_DEP_1) | instskip(NEXT) | instid1(VALU_DEP_1)
	v_cmp_eq_u32_e64 s0, 1, v5
	s_xor_b32 s28, s0, -1
	s_mov_b32 s0, s1
	s_and_saveexec_b32 s27, s28
; %bb.298:
	v_cmp_gt_f32_e64 s0, v4, v36
	s_delay_alu instid0(VALU_DEP_1) | instskip(NEXT) | instid1(SALU_CYCLE_1)
	s_and_b32 s0, s1, s0
	v_cndmask_b32_e64 v4, v36, v4, s0
	s_or_b32 s0, s1, exec_lo
; %bb.299:
	s_or_b32 exec_lo, exec_lo, s27
	s_delay_alu instid0(SALU_CYCLE_1) | instskip(SKIP_1) | instid1(SALU_CYCLE_1)
	s_and_not1_b32 s1, s1, exec_lo
	s_and_b32 s0, s0, exec_lo
	s_or_b32 s1, s1, s0
	s_or_b32 exec_lo, exec_lo, s74
	s_and_saveexec_b32 s74, s96
	s_cbranch_execz .LBB767_167
.LBB767_300:
	global_load_u8 v5, v[2:3], off offset:1152
	s_waitcnt vmcnt(0)
	v_and_b32_e32 v5, 1, v5
	s_delay_alu instid0(VALU_DEP_1) | instskip(NEXT) | instid1(VALU_DEP_1)
	v_cmp_eq_u32_e64 s0, 1, v5
	s_xor_b32 s28, s0, -1
	s_mov_b32 s0, s1
	s_and_saveexec_b32 s27, s28
; %bb.301:
	v_cmp_gt_f32_e64 s0, v4, v35
	s_delay_alu instid0(VALU_DEP_1) | instskip(NEXT) | instid1(SALU_CYCLE_1)
	s_and_b32 s0, s1, s0
	v_cndmask_b32_e64 v4, v35, v4, s0
	s_or_b32 s0, s1, exec_lo
; %bb.302:
	s_or_b32 exec_lo, exec_lo, s27
	s_delay_alu instid0(SALU_CYCLE_1) | instskip(SKIP_1) | instid1(SALU_CYCLE_1)
	s_and_not1_b32 s1, s1, exec_lo
	s_and_b32 s0, s0, exec_lo
	s_or_b32 s1, s1, s0
	s_or_b32 exec_lo, exec_lo, s74
	s_and_saveexec_b32 s74, s95
	s_cbranch_execz .LBB767_168
.LBB767_303:
	global_load_u8 v5, v[2:3], off offset:1184
	s_waitcnt vmcnt(0)
	v_and_b32_e32 v5, 1, v5
	s_delay_alu instid0(VALU_DEP_1) | instskip(NEXT) | instid1(VALU_DEP_1)
	v_cmp_eq_u32_e64 s0, 1, v5
	s_xor_b32 s28, s0, -1
	s_mov_b32 s0, s1
	s_and_saveexec_b32 s27, s28
; %bb.304:
	v_cmp_gt_f32_e64 s0, v4, v34
	s_delay_alu instid0(VALU_DEP_1) | instskip(NEXT) | instid1(SALU_CYCLE_1)
	s_and_b32 s0, s1, s0
	v_cndmask_b32_e64 v4, v34, v4, s0
	s_or_b32 s0, s1, exec_lo
; %bb.305:
	s_or_b32 exec_lo, exec_lo, s27
	s_delay_alu instid0(SALU_CYCLE_1) | instskip(SKIP_1) | instid1(SALU_CYCLE_1)
	s_and_not1_b32 s1, s1, exec_lo
	s_and_b32 s0, s0, exec_lo
	s_or_b32 s1, s1, s0
	s_or_b32 exec_lo, exec_lo, s74
	s_and_saveexec_b32 s74, s94
	s_cbranch_execz .LBB767_169
.LBB767_306:
	global_load_u8 v5, v[2:3], off offset:1216
	s_waitcnt vmcnt(0)
	v_and_b32_e32 v5, 1, v5
	s_delay_alu instid0(VALU_DEP_1) | instskip(NEXT) | instid1(VALU_DEP_1)
	v_cmp_eq_u32_e64 s0, 1, v5
	s_xor_b32 s28, s0, -1
	s_mov_b32 s0, s1
	s_and_saveexec_b32 s27, s28
; %bb.307:
	v_cmp_gt_f32_e64 s0, v4, v33
	s_delay_alu instid0(VALU_DEP_1) | instskip(NEXT) | instid1(SALU_CYCLE_1)
	s_and_b32 s0, s1, s0
	v_cndmask_b32_e64 v4, v33, v4, s0
	s_or_b32 s0, s1, exec_lo
; %bb.308:
	s_or_b32 exec_lo, exec_lo, s27
	s_delay_alu instid0(SALU_CYCLE_1) | instskip(SKIP_1) | instid1(SALU_CYCLE_1)
	s_and_not1_b32 s1, s1, exec_lo
	s_and_b32 s0, s0, exec_lo
	s_or_b32 s1, s1, s0
	s_or_b32 exec_lo, exec_lo, s74
	s_and_saveexec_b32 s74, s93
	s_cbranch_execz .LBB767_170
.LBB767_309:
	global_load_u8 v5, v[2:3], off offset:1248
	s_waitcnt vmcnt(0)
	v_and_b32_e32 v5, 1, v5
	s_delay_alu instid0(VALU_DEP_1) | instskip(NEXT) | instid1(VALU_DEP_1)
	v_cmp_eq_u32_e64 s0, 1, v5
	s_xor_b32 s28, s0, -1
	s_mov_b32 s0, s1
	s_and_saveexec_b32 s27, s28
; %bb.310:
	v_cmp_gt_f32_e64 s0, v4, v32
	s_delay_alu instid0(VALU_DEP_1) | instskip(NEXT) | instid1(SALU_CYCLE_1)
	s_and_b32 s0, s1, s0
	v_cndmask_b32_e64 v4, v32, v4, s0
	s_or_b32 s0, s1, exec_lo
; %bb.311:
	s_or_b32 exec_lo, exec_lo, s27
	s_delay_alu instid0(SALU_CYCLE_1) | instskip(SKIP_1) | instid1(SALU_CYCLE_1)
	s_and_not1_b32 s1, s1, exec_lo
	s_and_b32 s0, s0, exec_lo
	s_or_b32 s1, s1, s0
	s_or_b32 exec_lo, exec_lo, s74
	s_and_saveexec_b32 s74, s92
	s_cbranch_execz .LBB767_171
.LBB767_312:
	global_load_u8 v5, v[2:3], off offset:1280
	s_waitcnt vmcnt(0)
	v_and_b32_e32 v5, 1, v5
	s_delay_alu instid0(VALU_DEP_1) | instskip(NEXT) | instid1(VALU_DEP_1)
	v_cmp_eq_u32_e64 s0, 1, v5
	s_xor_b32 s28, s0, -1
	s_mov_b32 s0, s1
	s_and_saveexec_b32 s27, s28
; %bb.313:
	v_cmp_gt_f32_e64 s0, v4, v31
	s_delay_alu instid0(VALU_DEP_1) | instskip(NEXT) | instid1(SALU_CYCLE_1)
	s_and_b32 s0, s1, s0
	v_cndmask_b32_e64 v4, v31, v4, s0
	s_or_b32 s0, s1, exec_lo
; %bb.314:
	s_or_b32 exec_lo, exec_lo, s27
	s_delay_alu instid0(SALU_CYCLE_1) | instskip(SKIP_1) | instid1(SALU_CYCLE_1)
	s_and_not1_b32 s1, s1, exec_lo
	s_and_b32 s0, s0, exec_lo
	s_or_b32 s1, s1, s0
	s_or_b32 exec_lo, exec_lo, s74
	s_and_saveexec_b32 s74, s91
	s_cbranch_execz .LBB767_172
.LBB767_315:
	global_load_u8 v5, v[2:3], off offset:1312
	s_waitcnt vmcnt(0)
	v_and_b32_e32 v5, 1, v5
	s_delay_alu instid0(VALU_DEP_1) | instskip(NEXT) | instid1(VALU_DEP_1)
	v_cmp_eq_u32_e64 s0, 1, v5
	s_xor_b32 s28, s0, -1
	s_mov_b32 s0, s1
	s_and_saveexec_b32 s27, s28
; %bb.316:
	v_cmp_gt_f32_e64 s0, v4, v30
	s_delay_alu instid0(VALU_DEP_1) | instskip(NEXT) | instid1(SALU_CYCLE_1)
	s_and_b32 s0, s1, s0
	v_cndmask_b32_e64 v4, v30, v4, s0
	s_or_b32 s0, s1, exec_lo
; %bb.317:
	s_or_b32 exec_lo, exec_lo, s27
	s_delay_alu instid0(SALU_CYCLE_1) | instskip(SKIP_1) | instid1(SALU_CYCLE_1)
	s_and_not1_b32 s1, s1, exec_lo
	s_and_b32 s0, s0, exec_lo
	s_or_b32 s1, s1, s0
	s_or_b32 exec_lo, exec_lo, s74
	s_and_saveexec_b32 s74, s90
	s_cbranch_execz .LBB767_173
.LBB767_318:
	global_load_u8 v5, v[2:3], off offset:1344
	s_waitcnt vmcnt(0)
	v_and_b32_e32 v5, 1, v5
	s_delay_alu instid0(VALU_DEP_1) | instskip(NEXT) | instid1(VALU_DEP_1)
	v_cmp_eq_u32_e64 s0, 1, v5
	s_xor_b32 s28, s0, -1
	s_mov_b32 s0, s1
	s_and_saveexec_b32 s27, s28
; %bb.319:
	v_cmp_gt_f32_e64 s0, v4, v29
	s_delay_alu instid0(VALU_DEP_1) | instskip(NEXT) | instid1(SALU_CYCLE_1)
	s_and_b32 s0, s1, s0
	v_cndmask_b32_e64 v4, v29, v4, s0
	s_or_b32 s0, s1, exec_lo
; %bb.320:
	s_or_b32 exec_lo, exec_lo, s27
	s_delay_alu instid0(SALU_CYCLE_1) | instskip(SKIP_1) | instid1(SALU_CYCLE_1)
	s_and_not1_b32 s1, s1, exec_lo
	s_and_b32 s0, s0, exec_lo
	s_or_b32 s1, s1, s0
	s_or_b32 exec_lo, exec_lo, s74
	s_and_saveexec_b32 s74, s89
	s_cbranch_execz .LBB767_174
.LBB767_321:
	global_load_u8 v5, v[2:3], off offset:1376
	s_waitcnt vmcnt(0)
	v_and_b32_e32 v5, 1, v5
	s_delay_alu instid0(VALU_DEP_1) | instskip(NEXT) | instid1(VALU_DEP_1)
	v_cmp_eq_u32_e64 s0, 1, v5
	s_xor_b32 s28, s0, -1
	s_mov_b32 s0, s1
	s_and_saveexec_b32 s27, s28
; %bb.322:
	v_cmp_gt_f32_e64 s0, v4, v28
	s_delay_alu instid0(VALU_DEP_1) | instskip(NEXT) | instid1(SALU_CYCLE_1)
	s_and_b32 s0, s1, s0
	v_cndmask_b32_e64 v4, v28, v4, s0
	s_or_b32 s0, s1, exec_lo
; %bb.323:
	s_or_b32 exec_lo, exec_lo, s27
	s_delay_alu instid0(SALU_CYCLE_1) | instskip(SKIP_1) | instid1(SALU_CYCLE_1)
	s_and_not1_b32 s1, s1, exec_lo
	s_and_b32 s0, s0, exec_lo
	s_or_b32 s1, s1, s0
	s_or_b32 exec_lo, exec_lo, s74
	s_and_saveexec_b32 s74, s88
	s_cbranch_execz .LBB767_175
.LBB767_324:
	global_load_u8 v5, v[2:3], off offset:1408
	s_waitcnt vmcnt(0)
	v_and_b32_e32 v5, 1, v5
	s_delay_alu instid0(VALU_DEP_1) | instskip(NEXT) | instid1(VALU_DEP_1)
	v_cmp_eq_u32_e64 s0, 1, v5
	s_xor_b32 s28, s0, -1
	s_mov_b32 s0, s1
	s_and_saveexec_b32 s27, s28
; %bb.325:
	v_cmp_gt_f32_e64 s0, v4, v27
	s_delay_alu instid0(VALU_DEP_1) | instskip(NEXT) | instid1(SALU_CYCLE_1)
	s_and_b32 s0, s1, s0
	v_cndmask_b32_e64 v4, v27, v4, s0
	s_or_b32 s0, s1, exec_lo
; %bb.326:
	s_or_b32 exec_lo, exec_lo, s27
	s_delay_alu instid0(SALU_CYCLE_1) | instskip(SKIP_1) | instid1(SALU_CYCLE_1)
	s_and_not1_b32 s1, s1, exec_lo
	s_and_b32 s0, s0, exec_lo
	s_or_b32 s1, s1, s0
	s_or_b32 exec_lo, exec_lo, s74
	s_and_saveexec_b32 s74, s87
	s_cbranch_execz .LBB767_176
.LBB767_327:
	global_load_u8 v5, v[2:3], off offset:1440
	s_waitcnt vmcnt(0)
	v_and_b32_e32 v5, 1, v5
	s_delay_alu instid0(VALU_DEP_1) | instskip(NEXT) | instid1(VALU_DEP_1)
	v_cmp_eq_u32_e64 s0, 1, v5
	s_xor_b32 s28, s0, -1
	s_mov_b32 s0, s1
	s_and_saveexec_b32 s27, s28
; %bb.328:
	v_cmp_gt_f32_e64 s0, v4, v26
	s_delay_alu instid0(VALU_DEP_1) | instskip(NEXT) | instid1(SALU_CYCLE_1)
	s_and_b32 s0, s1, s0
	v_cndmask_b32_e64 v4, v26, v4, s0
	s_or_b32 s0, s1, exec_lo
; %bb.329:
	s_or_b32 exec_lo, exec_lo, s27
	s_delay_alu instid0(SALU_CYCLE_1) | instskip(SKIP_1) | instid1(SALU_CYCLE_1)
	s_and_not1_b32 s1, s1, exec_lo
	s_and_b32 s0, s0, exec_lo
	s_or_b32 s1, s1, s0
	s_or_b32 exec_lo, exec_lo, s74
	s_and_saveexec_b32 s74, s86
	s_cbranch_execz .LBB767_177
.LBB767_330:
	global_load_u8 v5, v[2:3], off offset:1472
	s_waitcnt vmcnt(0)
	v_and_b32_e32 v5, 1, v5
	s_delay_alu instid0(VALU_DEP_1) | instskip(NEXT) | instid1(VALU_DEP_1)
	v_cmp_eq_u32_e64 s0, 1, v5
	s_xor_b32 s28, s0, -1
	s_mov_b32 s0, s1
	s_and_saveexec_b32 s27, s28
; %bb.331:
	v_cmp_gt_f32_e64 s0, v4, v25
	s_delay_alu instid0(VALU_DEP_1) | instskip(NEXT) | instid1(SALU_CYCLE_1)
	s_and_b32 s0, s1, s0
	v_cndmask_b32_e64 v4, v25, v4, s0
	s_or_b32 s0, s1, exec_lo
; %bb.332:
	s_or_b32 exec_lo, exec_lo, s27
	s_delay_alu instid0(SALU_CYCLE_1) | instskip(SKIP_1) | instid1(SALU_CYCLE_1)
	s_and_not1_b32 s1, s1, exec_lo
	s_and_b32 s0, s0, exec_lo
	s_or_b32 s1, s1, s0
	s_or_b32 exec_lo, exec_lo, s74
	s_and_saveexec_b32 s74, s85
	s_cbranch_execz .LBB767_178
.LBB767_333:
	global_load_u8 v5, v[2:3], off offset:1504
	s_waitcnt vmcnt(0)
	v_and_b32_e32 v5, 1, v5
	s_delay_alu instid0(VALU_DEP_1) | instskip(NEXT) | instid1(VALU_DEP_1)
	v_cmp_eq_u32_e64 s0, 1, v5
	s_xor_b32 s28, s0, -1
	s_mov_b32 s0, s1
	s_and_saveexec_b32 s27, s28
; %bb.334:
	v_cmp_gt_f32_e64 s0, v4, v24
	s_delay_alu instid0(VALU_DEP_1) | instskip(NEXT) | instid1(SALU_CYCLE_1)
	s_and_b32 s0, s1, s0
	v_cndmask_b32_e64 v4, v24, v4, s0
	s_or_b32 s0, s1, exec_lo
; %bb.335:
	s_or_b32 exec_lo, exec_lo, s27
	s_delay_alu instid0(SALU_CYCLE_1) | instskip(SKIP_1) | instid1(SALU_CYCLE_1)
	s_and_not1_b32 s1, s1, exec_lo
	s_and_b32 s0, s0, exec_lo
	s_or_b32 s1, s1, s0
	s_or_b32 exec_lo, exec_lo, s74
	s_and_saveexec_b32 s74, s84
	s_cbranch_execz .LBB767_179
.LBB767_336:
	global_load_u8 v5, v[2:3], off offset:1536
	s_waitcnt vmcnt(0)
	v_and_b32_e32 v5, 1, v5
	s_delay_alu instid0(VALU_DEP_1) | instskip(NEXT) | instid1(VALU_DEP_1)
	v_cmp_eq_u32_e64 s0, 1, v5
	s_xor_b32 s28, s0, -1
	s_mov_b32 s0, s1
	s_and_saveexec_b32 s27, s28
; %bb.337:
	v_cmp_gt_f32_e64 s0, v4, v23
	s_delay_alu instid0(VALU_DEP_1) | instskip(NEXT) | instid1(SALU_CYCLE_1)
	s_and_b32 s0, s1, s0
	v_cndmask_b32_e64 v4, v23, v4, s0
	s_or_b32 s0, s1, exec_lo
; %bb.338:
	s_or_b32 exec_lo, exec_lo, s27
	s_delay_alu instid0(SALU_CYCLE_1) | instskip(SKIP_1) | instid1(SALU_CYCLE_1)
	s_and_not1_b32 s1, s1, exec_lo
	s_and_b32 s0, s0, exec_lo
	s_or_b32 s1, s1, s0
	s_or_b32 exec_lo, exec_lo, s74
	s_and_saveexec_b32 s74, s83
	s_cbranch_execz .LBB767_180
.LBB767_339:
	global_load_u8 v5, v[2:3], off offset:1568
	s_waitcnt vmcnt(0)
	v_and_b32_e32 v5, 1, v5
	s_delay_alu instid0(VALU_DEP_1) | instskip(NEXT) | instid1(VALU_DEP_1)
	v_cmp_eq_u32_e64 s0, 1, v5
	s_xor_b32 s28, s0, -1
	s_mov_b32 s0, s1
	s_and_saveexec_b32 s27, s28
; %bb.340:
	v_cmp_gt_f32_e64 s0, v4, v22
	s_delay_alu instid0(VALU_DEP_1) | instskip(NEXT) | instid1(SALU_CYCLE_1)
	s_and_b32 s0, s1, s0
	v_cndmask_b32_e64 v4, v22, v4, s0
	s_or_b32 s0, s1, exec_lo
; %bb.341:
	s_or_b32 exec_lo, exec_lo, s27
	s_delay_alu instid0(SALU_CYCLE_1) | instskip(SKIP_1) | instid1(SALU_CYCLE_1)
	s_and_not1_b32 s1, s1, exec_lo
	s_and_b32 s0, s0, exec_lo
	s_or_b32 s1, s1, s0
	s_or_b32 exec_lo, exec_lo, s74
	s_and_saveexec_b32 s74, s82
	s_cbranch_execz .LBB767_181
.LBB767_342:
	global_load_u8 v5, v[2:3], off offset:1600
	s_waitcnt vmcnt(0)
	v_and_b32_e32 v5, 1, v5
	s_delay_alu instid0(VALU_DEP_1) | instskip(NEXT) | instid1(VALU_DEP_1)
	v_cmp_eq_u32_e64 s0, 1, v5
	s_xor_b32 s28, s0, -1
	s_mov_b32 s0, s1
	s_and_saveexec_b32 s27, s28
; %bb.343:
	v_cmp_gt_f32_e64 s0, v4, v21
	s_delay_alu instid0(VALU_DEP_1) | instskip(NEXT) | instid1(SALU_CYCLE_1)
	s_and_b32 s0, s1, s0
	v_cndmask_b32_e64 v4, v21, v4, s0
	s_or_b32 s0, s1, exec_lo
; %bb.344:
	s_or_b32 exec_lo, exec_lo, s27
	s_delay_alu instid0(SALU_CYCLE_1) | instskip(SKIP_1) | instid1(SALU_CYCLE_1)
	s_and_not1_b32 s1, s1, exec_lo
	s_and_b32 s0, s0, exec_lo
	s_or_b32 s1, s1, s0
	s_or_b32 exec_lo, exec_lo, s74
	s_and_saveexec_b32 s74, s81
	s_cbranch_execz .LBB767_182
.LBB767_345:
	global_load_u8 v5, v[2:3], off offset:1632
	s_waitcnt vmcnt(0)
	v_and_b32_e32 v5, 1, v5
	s_delay_alu instid0(VALU_DEP_1) | instskip(NEXT) | instid1(VALU_DEP_1)
	v_cmp_eq_u32_e64 s0, 1, v5
	s_xor_b32 s28, s0, -1
	s_mov_b32 s0, s1
	s_and_saveexec_b32 s27, s28
; %bb.346:
	v_cmp_gt_f32_e64 s0, v4, v20
	s_delay_alu instid0(VALU_DEP_1) | instskip(NEXT) | instid1(SALU_CYCLE_1)
	s_and_b32 s0, s1, s0
	v_cndmask_b32_e64 v4, v20, v4, s0
	s_or_b32 s0, s1, exec_lo
; %bb.347:
	s_or_b32 exec_lo, exec_lo, s27
	s_delay_alu instid0(SALU_CYCLE_1) | instskip(SKIP_1) | instid1(SALU_CYCLE_1)
	s_and_not1_b32 s1, s1, exec_lo
	s_and_b32 s0, s0, exec_lo
	s_or_b32 s1, s1, s0
	s_or_b32 exec_lo, exec_lo, s74
	s_and_saveexec_b32 s74, s80
	s_cbranch_execz .LBB767_183
.LBB767_348:
	global_load_u8 v5, v[2:3], off offset:1664
	s_waitcnt vmcnt(0)
	v_and_b32_e32 v5, 1, v5
	s_delay_alu instid0(VALU_DEP_1) | instskip(NEXT) | instid1(VALU_DEP_1)
	v_cmp_eq_u32_e64 s0, 1, v5
	s_xor_b32 s28, s0, -1
	s_mov_b32 s0, s1
	s_and_saveexec_b32 s27, s28
; %bb.349:
	v_cmp_gt_f32_e64 s0, v4, v19
	s_delay_alu instid0(VALU_DEP_1) | instskip(NEXT) | instid1(SALU_CYCLE_1)
	s_and_b32 s0, s1, s0
	v_cndmask_b32_e64 v4, v19, v4, s0
	s_or_b32 s0, s1, exec_lo
; %bb.350:
	s_or_b32 exec_lo, exec_lo, s27
	s_delay_alu instid0(SALU_CYCLE_1) | instskip(SKIP_1) | instid1(SALU_CYCLE_1)
	s_and_not1_b32 s1, s1, exec_lo
	s_and_b32 s0, s0, exec_lo
	s_or_b32 s1, s1, s0
	s_or_b32 exec_lo, exec_lo, s74
	s_and_saveexec_b32 s74, s79
	s_cbranch_execz .LBB767_184
.LBB767_351:
	global_load_u8 v5, v[2:3], off offset:1696
	s_waitcnt vmcnt(0)
	v_and_b32_e32 v5, 1, v5
	s_delay_alu instid0(VALU_DEP_1) | instskip(NEXT) | instid1(VALU_DEP_1)
	v_cmp_eq_u32_e64 s0, 1, v5
	s_xor_b32 s28, s0, -1
	s_mov_b32 s0, s1
	s_and_saveexec_b32 s27, s28
; %bb.352:
	v_cmp_gt_f32_e64 s0, v4, v18
	s_delay_alu instid0(VALU_DEP_1) | instskip(NEXT) | instid1(SALU_CYCLE_1)
	s_and_b32 s0, s1, s0
	v_cndmask_b32_e64 v4, v18, v4, s0
	s_or_b32 s0, s1, exec_lo
; %bb.353:
	s_or_b32 exec_lo, exec_lo, s27
	s_delay_alu instid0(SALU_CYCLE_1) | instskip(SKIP_1) | instid1(SALU_CYCLE_1)
	s_and_not1_b32 s1, s1, exec_lo
	s_and_b32 s0, s0, exec_lo
	s_or_b32 s1, s1, s0
	s_or_b32 exec_lo, exec_lo, s74
	s_and_saveexec_b32 s74, s78
	s_cbranch_execz .LBB767_185
.LBB767_354:
	global_load_u8 v5, v[2:3], off offset:1728
	s_waitcnt vmcnt(0)
	v_and_b32_e32 v5, 1, v5
	s_delay_alu instid0(VALU_DEP_1) | instskip(NEXT) | instid1(VALU_DEP_1)
	v_cmp_eq_u32_e64 s0, 1, v5
	s_xor_b32 s28, s0, -1
	s_mov_b32 s0, s1
	s_and_saveexec_b32 s27, s28
; %bb.355:
	v_cmp_gt_f32_e64 s0, v4, v17
	s_delay_alu instid0(VALU_DEP_1) | instskip(NEXT) | instid1(SALU_CYCLE_1)
	s_and_b32 s0, s1, s0
	v_cndmask_b32_e64 v4, v17, v4, s0
	s_or_b32 s0, s1, exec_lo
; %bb.356:
	s_or_b32 exec_lo, exec_lo, s27
	s_delay_alu instid0(SALU_CYCLE_1) | instskip(SKIP_1) | instid1(SALU_CYCLE_1)
	s_and_not1_b32 s1, s1, exec_lo
	s_and_b32 s0, s0, exec_lo
	s_or_b32 s1, s1, s0
	s_or_b32 exec_lo, exec_lo, s74
	s_and_saveexec_b32 s74, s77
	s_cbranch_execz .LBB767_186
.LBB767_357:
	global_load_u8 v5, v[2:3], off offset:1760
	s_waitcnt vmcnt(0)
	v_and_b32_e32 v5, 1, v5
	s_delay_alu instid0(VALU_DEP_1) | instskip(NEXT) | instid1(VALU_DEP_1)
	v_cmp_eq_u32_e64 s0, 1, v5
	s_xor_b32 s28, s0, -1
	s_mov_b32 s0, s1
	s_and_saveexec_b32 s27, s28
; %bb.358:
	v_cmp_gt_f32_e64 s0, v4, v16
	s_delay_alu instid0(VALU_DEP_1) | instskip(NEXT) | instid1(SALU_CYCLE_1)
	s_and_b32 s0, s1, s0
	v_cndmask_b32_e64 v4, v16, v4, s0
	s_or_b32 s0, s1, exec_lo
; %bb.359:
	s_or_b32 exec_lo, exec_lo, s27
	s_delay_alu instid0(SALU_CYCLE_1) | instskip(SKIP_1) | instid1(SALU_CYCLE_1)
	s_and_not1_b32 s1, s1, exec_lo
	s_and_b32 s0, s0, exec_lo
	s_or_b32 s1, s1, s0
	s_or_b32 exec_lo, exec_lo, s74
	s_and_saveexec_b32 s74, s76
	s_cbranch_execz .LBB767_187
.LBB767_360:
	global_load_u8 v5, v[2:3], off offset:1792
	s_waitcnt vmcnt(0)
	v_and_b32_e32 v5, 1, v5
	s_delay_alu instid0(VALU_DEP_1) | instskip(NEXT) | instid1(VALU_DEP_1)
	v_cmp_eq_u32_e64 s0, 1, v5
	s_xor_b32 s28, s0, -1
	s_mov_b32 s0, s1
	s_and_saveexec_b32 s27, s28
; %bb.361:
	v_cmp_gt_f32_e64 s0, v4, v15
	s_delay_alu instid0(VALU_DEP_1) | instskip(NEXT) | instid1(SALU_CYCLE_1)
	s_and_b32 s0, s1, s0
	v_cndmask_b32_e64 v4, v15, v4, s0
	s_or_b32 s0, s1, exec_lo
; %bb.362:
	s_or_b32 exec_lo, exec_lo, s27
	s_delay_alu instid0(SALU_CYCLE_1) | instskip(SKIP_1) | instid1(SALU_CYCLE_1)
	s_and_not1_b32 s1, s1, exec_lo
	s_and_b32 s0, s0, exec_lo
	s_or_b32 s1, s1, s0
	s_or_b32 exec_lo, exec_lo, s74
	s_and_saveexec_b32 s74, s75
	s_cbranch_execz .LBB767_188
.LBB767_363:
	global_load_u8 v5, v[2:3], off offset:1824
	s_waitcnt vmcnt(0)
	v_and_b32_e32 v5, 1, v5
	s_delay_alu instid0(VALU_DEP_1) | instskip(NEXT) | instid1(VALU_DEP_1)
	v_cmp_eq_u32_e64 s0, 1, v5
	s_xor_b32 s28, s0, -1
	s_mov_b32 s0, s1
	s_and_saveexec_b32 s27, s28
; %bb.364:
	v_cmp_gt_f32_e64 s0, v4, v14
	s_delay_alu instid0(VALU_DEP_1) | instskip(NEXT) | instid1(SALU_CYCLE_1)
	s_and_b32 s0, s1, s0
	v_cndmask_b32_e64 v4, v14, v4, s0
	s_or_b32 s0, s1, exec_lo
; %bb.365:
	s_or_b32 exec_lo, exec_lo, s27
	s_delay_alu instid0(SALU_CYCLE_1) | instskip(SKIP_1) | instid1(SALU_CYCLE_1)
	s_and_not1_b32 s1, s1, exec_lo
	s_and_b32 s0, s0, exec_lo
	s_or_b32 s1, s1, s0
	s_or_b32 exec_lo, exec_lo, s74
	s_and_saveexec_b32 s74, s73
	s_cbranch_execz .LBB767_189
.LBB767_366:
	global_load_u8 v5, v[2:3], off offset:1856
	s_waitcnt vmcnt(0)
	v_and_b32_e32 v5, 1, v5
	s_delay_alu instid0(VALU_DEP_1) | instskip(NEXT) | instid1(VALU_DEP_1)
	v_cmp_eq_u32_e64 s0, 1, v5
	s_xor_b32 s28, s0, -1
	s_mov_b32 s0, s1
	s_and_saveexec_b32 s27, s28
; %bb.367:
	v_cmp_gt_f32_e64 s0, v4, v13
	s_delay_alu instid0(VALU_DEP_1) | instskip(NEXT) | instid1(SALU_CYCLE_1)
	s_and_b32 s0, s1, s0
	v_cndmask_b32_e64 v4, v13, v4, s0
	s_or_b32 s0, s1, exec_lo
; %bb.368:
	s_or_b32 exec_lo, exec_lo, s27
	s_delay_alu instid0(SALU_CYCLE_1) | instskip(SKIP_1) | instid1(SALU_CYCLE_1)
	s_and_not1_b32 s1, s1, exec_lo
	s_and_b32 s0, s0, exec_lo
	s_or_b32 s1, s1, s0
	s_or_b32 exec_lo, exec_lo, s74
	s_and_saveexec_b32 s74, s72
	s_cbranch_execz .LBB767_190
.LBB767_369:
	global_load_u8 v5, v[2:3], off offset:1888
	s_waitcnt vmcnt(0)
	v_and_b32_e32 v5, 1, v5
	s_delay_alu instid0(VALU_DEP_1) | instskip(NEXT) | instid1(VALU_DEP_1)
	v_cmp_eq_u32_e64 s0, 1, v5
	s_xor_b32 s28, s0, -1
	s_mov_b32 s0, s1
	s_and_saveexec_b32 s27, s28
; %bb.370:
	v_cmp_gt_f32_e64 s0, v4, v12
	s_delay_alu instid0(VALU_DEP_1) | instskip(NEXT) | instid1(SALU_CYCLE_1)
	s_and_b32 s0, s1, s0
	v_cndmask_b32_e64 v4, v12, v4, s0
	s_or_b32 s0, s1, exec_lo
; %bb.371:
	s_or_b32 exec_lo, exec_lo, s27
	s_delay_alu instid0(SALU_CYCLE_1) | instskip(SKIP_1) | instid1(SALU_CYCLE_1)
	s_and_not1_b32 s1, s1, exec_lo
	s_and_b32 s0, s0, exec_lo
	s_or_b32 s1, s1, s0
	s_or_b32 exec_lo, exec_lo, s74
	s_and_saveexec_b32 s74, s71
	s_cbranch_execz .LBB767_191
.LBB767_372:
	global_load_u8 v5, v[2:3], off offset:1920
	s_waitcnt vmcnt(0)
	v_and_b32_e32 v5, 1, v5
	s_delay_alu instid0(VALU_DEP_1) | instskip(NEXT) | instid1(VALU_DEP_1)
	v_cmp_eq_u32_e64 s0, 1, v5
	s_xor_b32 s28, s0, -1
	s_mov_b32 s0, s1
	s_and_saveexec_b32 s27, s28
; %bb.373:
	v_cmp_gt_f32_e64 s0, v4, v11
	s_delay_alu instid0(VALU_DEP_1) | instskip(NEXT) | instid1(SALU_CYCLE_1)
	s_and_b32 s0, s1, s0
	v_cndmask_b32_e64 v4, v11, v4, s0
	s_or_b32 s0, s1, exec_lo
; %bb.374:
	s_or_b32 exec_lo, exec_lo, s27
	s_delay_alu instid0(SALU_CYCLE_1) | instskip(SKIP_1) | instid1(SALU_CYCLE_1)
	s_and_not1_b32 s1, s1, exec_lo
	s_and_b32 s0, s0, exec_lo
	s_or_b32 s1, s1, s0
	s_or_b32 exec_lo, exec_lo, s74
	s_and_saveexec_b32 s74, s70
	s_cbranch_execz .LBB767_192
.LBB767_375:
	global_load_u8 v5, v[2:3], off offset:1952
	s_waitcnt vmcnt(0)
	v_and_b32_e32 v5, 1, v5
	s_delay_alu instid0(VALU_DEP_1) | instskip(NEXT) | instid1(VALU_DEP_1)
	v_cmp_eq_u32_e64 s0, 1, v5
	s_xor_b32 s28, s0, -1
	s_mov_b32 s0, s1
	s_and_saveexec_b32 s27, s28
; %bb.376:
	v_cmp_gt_f32_e64 s0, v4, v10
	s_delay_alu instid0(VALU_DEP_1) | instskip(NEXT) | instid1(SALU_CYCLE_1)
	s_and_b32 s0, s1, s0
	v_cndmask_b32_e64 v4, v10, v4, s0
	s_or_b32 s0, s1, exec_lo
; %bb.377:
	s_or_b32 exec_lo, exec_lo, s27
	s_delay_alu instid0(SALU_CYCLE_1) | instskip(SKIP_1) | instid1(SALU_CYCLE_1)
	s_and_not1_b32 s1, s1, exec_lo
	s_and_b32 s0, s0, exec_lo
	s_or_b32 s1, s1, s0
	s_or_b32 exec_lo, exec_lo, s74
	s_and_saveexec_b32 s74, s67
	s_cbranch_execz .LBB767_193
.LBB767_378:
	global_load_u8 v5, v[2:3], off offset:1984
	s_waitcnt vmcnt(0)
	v_and_b32_e32 v5, 1, v5
	s_delay_alu instid0(VALU_DEP_1) | instskip(NEXT) | instid1(VALU_DEP_1)
	v_cmp_eq_u32_e64 s0, 1, v5
	s_xor_b32 s28, s0, -1
	s_mov_b32 s0, s1
	s_and_saveexec_b32 s27, s28
; %bb.379:
	v_cmp_gt_f32_e64 s0, v4, v9
	s_delay_alu instid0(VALU_DEP_1) | instskip(NEXT) | instid1(SALU_CYCLE_1)
	s_and_b32 s0, s1, s0
	v_cndmask_b32_e64 v4, v9, v4, s0
	s_or_b32 s0, s1, exec_lo
; %bb.380:
	s_or_b32 exec_lo, exec_lo, s27
	s_delay_alu instid0(SALU_CYCLE_1) | instskip(SKIP_1) | instid1(SALU_CYCLE_1)
	s_and_not1_b32 s1, s1, exec_lo
	s_and_b32 s0, s0, exec_lo
	s_or_b32 s1, s1, s0
	s_or_b32 exec_lo, exec_lo, s74
	s_and_saveexec_b32 s74, s66
	s_cbranch_execz .LBB767_384
.LBB767_381:
	global_load_u8 v5, v[2:3], off offset:2016
	s_waitcnt vmcnt(0)
	v_and_b32_e32 v5, 1, v5
	s_delay_alu instid0(VALU_DEP_1) | instskip(NEXT) | instid1(VALU_DEP_1)
	v_cmp_eq_u32_e64 s0, 1, v5
	s_xor_b32 s28, s0, -1
	s_mov_b32 s0, s1
	s_and_saveexec_b32 s27, s28
; %bb.382:
	v_cmp_gt_f32_e64 s0, v4, v8
	s_delay_alu instid0(VALU_DEP_1) | instskip(NEXT) | instid1(SALU_CYCLE_1)
	s_and_b32 s0, s1, s0
	v_cndmask_b32_e64 v4, v8, v4, s0
	s_or_b32 s0, s1, exec_lo
; %bb.383:
	s_or_b32 exec_lo, exec_lo, s27
	s_delay_alu instid0(SALU_CYCLE_1) | instskip(SKIP_1) | instid1(SALU_CYCLE_1)
	s_and_not1_b32 s1, s1, exec_lo
	s_and_b32 s0, s0, exec_lo
	s_or_b32 s1, s1, s0
.LBB767_384:
	s_or_b32 exec_lo, exec_lo, s74
	v_mbcnt_lo_u32_b32 v5, -1, 0
	v_cndmask_b32_e64 v4, 0xff800000, v4, s1
	s_delay_alu instid0(VALU_DEP_2) | instskip(SKIP_2) | instid1(VALU_DEP_3)
	v_xor_b32_e32 v6, 16, v5
	v_xor_b32_e32 v72, 8, v5
	;; [unrolled: 1-line block ×3, first 2 shown]
	v_cmp_gt_i32_e64 s0, 32, v6
	s_delay_alu instid0(VALU_DEP_1) | instskip(NEXT) | instid1(VALU_DEP_4)
	v_cndmask_b32_e64 v6, v5, v6, s0
	v_cmp_gt_i32_e64 s0, 32, v72
	s_delay_alu instid0(VALU_DEP_2) | instskip(NEXT) | instid1(VALU_DEP_2)
	v_lshlrev_b32_e32 v6, 2, v6
	v_cndmask_b32_e64 v72, v5, v72, s0
	ds_bpermute_b32 v73, v6, v4
	v_lshlrev_b32_e32 v72, 2, v72
	s_waitcnt lgkmcnt(0)
	v_cmp_lt_f32_e64 s0, v4, v73
	s_delay_alu instid0(VALU_DEP_1) | instskip(SKIP_3) | instid1(VALU_DEP_1)
	v_cndmask_b32_e64 v4, v4, v73, s0
	v_xor_b32_e32 v73, 4, v5
	ds_bpermute_b32 v74, v72, v4
	v_cmp_gt_i32_e64 s0, 32, v73
	v_cndmask_b32_e64 v73, v5, v73, s0
	s_delay_alu instid0(VALU_DEP_1) | instskip(SKIP_2) | instid1(VALU_DEP_1)
	v_lshlrev_b32_e32 v73, 2, v73
	s_waitcnt lgkmcnt(0)
	v_cmp_lt_f32_e64 s0, v4, v74
	v_cndmask_b32_e64 v4, v4, v74, s0
	v_xor_b32_e32 v74, 2, v5
	ds_bpermute_b32 v75, v73, v4
	v_cmp_gt_i32_e64 s0, 32, v74
	s_delay_alu instid0(VALU_DEP_1) | instskip(NEXT) | instid1(VALU_DEP_1)
	v_cndmask_b32_e64 v74, v5, v74, s0
	v_lshlrev_b32_e32 v74, 2, v74
	s_waitcnt lgkmcnt(0)
	v_cmp_lt_f32_e64 s0, v4, v75
	s_delay_alu instid0(VALU_DEP_1) | instskip(SKIP_3) | instid1(VALU_DEP_1)
	v_cndmask_b32_e64 v4, v4, v75, s0
	v_cmp_gt_i32_e64 s0, 32, v76
	ds_bpermute_b32 v75, v74, v4
	v_cndmask_b32_e64 v5, v5, v76, s0
	v_lshlrev_b32_e32 v76, 2, v5
	s_waitcnt lgkmcnt(0)
	v_cmp_lt_f32_e64 s0, v4, v75
	s_delay_alu instid0(VALU_DEP_1) | instskip(SKIP_4) | instid1(VALU_DEP_1)
	v_cndmask_b32_e64 v5, v4, v75, s0
	v_mov_b32_e32 v4, 0
	ds_bpermute_b32 v75, v76, v5
	s_waitcnt lgkmcnt(0)
	v_cmp_lt_f32_e64 s0, v5, v75
	v_cndmask_b32_e64 v77, v5, v75, s0
	v_mov_b32_e32 v75, 0
	s_and_saveexec_b32 s1, s26
	s_cbranch_execz .LBB767_388
; %bb.385:
	global_load_u8 v5, v[2:3], off
	v_mov_b32_e32 v75, 0
	s_waitcnt vmcnt(0)
	v_and_b32_e32 v5, 1, v5
	s_delay_alu instid0(VALU_DEP_1) | instskip(NEXT) | instid1(VALU_DEP_1)
	v_cmp_eq_u32_e64 s0, 1, v5
	s_xor_b32 s0, s0, -1
	s_delay_alu instid0(SALU_CYCLE_1)
	s_and_saveexec_b32 s26, s0
	s_cbranch_execz .LBB767_387
; %bb.386:
	v_sub_f32_e32 v5, v71, v77
	s_delay_alu instid0(VALU_DEP_1) | instskip(SKIP_1) | instid1(VALU_DEP_2)
	v_mul_f32_e32 v71, 0x3fb8aa3b, v5
	v_cmp_ngt_f32_e64 s0, 0xc2ce8ed0, v5
	v_fma_f32 v75, 0x3fb8aa3b, v5, -v71
	v_rndne_f32_e32 v78, v71
	s_delay_alu instid0(VALU_DEP_2) | instskip(NEXT) | instid1(VALU_DEP_2)
	v_fmamk_f32 v75, v5, 0x32a5705f, v75
	v_sub_f32_e32 v71, v71, v78
	s_delay_alu instid0(VALU_DEP_1) | instskip(SKIP_1) | instid1(VALU_DEP_2)
	v_add_f32_e32 v71, v71, v75
	v_cvt_i32_f32_e32 v75, v78
	v_exp_f32_e32 v71, v71
	s_waitcnt_depctr 0xfff
	v_ldexp_f32 v71, v71, v75
	s_delay_alu instid0(VALU_DEP_1) | instskip(SKIP_1) | instid1(VALU_DEP_1)
	v_cndmask_b32_e64 v71, 0, v71, s0
	v_cmp_nlt_f32_e64 s0, 0x42b17218, v5
	v_cndmask_b32_e64 v75, 0x7f800000, v71, s0
.LBB767_387:
	s_or_b32 exec_lo, exec_lo, s26
.LBB767_388:
	s_delay_alu instid0(SALU_CYCLE_1) | instskip(NEXT) | instid1(VALU_DEP_1)
	s_or_b32 exec_lo, exec_lo, s1
	v_mov_b32_e32 v71, v75
	s_and_saveexec_b32 s1, s25
	s_cbranch_execz .LBB767_392
; %bb.389:
	global_load_u8 v4, v[2:3], off offset:32
	s_waitcnt vmcnt(0)
	v_dual_mov_b32 v71, v75 :: v_dual_and_b32 v4, 1, v4
	s_delay_alu instid0(VALU_DEP_1) | instskip(SKIP_1) | instid1(VALU_DEP_2)
	v_cmp_eq_u32_e64 s0, 1, v4
	v_mov_b32_e32 v4, 0
	s_xor_b32 s0, s0, -1
	s_delay_alu instid0(SALU_CYCLE_1)
	s_and_saveexec_b32 s25, s0
	s_cbranch_execz .LBB767_391
; %bb.390:
	v_sub_f32_e32 v4, v70, v77
	s_delay_alu instid0(VALU_DEP_1) | instskip(NEXT) | instid1(VALU_DEP_1)
	v_mul_f32_e32 v5, 0x3fb8aa3b, v4
	v_fma_f32 v70, 0x3fb8aa3b, v4, -v5
	v_rndne_f32_e32 v71, v5
	s_delay_alu instid0(VALU_DEP_1) | instskip(SKIP_1) | instid1(VALU_DEP_2)
	v_dual_sub_f32 v5, v5, v71 :: v_dual_fmamk_f32 v70, v4, 0x32a5705f, v70
	v_cmp_ngt_f32_e64 s0, 0xc2ce8ed0, v4
	v_add_f32_e32 v5, v5, v70
	v_cvt_i32_f32_e32 v70, v71
	s_delay_alu instid0(VALU_DEP_2) | instskip(SKIP_2) | instid1(VALU_DEP_1)
	v_exp_f32_e32 v5, v5
	s_waitcnt_depctr 0xfff
	v_ldexp_f32 v5, v5, v70
	v_cndmask_b32_e64 v5, 0, v5, s0
	v_cmp_nlt_f32_e64 s0, 0x42b17218, v4
	s_delay_alu instid0(VALU_DEP_1) | instskip(NEXT) | instid1(VALU_DEP_1)
	v_cndmask_b32_e64 v4, 0x7f800000, v5, s0
	v_add_f32_e32 v71, v75, v4
.LBB767_391:
	s_or_b32 exec_lo, exec_lo, s25
.LBB767_392:
	s_delay_alu instid0(SALU_CYCLE_1)
	s_or_b32 exec_lo, exec_lo, s1
	v_dual_mov_b32 v5, 0 :: v_dual_mov_b32 v70, 0
	s_and_saveexec_b32 s1, s24
	s_cbranch_execz .LBB767_396
; %bb.393:
	global_load_u8 v70, v[2:3], off offset:64
	s_waitcnt vmcnt(0)
	v_and_b32_e32 v70, 1, v70
	s_delay_alu instid0(VALU_DEP_1) | instskip(SKIP_1) | instid1(VALU_DEP_2)
	v_cmp_eq_u32_e64 s0, 1, v70
	v_mov_b32_e32 v70, 0
	s_xor_b32 s0, s0, -1
	s_delay_alu instid0(SALU_CYCLE_1)
	s_and_saveexec_b32 s24, s0
	s_cbranch_execz .LBB767_395
; %bb.394:
	v_sub_f32_e32 v69, v69, v77
	s_delay_alu instid0(VALU_DEP_1) | instskip(NEXT) | instid1(VALU_DEP_1)
	v_mul_f32_e32 v70, 0x3fb8aa3b, v69
	v_fma_f32 v78, 0x3fb8aa3b, v69, -v70
	v_rndne_f32_e32 v79, v70
	s_delay_alu instid0(VALU_DEP_1) | instskip(NEXT) | instid1(VALU_DEP_3)
	v_sub_f32_e32 v70, v70, v79
	v_fmamk_f32 v78, v69, 0x32a5705f, v78
	v_cmp_ngt_f32_e64 s0, 0xc2ce8ed0, v69
	s_delay_alu instid0(VALU_DEP_2) | instskip(SKIP_1) | instid1(VALU_DEP_2)
	v_add_f32_e32 v70, v70, v78
	v_cvt_i32_f32_e32 v78, v79
	v_exp_f32_e32 v70, v70
	s_waitcnt_depctr 0xfff
	v_ldexp_f32 v70, v70, v78
	s_delay_alu instid0(VALU_DEP_1) | instskip(SKIP_1) | instid1(VALU_DEP_1)
	v_cndmask_b32_e64 v70, 0, v70, s0
	v_cmp_nlt_f32_e64 s0, 0x42b17218, v69
	v_cndmask_b32_e64 v70, 0x7f800000, v70, s0
	s_delay_alu instid0(VALU_DEP_1)
	v_add_f32_e32 v71, v71, v70
.LBB767_395:
	s_or_b32 exec_lo, exec_lo, s24
.LBB767_396:
	s_delay_alu instid0(SALU_CYCLE_1)
	s_or_b32 exec_lo, exec_lo, s1
	s_and_saveexec_b32 s1, s23
	s_cbranch_execz .LBB767_400
; %bb.397:
	global_load_u8 v5, v[2:3], off offset:96
	s_waitcnt vmcnt(0)
	v_and_b32_e32 v5, 1, v5
	s_delay_alu instid0(VALU_DEP_1) | instskip(SKIP_1) | instid1(VALU_DEP_2)
	v_cmp_eq_u32_e64 s0, 1, v5
	v_mov_b32_e32 v5, 0
	s_xor_b32 s0, s0, -1
	s_delay_alu instid0(SALU_CYCLE_1)
	s_and_saveexec_b32 s23, s0
	s_cbranch_execz .LBB767_399
; %bb.398:
	v_sub_f32_e32 v5, v68, v77
	s_delay_alu instid0(VALU_DEP_1) | instskip(SKIP_1) | instid1(VALU_DEP_2)
	v_mul_f32_e32 v68, 0x3fb8aa3b, v5
	v_cmp_ngt_f32_e64 s0, 0xc2ce8ed0, v5
	v_fma_f32 v69, 0x3fb8aa3b, v5, -v68
	v_rndne_f32_e32 v78, v68
	s_delay_alu instid0(VALU_DEP_1) | instskip(NEXT) | instid1(VALU_DEP_1)
	v_dual_fmamk_f32 v69, v5, 0x32a5705f, v69 :: v_dual_sub_f32 v68, v68, v78
	v_add_f32_e32 v68, v68, v69
	v_cvt_i32_f32_e32 v69, v78
	s_delay_alu instid0(VALU_DEP_2) | instskip(SKIP_2) | instid1(VALU_DEP_1)
	v_exp_f32_e32 v68, v68
	s_waitcnt_depctr 0xfff
	v_ldexp_f32 v68, v68, v69
	v_cndmask_b32_e64 v68, 0, v68, s0
	v_cmp_nlt_f32_e64 s0, 0x42b17218, v5
	s_delay_alu instid0(VALU_DEP_1) | instskip(NEXT) | instid1(VALU_DEP_1)
	v_cndmask_b32_e64 v5, 0x7f800000, v68, s0
	v_add_f32_e32 v71, v71, v5
.LBB767_399:
	s_or_b32 exec_lo, exec_lo, s23
.LBB767_400:
	s_delay_alu instid0(SALU_CYCLE_1)
	s_or_b32 exec_lo, exec_lo, s1
	v_dual_mov_b32 v68, 0 :: v_dual_mov_b32 v69, 0
	s_and_saveexec_b32 s1, s22
	s_cbranch_execz .LBB767_404
; %bb.401:
	global_load_u8 v69, v[2:3], off offset:128
	s_waitcnt vmcnt(0)
	v_and_b32_e32 v69, 1, v69
	s_delay_alu instid0(VALU_DEP_1) | instskip(SKIP_1) | instid1(VALU_DEP_2)
	v_cmp_eq_u32_e64 s0, 1, v69
	v_mov_b32_e32 v69, 0
	s_xor_b32 s0, s0, -1
	s_delay_alu instid0(SALU_CYCLE_1)
	s_and_saveexec_b32 s22, s0
	s_cbranch_execz .LBB767_403
; %bb.402:
	v_sub_f32_e32 v67, v67, v77
	s_delay_alu instid0(VALU_DEP_1) | instskip(SKIP_1) | instid1(VALU_DEP_2)
	v_mul_f32_e32 v69, 0x3fb8aa3b, v67
	v_cmp_ngt_f32_e64 s0, 0xc2ce8ed0, v67
	v_fma_f32 v78, 0x3fb8aa3b, v67, -v69
	v_rndne_f32_e32 v79, v69
	s_delay_alu instid0(VALU_DEP_1) | instskip(NEXT) | instid1(VALU_DEP_1)
	v_dual_fmamk_f32 v78, v67, 0x32a5705f, v78 :: v_dual_sub_f32 v69, v69, v79
	v_add_f32_e32 v69, v69, v78
	v_cvt_i32_f32_e32 v78, v79
	s_delay_alu instid0(VALU_DEP_2) | instskip(SKIP_2) | instid1(VALU_DEP_1)
	v_exp_f32_e32 v69, v69
	s_waitcnt_depctr 0xfff
	v_ldexp_f32 v69, v69, v78
	v_cndmask_b32_e64 v69, 0, v69, s0
	v_cmp_nlt_f32_e64 s0, 0x42b17218, v67
	s_delay_alu instid0(VALU_DEP_1) | instskip(NEXT) | instid1(VALU_DEP_1)
	v_cndmask_b32_e64 v69, 0x7f800000, v69, s0
	v_add_f32_e32 v71, v71, v69
.LBB767_403:
	s_or_b32 exec_lo, exec_lo, s22
.LBB767_404:
	s_delay_alu instid0(SALU_CYCLE_1)
	s_or_b32 exec_lo, exec_lo, s1
	s_and_saveexec_b32 s1, s21
	s_cbranch_execz .LBB767_408
; %bb.405:
	global_load_u8 v67, v[2:3], off offset:160
	s_waitcnt vmcnt(0)
	v_dual_mov_b32 v68, 0 :: v_dual_and_b32 v67, 1, v67
	s_delay_alu instid0(VALU_DEP_1) | instskip(NEXT) | instid1(VALU_DEP_1)
	v_cmp_eq_u32_e64 s0, 1, v67
	s_xor_b32 s0, s0, -1
	s_delay_alu instid0(SALU_CYCLE_1)
	s_and_saveexec_b32 s21, s0
	s_cbranch_execz .LBB767_407
; %bb.406:
	v_sub_f32_e32 v66, v66, v77
	s_delay_alu instid0(VALU_DEP_1) | instskip(NEXT) | instid1(VALU_DEP_1)
	v_mul_f32_e32 v67, 0x3fb8aa3b, v66
	v_fma_f32 v68, 0x3fb8aa3b, v66, -v67
	v_rndne_f32_e32 v78, v67
	s_delay_alu instid0(VALU_DEP_1) | instskip(SKIP_1) | instid1(VALU_DEP_2)
	v_dual_sub_f32 v67, v67, v78 :: v_dual_fmamk_f32 v68, v66, 0x32a5705f, v68
	v_cmp_ngt_f32_e64 s0, 0xc2ce8ed0, v66
	v_add_f32_e32 v67, v67, v68
	v_cvt_i32_f32_e32 v68, v78
	s_delay_alu instid0(VALU_DEP_2) | instskip(SKIP_2) | instid1(VALU_DEP_1)
	v_exp_f32_e32 v67, v67
	s_waitcnt_depctr 0xfff
	v_ldexp_f32 v67, v67, v68
	v_cndmask_b32_e64 v67, 0, v67, s0
	v_cmp_nlt_f32_e64 s0, 0x42b17218, v66
	s_delay_alu instid0(VALU_DEP_1) | instskip(NEXT) | instid1(VALU_DEP_1)
	v_cndmask_b32_e64 v68, 0x7f800000, v67, s0
	v_add_f32_e32 v71, v71, v68
.LBB767_407:
	s_or_b32 exec_lo, exec_lo, s21
.LBB767_408:
	s_delay_alu instid0(SALU_CYCLE_1)
	s_or_b32 exec_lo, exec_lo, s1
	v_dual_mov_b32 v66, 0 :: v_dual_mov_b32 v67, 0
	s_and_saveexec_b32 s1, s20
	s_cbranch_execz .LBB767_412
; %bb.409:
	global_load_u8 v67, v[2:3], off offset:192
	s_waitcnt vmcnt(0)
	v_and_b32_e32 v67, 1, v67
	s_delay_alu instid0(VALU_DEP_1) | instskip(SKIP_1) | instid1(VALU_DEP_2)
	v_cmp_eq_u32_e64 s0, 1, v67
	v_mov_b32_e32 v67, 0
	s_xor_b32 s0, s0, -1
	s_delay_alu instid0(SALU_CYCLE_1)
	s_and_saveexec_b32 s20, s0
	s_cbranch_execz .LBB767_411
; %bb.410:
	v_sub_f32_e32 v65, v65, v77
	s_delay_alu instid0(VALU_DEP_1) | instskip(SKIP_1) | instid1(VALU_DEP_2)
	v_mul_f32_e32 v67, 0x3fb8aa3b, v65
	v_cmp_ngt_f32_e64 s0, 0xc2ce8ed0, v65
	v_fma_f32 v78, 0x3fb8aa3b, v65, -v67
	v_rndne_f32_e32 v79, v67
	s_delay_alu instid0(VALU_DEP_1) | instskip(NEXT) | instid1(VALU_DEP_1)
	v_dual_fmamk_f32 v78, v65, 0x32a5705f, v78 :: v_dual_sub_f32 v67, v67, v79
	v_add_f32_e32 v67, v67, v78
	v_cvt_i32_f32_e32 v78, v79
	s_delay_alu instid0(VALU_DEP_2) | instskip(SKIP_2) | instid1(VALU_DEP_1)
	v_exp_f32_e32 v67, v67
	s_waitcnt_depctr 0xfff
	v_ldexp_f32 v67, v67, v78
	v_cndmask_b32_e64 v67, 0, v67, s0
	v_cmp_nlt_f32_e64 s0, 0x42b17218, v65
	s_delay_alu instid0(VALU_DEP_1) | instskip(NEXT) | instid1(VALU_DEP_1)
	v_cndmask_b32_e64 v67, 0x7f800000, v67, s0
	v_add_f32_e32 v71, v71, v67
.LBB767_411:
	s_or_b32 exec_lo, exec_lo, s20
.LBB767_412:
	s_delay_alu instid0(SALU_CYCLE_1)
	s_or_b32 exec_lo, exec_lo, s1
	s_and_saveexec_b32 s1, s19
	s_cbranch_execz .LBB767_416
; %bb.413:
	global_load_u8 v65, v[2:3], off offset:224
	s_waitcnt vmcnt(0)
	v_dual_mov_b32 v66, 0 :: v_dual_and_b32 v65, 1, v65
	s_delay_alu instid0(VALU_DEP_1) | instskip(NEXT) | instid1(VALU_DEP_1)
	v_cmp_eq_u32_e64 s0, 1, v65
	s_xor_b32 s0, s0, -1
	s_delay_alu instid0(SALU_CYCLE_1)
	s_and_saveexec_b32 s19, s0
	s_cbranch_execz .LBB767_415
; %bb.414:
	v_sub_f32_e32 v64, v64, v77
	s_delay_alu instid0(VALU_DEP_1) | instskip(NEXT) | instid1(VALU_DEP_1)
	v_mul_f32_e32 v65, 0x3fb8aa3b, v64
	v_fma_f32 v66, 0x3fb8aa3b, v64, -v65
	v_rndne_f32_e32 v78, v65
	s_delay_alu instid0(VALU_DEP_1) | instskip(SKIP_1) | instid1(VALU_DEP_2)
	v_dual_sub_f32 v65, v65, v78 :: v_dual_fmamk_f32 v66, v64, 0x32a5705f, v66
	v_cmp_ngt_f32_e64 s0, 0xc2ce8ed0, v64
	v_add_f32_e32 v65, v65, v66
	v_cvt_i32_f32_e32 v66, v78
	s_delay_alu instid0(VALU_DEP_2) | instskip(SKIP_2) | instid1(VALU_DEP_1)
	v_exp_f32_e32 v65, v65
	s_waitcnt_depctr 0xfff
	v_ldexp_f32 v65, v65, v66
	v_cndmask_b32_e64 v65, 0, v65, s0
	v_cmp_nlt_f32_e64 s0, 0x42b17218, v64
	s_delay_alu instid0(VALU_DEP_1) | instskip(NEXT) | instid1(VALU_DEP_1)
	v_cndmask_b32_e64 v66, 0x7f800000, v65, s0
	v_add_f32_e32 v71, v71, v66
.LBB767_415:
	s_or_b32 exec_lo, exec_lo, s19
.LBB767_416:
	s_delay_alu instid0(SALU_CYCLE_1)
	s_or_b32 exec_lo, exec_lo, s1
	v_dual_mov_b32 v64, 0 :: v_dual_mov_b32 v65, 0
	s_and_saveexec_b32 s1, s18
	s_cbranch_execz .LBB767_420
; %bb.417:
	global_load_u8 v65, v[2:3], off offset:256
	s_waitcnt vmcnt(0)
	v_and_b32_e32 v65, 1, v65
	s_delay_alu instid0(VALU_DEP_1) | instskip(SKIP_1) | instid1(VALU_DEP_2)
	v_cmp_eq_u32_e64 s0, 1, v65
	v_mov_b32_e32 v65, 0
	s_xor_b32 s0, s0, -1
	s_delay_alu instid0(SALU_CYCLE_1)
	s_and_saveexec_b32 s18, s0
	s_cbranch_execz .LBB767_419
; %bb.418:
	v_sub_f32_e32 v63, v63, v77
	s_delay_alu instid0(VALU_DEP_1) | instskip(SKIP_1) | instid1(VALU_DEP_2)
	v_mul_f32_e32 v65, 0x3fb8aa3b, v63
	v_cmp_ngt_f32_e64 s0, 0xc2ce8ed0, v63
	v_fma_f32 v78, 0x3fb8aa3b, v63, -v65
	v_rndne_f32_e32 v79, v65
	s_delay_alu instid0(VALU_DEP_1) | instskip(NEXT) | instid1(VALU_DEP_1)
	v_dual_fmamk_f32 v78, v63, 0x32a5705f, v78 :: v_dual_sub_f32 v65, v65, v79
	v_add_f32_e32 v65, v65, v78
	v_cvt_i32_f32_e32 v78, v79
	s_delay_alu instid0(VALU_DEP_2) | instskip(SKIP_2) | instid1(VALU_DEP_1)
	v_exp_f32_e32 v65, v65
	s_waitcnt_depctr 0xfff
	v_ldexp_f32 v65, v65, v78
	v_cndmask_b32_e64 v65, 0, v65, s0
	v_cmp_nlt_f32_e64 s0, 0x42b17218, v63
	s_delay_alu instid0(VALU_DEP_1) | instskip(NEXT) | instid1(VALU_DEP_1)
	v_cndmask_b32_e64 v65, 0x7f800000, v65, s0
	v_add_f32_e32 v71, v71, v65
.LBB767_419:
	s_or_b32 exec_lo, exec_lo, s18
.LBB767_420:
	s_delay_alu instid0(SALU_CYCLE_1)
	s_or_b32 exec_lo, exec_lo, s1
	s_and_saveexec_b32 s1, s69
	s_cbranch_execz .LBB767_424
; %bb.421:
	global_load_u8 v63, v[2:3], off offset:288
	s_waitcnt vmcnt(0)
	v_dual_mov_b32 v64, 0 :: v_dual_and_b32 v63, 1, v63
	s_delay_alu instid0(VALU_DEP_1) | instskip(NEXT) | instid1(VALU_DEP_1)
	v_cmp_eq_u32_e64 s0, 1, v63
	s_xor_b32 s0, s0, -1
	s_delay_alu instid0(SALU_CYCLE_1)
	s_and_saveexec_b32 s18, s0
	s_cbranch_execz .LBB767_423
; %bb.422:
	v_sub_f32_e32 v62, v62, v77
	s_delay_alu instid0(VALU_DEP_1) | instskip(NEXT) | instid1(VALU_DEP_1)
	v_mul_f32_e32 v63, 0x3fb8aa3b, v62
	v_fma_f32 v64, 0x3fb8aa3b, v62, -v63
	v_rndne_f32_e32 v78, v63
	s_delay_alu instid0(VALU_DEP_1) | instskip(SKIP_1) | instid1(VALU_DEP_2)
	v_dual_sub_f32 v63, v63, v78 :: v_dual_fmamk_f32 v64, v62, 0x32a5705f, v64
	v_cmp_ngt_f32_e64 s0, 0xc2ce8ed0, v62
	v_add_f32_e32 v63, v63, v64
	v_cvt_i32_f32_e32 v64, v78
	s_delay_alu instid0(VALU_DEP_2) | instskip(SKIP_2) | instid1(VALU_DEP_1)
	v_exp_f32_e32 v63, v63
	s_waitcnt_depctr 0xfff
	v_ldexp_f32 v63, v63, v64
	v_cndmask_b32_e64 v63, 0, v63, s0
	v_cmp_nlt_f32_e64 s0, 0x42b17218, v62
	s_delay_alu instid0(VALU_DEP_1) | instskip(NEXT) | instid1(VALU_DEP_1)
	v_cndmask_b32_e64 v64, 0x7f800000, v63, s0
	v_add_f32_e32 v71, v71, v64
.LBB767_423:
	s_or_b32 exec_lo, exec_lo, s18
.LBB767_424:
	s_delay_alu instid0(SALU_CYCLE_1)
	s_or_b32 exec_lo, exec_lo, s1
	v_dual_mov_b32 v62, 0 :: v_dual_mov_b32 v63, 0
	s_and_saveexec_b32 s1, s68
	s_cbranch_execz .LBB767_428
; %bb.425:
	global_load_u8 v63, v[2:3], off offset:320
	s_waitcnt vmcnt(0)
	v_and_b32_e32 v63, 1, v63
	s_delay_alu instid0(VALU_DEP_1) | instskip(SKIP_1) | instid1(VALU_DEP_2)
	v_cmp_eq_u32_e64 s0, 1, v63
	v_mov_b32_e32 v63, 0
	s_xor_b32 s0, s0, -1
	s_delay_alu instid0(SALU_CYCLE_1)
	s_and_saveexec_b32 s18, s0
	s_cbranch_execz .LBB767_427
; %bb.426:
	v_sub_f32_e32 v61, v61, v77
	s_delay_alu instid0(VALU_DEP_1) | instskip(SKIP_1) | instid1(VALU_DEP_2)
	v_mul_f32_e32 v63, 0x3fb8aa3b, v61
	v_cmp_ngt_f32_e64 s0, 0xc2ce8ed0, v61
	v_fma_f32 v78, 0x3fb8aa3b, v61, -v63
	v_rndne_f32_e32 v79, v63
	s_delay_alu instid0(VALU_DEP_1) | instskip(NEXT) | instid1(VALU_DEP_1)
	v_dual_fmamk_f32 v78, v61, 0x32a5705f, v78 :: v_dual_sub_f32 v63, v63, v79
	v_add_f32_e32 v63, v63, v78
	v_cvt_i32_f32_e32 v78, v79
	s_delay_alu instid0(VALU_DEP_2) | instskip(SKIP_2) | instid1(VALU_DEP_1)
	v_exp_f32_e32 v63, v63
	s_waitcnt_depctr 0xfff
	v_ldexp_f32 v63, v63, v78
	v_cndmask_b32_e64 v63, 0, v63, s0
	v_cmp_nlt_f32_e64 s0, 0x42b17218, v61
	s_delay_alu instid0(VALU_DEP_1) | instskip(NEXT) | instid1(VALU_DEP_1)
	v_cndmask_b32_e64 v63, 0x7f800000, v63, s0
	v_add_f32_e32 v71, v71, v63
.LBB767_427:
	s_or_b32 exec_lo, exec_lo, s18
.LBB767_428:
	s_delay_alu instid0(SALU_CYCLE_1)
	s_or_b32 exec_lo, exec_lo, s1
	s_and_saveexec_b32 s1, s17
	s_cbranch_execz .LBB767_432
; %bb.429:
	global_load_u8 v61, v[2:3], off offset:352
	s_waitcnt vmcnt(0)
	v_dual_mov_b32 v62, 0 :: v_dual_and_b32 v61, 1, v61
	s_delay_alu instid0(VALU_DEP_1) | instskip(NEXT) | instid1(VALU_DEP_1)
	v_cmp_eq_u32_e64 s0, 1, v61
	s_xor_b32 s0, s0, -1
	s_delay_alu instid0(SALU_CYCLE_1)
	s_and_saveexec_b32 s17, s0
	s_cbranch_execz .LBB767_431
; %bb.430:
	v_sub_f32_e32 v60, v60, v77
	s_delay_alu instid0(VALU_DEP_1) | instskip(NEXT) | instid1(VALU_DEP_1)
	v_mul_f32_e32 v61, 0x3fb8aa3b, v60
	v_fma_f32 v62, 0x3fb8aa3b, v60, -v61
	v_rndne_f32_e32 v78, v61
	s_delay_alu instid0(VALU_DEP_1) | instskip(SKIP_1) | instid1(VALU_DEP_2)
	v_dual_sub_f32 v61, v61, v78 :: v_dual_fmamk_f32 v62, v60, 0x32a5705f, v62
	v_cmp_ngt_f32_e64 s0, 0xc2ce8ed0, v60
	v_add_f32_e32 v61, v61, v62
	v_cvt_i32_f32_e32 v62, v78
	s_delay_alu instid0(VALU_DEP_2) | instskip(SKIP_2) | instid1(VALU_DEP_1)
	v_exp_f32_e32 v61, v61
	s_waitcnt_depctr 0xfff
	v_ldexp_f32 v61, v61, v62
	v_cndmask_b32_e64 v61, 0, v61, s0
	v_cmp_nlt_f32_e64 s0, 0x42b17218, v60
	s_delay_alu instid0(VALU_DEP_1) | instskip(NEXT) | instid1(VALU_DEP_1)
	v_cndmask_b32_e64 v62, 0x7f800000, v61, s0
	v_add_f32_e32 v71, v71, v62
.LBB767_431:
	s_or_b32 exec_lo, exec_lo, s17
.LBB767_432:
	s_delay_alu instid0(SALU_CYCLE_1)
	s_or_b32 exec_lo, exec_lo, s1
	v_dual_mov_b32 v60, 0 :: v_dual_mov_b32 v61, 0
	s_and_saveexec_b32 s1, s16
	s_cbranch_execz .LBB767_436
; %bb.433:
	global_load_u8 v61, v[2:3], off offset:384
	s_waitcnt vmcnt(0)
	v_and_b32_e32 v61, 1, v61
	s_delay_alu instid0(VALU_DEP_1) | instskip(SKIP_1) | instid1(VALU_DEP_2)
	v_cmp_eq_u32_e64 s0, 1, v61
	v_mov_b32_e32 v61, 0
	s_xor_b32 s0, s0, -1
	s_delay_alu instid0(SALU_CYCLE_1)
	s_and_saveexec_b32 s16, s0
	s_cbranch_execz .LBB767_435
; %bb.434:
	v_sub_f32_e32 v59, v59, v77
	s_delay_alu instid0(VALU_DEP_1) | instskip(SKIP_1) | instid1(VALU_DEP_2)
	v_mul_f32_e32 v61, 0x3fb8aa3b, v59
	v_cmp_ngt_f32_e64 s0, 0xc2ce8ed0, v59
	v_fma_f32 v78, 0x3fb8aa3b, v59, -v61
	v_rndne_f32_e32 v79, v61
	s_delay_alu instid0(VALU_DEP_1) | instskip(NEXT) | instid1(VALU_DEP_1)
	v_dual_fmamk_f32 v78, v59, 0x32a5705f, v78 :: v_dual_sub_f32 v61, v61, v79
	v_add_f32_e32 v61, v61, v78
	v_cvt_i32_f32_e32 v78, v79
	s_delay_alu instid0(VALU_DEP_2) | instskip(SKIP_2) | instid1(VALU_DEP_1)
	v_exp_f32_e32 v61, v61
	s_waitcnt_depctr 0xfff
	v_ldexp_f32 v61, v61, v78
	v_cndmask_b32_e64 v61, 0, v61, s0
	v_cmp_nlt_f32_e64 s0, 0x42b17218, v59
	s_delay_alu instid0(VALU_DEP_1) | instskip(NEXT) | instid1(VALU_DEP_1)
	v_cndmask_b32_e64 v61, 0x7f800000, v61, s0
	v_add_f32_e32 v71, v71, v61
.LBB767_435:
	s_or_b32 exec_lo, exec_lo, s16
.LBB767_436:
	s_delay_alu instid0(SALU_CYCLE_1)
	s_or_b32 exec_lo, exec_lo, s1
	s_and_saveexec_b32 s1, s15
	s_cbranch_execz .LBB767_440
; %bb.437:
	global_load_u8 v59, v[2:3], off offset:416
	s_waitcnt vmcnt(0)
	v_dual_mov_b32 v60, 0 :: v_dual_and_b32 v59, 1, v59
	s_delay_alu instid0(VALU_DEP_1) | instskip(NEXT) | instid1(VALU_DEP_1)
	v_cmp_eq_u32_e64 s0, 1, v59
	s_xor_b32 s0, s0, -1
	s_delay_alu instid0(SALU_CYCLE_1)
	s_and_saveexec_b32 s15, s0
	s_cbranch_execz .LBB767_439
; %bb.438:
	v_sub_f32_e32 v58, v58, v77
	s_delay_alu instid0(VALU_DEP_1) | instskip(NEXT) | instid1(VALU_DEP_1)
	v_mul_f32_e32 v59, 0x3fb8aa3b, v58
	v_fma_f32 v60, 0x3fb8aa3b, v58, -v59
	v_rndne_f32_e32 v78, v59
	s_delay_alu instid0(VALU_DEP_1) | instskip(SKIP_1) | instid1(VALU_DEP_2)
	v_dual_sub_f32 v59, v59, v78 :: v_dual_fmamk_f32 v60, v58, 0x32a5705f, v60
	v_cmp_ngt_f32_e64 s0, 0xc2ce8ed0, v58
	v_add_f32_e32 v59, v59, v60
	v_cvt_i32_f32_e32 v60, v78
	s_delay_alu instid0(VALU_DEP_2) | instskip(SKIP_2) | instid1(VALU_DEP_1)
	v_exp_f32_e32 v59, v59
	s_waitcnt_depctr 0xfff
	v_ldexp_f32 v59, v59, v60
	v_cndmask_b32_e64 v59, 0, v59, s0
	v_cmp_nlt_f32_e64 s0, 0x42b17218, v58
	s_delay_alu instid0(VALU_DEP_1) | instskip(NEXT) | instid1(VALU_DEP_1)
	v_cndmask_b32_e64 v60, 0x7f800000, v59, s0
	v_add_f32_e32 v71, v71, v60
.LBB767_439:
	s_or_b32 exec_lo, exec_lo, s15
.LBB767_440:
	s_delay_alu instid0(SALU_CYCLE_1)
	s_or_b32 exec_lo, exec_lo, s1
	v_dual_mov_b32 v58, 0 :: v_dual_mov_b32 v59, 0
	s_and_saveexec_b32 s1, s14
	s_cbranch_execz .LBB767_444
; %bb.441:
	global_load_u8 v59, v[2:3], off offset:448
	s_waitcnt vmcnt(0)
	v_and_b32_e32 v59, 1, v59
	s_delay_alu instid0(VALU_DEP_1) | instskip(SKIP_1) | instid1(VALU_DEP_2)
	v_cmp_eq_u32_e64 s0, 1, v59
	v_mov_b32_e32 v59, 0
	s_xor_b32 s0, s0, -1
	s_delay_alu instid0(SALU_CYCLE_1)
	s_and_saveexec_b32 s14, s0
	s_cbranch_execz .LBB767_443
; %bb.442:
	v_sub_f32_e32 v57, v57, v77
	s_delay_alu instid0(VALU_DEP_1) | instskip(SKIP_1) | instid1(VALU_DEP_2)
	v_mul_f32_e32 v59, 0x3fb8aa3b, v57
	v_cmp_ngt_f32_e64 s0, 0xc2ce8ed0, v57
	v_fma_f32 v78, 0x3fb8aa3b, v57, -v59
	v_rndne_f32_e32 v79, v59
	s_delay_alu instid0(VALU_DEP_1) | instskip(NEXT) | instid1(VALU_DEP_1)
	v_dual_fmamk_f32 v78, v57, 0x32a5705f, v78 :: v_dual_sub_f32 v59, v59, v79
	v_add_f32_e32 v59, v59, v78
	v_cvt_i32_f32_e32 v78, v79
	s_delay_alu instid0(VALU_DEP_2) | instskip(SKIP_2) | instid1(VALU_DEP_1)
	v_exp_f32_e32 v59, v59
	s_waitcnt_depctr 0xfff
	v_ldexp_f32 v59, v59, v78
	v_cndmask_b32_e64 v59, 0, v59, s0
	v_cmp_nlt_f32_e64 s0, 0x42b17218, v57
	s_delay_alu instid0(VALU_DEP_1) | instskip(NEXT) | instid1(VALU_DEP_1)
	v_cndmask_b32_e64 v59, 0x7f800000, v59, s0
	v_add_f32_e32 v71, v71, v59
.LBB767_443:
	s_or_b32 exec_lo, exec_lo, s14
.LBB767_444:
	s_delay_alu instid0(SALU_CYCLE_1)
	s_or_b32 exec_lo, exec_lo, s1
	s_and_saveexec_b32 s1, s13
	s_cbranch_execz .LBB767_448
; %bb.445:
	global_load_u8 v57, v[2:3], off offset:480
	s_waitcnt vmcnt(0)
	v_dual_mov_b32 v58, 0 :: v_dual_and_b32 v57, 1, v57
	s_delay_alu instid0(VALU_DEP_1) | instskip(NEXT) | instid1(VALU_DEP_1)
	v_cmp_eq_u32_e64 s0, 1, v57
	s_xor_b32 s0, s0, -1
	s_delay_alu instid0(SALU_CYCLE_1)
	s_and_saveexec_b32 s13, s0
	s_cbranch_execz .LBB767_447
; %bb.446:
	v_sub_f32_e32 v56, v56, v77
	s_delay_alu instid0(VALU_DEP_1) | instskip(NEXT) | instid1(VALU_DEP_1)
	v_mul_f32_e32 v57, 0x3fb8aa3b, v56
	v_fma_f32 v58, 0x3fb8aa3b, v56, -v57
	v_rndne_f32_e32 v78, v57
	s_delay_alu instid0(VALU_DEP_1) | instskip(SKIP_1) | instid1(VALU_DEP_2)
	v_dual_sub_f32 v57, v57, v78 :: v_dual_fmamk_f32 v58, v56, 0x32a5705f, v58
	v_cmp_ngt_f32_e64 s0, 0xc2ce8ed0, v56
	v_add_f32_e32 v57, v57, v58
	v_cvt_i32_f32_e32 v58, v78
	s_delay_alu instid0(VALU_DEP_2) | instskip(SKIP_2) | instid1(VALU_DEP_1)
	v_exp_f32_e32 v57, v57
	s_waitcnt_depctr 0xfff
	v_ldexp_f32 v57, v57, v58
	v_cndmask_b32_e64 v57, 0, v57, s0
	v_cmp_nlt_f32_e64 s0, 0x42b17218, v56
	s_delay_alu instid0(VALU_DEP_1) | instskip(NEXT) | instid1(VALU_DEP_1)
	v_cndmask_b32_e64 v58, 0x7f800000, v57, s0
	v_add_f32_e32 v71, v71, v58
.LBB767_447:
	s_or_b32 exec_lo, exec_lo, s13
.LBB767_448:
	s_delay_alu instid0(SALU_CYCLE_1)
	s_or_b32 exec_lo, exec_lo, s1
	v_dual_mov_b32 v56, 0 :: v_dual_mov_b32 v57, 0
	s_and_saveexec_b32 s1, s12
	s_cbranch_execz .LBB767_452
; %bb.449:
	global_load_u8 v57, v[2:3], off offset:512
	s_waitcnt vmcnt(0)
	v_and_b32_e32 v57, 1, v57
	s_delay_alu instid0(VALU_DEP_1) | instskip(SKIP_1) | instid1(VALU_DEP_2)
	v_cmp_eq_u32_e64 s0, 1, v57
	v_mov_b32_e32 v57, 0
	s_xor_b32 s0, s0, -1
	s_delay_alu instid0(SALU_CYCLE_1)
	s_and_saveexec_b32 s12, s0
	s_cbranch_execz .LBB767_451
; %bb.450:
	v_sub_f32_e32 v55, v55, v77
	s_delay_alu instid0(VALU_DEP_1) | instskip(SKIP_1) | instid1(VALU_DEP_2)
	v_mul_f32_e32 v57, 0x3fb8aa3b, v55
	v_cmp_ngt_f32_e64 s0, 0xc2ce8ed0, v55
	v_fma_f32 v78, 0x3fb8aa3b, v55, -v57
	v_rndne_f32_e32 v79, v57
	s_delay_alu instid0(VALU_DEP_1) | instskip(NEXT) | instid1(VALU_DEP_1)
	v_dual_fmamk_f32 v78, v55, 0x32a5705f, v78 :: v_dual_sub_f32 v57, v57, v79
	v_add_f32_e32 v57, v57, v78
	v_cvt_i32_f32_e32 v78, v79
	s_delay_alu instid0(VALU_DEP_2) | instskip(SKIP_2) | instid1(VALU_DEP_1)
	v_exp_f32_e32 v57, v57
	s_waitcnt_depctr 0xfff
	v_ldexp_f32 v57, v57, v78
	v_cndmask_b32_e64 v57, 0, v57, s0
	v_cmp_nlt_f32_e64 s0, 0x42b17218, v55
	s_delay_alu instid0(VALU_DEP_1) | instskip(NEXT) | instid1(VALU_DEP_1)
	v_cndmask_b32_e64 v57, 0x7f800000, v57, s0
	v_add_f32_e32 v71, v71, v57
.LBB767_451:
	s_or_b32 exec_lo, exec_lo, s12
.LBB767_452:
	s_delay_alu instid0(SALU_CYCLE_1)
	s_or_b32 exec_lo, exec_lo, s1
	s_and_saveexec_b32 s1, s11
	s_cbranch_execz .LBB767_456
; %bb.453:
	global_load_u8 v55, v[2:3], off offset:544
	s_waitcnt vmcnt(0)
	v_dual_mov_b32 v56, 0 :: v_dual_and_b32 v55, 1, v55
	s_delay_alu instid0(VALU_DEP_1) | instskip(NEXT) | instid1(VALU_DEP_1)
	v_cmp_eq_u32_e64 s0, 1, v55
	s_xor_b32 s0, s0, -1
	s_delay_alu instid0(SALU_CYCLE_1)
	s_and_saveexec_b32 s11, s0
	s_cbranch_execz .LBB767_455
; %bb.454:
	v_sub_f32_e32 v54, v54, v77
	s_delay_alu instid0(VALU_DEP_1) | instskip(NEXT) | instid1(VALU_DEP_1)
	v_mul_f32_e32 v55, 0x3fb8aa3b, v54
	v_fma_f32 v56, 0x3fb8aa3b, v54, -v55
	v_rndne_f32_e32 v78, v55
	s_delay_alu instid0(VALU_DEP_1) | instskip(SKIP_1) | instid1(VALU_DEP_2)
	v_dual_sub_f32 v55, v55, v78 :: v_dual_fmamk_f32 v56, v54, 0x32a5705f, v56
	v_cmp_ngt_f32_e64 s0, 0xc2ce8ed0, v54
	v_add_f32_e32 v55, v55, v56
	v_cvt_i32_f32_e32 v56, v78
	s_delay_alu instid0(VALU_DEP_2) | instskip(SKIP_2) | instid1(VALU_DEP_1)
	v_exp_f32_e32 v55, v55
	s_waitcnt_depctr 0xfff
	v_ldexp_f32 v55, v55, v56
	v_cndmask_b32_e64 v55, 0, v55, s0
	v_cmp_nlt_f32_e64 s0, 0x42b17218, v54
	s_delay_alu instid0(VALU_DEP_1) | instskip(NEXT) | instid1(VALU_DEP_1)
	v_cndmask_b32_e64 v56, 0x7f800000, v55, s0
	v_add_f32_e32 v71, v71, v56
.LBB767_455:
	s_or_b32 exec_lo, exec_lo, s11
.LBB767_456:
	s_delay_alu instid0(SALU_CYCLE_1)
	s_or_b32 exec_lo, exec_lo, s1
	v_dual_mov_b32 v54, 0 :: v_dual_mov_b32 v55, 0
	s_and_saveexec_b32 s1, s10
	s_cbranch_execz .LBB767_460
; %bb.457:
	global_load_u8 v55, v[2:3], off offset:576
	s_waitcnt vmcnt(0)
	v_and_b32_e32 v55, 1, v55
	s_delay_alu instid0(VALU_DEP_1) | instskip(SKIP_1) | instid1(VALU_DEP_2)
	v_cmp_eq_u32_e64 s0, 1, v55
	v_mov_b32_e32 v55, 0
	s_xor_b32 s0, s0, -1
	s_delay_alu instid0(SALU_CYCLE_1)
	s_and_saveexec_b32 s10, s0
	s_cbranch_execz .LBB767_459
; %bb.458:
	v_sub_f32_e32 v53, v53, v77
	s_delay_alu instid0(VALU_DEP_1) | instskip(SKIP_1) | instid1(VALU_DEP_2)
	v_mul_f32_e32 v55, 0x3fb8aa3b, v53
	v_cmp_ngt_f32_e64 s0, 0xc2ce8ed0, v53
	v_fma_f32 v78, 0x3fb8aa3b, v53, -v55
	v_rndne_f32_e32 v79, v55
	s_delay_alu instid0(VALU_DEP_1) | instskip(NEXT) | instid1(VALU_DEP_1)
	v_dual_fmamk_f32 v78, v53, 0x32a5705f, v78 :: v_dual_sub_f32 v55, v55, v79
	v_add_f32_e32 v55, v55, v78
	v_cvt_i32_f32_e32 v78, v79
	s_delay_alu instid0(VALU_DEP_2) | instskip(SKIP_2) | instid1(VALU_DEP_1)
	v_exp_f32_e32 v55, v55
	s_waitcnt_depctr 0xfff
	v_ldexp_f32 v55, v55, v78
	v_cndmask_b32_e64 v55, 0, v55, s0
	v_cmp_nlt_f32_e64 s0, 0x42b17218, v53
	s_delay_alu instid0(VALU_DEP_1) | instskip(NEXT) | instid1(VALU_DEP_1)
	v_cndmask_b32_e64 v55, 0x7f800000, v55, s0
	v_add_f32_e32 v71, v71, v55
.LBB767_459:
	s_or_b32 exec_lo, exec_lo, s10
.LBB767_460:
	s_delay_alu instid0(SALU_CYCLE_1)
	s_or_b32 exec_lo, exec_lo, s1
	s_and_saveexec_b32 s1, s9
	s_cbranch_execz .LBB767_464
; %bb.461:
	global_load_u8 v53, v[2:3], off offset:608
	s_waitcnt vmcnt(0)
	v_dual_mov_b32 v54, 0 :: v_dual_and_b32 v53, 1, v53
	s_delay_alu instid0(VALU_DEP_1) | instskip(NEXT) | instid1(VALU_DEP_1)
	v_cmp_eq_u32_e64 s0, 1, v53
	s_xor_b32 s0, s0, -1
	s_delay_alu instid0(SALU_CYCLE_1)
	s_and_saveexec_b32 s9, s0
	s_cbranch_execz .LBB767_463
; %bb.462:
	v_sub_f32_e32 v52, v52, v77
	s_delay_alu instid0(VALU_DEP_1) | instskip(NEXT) | instid1(VALU_DEP_1)
	v_mul_f32_e32 v53, 0x3fb8aa3b, v52
	v_fma_f32 v54, 0x3fb8aa3b, v52, -v53
	v_rndne_f32_e32 v78, v53
	s_delay_alu instid0(VALU_DEP_1) | instskip(SKIP_1) | instid1(VALU_DEP_2)
	v_dual_sub_f32 v53, v53, v78 :: v_dual_fmamk_f32 v54, v52, 0x32a5705f, v54
	v_cmp_ngt_f32_e64 s0, 0xc2ce8ed0, v52
	v_add_f32_e32 v53, v53, v54
	v_cvt_i32_f32_e32 v54, v78
	s_delay_alu instid0(VALU_DEP_2) | instskip(SKIP_2) | instid1(VALU_DEP_1)
	v_exp_f32_e32 v53, v53
	s_waitcnt_depctr 0xfff
	v_ldexp_f32 v53, v53, v54
	v_cndmask_b32_e64 v53, 0, v53, s0
	v_cmp_nlt_f32_e64 s0, 0x42b17218, v52
	s_delay_alu instid0(VALU_DEP_1) | instskip(NEXT) | instid1(VALU_DEP_1)
	v_cndmask_b32_e64 v54, 0x7f800000, v53, s0
	v_add_f32_e32 v71, v71, v54
.LBB767_463:
	s_or_b32 exec_lo, exec_lo, s9
.LBB767_464:
	s_delay_alu instid0(SALU_CYCLE_1)
	s_or_b32 exec_lo, exec_lo, s1
	v_dual_mov_b32 v52, 0 :: v_dual_mov_b32 v53, 0
	s_and_saveexec_b32 s1, s8
	s_cbranch_execz .LBB767_468
; %bb.465:
	global_load_u8 v53, v[2:3], off offset:640
	s_waitcnt vmcnt(0)
	v_and_b32_e32 v53, 1, v53
	s_delay_alu instid0(VALU_DEP_1) | instskip(SKIP_1) | instid1(VALU_DEP_2)
	v_cmp_eq_u32_e64 s0, 1, v53
	v_mov_b32_e32 v53, 0
	s_xor_b32 s0, s0, -1
	s_delay_alu instid0(SALU_CYCLE_1)
	s_and_saveexec_b32 s8, s0
	s_cbranch_execz .LBB767_467
; %bb.466:
	v_sub_f32_e32 v51, v51, v77
	s_delay_alu instid0(VALU_DEP_1) | instskip(SKIP_1) | instid1(VALU_DEP_2)
	v_mul_f32_e32 v53, 0x3fb8aa3b, v51
	v_cmp_ngt_f32_e64 s0, 0xc2ce8ed0, v51
	v_fma_f32 v78, 0x3fb8aa3b, v51, -v53
	v_rndne_f32_e32 v79, v53
	s_delay_alu instid0(VALU_DEP_1) | instskip(NEXT) | instid1(VALU_DEP_1)
	v_dual_fmamk_f32 v78, v51, 0x32a5705f, v78 :: v_dual_sub_f32 v53, v53, v79
	v_add_f32_e32 v53, v53, v78
	v_cvt_i32_f32_e32 v78, v79
	s_delay_alu instid0(VALU_DEP_2) | instskip(SKIP_2) | instid1(VALU_DEP_1)
	v_exp_f32_e32 v53, v53
	s_waitcnt_depctr 0xfff
	v_ldexp_f32 v53, v53, v78
	v_cndmask_b32_e64 v53, 0, v53, s0
	v_cmp_nlt_f32_e64 s0, 0x42b17218, v51
	s_delay_alu instid0(VALU_DEP_1) | instskip(NEXT) | instid1(VALU_DEP_1)
	v_cndmask_b32_e64 v53, 0x7f800000, v53, s0
	v_add_f32_e32 v71, v71, v53
.LBB767_467:
	s_or_b32 exec_lo, exec_lo, s8
.LBB767_468:
	s_delay_alu instid0(SALU_CYCLE_1)
	s_or_b32 exec_lo, exec_lo, s1
	s_and_saveexec_b32 s1, s7
	s_cbranch_execz .LBB767_472
; %bb.469:
	global_load_u8 v51, v[2:3], off offset:672
	s_waitcnt vmcnt(0)
	v_dual_mov_b32 v52, 0 :: v_dual_and_b32 v51, 1, v51
	s_delay_alu instid0(VALU_DEP_1) | instskip(NEXT) | instid1(VALU_DEP_1)
	v_cmp_eq_u32_e64 s0, 1, v51
	s_xor_b32 s0, s0, -1
	s_delay_alu instid0(SALU_CYCLE_1)
	s_and_saveexec_b32 s7, s0
	s_cbranch_execz .LBB767_471
; %bb.470:
	v_sub_f32_e32 v50, v50, v77
	s_delay_alu instid0(VALU_DEP_1) | instskip(NEXT) | instid1(VALU_DEP_1)
	v_mul_f32_e32 v51, 0x3fb8aa3b, v50
	v_fma_f32 v52, 0x3fb8aa3b, v50, -v51
	v_rndne_f32_e32 v78, v51
	s_delay_alu instid0(VALU_DEP_1) | instskip(SKIP_1) | instid1(VALU_DEP_2)
	v_dual_sub_f32 v51, v51, v78 :: v_dual_fmamk_f32 v52, v50, 0x32a5705f, v52
	v_cmp_ngt_f32_e64 s0, 0xc2ce8ed0, v50
	v_add_f32_e32 v51, v51, v52
	v_cvt_i32_f32_e32 v52, v78
	s_delay_alu instid0(VALU_DEP_2) | instskip(SKIP_2) | instid1(VALU_DEP_1)
	v_exp_f32_e32 v51, v51
	s_waitcnt_depctr 0xfff
	v_ldexp_f32 v51, v51, v52
	v_cndmask_b32_e64 v51, 0, v51, s0
	v_cmp_nlt_f32_e64 s0, 0x42b17218, v50
	s_delay_alu instid0(VALU_DEP_1) | instskip(NEXT) | instid1(VALU_DEP_1)
	v_cndmask_b32_e64 v52, 0x7f800000, v51, s0
	v_add_f32_e32 v71, v71, v52
.LBB767_471:
	s_or_b32 exec_lo, exec_lo, s7
.LBB767_472:
	s_delay_alu instid0(SALU_CYCLE_1)
	s_or_b32 exec_lo, exec_lo, s1
	v_dual_mov_b32 v50, 0 :: v_dual_mov_b32 v51, 0
	s_and_saveexec_b32 s1, s6
	s_cbranch_execz .LBB767_476
; %bb.473:
	global_load_u8 v51, v[2:3], off offset:704
	s_waitcnt vmcnt(0)
	v_and_b32_e32 v51, 1, v51
	s_delay_alu instid0(VALU_DEP_1) | instskip(SKIP_1) | instid1(VALU_DEP_2)
	v_cmp_eq_u32_e64 s0, 1, v51
	v_mov_b32_e32 v51, 0
	s_xor_b32 s0, s0, -1
	s_delay_alu instid0(SALU_CYCLE_1)
	s_and_saveexec_b32 s6, s0
	s_cbranch_execz .LBB767_475
; %bb.474:
	v_sub_f32_e32 v49, v49, v77
	s_delay_alu instid0(VALU_DEP_1) | instskip(SKIP_1) | instid1(VALU_DEP_2)
	v_mul_f32_e32 v51, 0x3fb8aa3b, v49
	v_cmp_ngt_f32_e64 s0, 0xc2ce8ed0, v49
	v_fma_f32 v78, 0x3fb8aa3b, v49, -v51
	v_rndne_f32_e32 v79, v51
	s_delay_alu instid0(VALU_DEP_1) | instskip(NEXT) | instid1(VALU_DEP_1)
	v_dual_fmamk_f32 v78, v49, 0x32a5705f, v78 :: v_dual_sub_f32 v51, v51, v79
	v_add_f32_e32 v51, v51, v78
	v_cvt_i32_f32_e32 v78, v79
	s_delay_alu instid0(VALU_DEP_2) | instskip(SKIP_2) | instid1(VALU_DEP_1)
	v_exp_f32_e32 v51, v51
	s_waitcnt_depctr 0xfff
	v_ldexp_f32 v51, v51, v78
	v_cndmask_b32_e64 v51, 0, v51, s0
	v_cmp_nlt_f32_e64 s0, 0x42b17218, v49
	s_delay_alu instid0(VALU_DEP_1) | instskip(NEXT) | instid1(VALU_DEP_1)
	v_cndmask_b32_e64 v51, 0x7f800000, v51, s0
	v_add_f32_e32 v71, v71, v51
.LBB767_475:
	s_or_b32 exec_lo, exec_lo, s6
.LBB767_476:
	s_delay_alu instid0(SALU_CYCLE_1)
	s_or_b32 exec_lo, exec_lo, s1
	s_and_saveexec_b32 s1, s5
	s_cbranch_execz .LBB767_480
; %bb.477:
	global_load_u8 v49, v[2:3], off offset:736
	s_waitcnt vmcnt(0)
	v_dual_mov_b32 v50, 0 :: v_dual_and_b32 v49, 1, v49
	s_delay_alu instid0(VALU_DEP_1) | instskip(NEXT) | instid1(VALU_DEP_1)
	v_cmp_eq_u32_e64 s0, 1, v49
	s_xor_b32 s0, s0, -1
	s_delay_alu instid0(SALU_CYCLE_1)
	s_and_saveexec_b32 s5, s0
	s_cbranch_execz .LBB767_479
; %bb.478:
	v_sub_f32_e32 v48, v48, v77
	s_delay_alu instid0(VALU_DEP_1) | instskip(NEXT) | instid1(VALU_DEP_1)
	v_mul_f32_e32 v49, 0x3fb8aa3b, v48
	v_fma_f32 v50, 0x3fb8aa3b, v48, -v49
	v_rndne_f32_e32 v78, v49
	s_delay_alu instid0(VALU_DEP_1) | instskip(SKIP_1) | instid1(VALU_DEP_2)
	v_dual_sub_f32 v49, v49, v78 :: v_dual_fmamk_f32 v50, v48, 0x32a5705f, v50
	v_cmp_ngt_f32_e64 s0, 0xc2ce8ed0, v48
	v_add_f32_e32 v49, v49, v50
	v_cvt_i32_f32_e32 v50, v78
	s_delay_alu instid0(VALU_DEP_2) | instskip(SKIP_2) | instid1(VALU_DEP_1)
	v_exp_f32_e32 v49, v49
	s_waitcnt_depctr 0xfff
	v_ldexp_f32 v49, v49, v50
	v_cndmask_b32_e64 v49, 0, v49, s0
	v_cmp_nlt_f32_e64 s0, 0x42b17218, v48
	s_delay_alu instid0(VALU_DEP_1) | instskip(NEXT) | instid1(VALU_DEP_1)
	v_cndmask_b32_e64 v50, 0x7f800000, v49, s0
	v_add_f32_e32 v71, v71, v50
.LBB767_479:
	s_or_b32 exec_lo, exec_lo, s5
.LBB767_480:
	s_delay_alu instid0(SALU_CYCLE_1)
	s_or_b32 exec_lo, exec_lo, s1
	v_dual_mov_b32 v48, 0 :: v_dual_mov_b32 v49, 0
	s_and_saveexec_b32 s1, s4
	s_cbranch_execz .LBB767_484
; %bb.481:
	global_load_u8 v49, v[2:3], off offset:768
	s_waitcnt vmcnt(0)
	v_and_b32_e32 v49, 1, v49
	s_delay_alu instid0(VALU_DEP_1) | instskip(SKIP_1) | instid1(VALU_DEP_2)
	v_cmp_eq_u32_e64 s0, 1, v49
	v_mov_b32_e32 v49, 0
	s_xor_b32 s0, s0, -1
	s_delay_alu instid0(SALU_CYCLE_1)
	s_and_saveexec_b32 s4, s0
	s_cbranch_execz .LBB767_483
; %bb.482:
	v_sub_f32_e32 v47, v47, v77
	s_delay_alu instid0(VALU_DEP_1) | instskip(SKIP_1) | instid1(VALU_DEP_2)
	v_mul_f32_e32 v49, 0x3fb8aa3b, v47
	v_cmp_ngt_f32_e64 s0, 0xc2ce8ed0, v47
	v_fma_f32 v78, 0x3fb8aa3b, v47, -v49
	v_rndne_f32_e32 v79, v49
	s_delay_alu instid0(VALU_DEP_1) | instskip(NEXT) | instid1(VALU_DEP_1)
	v_dual_fmamk_f32 v78, v47, 0x32a5705f, v78 :: v_dual_sub_f32 v49, v49, v79
	v_add_f32_e32 v49, v49, v78
	v_cvt_i32_f32_e32 v78, v79
	s_delay_alu instid0(VALU_DEP_2) | instskip(SKIP_2) | instid1(VALU_DEP_1)
	v_exp_f32_e32 v49, v49
	s_waitcnt_depctr 0xfff
	v_ldexp_f32 v49, v49, v78
	v_cndmask_b32_e64 v49, 0, v49, s0
	v_cmp_nlt_f32_e64 s0, 0x42b17218, v47
	s_delay_alu instid0(VALU_DEP_1) | instskip(NEXT) | instid1(VALU_DEP_1)
	v_cndmask_b32_e64 v49, 0x7f800000, v49, s0
	v_add_f32_e32 v71, v71, v49
.LBB767_483:
	s_or_b32 exec_lo, exec_lo, s4
.LBB767_484:
	s_delay_alu instid0(SALU_CYCLE_1)
	s_or_b32 exec_lo, exec_lo, s1
	s_and_saveexec_b32 s1, s3
	s_cbranch_execz .LBB767_488
; %bb.485:
	global_load_u8 v47, v[2:3], off offset:800
	s_waitcnt vmcnt(0)
	v_dual_mov_b32 v48, 0 :: v_dual_and_b32 v47, 1, v47
	s_delay_alu instid0(VALU_DEP_1) | instskip(NEXT) | instid1(VALU_DEP_1)
	v_cmp_eq_u32_e64 s0, 1, v47
	s_xor_b32 s0, s0, -1
	s_delay_alu instid0(SALU_CYCLE_1)
	s_and_saveexec_b32 s3, s0
	s_cbranch_execz .LBB767_487
; %bb.486:
	v_sub_f32_e32 v46, v46, v77
	s_delay_alu instid0(VALU_DEP_1) | instskip(NEXT) | instid1(VALU_DEP_1)
	v_mul_f32_e32 v47, 0x3fb8aa3b, v46
	v_fma_f32 v48, 0x3fb8aa3b, v46, -v47
	v_rndne_f32_e32 v78, v47
	s_delay_alu instid0(VALU_DEP_1) | instskip(SKIP_1) | instid1(VALU_DEP_2)
	v_dual_sub_f32 v47, v47, v78 :: v_dual_fmamk_f32 v48, v46, 0x32a5705f, v48
	v_cmp_ngt_f32_e64 s0, 0xc2ce8ed0, v46
	v_add_f32_e32 v47, v47, v48
	v_cvt_i32_f32_e32 v48, v78
	s_delay_alu instid0(VALU_DEP_2) | instskip(SKIP_2) | instid1(VALU_DEP_1)
	v_exp_f32_e32 v47, v47
	s_waitcnt_depctr 0xfff
	v_ldexp_f32 v47, v47, v48
	v_cndmask_b32_e64 v47, 0, v47, s0
	v_cmp_nlt_f32_e64 s0, 0x42b17218, v46
	s_delay_alu instid0(VALU_DEP_1) | instskip(NEXT) | instid1(VALU_DEP_1)
	v_cndmask_b32_e64 v48, 0x7f800000, v47, s0
	v_add_f32_e32 v71, v71, v48
.LBB767_487:
	s_or_b32 exec_lo, exec_lo, s3
.LBB767_488:
	s_delay_alu instid0(SALU_CYCLE_1)
	s_or_b32 exec_lo, exec_lo, s1
	v_dual_mov_b32 v46, 0 :: v_dual_mov_b32 v47, 0
	s_and_saveexec_b32 s1, s2
	s_cbranch_execz .LBB767_492
; %bb.489:
	global_load_u8 v47, v[2:3], off offset:832
	s_waitcnt vmcnt(0)
	v_and_b32_e32 v47, 1, v47
	s_delay_alu instid0(VALU_DEP_1) | instskip(SKIP_1) | instid1(VALU_DEP_2)
	v_cmp_eq_u32_e64 s0, 1, v47
	v_mov_b32_e32 v47, 0
	s_xor_b32 s0, s0, -1
	s_delay_alu instid0(SALU_CYCLE_1)
	s_and_saveexec_b32 s2, s0
	s_cbranch_execz .LBB767_491
; %bb.490:
	v_sub_f32_e32 v45, v45, v77
	s_delay_alu instid0(VALU_DEP_1) | instskip(SKIP_1) | instid1(VALU_DEP_2)
	v_mul_f32_e32 v47, 0x3fb8aa3b, v45
	v_cmp_ngt_f32_e64 s0, 0xc2ce8ed0, v45
	v_fma_f32 v78, 0x3fb8aa3b, v45, -v47
	v_rndne_f32_e32 v79, v47
	s_delay_alu instid0(VALU_DEP_1) | instskip(NEXT) | instid1(VALU_DEP_1)
	v_dual_fmamk_f32 v78, v45, 0x32a5705f, v78 :: v_dual_sub_f32 v47, v47, v79
	v_add_f32_e32 v47, v47, v78
	v_cvt_i32_f32_e32 v78, v79
	s_delay_alu instid0(VALU_DEP_2) | instskip(SKIP_2) | instid1(VALU_DEP_1)
	v_exp_f32_e32 v47, v47
	s_waitcnt_depctr 0xfff
	v_ldexp_f32 v47, v47, v78
	v_cndmask_b32_e64 v47, 0, v47, s0
	v_cmp_nlt_f32_e64 s0, 0x42b17218, v45
	s_delay_alu instid0(VALU_DEP_1) | instskip(NEXT) | instid1(VALU_DEP_1)
	v_cndmask_b32_e64 v47, 0x7f800000, v47, s0
	v_add_f32_e32 v71, v71, v47
.LBB767_491:
	s_or_b32 exec_lo, exec_lo, s2
.LBB767_492:
	s_delay_alu instid0(SALU_CYCLE_1)
	s_or_b32 exec_lo, exec_lo, s1
	s_and_saveexec_b32 s1, vcc_hi
	s_cbranch_execz .LBB767_496
; %bb.493:
	global_load_u8 v45, v[2:3], off offset:864
	s_waitcnt vmcnt(0)
	v_dual_mov_b32 v46, 0 :: v_dual_and_b32 v45, 1, v45
	s_delay_alu instid0(VALU_DEP_1) | instskip(NEXT) | instid1(VALU_DEP_1)
	v_cmp_eq_u32_e64 s0, 1, v45
	s_xor_b32 s0, s0, -1
	s_delay_alu instid0(SALU_CYCLE_1)
	s_and_saveexec_b32 s2, s0
	s_cbranch_execz .LBB767_495
; %bb.494:
	v_sub_f32_e32 v44, v44, v77
	s_delay_alu instid0(VALU_DEP_1) | instskip(NEXT) | instid1(VALU_DEP_1)
	v_mul_f32_e32 v45, 0x3fb8aa3b, v44
	v_fma_f32 v46, 0x3fb8aa3b, v44, -v45
	v_rndne_f32_e32 v78, v45
	s_delay_alu instid0(VALU_DEP_1) | instskip(SKIP_1) | instid1(VALU_DEP_2)
	v_dual_sub_f32 v45, v45, v78 :: v_dual_fmamk_f32 v46, v44, 0x32a5705f, v46
	v_cmp_ngt_f32_e64 s0, 0xc2ce8ed0, v44
	v_add_f32_e32 v45, v45, v46
	v_cvt_i32_f32_e32 v46, v78
	s_delay_alu instid0(VALU_DEP_2) | instskip(SKIP_2) | instid1(VALU_DEP_1)
	v_exp_f32_e32 v45, v45
	s_waitcnt_depctr 0xfff
	v_ldexp_f32 v45, v45, v46
	v_cndmask_b32_e64 v45, 0, v45, s0
	v_cmp_nlt_f32_e64 s0, 0x42b17218, v44
	s_delay_alu instid0(VALU_DEP_1) | instskip(NEXT) | instid1(VALU_DEP_1)
	v_cndmask_b32_e64 v46, 0x7f800000, v45, s0
	v_add_f32_e32 v71, v71, v46
.LBB767_495:
	s_or_b32 exec_lo, exec_lo, s2
.LBB767_496:
	s_delay_alu instid0(SALU_CYCLE_1)
	s_or_b32 exec_lo, exec_lo, s1
	v_dual_mov_b32 v44, 0 :: v_dual_mov_b32 v45, 0
	s_and_saveexec_b32 s1, s104
	s_cbranch_execz .LBB767_500
; %bb.497:
	global_load_u8 v45, v[2:3], off offset:896
	s_waitcnt vmcnt(0)
	v_and_b32_e32 v45, 1, v45
	s_delay_alu instid0(VALU_DEP_1) | instskip(SKIP_1) | instid1(VALU_DEP_2)
	v_cmp_eq_u32_e64 s0, 1, v45
	v_mov_b32_e32 v45, 0
	s_xor_b32 s0, s0, -1
	s_delay_alu instid0(SALU_CYCLE_1)
	s_and_saveexec_b32 s2, s0
	s_cbranch_execz .LBB767_499
; %bb.498:
	v_sub_f32_e32 v43, v43, v77
	s_delay_alu instid0(VALU_DEP_1) | instskip(SKIP_1) | instid1(VALU_DEP_2)
	v_mul_f32_e32 v45, 0x3fb8aa3b, v43
	v_cmp_ngt_f32_e64 s0, 0xc2ce8ed0, v43
	v_fma_f32 v78, 0x3fb8aa3b, v43, -v45
	v_rndne_f32_e32 v79, v45
	s_delay_alu instid0(VALU_DEP_1) | instskip(NEXT) | instid1(VALU_DEP_1)
	v_dual_fmamk_f32 v78, v43, 0x32a5705f, v78 :: v_dual_sub_f32 v45, v45, v79
	v_add_f32_e32 v45, v45, v78
	v_cvt_i32_f32_e32 v78, v79
	s_delay_alu instid0(VALU_DEP_2) | instskip(SKIP_2) | instid1(VALU_DEP_1)
	v_exp_f32_e32 v45, v45
	s_waitcnt_depctr 0xfff
	v_ldexp_f32 v45, v45, v78
	v_cndmask_b32_e64 v45, 0, v45, s0
	v_cmp_nlt_f32_e64 s0, 0x42b17218, v43
	s_delay_alu instid0(VALU_DEP_1) | instskip(NEXT) | instid1(VALU_DEP_1)
	v_cndmask_b32_e64 v45, 0x7f800000, v45, s0
	v_add_f32_e32 v71, v71, v45
.LBB767_499:
	s_or_b32 exec_lo, exec_lo, s2
.LBB767_500:
	s_delay_alu instid0(SALU_CYCLE_1)
	s_or_b32 exec_lo, exec_lo, s1
	s_and_saveexec_b32 s1, s103
	s_cbranch_execz .LBB767_504
; %bb.501:
	global_load_u8 v43, v[2:3], off offset:928
	s_waitcnt vmcnt(0)
	v_dual_mov_b32 v44, 0 :: v_dual_and_b32 v43, 1, v43
	s_delay_alu instid0(VALU_DEP_1) | instskip(NEXT) | instid1(VALU_DEP_1)
	v_cmp_eq_u32_e64 s0, 1, v43
	s_xor_b32 s0, s0, -1
	s_delay_alu instid0(SALU_CYCLE_1)
	s_and_saveexec_b32 s2, s0
	s_cbranch_execz .LBB767_503
; %bb.502:
	v_sub_f32_e32 v42, v42, v77
	s_delay_alu instid0(VALU_DEP_1) | instskip(NEXT) | instid1(VALU_DEP_1)
	v_mul_f32_e32 v43, 0x3fb8aa3b, v42
	v_fma_f32 v44, 0x3fb8aa3b, v42, -v43
	v_rndne_f32_e32 v78, v43
	s_delay_alu instid0(VALU_DEP_1) | instskip(SKIP_1) | instid1(VALU_DEP_2)
	v_dual_sub_f32 v43, v43, v78 :: v_dual_fmamk_f32 v44, v42, 0x32a5705f, v44
	v_cmp_ngt_f32_e64 s0, 0xc2ce8ed0, v42
	v_add_f32_e32 v43, v43, v44
	v_cvt_i32_f32_e32 v44, v78
	s_delay_alu instid0(VALU_DEP_2) | instskip(SKIP_2) | instid1(VALU_DEP_1)
	v_exp_f32_e32 v43, v43
	s_waitcnt_depctr 0xfff
	v_ldexp_f32 v43, v43, v44
	v_cndmask_b32_e64 v43, 0, v43, s0
	v_cmp_nlt_f32_e64 s0, 0x42b17218, v42
	s_delay_alu instid0(VALU_DEP_1) | instskip(NEXT) | instid1(VALU_DEP_1)
	v_cndmask_b32_e64 v44, 0x7f800000, v43, s0
	v_add_f32_e32 v71, v71, v44
.LBB767_503:
	s_or_b32 exec_lo, exec_lo, s2
.LBB767_504:
	s_delay_alu instid0(SALU_CYCLE_1)
	s_or_b32 exec_lo, exec_lo, s1
	v_dual_mov_b32 v42, 0 :: v_dual_mov_b32 v43, 0
	s_and_saveexec_b32 s1, s102
	s_cbranch_execz .LBB767_508
; %bb.505:
	global_load_u8 v43, v[2:3], off offset:960
	s_waitcnt vmcnt(0)
	v_and_b32_e32 v43, 1, v43
	s_delay_alu instid0(VALU_DEP_1) | instskip(SKIP_1) | instid1(VALU_DEP_2)
	v_cmp_eq_u32_e64 s0, 1, v43
	v_mov_b32_e32 v43, 0
	s_xor_b32 s0, s0, -1
	s_delay_alu instid0(SALU_CYCLE_1)
	s_and_saveexec_b32 s2, s0
	s_cbranch_execz .LBB767_507
; %bb.506:
	v_sub_f32_e32 v41, v41, v77
	s_delay_alu instid0(VALU_DEP_1) | instskip(SKIP_1) | instid1(VALU_DEP_2)
	v_mul_f32_e32 v43, 0x3fb8aa3b, v41
	v_cmp_ngt_f32_e64 s0, 0xc2ce8ed0, v41
	v_fma_f32 v78, 0x3fb8aa3b, v41, -v43
	v_rndne_f32_e32 v79, v43
	s_delay_alu instid0(VALU_DEP_1) | instskip(NEXT) | instid1(VALU_DEP_1)
	v_dual_fmamk_f32 v78, v41, 0x32a5705f, v78 :: v_dual_sub_f32 v43, v43, v79
	v_add_f32_e32 v43, v43, v78
	v_cvt_i32_f32_e32 v78, v79
	s_delay_alu instid0(VALU_DEP_2) | instskip(SKIP_2) | instid1(VALU_DEP_1)
	v_exp_f32_e32 v43, v43
	s_waitcnt_depctr 0xfff
	v_ldexp_f32 v43, v43, v78
	v_cndmask_b32_e64 v43, 0, v43, s0
	v_cmp_nlt_f32_e64 s0, 0x42b17218, v41
	s_delay_alu instid0(VALU_DEP_1) | instskip(NEXT) | instid1(VALU_DEP_1)
	v_cndmask_b32_e64 v43, 0x7f800000, v43, s0
	v_add_f32_e32 v71, v71, v43
.LBB767_507:
	s_or_b32 exec_lo, exec_lo, s2
.LBB767_508:
	s_delay_alu instid0(SALU_CYCLE_1)
	s_or_b32 exec_lo, exec_lo, s1
	s_and_saveexec_b32 s1, s101
	s_cbranch_execz .LBB767_512
; %bb.509:
	global_load_u8 v41, v[2:3], off offset:992
	s_waitcnt vmcnt(0)
	v_dual_mov_b32 v42, 0 :: v_dual_and_b32 v41, 1, v41
	s_delay_alu instid0(VALU_DEP_1) | instskip(NEXT) | instid1(VALU_DEP_1)
	v_cmp_eq_u32_e64 s0, 1, v41
	s_xor_b32 s0, s0, -1
	s_delay_alu instid0(SALU_CYCLE_1)
	s_and_saveexec_b32 s2, s0
	s_cbranch_execz .LBB767_511
; %bb.510:
	v_sub_f32_e32 v40, v40, v77
	s_delay_alu instid0(VALU_DEP_1) | instskip(NEXT) | instid1(VALU_DEP_1)
	v_mul_f32_e32 v41, 0x3fb8aa3b, v40
	v_fma_f32 v42, 0x3fb8aa3b, v40, -v41
	v_rndne_f32_e32 v78, v41
	s_delay_alu instid0(VALU_DEP_1) | instskip(SKIP_1) | instid1(VALU_DEP_2)
	v_dual_sub_f32 v41, v41, v78 :: v_dual_fmamk_f32 v42, v40, 0x32a5705f, v42
	v_cmp_ngt_f32_e64 s0, 0xc2ce8ed0, v40
	v_add_f32_e32 v41, v41, v42
	v_cvt_i32_f32_e32 v42, v78
	s_delay_alu instid0(VALU_DEP_2) | instskip(SKIP_2) | instid1(VALU_DEP_1)
	v_exp_f32_e32 v41, v41
	s_waitcnt_depctr 0xfff
	v_ldexp_f32 v41, v41, v42
	v_cndmask_b32_e64 v41, 0, v41, s0
	v_cmp_nlt_f32_e64 s0, 0x42b17218, v40
	s_delay_alu instid0(VALU_DEP_1) | instskip(NEXT) | instid1(VALU_DEP_1)
	v_cndmask_b32_e64 v42, 0x7f800000, v41, s0
	v_add_f32_e32 v71, v71, v42
.LBB767_511:
	s_or_b32 exec_lo, exec_lo, s2
.LBB767_512:
	s_delay_alu instid0(SALU_CYCLE_1)
	s_or_b32 exec_lo, exec_lo, s1
	v_dual_mov_b32 v40, 0 :: v_dual_mov_b32 v41, 0
	s_and_saveexec_b32 s1, s100
	s_cbranch_execz .LBB767_516
; %bb.513:
	global_load_u8 v41, v[2:3], off offset:1024
	s_waitcnt vmcnt(0)
	v_and_b32_e32 v41, 1, v41
	s_delay_alu instid0(VALU_DEP_1) | instskip(SKIP_1) | instid1(VALU_DEP_2)
	v_cmp_eq_u32_e64 s0, 1, v41
	v_mov_b32_e32 v41, 0
	s_xor_b32 s0, s0, -1
	s_delay_alu instid0(SALU_CYCLE_1)
	s_and_saveexec_b32 s2, s0
	s_cbranch_execz .LBB767_515
; %bb.514:
	v_sub_f32_e32 v39, v39, v77
	s_delay_alu instid0(VALU_DEP_1) | instskip(SKIP_1) | instid1(VALU_DEP_2)
	v_mul_f32_e32 v41, 0x3fb8aa3b, v39
	v_cmp_ngt_f32_e64 s0, 0xc2ce8ed0, v39
	v_fma_f32 v78, 0x3fb8aa3b, v39, -v41
	v_rndne_f32_e32 v79, v41
	s_delay_alu instid0(VALU_DEP_1) | instskip(NEXT) | instid1(VALU_DEP_1)
	v_dual_fmamk_f32 v78, v39, 0x32a5705f, v78 :: v_dual_sub_f32 v41, v41, v79
	v_add_f32_e32 v41, v41, v78
	v_cvt_i32_f32_e32 v78, v79
	s_delay_alu instid0(VALU_DEP_2) | instskip(SKIP_2) | instid1(VALU_DEP_1)
	v_exp_f32_e32 v41, v41
	s_waitcnt_depctr 0xfff
	v_ldexp_f32 v41, v41, v78
	v_cndmask_b32_e64 v41, 0, v41, s0
	v_cmp_nlt_f32_e64 s0, 0x42b17218, v39
	s_delay_alu instid0(VALU_DEP_1) | instskip(NEXT) | instid1(VALU_DEP_1)
	v_cndmask_b32_e64 v41, 0x7f800000, v41, s0
	v_add_f32_e32 v71, v71, v41
.LBB767_515:
	s_or_b32 exec_lo, exec_lo, s2
.LBB767_516:
	s_delay_alu instid0(SALU_CYCLE_1)
	s_or_b32 exec_lo, exec_lo, s1
	s_and_saveexec_b32 s1, s99
	s_cbranch_execz .LBB767_520
; %bb.517:
	global_load_u8 v39, v[2:3], off offset:1056
	s_waitcnt vmcnt(0)
	v_dual_mov_b32 v40, 0 :: v_dual_and_b32 v39, 1, v39
	s_delay_alu instid0(VALU_DEP_1) | instskip(NEXT) | instid1(VALU_DEP_1)
	v_cmp_eq_u32_e64 s0, 1, v39
	s_xor_b32 s0, s0, -1
	s_delay_alu instid0(SALU_CYCLE_1)
	s_and_saveexec_b32 s2, s0
	s_cbranch_execz .LBB767_519
; %bb.518:
	v_sub_f32_e32 v38, v38, v77
	s_delay_alu instid0(VALU_DEP_1) | instskip(NEXT) | instid1(VALU_DEP_1)
	v_mul_f32_e32 v39, 0x3fb8aa3b, v38
	v_fma_f32 v40, 0x3fb8aa3b, v38, -v39
	v_rndne_f32_e32 v78, v39
	s_delay_alu instid0(VALU_DEP_1) | instskip(SKIP_1) | instid1(VALU_DEP_2)
	v_dual_sub_f32 v39, v39, v78 :: v_dual_fmamk_f32 v40, v38, 0x32a5705f, v40
	v_cmp_ngt_f32_e64 s0, 0xc2ce8ed0, v38
	v_add_f32_e32 v39, v39, v40
	v_cvt_i32_f32_e32 v40, v78
	s_delay_alu instid0(VALU_DEP_2) | instskip(SKIP_2) | instid1(VALU_DEP_1)
	v_exp_f32_e32 v39, v39
	s_waitcnt_depctr 0xfff
	v_ldexp_f32 v39, v39, v40
	v_cndmask_b32_e64 v39, 0, v39, s0
	v_cmp_nlt_f32_e64 s0, 0x42b17218, v38
	s_delay_alu instid0(VALU_DEP_1) | instskip(NEXT) | instid1(VALU_DEP_1)
	v_cndmask_b32_e64 v40, 0x7f800000, v39, s0
	v_add_f32_e32 v71, v71, v40
.LBB767_519:
	s_or_b32 exec_lo, exec_lo, s2
.LBB767_520:
	s_delay_alu instid0(SALU_CYCLE_1)
	s_or_b32 exec_lo, exec_lo, s1
	v_dual_mov_b32 v38, 0 :: v_dual_mov_b32 v39, 0
	s_and_saveexec_b32 s1, s98
	s_cbranch_execz .LBB767_524
; %bb.521:
	global_load_u8 v39, v[2:3], off offset:1088
	s_waitcnt vmcnt(0)
	v_and_b32_e32 v39, 1, v39
	s_delay_alu instid0(VALU_DEP_1) | instskip(SKIP_1) | instid1(VALU_DEP_2)
	v_cmp_eq_u32_e64 s0, 1, v39
	v_mov_b32_e32 v39, 0
	s_xor_b32 s0, s0, -1
	s_delay_alu instid0(SALU_CYCLE_1)
	s_and_saveexec_b32 s2, s0
	s_cbranch_execz .LBB767_523
; %bb.522:
	v_sub_f32_e32 v37, v37, v77
	s_delay_alu instid0(VALU_DEP_1) | instskip(SKIP_1) | instid1(VALU_DEP_2)
	v_mul_f32_e32 v39, 0x3fb8aa3b, v37
	v_cmp_ngt_f32_e64 s0, 0xc2ce8ed0, v37
	v_fma_f32 v78, 0x3fb8aa3b, v37, -v39
	v_rndne_f32_e32 v79, v39
	s_delay_alu instid0(VALU_DEP_1) | instskip(NEXT) | instid1(VALU_DEP_1)
	v_dual_fmamk_f32 v78, v37, 0x32a5705f, v78 :: v_dual_sub_f32 v39, v39, v79
	v_add_f32_e32 v39, v39, v78
	v_cvt_i32_f32_e32 v78, v79
	s_delay_alu instid0(VALU_DEP_2) | instskip(SKIP_2) | instid1(VALU_DEP_1)
	v_exp_f32_e32 v39, v39
	s_waitcnt_depctr 0xfff
	v_ldexp_f32 v39, v39, v78
	v_cndmask_b32_e64 v39, 0, v39, s0
	v_cmp_nlt_f32_e64 s0, 0x42b17218, v37
	s_delay_alu instid0(VALU_DEP_1) | instskip(NEXT) | instid1(VALU_DEP_1)
	v_cndmask_b32_e64 v39, 0x7f800000, v39, s0
	v_add_f32_e32 v71, v71, v39
.LBB767_523:
	s_or_b32 exec_lo, exec_lo, s2
.LBB767_524:
	s_delay_alu instid0(SALU_CYCLE_1)
	s_or_b32 exec_lo, exec_lo, s1
	s_and_saveexec_b32 s1, s97
	s_cbranch_execz .LBB767_528
; %bb.525:
	global_load_u8 v37, v[2:3], off offset:1120
	s_waitcnt vmcnt(0)
	v_dual_mov_b32 v38, 0 :: v_dual_and_b32 v37, 1, v37
	s_delay_alu instid0(VALU_DEP_1) | instskip(NEXT) | instid1(VALU_DEP_1)
	v_cmp_eq_u32_e64 s0, 1, v37
	s_xor_b32 s0, s0, -1
	s_delay_alu instid0(SALU_CYCLE_1)
	s_and_saveexec_b32 s2, s0
	s_cbranch_execz .LBB767_527
; %bb.526:
	v_sub_f32_e32 v36, v36, v77
	s_delay_alu instid0(VALU_DEP_1) | instskip(NEXT) | instid1(VALU_DEP_1)
	v_mul_f32_e32 v37, 0x3fb8aa3b, v36
	v_fma_f32 v38, 0x3fb8aa3b, v36, -v37
	v_rndne_f32_e32 v78, v37
	s_delay_alu instid0(VALU_DEP_1) | instskip(SKIP_1) | instid1(VALU_DEP_2)
	v_dual_sub_f32 v37, v37, v78 :: v_dual_fmamk_f32 v38, v36, 0x32a5705f, v38
	v_cmp_ngt_f32_e64 s0, 0xc2ce8ed0, v36
	v_add_f32_e32 v37, v37, v38
	v_cvt_i32_f32_e32 v38, v78
	s_delay_alu instid0(VALU_DEP_2) | instskip(SKIP_2) | instid1(VALU_DEP_1)
	v_exp_f32_e32 v37, v37
	s_waitcnt_depctr 0xfff
	v_ldexp_f32 v37, v37, v38
	v_cndmask_b32_e64 v37, 0, v37, s0
	v_cmp_nlt_f32_e64 s0, 0x42b17218, v36
	s_delay_alu instid0(VALU_DEP_1) | instskip(NEXT) | instid1(VALU_DEP_1)
	v_cndmask_b32_e64 v38, 0x7f800000, v37, s0
	v_add_f32_e32 v71, v71, v38
.LBB767_527:
	s_or_b32 exec_lo, exec_lo, s2
.LBB767_528:
	s_delay_alu instid0(SALU_CYCLE_1)
	s_or_b32 exec_lo, exec_lo, s1
	v_dual_mov_b32 v36, 0 :: v_dual_mov_b32 v37, 0
	s_and_saveexec_b32 s1, s96
	s_cbranch_execz .LBB767_532
; %bb.529:
	global_load_u8 v37, v[2:3], off offset:1152
	s_waitcnt vmcnt(0)
	v_and_b32_e32 v37, 1, v37
	s_delay_alu instid0(VALU_DEP_1) | instskip(SKIP_1) | instid1(VALU_DEP_2)
	v_cmp_eq_u32_e64 s0, 1, v37
	v_mov_b32_e32 v37, 0
	s_xor_b32 s0, s0, -1
	s_delay_alu instid0(SALU_CYCLE_1)
	s_and_saveexec_b32 s2, s0
	s_cbranch_execz .LBB767_531
; %bb.530:
	v_sub_f32_e32 v35, v35, v77
	s_delay_alu instid0(VALU_DEP_1) | instskip(SKIP_1) | instid1(VALU_DEP_2)
	v_mul_f32_e32 v37, 0x3fb8aa3b, v35
	v_cmp_ngt_f32_e64 s0, 0xc2ce8ed0, v35
	v_fma_f32 v78, 0x3fb8aa3b, v35, -v37
	v_rndne_f32_e32 v79, v37
	s_delay_alu instid0(VALU_DEP_1) | instskip(NEXT) | instid1(VALU_DEP_1)
	v_dual_fmamk_f32 v78, v35, 0x32a5705f, v78 :: v_dual_sub_f32 v37, v37, v79
	v_add_f32_e32 v37, v37, v78
	v_cvt_i32_f32_e32 v78, v79
	s_delay_alu instid0(VALU_DEP_2) | instskip(SKIP_2) | instid1(VALU_DEP_1)
	v_exp_f32_e32 v37, v37
	s_waitcnt_depctr 0xfff
	v_ldexp_f32 v37, v37, v78
	v_cndmask_b32_e64 v37, 0, v37, s0
	v_cmp_nlt_f32_e64 s0, 0x42b17218, v35
	s_delay_alu instid0(VALU_DEP_1) | instskip(NEXT) | instid1(VALU_DEP_1)
	v_cndmask_b32_e64 v37, 0x7f800000, v37, s0
	v_add_f32_e32 v71, v71, v37
.LBB767_531:
	s_or_b32 exec_lo, exec_lo, s2
.LBB767_532:
	s_delay_alu instid0(SALU_CYCLE_1)
	s_or_b32 exec_lo, exec_lo, s1
	s_and_saveexec_b32 s1, s95
	s_cbranch_execz .LBB767_536
; %bb.533:
	global_load_u8 v35, v[2:3], off offset:1184
	s_waitcnt vmcnt(0)
	v_dual_mov_b32 v36, 0 :: v_dual_and_b32 v35, 1, v35
	s_delay_alu instid0(VALU_DEP_1) | instskip(NEXT) | instid1(VALU_DEP_1)
	v_cmp_eq_u32_e64 s0, 1, v35
	s_xor_b32 s0, s0, -1
	s_delay_alu instid0(SALU_CYCLE_1)
	s_and_saveexec_b32 s2, s0
	s_cbranch_execz .LBB767_535
; %bb.534:
	v_sub_f32_e32 v34, v34, v77
	s_delay_alu instid0(VALU_DEP_1) | instskip(NEXT) | instid1(VALU_DEP_1)
	v_mul_f32_e32 v35, 0x3fb8aa3b, v34
	v_fma_f32 v36, 0x3fb8aa3b, v34, -v35
	v_rndne_f32_e32 v78, v35
	s_delay_alu instid0(VALU_DEP_1) | instskip(SKIP_1) | instid1(VALU_DEP_2)
	v_dual_sub_f32 v35, v35, v78 :: v_dual_fmamk_f32 v36, v34, 0x32a5705f, v36
	v_cmp_ngt_f32_e64 s0, 0xc2ce8ed0, v34
	v_add_f32_e32 v35, v35, v36
	v_cvt_i32_f32_e32 v36, v78
	s_delay_alu instid0(VALU_DEP_2) | instskip(SKIP_2) | instid1(VALU_DEP_1)
	v_exp_f32_e32 v35, v35
	s_waitcnt_depctr 0xfff
	v_ldexp_f32 v35, v35, v36
	v_cndmask_b32_e64 v35, 0, v35, s0
	v_cmp_nlt_f32_e64 s0, 0x42b17218, v34
	s_delay_alu instid0(VALU_DEP_1) | instskip(NEXT) | instid1(VALU_DEP_1)
	v_cndmask_b32_e64 v36, 0x7f800000, v35, s0
	v_add_f32_e32 v71, v71, v36
.LBB767_535:
	s_or_b32 exec_lo, exec_lo, s2
.LBB767_536:
	s_delay_alu instid0(SALU_CYCLE_1)
	s_or_b32 exec_lo, exec_lo, s1
	v_dual_mov_b32 v34, 0 :: v_dual_mov_b32 v35, 0
	s_and_saveexec_b32 s1, s94
	s_cbranch_execz .LBB767_540
; %bb.537:
	global_load_u8 v35, v[2:3], off offset:1216
	s_waitcnt vmcnt(0)
	v_and_b32_e32 v35, 1, v35
	s_delay_alu instid0(VALU_DEP_1) | instskip(SKIP_1) | instid1(VALU_DEP_2)
	v_cmp_eq_u32_e64 s0, 1, v35
	v_mov_b32_e32 v35, 0
	s_xor_b32 s0, s0, -1
	s_delay_alu instid0(SALU_CYCLE_1)
	s_and_saveexec_b32 s2, s0
	s_cbranch_execz .LBB767_539
; %bb.538:
	v_sub_f32_e32 v33, v33, v77
	s_delay_alu instid0(VALU_DEP_1) | instskip(SKIP_1) | instid1(VALU_DEP_2)
	v_mul_f32_e32 v35, 0x3fb8aa3b, v33
	v_cmp_ngt_f32_e64 s0, 0xc2ce8ed0, v33
	v_fma_f32 v78, 0x3fb8aa3b, v33, -v35
	v_rndne_f32_e32 v79, v35
	s_delay_alu instid0(VALU_DEP_1) | instskip(NEXT) | instid1(VALU_DEP_1)
	v_dual_fmamk_f32 v78, v33, 0x32a5705f, v78 :: v_dual_sub_f32 v35, v35, v79
	v_add_f32_e32 v35, v35, v78
	v_cvt_i32_f32_e32 v78, v79
	s_delay_alu instid0(VALU_DEP_2) | instskip(SKIP_2) | instid1(VALU_DEP_1)
	v_exp_f32_e32 v35, v35
	s_waitcnt_depctr 0xfff
	v_ldexp_f32 v35, v35, v78
	v_cndmask_b32_e64 v35, 0, v35, s0
	v_cmp_nlt_f32_e64 s0, 0x42b17218, v33
	s_delay_alu instid0(VALU_DEP_1) | instskip(NEXT) | instid1(VALU_DEP_1)
	v_cndmask_b32_e64 v35, 0x7f800000, v35, s0
	v_add_f32_e32 v71, v71, v35
.LBB767_539:
	s_or_b32 exec_lo, exec_lo, s2
.LBB767_540:
	s_delay_alu instid0(SALU_CYCLE_1)
	s_or_b32 exec_lo, exec_lo, s1
	s_and_saveexec_b32 s1, s93
	s_cbranch_execz .LBB767_544
; %bb.541:
	global_load_u8 v33, v[2:3], off offset:1248
	s_waitcnt vmcnt(0)
	v_dual_mov_b32 v34, 0 :: v_dual_and_b32 v33, 1, v33
	s_delay_alu instid0(VALU_DEP_1) | instskip(NEXT) | instid1(VALU_DEP_1)
	v_cmp_eq_u32_e64 s0, 1, v33
	s_xor_b32 s0, s0, -1
	s_delay_alu instid0(SALU_CYCLE_1)
	s_and_saveexec_b32 s2, s0
	s_cbranch_execz .LBB767_543
; %bb.542:
	v_sub_f32_e32 v32, v32, v77
	s_delay_alu instid0(VALU_DEP_1) | instskip(NEXT) | instid1(VALU_DEP_1)
	v_mul_f32_e32 v33, 0x3fb8aa3b, v32
	v_fma_f32 v34, 0x3fb8aa3b, v32, -v33
	v_rndne_f32_e32 v78, v33
	s_delay_alu instid0(VALU_DEP_1) | instskip(SKIP_1) | instid1(VALU_DEP_2)
	v_dual_sub_f32 v33, v33, v78 :: v_dual_fmamk_f32 v34, v32, 0x32a5705f, v34
	v_cmp_ngt_f32_e64 s0, 0xc2ce8ed0, v32
	v_add_f32_e32 v33, v33, v34
	v_cvt_i32_f32_e32 v34, v78
	s_delay_alu instid0(VALU_DEP_2) | instskip(SKIP_2) | instid1(VALU_DEP_1)
	v_exp_f32_e32 v33, v33
	s_waitcnt_depctr 0xfff
	v_ldexp_f32 v33, v33, v34
	v_cndmask_b32_e64 v33, 0, v33, s0
	v_cmp_nlt_f32_e64 s0, 0x42b17218, v32
	s_delay_alu instid0(VALU_DEP_1) | instskip(NEXT) | instid1(VALU_DEP_1)
	v_cndmask_b32_e64 v34, 0x7f800000, v33, s0
	v_add_f32_e32 v71, v71, v34
.LBB767_543:
	s_or_b32 exec_lo, exec_lo, s2
.LBB767_544:
	s_delay_alu instid0(SALU_CYCLE_1)
	s_or_b32 exec_lo, exec_lo, s1
	v_dual_mov_b32 v32, 0 :: v_dual_mov_b32 v33, 0
	s_and_saveexec_b32 s1, s92
	s_cbranch_execz .LBB767_548
; %bb.545:
	global_load_u8 v33, v[2:3], off offset:1280
	s_waitcnt vmcnt(0)
	v_and_b32_e32 v33, 1, v33
	s_delay_alu instid0(VALU_DEP_1) | instskip(SKIP_1) | instid1(VALU_DEP_2)
	v_cmp_eq_u32_e64 s0, 1, v33
	v_mov_b32_e32 v33, 0
	s_xor_b32 s0, s0, -1
	s_delay_alu instid0(SALU_CYCLE_1)
	s_and_saveexec_b32 s2, s0
	s_cbranch_execz .LBB767_547
; %bb.546:
	v_sub_f32_e32 v31, v31, v77
	s_delay_alu instid0(VALU_DEP_1) | instskip(SKIP_1) | instid1(VALU_DEP_2)
	v_mul_f32_e32 v33, 0x3fb8aa3b, v31
	v_cmp_ngt_f32_e64 s0, 0xc2ce8ed0, v31
	v_fma_f32 v78, 0x3fb8aa3b, v31, -v33
	v_rndne_f32_e32 v79, v33
	s_delay_alu instid0(VALU_DEP_1) | instskip(NEXT) | instid1(VALU_DEP_1)
	v_dual_fmamk_f32 v78, v31, 0x32a5705f, v78 :: v_dual_sub_f32 v33, v33, v79
	v_add_f32_e32 v33, v33, v78
	v_cvt_i32_f32_e32 v78, v79
	s_delay_alu instid0(VALU_DEP_2) | instskip(SKIP_2) | instid1(VALU_DEP_1)
	v_exp_f32_e32 v33, v33
	s_waitcnt_depctr 0xfff
	v_ldexp_f32 v33, v33, v78
	v_cndmask_b32_e64 v33, 0, v33, s0
	v_cmp_nlt_f32_e64 s0, 0x42b17218, v31
	s_delay_alu instid0(VALU_DEP_1) | instskip(NEXT) | instid1(VALU_DEP_1)
	v_cndmask_b32_e64 v33, 0x7f800000, v33, s0
	v_add_f32_e32 v71, v71, v33
.LBB767_547:
	s_or_b32 exec_lo, exec_lo, s2
.LBB767_548:
	s_delay_alu instid0(SALU_CYCLE_1)
	s_or_b32 exec_lo, exec_lo, s1
	s_and_saveexec_b32 s1, s91
	s_cbranch_execz .LBB767_552
; %bb.549:
	global_load_u8 v31, v[2:3], off offset:1312
	s_waitcnt vmcnt(0)
	v_dual_mov_b32 v32, 0 :: v_dual_and_b32 v31, 1, v31
	s_delay_alu instid0(VALU_DEP_1) | instskip(NEXT) | instid1(VALU_DEP_1)
	v_cmp_eq_u32_e64 s0, 1, v31
	s_xor_b32 s0, s0, -1
	s_delay_alu instid0(SALU_CYCLE_1)
	s_and_saveexec_b32 s2, s0
	s_cbranch_execz .LBB767_551
; %bb.550:
	v_sub_f32_e32 v30, v30, v77
	s_delay_alu instid0(VALU_DEP_1) | instskip(NEXT) | instid1(VALU_DEP_1)
	v_mul_f32_e32 v31, 0x3fb8aa3b, v30
	v_fma_f32 v32, 0x3fb8aa3b, v30, -v31
	v_rndne_f32_e32 v78, v31
	s_delay_alu instid0(VALU_DEP_1) | instskip(SKIP_1) | instid1(VALU_DEP_2)
	v_dual_sub_f32 v31, v31, v78 :: v_dual_fmamk_f32 v32, v30, 0x32a5705f, v32
	v_cmp_ngt_f32_e64 s0, 0xc2ce8ed0, v30
	v_add_f32_e32 v31, v31, v32
	v_cvt_i32_f32_e32 v32, v78
	s_delay_alu instid0(VALU_DEP_2) | instskip(SKIP_2) | instid1(VALU_DEP_1)
	v_exp_f32_e32 v31, v31
	s_waitcnt_depctr 0xfff
	v_ldexp_f32 v31, v31, v32
	v_cndmask_b32_e64 v31, 0, v31, s0
	v_cmp_nlt_f32_e64 s0, 0x42b17218, v30
	s_delay_alu instid0(VALU_DEP_1) | instskip(NEXT) | instid1(VALU_DEP_1)
	v_cndmask_b32_e64 v32, 0x7f800000, v31, s0
	v_add_f32_e32 v71, v71, v32
.LBB767_551:
	s_or_b32 exec_lo, exec_lo, s2
.LBB767_552:
	s_delay_alu instid0(SALU_CYCLE_1)
	s_or_b32 exec_lo, exec_lo, s1
	v_dual_mov_b32 v30, 0 :: v_dual_mov_b32 v31, 0
	s_and_saveexec_b32 s1, s90
	s_cbranch_execz .LBB767_556
; %bb.553:
	global_load_u8 v31, v[2:3], off offset:1344
	s_waitcnt vmcnt(0)
	v_and_b32_e32 v31, 1, v31
	s_delay_alu instid0(VALU_DEP_1) | instskip(SKIP_1) | instid1(VALU_DEP_2)
	v_cmp_eq_u32_e64 s0, 1, v31
	v_mov_b32_e32 v31, 0
	s_xor_b32 s0, s0, -1
	s_delay_alu instid0(SALU_CYCLE_1)
	s_and_saveexec_b32 s2, s0
	s_cbranch_execz .LBB767_555
; %bb.554:
	v_sub_f32_e32 v29, v29, v77
	s_delay_alu instid0(VALU_DEP_1) | instskip(SKIP_1) | instid1(VALU_DEP_2)
	v_mul_f32_e32 v31, 0x3fb8aa3b, v29
	v_cmp_ngt_f32_e64 s0, 0xc2ce8ed0, v29
	v_fma_f32 v78, 0x3fb8aa3b, v29, -v31
	v_rndne_f32_e32 v79, v31
	s_delay_alu instid0(VALU_DEP_1) | instskip(NEXT) | instid1(VALU_DEP_1)
	v_dual_fmamk_f32 v78, v29, 0x32a5705f, v78 :: v_dual_sub_f32 v31, v31, v79
	v_add_f32_e32 v31, v31, v78
	v_cvt_i32_f32_e32 v78, v79
	s_delay_alu instid0(VALU_DEP_2) | instskip(SKIP_2) | instid1(VALU_DEP_1)
	v_exp_f32_e32 v31, v31
	s_waitcnt_depctr 0xfff
	v_ldexp_f32 v31, v31, v78
	v_cndmask_b32_e64 v31, 0, v31, s0
	v_cmp_nlt_f32_e64 s0, 0x42b17218, v29
	s_delay_alu instid0(VALU_DEP_1) | instskip(NEXT) | instid1(VALU_DEP_1)
	v_cndmask_b32_e64 v31, 0x7f800000, v31, s0
	v_add_f32_e32 v71, v71, v31
.LBB767_555:
	s_or_b32 exec_lo, exec_lo, s2
.LBB767_556:
	s_delay_alu instid0(SALU_CYCLE_1)
	s_or_b32 exec_lo, exec_lo, s1
	s_and_saveexec_b32 s1, s89
	s_cbranch_execz .LBB767_560
; %bb.557:
	global_load_u8 v29, v[2:3], off offset:1376
	s_waitcnt vmcnt(0)
	v_dual_mov_b32 v30, 0 :: v_dual_and_b32 v29, 1, v29
	s_delay_alu instid0(VALU_DEP_1) | instskip(NEXT) | instid1(VALU_DEP_1)
	v_cmp_eq_u32_e64 s0, 1, v29
	s_xor_b32 s0, s0, -1
	s_delay_alu instid0(SALU_CYCLE_1)
	s_and_saveexec_b32 s2, s0
	s_cbranch_execz .LBB767_559
; %bb.558:
	v_sub_f32_e32 v28, v28, v77
	s_delay_alu instid0(VALU_DEP_1) | instskip(NEXT) | instid1(VALU_DEP_1)
	v_mul_f32_e32 v29, 0x3fb8aa3b, v28
	v_fma_f32 v30, 0x3fb8aa3b, v28, -v29
	v_rndne_f32_e32 v78, v29
	s_delay_alu instid0(VALU_DEP_1) | instskip(SKIP_1) | instid1(VALU_DEP_2)
	v_dual_sub_f32 v29, v29, v78 :: v_dual_fmamk_f32 v30, v28, 0x32a5705f, v30
	v_cmp_ngt_f32_e64 s0, 0xc2ce8ed0, v28
	v_add_f32_e32 v29, v29, v30
	v_cvt_i32_f32_e32 v30, v78
	s_delay_alu instid0(VALU_DEP_2) | instskip(SKIP_2) | instid1(VALU_DEP_1)
	v_exp_f32_e32 v29, v29
	s_waitcnt_depctr 0xfff
	v_ldexp_f32 v29, v29, v30
	v_cndmask_b32_e64 v29, 0, v29, s0
	v_cmp_nlt_f32_e64 s0, 0x42b17218, v28
	s_delay_alu instid0(VALU_DEP_1) | instskip(NEXT) | instid1(VALU_DEP_1)
	v_cndmask_b32_e64 v30, 0x7f800000, v29, s0
	v_add_f32_e32 v71, v71, v30
.LBB767_559:
	s_or_b32 exec_lo, exec_lo, s2
.LBB767_560:
	s_delay_alu instid0(SALU_CYCLE_1)
	s_or_b32 exec_lo, exec_lo, s1
	v_dual_mov_b32 v28, 0 :: v_dual_mov_b32 v29, 0
	s_and_saveexec_b32 s1, s88
	s_cbranch_execz .LBB767_564
; %bb.561:
	global_load_u8 v29, v[2:3], off offset:1408
	s_waitcnt vmcnt(0)
	v_and_b32_e32 v29, 1, v29
	s_delay_alu instid0(VALU_DEP_1) | instskip(SKIP_1) | instid1(VALU_DEP_2)
	v_cmp_eq_u32_e64 s0, 1, v29
	v_mov_b32_e32 v29, 0
	s_xor_b32 s0, s0, -1
	s_delay_alu instid0(SALU_CYCLE_1)
	s_and_saveexec_b32 s2, s0
	s_cbranch_execz .LBB767_563
; %bb.562:
	v_sub_f32_e32 v27, v27, v77
	s_delay_alu instid0(VALU_DEP_1) | instskip(SKIP_1) | instid1(VALU_DEP_2)
	v_mul_f32_e32 v29, 0x3fb8aa3b, v27
	v_cmp_ngt_f32_e64 s0, 0xc2ce8ed0, v27
	v_fma_f32 v78, 0x3fb8aa3b, v27, -v29
	v_rndne_f32_e32 v79, v29
	s_delay_alu instid0(VALU_DEP_1) | instskip(NEXT) | instid1(VALU_DEP_1)
	v_dual_fmamk_f32 v78, v27, 0x32a5705f, v78 :: v_dual_sub_f32 v29, v29, v79
	v_add_f32_e32 v29, v29, v78
	v_cvt_i32_f32_e32 v78, v79
	s_delay_alu instid0(VALU_DEP_2) | instskip(SKIP_2) | instid1(VALU_DEP_1)
	v_exp_f32_e32 v29, v29
	s_waitcnt_depctr 0xfff
	v_ldexp_f32 v29, v29, v78
	v_cndmask_b32_e64 v29, 0, v29, s0
	v_cmp_nlt_f32_e64 s0, 0x42b17218, v27
	s_delay_alu instid0(VALU_DEP_1) | instskip(NEXT) | instid1(VALU_DEP_1)
	v_cndmask_b32_e64 v29, 0x7f800000, v29, s0
	v_add_f32_e32 v71, v71, v29
.LBB767_563:
	s_or_b32 exec_lo, exec_lo, s2
.LBB767_564:
	s_delay_alu instid0(SALU_CYCLE_1)
	s_or_b32 exec_lo, exec_lo, s1
	s_and_saveexec_b32 s1, s87
	s_cbranch_execz .LBB767_568
; %bb.565:
	global_load_u8 v27, v[2:3], off offset:1440
	s_waitcnt vmcnt(0)
	v_dual_mov_b32 v28, 0 :: v_dual_and_b32 v27, 1, v27
	s_delay_alu instid0(VALU_DEP_1) | instskip(NEXT) | instid1(VALU_DEP_1)
	v_cmp_eq_u32_e64 s0, 1, v27
	s_xor_b32 s0, s0, -1
	s_delay_alu instid0(SALU_CYCLE_1)
	s_and_saveexec_b32 s2, s0
	s_cbranch_execz .LBB767_567
; %bb.566:
	v_sub_f32_e32 v26, v26, v77
	s_delay_alu instid0(VALU_DEP_1) | instskip(NEXT) | instid1(VALU_DEP_1)
	v_mul_f32_e32 v27, 0x3fb8aa3b, v26
	v_fma_f32 v28, 0x3fb8aa3b, v26, -v27
	v_rndne_f32_e32 v78, v27
	s_delay_alu instid0(VALU_DEP_1) | instskip(SKIP_1) | instid1(VALU_DEP_2)
	v_dual_sub_f32 v27, v27, v78 :: v_dual_fmamk_f32 v28, v26, 0x32a5705f, v28
	v_cmp_ngt_f32_e64 s0, 0xc2ce8ed0, v26
	v_add_f32_e32 v27, v27, v28
	v_cvt_i32_f32_e32 v28, v78
	s_delay_alu instid0(VALU_DEP_2) | instskip(SKIP_2) | instid1(VALU_DEP_1)
	v_exp_f32_e32 v27, v27
	s_waitcnt_depctr 0xfff
	v_ldexp_f32 v27, v27, v28
	v_cndmask_b32_e64 v27, 0, v27, s0
	v_cmp_nlt_f32_e64 s0, 0x42b17218, v26
	s_delay_alu instid0(VALU_DEP_1) | instskip(NEXT) | instid1(VALU_DEP_1)
	v_cndmask_b32_e64 v28, 0x7f800000, v27, s0
	v_add_f32_e32 v71, v71, v28
.LBB767_567:
	s_or_b32 exec_lo, exec_lo, s2
.LBB767_568:
	s_delay_alu instid0(SALU_CYCLE_1)
	s_or_b32 exec_lo, exec_lo, s1
	v_dual_mov_b32 v26, 0 :: v_dual_mov_b32 v27, 0
	s_and_saveexec_b32 s1, s86
	s_cbranch_execz .LBB767_572
; %bb.569:
	global_load_u8 v27, v[2:3], off offset:1472
	s_waitcnt vmcnt(0)
	v_and_b32_e32 v27, 1, v27
	s_delay_alu instid0(VALU_DEP_1) | instskip(SKIP_1) | instid1(VALU_DEP_2)
	v_cmp_eq_u32_e64 s0, 1, v27
	v_mov_b32_e32 v27, 0
	s_xor_b32 s0, s0, -1
	s_delay_alu instid0(SALU_CYCLE_1)
	s_and_saveexec_b32 s2, s0
	s_cbranch_execz .LBB767_571
; %bb.570:
	v_sub_f32_e32 v25, v25, v77
	s_delay_alu instid0(VALU_DEP_1) | instskip(SKIP_1) | instid1(VALU_DEP_2)
	v_mul_f32_e32 v27, 0x3fb8aa3b, v25
	v_cmp_ngt_f32_e64 s0, 0xc2ce8ed0, v25
	v_fma_f32 v78, 0x3fb8aa3b, v25, -v27
	v_rndne_f32_e32 v79, v27
	s_delay_alu instid0(VALU_DEP_1) | instskip(NEXT) | instid1(VALU_DEP_1)
	v_dual_fmamk_f32 v78, v25, 0x32a5705f, v78 :: v_dual_sub_f32 v27, v27, v79
	v_add_f32_e32 v27, v27, v78
	v_cvt_i32_f32_e32 v78, v79
	s_delay_alu instid0(VALU_DEP_2) | instskip(SKIP_2) | instid1(VALU_DEP_1)
	v_exp_f32_e32 v27, v27
	s_waitcnt_depctr 0xfff
	v_ldexp_f32 v27, v27, v78
	v_cndmask_b32_e64 v27, 0, v27, s0
	v_cmp_nlt_f32_e64 s0, 0x42b17218, v25
	s_delay_alu instid0(VALU_DEP_1) | instskip(NEXT) | instid1(VALU_DEP_1)
	v_cndmask_b32_e64 v27, 0x7f800000, v27, s0
	v_add_f32_e32 v71, v71, v27
.LBB767_571:
	s_or_b32 exec_lo, exec_lo, s2
.LBB767_572:
	s_delay_alu instid0(SALU_CYCLE_1)
	s_or_b32 exec_lo, exec_lo, s1
	s_and_saveexec_b32 s1, s85
	s_cbranch_execz .LBB767_576
; %bb.573:
	global_load_u8 v25, v[2:3], off offset:1504
	s_waitcnt vmcnt(0)
	v_dual_mov_b32 v26, 0 :: v_dual_and_b32 v25, 1, v25
	s_delay_alu instid0(VALU_DEP_1) | instskip(NEXT) | instid1(VALU_DEP_1)
	v_cmp_eq_u32_e64 s0, 1, v25
	s_xor_b32 s0, s0, -1
	s_delay_alu instid0(SALU_CYCLE_1)
	s_and_saveexec_b32 s2, s0
	s_cbranch_execz .LBB767_575
; %bb.574:
	v_sub_f32_e32 v24, v24, v77
	s_delay_alu instid0(VALU_DEP_1) | instskip(NEXT) | instid1(VALU_DEP_1)
	v_mul_f32_e32 v25, 0x3fb8aa3b, v24
	v_fma_f32 v26, 0x3fb8aa3b, v24, -v25
	v_rndne_f32_e32 v78, v25
	s_delay_alu instid0(VALU_DEP_1) | instskip(SKIP_1) | instid1(VALU_DEP_2)
	v_dual_sub_f32 v25, v25, v78 :: v_dual_fmamk_f32 v26, v24, 0x32a5705f, v26
	v_cmp_ngt_f32_e64 s0, 0xc2ce8ed0, v24
	v_add_f32_e32 v25, v25, v26
	v_cvt_i32_f32_e32 v26, v78
	s_delay_alu instid0(VALU_DEP_2) | instskip(SKIP_2) | instid1(VALU_DEP_1)
	v_exp_f32_e32 v25, v25
	s_waitcnt_depctr 0xfff
	v_ldexp_f32 v25, v25, v26
	v_cndmask_b32_e64 v25, 0, v25, s0
	v_cmp_nlt_f32_e64 s0, 0x42b17218, v24
	s_delay_alu instid0(VALU_DEP_1) | instskip(NEXT) | instid1(VALU_DEP_1)
	v_cndmask_b32_e64 v26, 0x7f800000, v25, s0
	v_add_f32_e32 v71, v71, v26
.LBB767_575:
	s_or_b32 exec_lo, exec_lo, s2
.LBB767_576:
	s_delay_alu instid0(SALU_CYCLE_1)
	s_or_b32 exec_lo, exec_lo, s1
	v_dual_mov_b32 v24, 0 :: v_dual_mov_b32 v25, 0
	s_and_saveexec_b32 s1, s84
	s_cbranch_execz .LBB767_580
; %bb.577:
	global_load_u8 v25, v[2:3], off offset:1536
	s_waitcnt vmcnt(0)
	v_and_b32_e32 v25, 1, v25
	s_delay_alu instid0(VALU_DEP_1) | instskip(SKIP_1) | instid1(VALU_DEP_2)
	v_cmp_eq_u32_e64 s0, 1, v25
	v_mov_b32_e32 v25, 0
	s_xor_b32 s0, s0, -1
	s_delay_alu instid0(SALU_CYCLE_1)
	s_and_saveexec_b32 s2, s0
	s_cbranch_execz .LBB767_579
; %bb.578:
	v_sub_f32_e32 v23, v23, v77
	s_delay_alu instid0(VALU_DEP_1) | instskip(SKIP_1) | instid1(VALU_DEP_2)
	v_mul_f32_e32 v25, 0x3fb8aa3b, v23
	v_cmp_ngt_f32_e64 s0, 0xc2ce8ed0, v23
	v_fma_f32 v78, 0x3fb8aa3b, v23, -v25
	v_rndne_f32_e32 v79, v25
	s_delay_alu instid0(VALU_DEP_1) | instskip(NEXT) | instid1(VALU_DEP_1)
	v_dual_fmamk_f32 v78, v23, 0x32a5705f, v78 :: v_dual_sub_f32 v25, v25, v79
	v_add_f32_e32 v25, v25, v78
	v_cvt_i32_f32_e32 v78, v79
	s_delay_alu instid0(VALU_DEP_2) | instskip(SKIP_2) | instid1(VALU_DEP_1)
	v_exp_f32_e32 v25, v25
	s_waitcnt_depctr 0xfff
	v_ldexp_f32 v25, v25, v78
	v_cndmask_b32_e64 v25, 0, v25, s0
	v_cmp_nlt_f32_e64 s0, 0x42b17218, v23
	s_delay_alu instid0(VALU_DEP_1) | instskip(NEXT) | instid1(VALU_DEP_1)
	v_cndmask_b32_e64 v25, 0x7f800000, v25, s0
	v_add_f32_e32 v71, v71, v25
.LBB767_579:
	s_or_b32 exec_lo, exec_lo, s2
.LBB767_580:
	s_delay_alu instid0(SALU_CYCLE_1)
	s_or_b32 exec_lo, exec_lo, s1
	s_and_saveexec_b32 s1, s83
	s_cbranch_execz .LBB767_584
; %bb.581:
	global_load_u8 v23, v[2:3], off offset:1568
	s_waitcnt vmcnt(0)
	v_dual_mov_b32 v24, 0 :: v_dual_and_b32 v23, 1, v23
	s_delay_alu instid0(VALU_DEP_1) | instskip(NEXT) | instid1(VALU_DEP_1)
	v_cmp_eq_u32_e64 s0, 1, v23
	s_xor_b32 s0, s0, -1
	s_delay_alu instid0(SALU_CYCLE_1)
	s_and_saveexec_b32 s2, s0
	s_cbranch_execz .LBB767_583
; %bb.582:
	v_sub_f32_e32 v22, v22, v77
	s_delay_alu instid0(VALU_DEP_1) | instskip(NEXT) | instid1(VALU_DEP_1)
	v_mul_f32_e32 v23, 0x3fb8aa3b, v22
	v_fma_f32 v24, 0x3fb8aa3b, v22, -v23
	v_rndne_f32_e32 v78, v23
	s_delay_alu instid0(VALU_DEP_1) | instskip(SKIP_1) | instid1(VALU_DEP_2)
	v_dual_sub_f32 v23, v23, v78 :: v_dual_fmamk_f32 v24, v22, 0x32a5705f, v24
	v_cmp_ngt_f32_e64 s0, 0xc2ce8ed0, v22
	v_add_f32_e32 v23, v23, v24
	v_cvt_i32_f32_e32 v24, v78
	s_delay_alu instid0(VALU_DEP_2) | instskip(SKIP_2) | instid1(VALU_DEP_1)
	v_exp_f32_e32 v23, v23
	s_waitcnt_depctr 0xfff
	v_ldexp_f32 v23, v23, v24
	v_cndmask_b32_e64 v23, 0, v23, s0
	v_cmp_nlt_f32_e64 s0, 0x42b17218, v22
	s_delay_alu instid0(VALU_DEP_1) | instskip(NEXT) | instid1(VALU_DEP_1)
	v_cndmask_b32_e64 v24, 0x7f800000, v23, s0
	v_add_f32_e32 v71, v71, v24
.LBB767_583:
	s_or_b32 exec_lo, exec_lo, s2
.LBB767_584:
	s_delay_alu instid0(SALU_CYCLE_1)
	s_or_b32 exec_lo, exec_lo, s1
	v_dual_mov_b32 v22, 0 :: v_dual_mov_b32 v23, 0
	s_and_saveexec_b32 s1, s82
	s_cbranch_execz .LBB767_588
; %bb.585:
	global_load_u8 v23, v[2:3], off offset:1600
	s_waitcnt vmcnt(0)
	v_and_b32_e32 v23, 1, v23
	s_delay_alu instid0(VALU_DEP_1) | instskip(SKIP_1) | instid1(VALU_DEP_2)
	v_cmp_eq_u32_e64 s0, 1, v23
	v_mov_b32_e32 v23, 0
	s_xor_b32 s0, s0, -1
	s_delay_alu instid0(SALU_CYCLE_1)
	s_and_saveexec_b32 s2, s0
	s_cbranch_execz .LBB767_587
; %bb.586:
	v_sub_f32_e32 v21, v21, v77
	s_delay_alu instid0(VALU_DEP_1) | instskip(SKIP_1) | instid1(VALU_DEP_2)
	v_mul_f32_e32 v23, 0x3fb8aa3b, v21
	v_cmp_ngt_f32_e64 s0, 0xc2ce8ed0, v21
	v_fma_f32 v78, 0x3fb8aa3b, v21, -v23
	v_rndne_f32_e32 v79, v23
	s_delay_alu instid0(VALU_DEP_1) | instskip(NEXT) | instid1(VALU_DEP_1)
	v_dual_fmamk_f32 v78, v21, 0x32a5705f, v78 :: v_dual_sub_f32 v23, v23, v79
	v_add_f32_e32 v23, v23, v78
	v_cvt_i32_f32_e32 v78, v79
	s_delay_alu instid0(VALU_DEP_2) | instskip(SKIP_2) | instid1(VALU_DEP_1)
	v_exp_f32_e32 v23, v23
	s_waitcnt_depctr 0xfff
	v_ldexp_f32 v23, v23, v78
	v_cndmask_b32_e64 v23, 0, v23, s0
	v_cmp_nlt_f32_e64 s0, 0x42b17218, v21
	s_delay_alu instid0(VALU_DEP_1) | instskip(NEXT) | instid1(VALU_DEP_1)
	v_cndmask_b32_e64 v23, 0x7f800000, v23, s0
	v_add_f32_e32 v71, v71, v23
.LBB767_587:
	s_or_b32 exec_lo, exec_lo, s2
.LBB767_588:
	s_delay_alu instid0(SALU_CYCLE_1)
	s_or_b32 exec_lo, exec_lo, s1
	s_and_saveexec_b32 s1, s81
	s_cbranch_execz .LBB767_592
; %bb.589:
	global_load_u8 v21, v[2:3], off offset:1632
	s_waitcnt vmcnt(0)
	v_dual_mov_b32 v22, 0 :: v_dual_and_b32 v21, 1, v21
	s_delay_alu instid0(VALU_DEP_1) | instskip(NEXT) | instid1(VALU_DEP_1)
	v_cmp_eq_u32_e64 s0, 1, v21
	s_xor_b32 s0, s0, -1
	s_delay_alu instid0(SALU_CYCLE_1)
	s_and_saveexec_b32 s2, s0
	s_cbranch_execz .LBB767_591
; %bb.590:
	v_sub_f32_e32 v20, v20, v77
	s_delay_alu instid0(VALU_DEP_1) | instskip(NEXT) | instid1(VALU_DEP_1)
	v_mul_f32_e32 v21, 0x3fb8aa3b, v20
	v_fma_f32 v22, 0x3fb8aa3b, v20, -v21
	v_rndne_f32_e32 v78, v21
	s_delay_alu instid0(VALU_DEP_1) | instskip(SKIP_1) | instid1(VALU_DEP_2)
	v_dual_sub_f32 v21, v21, v78 :: v_dual_fmamk_f32 v22, v20, 0x32a5705f, v22
	v_cmp_ngt_f32_e64 s0, 0xc2ce8ed0, v20
	v_add_f32_e32 v21, v21, v22
	v_cvt_i32_f32_e32 v22, v78
	s_delay_alu instid0(VALU_DEP_2) | instskip(SKIP_2) | instid1(VALU_DEP_1)
	v_exp_f32_e32 v21, v21
	s_waitcnt_depctr 0xfff
	v_ldexp_f32 v21, v21, v22
	v_cndmask_b32_e64 v21, 0, v21, s0
	v_cmp_nlt_f32_e64 s0, 0x42b17218, v20
	s_delay_alu instid0(VALU_DEP_1) | instskip(NEXT) | instid1(VALU_DEP_1)
	v_cndmask_b32_e64 v22, 0x7f800000, v21, s0
	v_add_f32_e32 v71, v71, v22
.LBB767_591:
	s_or_b32 exec_lo, exec_lo, s2
.LBB767_592:
	s_delay_alu instid0(SALU_CYCLE_1)
	s_or_b32 exec_lo, exec_lo, s1
	v_dual_mov_b32 v20, 0 :: v_dual_mov_b32 v21, 0
	s_and_saveexec_b32 s1, s80
	s_cbranch_execz .LBB767_596
; %bb.593:
	global_load_u8 v21, v[2:3], off offset:1664
	s_waitcnt vmcnt(0)
	v_and_b32_e32 v21, 1, v21
	s_delay_alu instid0(VALU_DEP_1) | instskip(SKIP_1) | instid1(VALU_DEP_2)
	v_cmp_eq_u32_e64 s0, 1, v21
	v_mov_b32_e32 v21, 0
	s_xor_b32 s0, s0, -1
	s_delay_alu instid0(SALU_CYCLE_1)
	s_and_saveexec_b32 s2, s0
	s_cbranch_execz .LBB767_595
; %bb.594:
	v_sub_f32_e32 v19, v19, v77
	s_delay_alu instid0(VALU_DEP_1) | instskip(SKIP_1) | instid1(VALU_DEP_2)
	v_mul_f32_e32 v21, 0x3fb8aa3b, v19
	v_cmp_ngt_f32_e64 s0, 0xc2ce8ed0, v19
	v_fma_f32 v78, 0x3fb8aa3b, v19, -v21
	v_rndne_f32_e32 v79, v21
	s_delay_alu instid0(VALU_DEP_1) | instskip(NEXT) | instid1(VALU_DEP_1)
	v_dual_fmamk_f32 v78, v19, 0x32a5705f, v78 :: v_dual_sub_f32 v21, v21, v79
	v_add_f32_e32 v21, v21, v78
	v_cvt_i32_f32_e32 v78, v79
	s_delay_alu instid0(VALU_DEP_2) | instskip(SKIP_2) | instid1(VALU_DEP_1)
	v_exp_f32_e32 v21, v21
	s_waitcnt_depctr 0xfff
	v_ldexp_f32 v21, v21, v78
	v_cndmask_b32_e64 v21, 0, v21, s0
	v_cmp_nlt_f32_e64 s0, 0x42b17218, v19
	s_delay_alu instid0(VALU_DEP_1) | instskip(NEXT) | instid1(VALU_DEP_1)
	v_cndmask_b32_e64 v21, 0x7f800000, v21, s0
	v_add_f32_e32 v71, v71, v21
.LBB767_595:
	s_or_b32 exec_lo, exec_lo, s2
.LBB767_596:
	s_delay_alu instid0(SALU_CYCLE_1)
	s_or_b32 exec_lo, exec_lo, s1
	s_and_saveexec_b32 s1, s79
	s_cbranch_execz .LBB767_600
; %bb.597:
	global_load_u8 v19, v[2:3], off offset:1696
	s_waitcnt vmcnt(0)
	v_dual_mov_b32 v20, 0 :: v_dual_and_b32 v19, 1, v19
	s_delay_alu instid0(VALU_DEP_1) | instskip(NEXT) | instid1(VALU_DEP_1)
	v_cmp_eq_u32_e64 s0, 1, v19
	s_xor_b32 s0, s0, -1
	s_delay_alu instid0(SALU_CYCLE_1)
	s_and_saveexec_b32 s2, s0
	s_cbranch_execz .LBB767_599
; %bb.598:
	v_sub_f32_e32 v18, v18, v77
	s_delay_alu instid0(VALU_DEP_1) | instskip(NEXT) | instid1(VALU_DEP_1)
	v_mul_f32_e32 v19, 0x3fb8aa3b, v18
	v_fma_f32 v20, 0x3fb8aa3b, v18, -v19
	v_rndne_f32_e32 v78, v19
	s_delay_alu instid0(VALU_DEP_1) | instskip(SKIP_1) | instid1(VALU_DEP_2)
	v_dual_sub_f32 v19, v19, v78 :: v_dual_fmamk_f32 v20, v18, 0x32a5705f, v20
	v_cmp_ngt_f32_e64 s0, 0xc2ce8ed0, v18
	v_add_f32_e32 v19, v19, v20
	v_cvt_i32_f32_e32 v20, v78
	s_delay_alu instid0(VALU_DEP_2) | instskip(SKIP_2) | instid1(VALU_DEP_1)
	v_exp_f32_e32 v19, v19
	s_waitcnt_depctr 0xfff
	v_ldexp_f32 v19, v19, v20
	v_cndmask_b32_e64 v19, 0, v19, s0
	v_cmp_nlt_f32_e64 s0, 0x42b17218, v18
	s_delay_alu instid0(VALU_DEP_1) | instskip(NEXT) | instid1(VALU_DEP_1)
	v_cndmask_b32_e64 v20, 0x7f800000, v19, s0
	v_add_f32_e32 v71, v71, v20
.LBB767_599:
	s_or_b32 exec_lo, exec_lo, s2
.LBB767_600:
	s_delay_alu instid0(SALU_CYCLE_1)
	s_or_b32 exec_lo, exec_lo, s1
	v_dual_mov_b32 v18, 0 :: v_dual_mov_b32 v19, 0
	s_and_saveexec_b32 s1, s78
	s_cbranch_execz .LBB767_604
; %bb.601:
	global_load_u8 v19, v[2:3], off offset:1728
	s_waitcnt vmcnt(0)
	v_and_b32_e32 v19, 1, v19
	s_delay_alu instid0(VALU_DEP_1) | instskip(SKIP_1) | instid1(VALU_DEP_2)
	v_cmp_eq_u32_e64 s0, 1, v19
	v_mov_b32_e32 v19, 0
	s_xor_b32 s0, s0, -1
	s_delay_alu instid0(SALU_CYCLE_1)
	s_and_saveexec_b32 s2, s0
	s_cbranch_execz .LBB767_603
; %bb.602:
	v_sub_f32_e32 v17, v17, v77
	s_delay_alu instid0(VALU_DEP_1) | instskip(SKIP_1) | instid1(VALU_DEP_2)
	v_mul_f32_e32 v19, 0x3fb8aa3b, v17
	v_cmp_ngt_f32_e64 s0, 0xc2ce8ed0, v17
	v_fma_f32 v78, 0x3fb8aa3b, v17, -v19
	v_rndne_f32_e32 v79, v19
	s_delay_alu instid0(VALU_DEP_1) | instskip(NEXT) | instid1(VALU_DEP_1)
	v_dual_fmamk_f32 v78, v17, 0x32a5705f, v78 :: v_dual_sub_f32 v19, v19, v79
	v_add_f32_e32 v19, v19, v78
	v_cvt_i32_f32_e32 v78, v79
	s_delay_alu instid0(VALU_DEP_2) | instskip(SKIP_2) | instid1(VALU_DEP_1)
	v_exp_f32_e32 v19, v19
	s_waitcnt_depctr 0xfff
	v_ldexp_f32 v19, v19, v78
	v_cndmask_b32_e64 v19, 0, v19, s0
	v_cmp_nlt_f32_e64 s0, 0x42b17218, v17
	s_delay_alu instid0(VALU_DEP_1) | instskip(NEXT) | instid1(VALU_DEP_1)
	v_cndmask_b32_e64 v19, 0x7f800000, v19, s0
	v_add_f32_e32 v71, v71, v19
.LBB767_603:
	s_or_b32 exec_lo, exec_lo, s2
.LBB767_604:
	s_delay_alu instid0(SALU_CYCLE_1)
	s_or_b32 exec_lo, exec_lo, s1
	s_and_saveexec_b32 s1, s77
	s_cbranch_execz .LBB767_608
; %bb.605:
	global_load_u8 v17, v[2:3], off offset:1760
	s_waitcnt vmcnt(0)
	v_dual_mov_b32 v18, 0 :: v_dual_and_b32 v17, 1, v17
	s_delay_alu instid0(VALU_DEP_1) | instskip(NEXT) | instid1(VALU_DEP_1)
	v_cmp_eq_u32_e64 s0, 1, v17
	s_xor_b32 s0, s0, -1
	s_delay_alu instid0(SALU_CYCLE_1)
	s_and_saveexec_b32 s2, s0
	s_cbranch_execz .LBB767_607
; %bb.606:
	v_sub_f32_e32 v16, v16, v77
	s_delay_alu instid0(VALU_DEP_1) | instskip(NEXT) | instid1(VALU_DEP_1)
	v_mul_f32_e32 v17, 0x3fb8aa3b, v16
	v_fma_f32 v18, 0x3fb8aa3b, v16, -v17
	v_rndne_f32_e32 v78, v17
	s_delay_alu instid0(VALU_DEP_1) | instskip(SKIP_1) | instid1(VALU_DEP_2)
	v_dual_sub_f32 v17, v17, v78 :: v_dual_fmamk_f32 v18, v16, 0x32a5705f, v18
	v_cmp_ngt_f32_e64 s0, 0xc2ce8ed0, v16
	v_add_f32_e32 v17, v17, v18
	v_cvt_i32_f32_e32 v18, v78
	s_delay_alu instid0(VALU_DEP_2) | instskip(SKIP_2) | instid1(VALU_DEP_1)
	v_exp_f32_e32 v17, v17
	s_waitcnt_depctr 0xfff
	v_ldexp_f32 v17, v17, v18
	v_cndmask_b32_e64 v17, 0, v17, s0
	v_cmp_nlt_f32_e64 s0, 0x42b17218, v16
	s_delay_alu instid0(VALU_DEP_1) | instskip(NEXT) | instid1(VALU_DEP_1)
	v_cndmask_b32_e64 v18, 0x7f800000, v17, s0
	v_add_f32_e32 v71, v71, v18
.LBB767_607:
	s_or_b32 exec_lo, exec_lo, s2
.LBB767_608:
	s_delay_alu instid0(SALU_CYCLE_1)
	s_or_b32 exec_lo, exec_lo, s1
	v_dual_mov_b32 v16, 0 :: v_dual_mov_b32 v17, 0
	s_and_saveexec_b32 s1, s76
	s_cbranch_execz .LBB767_612
; %bb.609:
	global_load_u8 v17, v[2:3], off offset:1792
	s_waitcnt vmcnt(0)
	v_and_b32_e32 v17, 1, v17
	s_delay_alu instid0(VALU_DEP_1) | instskip(SKIP_1) | instid1(VALU_DEP_2)
	v_cmp_eq_u32_e64 s0, 1, v17
	v_mov_b32_e32 v17, 0
	s_xor_b32 s0, s0, -1
	s_delay_alu instid0(SALU_CYCLE_1)
	s_and_saveexec_b32 s2, s0
	s_cbranch_execz .LBB767_611
; %bb.610:
	v_sub_f32_e32 v15, v15, v77
	s_delay_alu instid0(VALU_DEP_1) | instskip(SKIP_1) | instid1(VALU_DEP_2)
	v_mul_f32_e32 v17, 0x3fb8aa3b, v15
	v_cmp_ngt_f32_e64 s0, 0xc2ce8ed0, v15
	v_fma_f32 v78, 0x3fb8aa3b, v15, -v17
	v_rndne_f32_e32 v79, v17
	s_delay_alu instid0(VALU_DEP_1) | instskip(NEXT) | instid1(VALU_DEP_1)
	v_dual_fmamk_f32 v78, v15, 0x32a5705f, v78 :: v_dual_sub_f32 v17, v17, v79
	v_add_f32_e32 v17, v17, v78
	v_cvt_i32_f32_e32 v78, v79
	s_delay_alu instid0(VALU_DEP_2) | instskip(SKIP_2) | instid1(VALU_DEP_1)
	v_exp_f32_e32 v17, v17
	s_waitcnt_depctr 0xfff
	v_ldexp_f32 v17, v17, v78
	v_cndmask_b32_e64 v17, 0, v17, s0
	v_cmp_nlt_f32_e64 s0, 0x42b17218, v15
	s_delay_alu instid0(VALU_DEP_1) | instskip(NEXT) | instid1(VALU_DEP_1)
	v_cndmask_b32_e64 v17, 0x7f800000, v17, s0
	v_add_f32_e32 v71, v71, v17
.LBB767_611:
	s_or_b32 exec_lo, exec_lo, s2
.LBB767_612:
	s_delay_alu instid0(SALU_CYCLE_1)
	s_or_b32 exec_lo, exec_lo, s1
	s_and_saveexec_b32 s1, s75
	s_cbranch_execz .LBB767_616
; %bb.613:
	global_load_u8 v15, v[2:3], off offset:1824
	s_waitcnt vmcnt(0)
	v_dual_mov_b32 v16, 0 :: v_dual_and_b32 v15, 1, v15
	s_delay_alu instid0(VALU_DEP_1) | instskip(NEXT) | instid1(VALU_DEP_1)
	v_cmp_eq_u32_e64 s0, 1, v15
	s_xor_b32 s0, s0, -1
	s_delay_alu instid0(SALU_CYCLE_1)
	s_and_saveexec_b32 s2, s0
	s_cbranch_execz .LBB767_615
; %bb.614:
	v_sub_f32_e32 v14, v14, v77
	s_delay_alu instid0(VALU_DEP_1) | instskip(NEXT) | instid1(VALU_DEP_1)
	v_mul_f32_e32 v15, 0x3fb8aa3b, v14
	v_fma_f32 v16, 0x3fb8aa3b, v14, -v15
	v_rndne_f32_e32 v78, v15
	s_delay_alu instid0(VALU_DEP_1) | instskip(SKIP_1) | instid1(VALU_DEP_2)
	v_dual_sub_f32 v15, v15, v78 :: v_dual_fmamk_f32 v16, v14, 0x32a5705f, v16
	v_cmp_ngt_f32_e64 s0, 0xc2ce8ed0, v14
	v_add_f32_e32 v15, v15, v16
	v_cvt_i32_f32_e32 v16, v78
	s_delay_alu instid0(VALU_DEP_2) | instskip(SKIP_2) | instid1(VALU_DEP_1)
	v_exp_f32_e32 v15, v15
	s_waitcnt_depctr 0xfff
	v_ldexp_f32 v15, v15, v16
	v_cndmask_b32_e64 v15, 0, v15, s0
	v_cmp_nlt_f32_e64 s0, 0x42b17218, v14
	s_delay_alu instid0(VALU_DEP_1) | instskip(NEXT) | instid1(VALU_DEP_1)
	v_cndmask_b32_e64 v16, 0x7f800000, v15, s0
	v_add_f32_e32 v71, v71, v16
.LBB767_615:
	s_or_b32 exec_lo, exec_lo, s2
.LBB767_616:
	s_delay_alu instid0(SALU_CYCLE_1)
	s_or_b32 exec_lo, exec_lo, s1
	v_dual_mov_b32 v14, 0 :: v_dual_mov_b32 v15, 0
	s_and_saveexec_b32 s1, s73
	s_cbranch_execz .LBB767_620
; %bb.617:
	global_load_u8 v15, v[2:3], off offset:1856
	s_waitcnt vmcnt(0)
	v_and_b32_e32 v15, 1, v15
	s_delay_alu instid0(VALU_DEP_1) | instskip(SKIP_1) | instid1(VALU_DEP_2)
	v_cmp_eq_u32_e64 s0, 1, v15
	v_mov_b32_e32 v15, 0
	s_xor_b32 s0, s0, -1
	s_delay_alu instid0(SALU_CYCLE_1)
	s_and_saveexec_b32 s2, s0
	s_cbranch_execz .LBB767_619
; %bb.618:
	v_sub_f32_e32 v13, v13, v77
	s_delay_alu instid0(VALU_DEP_1) | instskip(SKIP_1) | instid1(VALU_DEP_2)
	v_mul_f32_e32 v15, 0x3fb8aa3b, v13
	v_cmp_ngt_f32_e64 s0, 0xc2ce8ed0, v13
	v_fma_f32 v78, 0x3fb8aa3b, v13, -v15
	v_rndne_f32_e32 v79, v15
	s_delay_alu instid0(VALU_DEP_1) | instskip(NEXT) | instid1(VALU_DEP_1)
	v_dual_fmamk_f32 v78, v13, 0x32a5705f, v78 :: v_dual_sub_f32 v15, v15, v79
	v_add_f32_e32 v15, v15, v78
	v_cvt_i32_f32_e32 v78, v79
	s_delay_alu instid0(VALU_DEP_2) | instskip(SKIP_2) | instid1(VALU_DEP_1)
	v_exp_f32_e32 v15, v15
	s_waitcnt_depctr 0xfff
	v_ldexp_f32 v15, v15, v78
	v_cndmask_b32_e64 v15, 0, v15, s0
	v_cmp_nlt_f32_e64 s0, 0x42b17218, v13
	s_delay_alu instid0(VALU_DEP_1) | instskip(NEXT) | instid1(VALU_DEP_1)
	v_cndmask_b32_e64 v15, 0x7f800000, v15, s0
	v_add_f32_e32 v71, v71, v15
.LBB767_619:
	s_or_b32 exec_lo, exec_lo, s2
.LBB767_620:
	s_delay_alu instid0(SALU_CYCLE_1)
	s_or_b32 exec_lo, exec_lo, s1
	s_and_saveexec_b32 s1, s72
	s_cbranch_execz .LBB767_624
; %bb.621:
	global_load_u8 v13, v[2:3], off offset:1888
	s_waitcnt vmcnt(0)
	v_dual_mov_b32 v14, 0 :: v_dual_and_b32 v13, 1, v13
	s_delay_alu instid0(VALU_DEP_1) | instskip(NEXT) | instid1(VALU_DEP_1)
	v_cmp_eq_u32_e64 s0, 1, v13
	s_xor_b32 s0, s0, -1
	s_delay_alu instid0(SALU_CYCLE_1)
	s_and_saveexec_b32 s2, s0
	s_cbranch_execz .LBB767_623
; %bb.622:
	v_sub_f32_e32 v12, v12, v77
	s_delay_alu instid0(VALU_DEP_1) | instskip(NEXT) | instid1(VALU_DEP_1)
	v_mul_f32_e32 v13, 0x3fb8aa3b, v12
	v_fma_f32 v14, 0x3fb8aa3b, v12, -v13
	v_rndne_f32_e32 v78, v13
	s_delay_alu instid0(VALU_DEP_1) | instskip(SKIP_1) | instid1(VALU_DEP_2)
	v_dual_sub_f32 v13, v13, v78 :: v_dual_fmamk_f32 v14, v12, 0x32a5705f, v14
	v_cmp_ngt_f32_e64 s0, 0xc2ce8ed0, v12
	v_add_f32_e32 v13, v13, v14
	v_cvt_i32_f32_e32 v14, v78
	s_delay_alu instid0(VALU_DEP_2) | instskip(SKIP_2) | instid1(VALU_DEP_1)
	v_exp_f32_e32 v13, v13
	s_waitcnt_depctr 0xfff
	v_ldexp_f32 v13, v13, v14
	v_cndmask_b32_e64 v13, 0, v13, s0
	v_cmp_nlt_f32_e64 s0, 0x42b17218, v12
	s_delay_alu instid0(VALU_DEP_1) | instskip(NEXT) | instid1(VALU_DEP_1)
	v_cndmask_b32_e64 v14, 0x7f800000, v13, s0
	v_add_f32_e32 v71, v71, v14
.LBB767_623:
	s_or_b32 exec_lo, exec_lo, s2
.LBB767_624:
	s_delay_alu instid0(SALU_CYCLE_1)
	s_or_b32 exec_lo, exec_lo, s1
	v_dual_mov_b32 v12, 0 :: v_dual_mov_b32 v13, 0
	s_and_saveexec_b32 s1, s71
	s_cbranch_execz .LBB767_628
; %bb.625:
	global_load_u8 v13, v[2:3], off offset:1920
	s_waitcnt vmcnt(0)
	v_and_b32_e32 v13, 1, v13
	s_delay_alu instid0(VALU_DEP_1) | instskip(SKIP_1) | instid1(VALU_DEP_2)
	v_cmp_eq_u32_e64 s0, 1, v13
	v_mov_b32_e32 v13, 0
	s_xor_b32 s0, s0, -1
	s_delay_alu instid0(SALU_CYCLE_1)
	s_and_saveexec_b32 s2, s0
	s_cbranch_execz .LBB767_627
; %bb.626:
	v_sub_f32_e32 v11, v11, v77
	s_delay_alu instid0(VALU_DEP_1) | instskip(SKIP_1) | instid1(VALU_DEP_2)
	v_mul_f32_e32 v13, 0x3fb8aa3b, v11
	v_cmp_ngt_f32_e64 s0, 0xc2ce8ed0, v11
	v_fma_f32 v78, 0x3fb8aa3b, v11, -v13
	v_rndne_f32_e32 v79, v13
	s_delay_alu instid0(VALU_DEP_1) | instskip(NEXT) | instid1(VALU_DEP_1)
	v_dual_fmamk_f32 v78, v11, 0x32a5705f, v78 :: v_dual_sub_f32 v13, v13, v79
	v_add_f32_e32 v13, v13, v78
	v_cvt_i32_f32_e32 v78, v79
	s_delay_alu instid0(VALU_DEP_2) | instskip(SKIP_2) | instid1(VALU_DEP_1)
	v_exp_f32_e32 v13, v13
	s_waitcnt_depctr 0xfff
	v_ldexp_f32 v13, v13, v78
	v_cndmask_b32_e64 v13, 0, v13, s0
	v_cmp_nlt_f32_e64 s0, 0x42b17218, v11
	s_delay_alu instid0(VALU_DEP_1) | instskip(NEXT) | instid1(VALU_DEP_1)
	v_cndmask_b32_e64 v13, 0x7f800000, v13, s0
	v_add_f32_e32 v71, v71, v13
.LBB767_627:
	s_or_b32 exec_lo, exec_lo, s2
.LBB767_628:
	s_delay_alu instid0(SALU_CYCLE_1)
	s_or_b32 exec_lo, exec_lo, s1
	s_and_saveexec_b32 s1, s70
	s_cbranch_execz .LBB767_632
; %bb.629:
	global_load_u8 v11, v[2:3], off offset:1952
	s_waitcnt vmcnt(0)
	v_dual_mov_b32 v12, 0 :: v_dual_and_b32 v11, 1, v11
	s_delay_alu instid0(VALU_DEP_1) | instskip(NEXT) | instid1(VALU_DEP_1)
	v_cmp_eq_u32_e64 s0, 1, v11
	s_xor_b32 s0, s0, -1
	s_delay_alu instid0(SALU_CYCLE_1)
	s_and_saveexec_b32 s2, s0
	s_cbranch_execz .LBB767_631
; %bb.630:
	v_sub_f32_e32 v10, v10, v77
	s_delay_alu instid0(VALU_DEP_1) | instskip(NEXT) | instid1(VALU_DEP_1)
	v_mul_f32_e32 v11, 0x3fb8aa3b, v10
	v_fma_f32 v12, 0x3fb8aa3b, v10, -v11
	v_rndne_f32_e32 v78, v11
	s_delay_alu instid0(VALU_DEP_1) | instskip(SKIP_1) | instid1(VALU_DEP_2)
	v_dual_sub_f32 v11, v11, v78 :: v_dual_fmamk_f32 v12, v10, 0x32a5705f, v12
	v_cmp_ngt_f32_e64 s0, 0xc2ce8ed0, v10
	v_add_f32_e32 v11, v11, v12
	v_cvt_i32_f32_e32 v12, v78
	s_delay_alu instid0(VALU_DEP_2) | instskip(SKIP_2) | instid1(VALU_DEP_1)
	v_exp_f32_e32 v11, v11
	s_waitcnt_depctr 0xfff
	v_ldexp_f32 v11, v11, v12
	v_cndmask_b32_e64 v11, 0, v11, s0
	v_cmp_nlt_f32_e64 s0, 0x42b17218, v10
	s_delay_alu instid0(VALU_DEP_1) | instskip(NEXT) | instid1(VALU_DEP_1)
	v_cndmask_b32_e64 v12, 0x7f800000, v11, s0
	v_add_f32_e32 v71, v71, v12
.LBB767_631:
	s_or_b32 exec_lo, exec_lo, s2
.LBB767_632:
	s_delay_alu instid0(SALU_CYCLE_1)
	s_or_b32 exec_lo, exec_lo, s1
	v_dual_mov_b32 v10, 0 :: v_dual_mov_b32 v11, 0
	s_and_saveexec_b32 s1, s67
	s_cbranch_execz .LBB767_636
; %bb.633:
	global_load_u8 v11, v[2:3], off offset:1984
	s_waitcnt vmcnt(0)
	v_and_b32_e32 v11, 1, v11
	s_delay_alu instid0(VALU_DEP_1) | instskip(SKIP_1) | instid1(VALU_DEP_2)
	v_cmp_eq_u32_e64 s0, 1, v11
	v_mov_b32_e32 v11, 0
	s_xor_b32 s0, s0, -1
	s_delay_alu instid0(SALU_CYCLE_1)
	s_and_saveexec_b32 s2, s0
	s_cbranch_execz .LBB767_635
; %bb.634:
	v_sub_f32_e32 v9, v9, v77
	s_delay_alu instid0(VALU_DEP_1) | instskip(SKIP_1) | instid1(VALU_DEP_2)
	v_mul_f32_e32 v11, 0x3fb8aa3b, v9
	v_cmp_ngt_f32_e64 s0, 0xc2ce8ed0, v9
	v_fma_f32 v78, 0x3fb8aa3b, v9, -v11
	v_rndne_f32_e32 v79, v11
	s_delay_alu instid0(VALU_DEP_1) | instskip(NEXT) | instid1(VALU_DEP_1)
	v_dual_fmamk_f32 v78, v9, 0x32a5705f, v78 :: v_dual_sub_f32 v11, v11, v79
	v_add_f32_e32 v11, v11, v78
	v_cvt_i32_f32_e32 v78, v79
	s_delay_alu instid0(VALU_DEP_2) | instskip(SKIP_2) | instid1(VALU_DEP_1)
	v_exp_f32_e32 v11, v11
	s_waitcnt_depctr 0xfff
	v_ldexp_f32 v11, v11, v78
	v_cndmask_b32_e64 v11, 0, v11, s0
	v_cmp_nlt_f32_e64 s0, 0x42b17218, v9
	s_delay_alu instid0(VALU_DEP_1) | instskip(NEXT) | instid1(VALU_DEP_1)
	v_cndmask_b32_e64 v11, 0x7f800000, v11, s0
	v_add_f32_e32 v71, v71, v11
.LBB767_635:
	s_or_b32 exec_lo, exec_lo, s2
.LBB767_636:
	s_delay_alu instid0(SALU_CYCLE_1)
	s_or_b32 exec_lo, exec_lo, s1
	s_and_saveexec_b32 s1, s66
	s_cbranch_execz .LBB767_640
; %bb.637:
	global_load_u8 v2, v[2:3], off offset:2016
	v_mov_b32_e32 v10, 0
	s_waitcnt vmcnt(0)
	v_and_b32_e32 v2, 1, v2
	s_delay_alu instid0(VALU_DEP_1) | instskip(NEXT) | instid1(VALU_DEP_1)
	v_cmp_eq_u32_e64 s0, 1, v2
	s_xor_b32 s0, s0, -1
	s_delay_alu instid0(SALU_CYCLE_1)
	s_and_saveexec_b32 s2, s0
	s_cbranch_execz .LBB767_639
; %bb.638:
	v_sub_f32_e32 v2, v8, v77
	s_delay_alu instid0(VALU_DEP_1) | instskip(NEXT) | instid1(VALU_DEP_1)
	v_mul_f32_e32 v3, 0x3fb8aa3b, v2
	v_fma_f32 v8, 0x3fb8aa3b, v2, -v3
	v_rndne_f32_e32 v9, v3
	s_delay_alu instid0(VALU_DEP_1) | instskip(NEXT) | instid1(VALU_DEP_1)
	v_dual_fmamk_f32 v8, v2, 0x32a5705f, v8 :: v_dual_sub_f32 v3, v3, v9
	v_add_f32_e32 v3, v3, v8
	v_cvt_i32_f32_e32 v8, v9
	v_cmp_ngt_f32_e64 s0, 0xc2ce8ed0, v2
	s_delay_alu instid0(VALU_DEP_3) | instskip(SKIP_2) | instid1(VALU_DEP_1)
	v_exp_f32_e32 v3, v3
	s_waitcnt_depctr 0xfff
	v_ldexp_f32 v3, v3, v8
	v_cndmask_b32_e64 v3, 0, v3, s0
	v_cmp_nlt_f32_e64 s0, 0x42b17218, v2
	s_delay_alu instid0(VALU_DEP_1) | instskip(NEXT) | instid1(VALU_DEP_1)
	v_cndmask_b32_e64 v10, 0x7f800000, v3, s0
	v_add_f32_e32 v71, v71, v10
.LBB767_639:
	s_or_b32 exec_lo, exec_lo, s2
.LBB767_640:
	s_delay_alu instid0(SALU_CYCLE_1)
	s_or_b32 exec_lo, exec_lo, s1
	ds_bpermute_b32 v2, v6, v71
	s_mov_b32 s1, exec_lo
	s_waitcnt lgkmcnt(0)
	v_add_f32_e32 v2, v71, v2
	ds_bpermute_b32 v3, v72, v2
	s_waitcnt lgkmcnt(0)
	v_add_f32_e32 v2, v2, v3
	ds_bpermute_b32 v3, v73, v2
	s_waitcnt lgkmcnt(0)
	v_add_f32_e32 v2, v2, v3
	ds_bpermute_b32 v3, v74, v2
	s_waitcnt lgkmcnt(0)
	v_add_f32_e32 v2, v2, v3
	ds_bpermute_b32 v3, v76, v2
	v_cmpx_lt_i32_e32 0, v7
	s_cbranch_execz .LBB767_834
; %bb.641:
	s_and_b32 exec_lo, exec_lo, vcc_lo
	s_cbranch_execz .LBB767_834
; %bb.642:
	s_waitcnt lgkmcnt(0)
	v_dual_add_f32 v2, v2, v3 :: v_dual_mov_b32 v3, 0x7fc0
	s_delay_alu instid0(VALU_DEP_1) | instskip(NEXT) | instid1(VALU_DEP_1)
	v_cmp_neq_f32_e64 s0, 0, v2
	s_and_saveexec_b32 s1, s0
	s_cbranch_execz .LBB767_644
; %bb.643:
	v_div_scale_f32 v3, null, v2, v2, v75
	s_delay_alu instid0(VALU_DEP_1) | instskip(SKIP_2) | instid1(VALU_DEP_1)
	v_rcp_f32_e32 v6, v3
	s_waitcnt_depctr 0xfff
	v_fma_f32 v7, -v3, v6, 1.0
	v_fmac_f32_e32 v6, v7, v6
	v_div_scale_f32 v7, vcc_lo, v75, v2, v75
	s_delay_alu instid0(VALU_DEP_1) | instskip(NEXT) | instid1(VALU_DEP_1)
	v_mul_f32_e32 v8, v7, v6
	v_fma_f32 v9, -v3, v8, v7
	s_delay_alu instid0(VALU_DEP_1) | instskip(NEXT) | instid1(VALU_DEP_1)
	v_fmac_f32_e32 v8, v9, v6
	v_fma_f32 v3, -v3, v8, v7
	s_delay_alu instid0(VALU_DEP_1) | instskip(NEXT) | instid1(VALU_DEP_1)
	v_div_fmas_f32 v3, v3, v6, v8
	v_div_fixup_f32 v3, v3, v2, v75
	s_delay_alu instid0(VALU_DEP_1) | instskip(SKIP_1) | instid1(VALU_DEP_2)
	v_bfe_u32 v6, v3, 16, 1
	v_cmp_o_f32_e32 vcc_lo, v3, v3
	v_add3_u32 v6, v3, v6, 0x7fff
	s_delay_alu instid0(VALU_DEP_1) | instskip(NEXT) | instid1(VALU_DEP_1)
	v_lshrrev_b32_e32 v6, 16, v6
	v_cndmask_b32_e32 v3, 0x7fc0, v6, vcc_lo
.LBB767_644:
	s_or_b32 exec_lo, exec_lo, s1
	v_readlane_b32 s4, v80, 0
	v_readlane_b32 s5, v80, 1
	;; [unrolled: 1-line block ×4, first 2 shown]
	s_delay_alu instid0(VALU_DEP_4) | instskip(NEXT) | instid1(VALU_DEP_4)
	v_add_co_u32 v0, vcc_lo, s4, v0
	v_add_co_ci_u32_e32 v1, vcc_lo, s5, v1, vcc_lo
	global_store_b16 v[0:1], v3, off
	s_and_b32 exec_lo, exec_lo, s65
	s_cbranch_execz .LBB767_834
; %bb.645:
	v_mov_b32_e32 v3, 0x7fc0
	s_and_saveexec_b32 s1, s0
	s_cbranch_execz .LBB767_647
; %bb.646:
	v_div_scale_f32 v3, null, v2, v2, v4
	s_delay_alu instid0(VALU_DEP_1) | instskip(SKIP_2) | instid1(VALU_DEP_1)
	v_rcp_f32_e32 v6, v3
	s_waitcnt_depctr 0xfff
	v_fma_f32 v7, -v3, v6, 1.0
	v_fmac_f32_e32 v6, v7, v6
	v_div_scale_f32 v7, vcc_lo, v4, v2, v4
	s_delay_alu instid0(VALU_DEP_1) | instskip(NEXT) | instid1(VALU_DEP_1)
	v_mul_f32_e32 v8, v7, v6
	v_fma_f32 v9, -v3, v8, v7
	s_delay_alu instid0(VALU_DEP_1) | instskip(NEXT) | instid1(VALU_DEP_1)
	v_fmac_f32_e32 v8, v9, v6
	v_fma_f32 v3, -v3, v8, v7
	s_delay_alu instid0(VALU_DEP_1) | instskip(NEXT) | instid1(VALU_DEP_1)
	v_div_fmas_f32 v3, v3, v6, v8
	v_div_fixup_f32 v3, v3, v2, v4
	s_delay_alu instid0(VALU_DEP_1) | instskip(SKIP_1) | instid1(VALU_DEP_2)
	v_bfe_u32 v4, v3, 16, 1
	v_cmp_o_f32_e32 vcc_lo, v3, v3
	v_add3_u32 v4, v3, v4, 0x7fff
	s_delay_alu instid0(VALU_DEP_1) | instskip(NEXT) | instid1(VALU_DEP_1)
	v_lshrrev_b32_e32 v4, 16, v4
	v_cndmask_b32_e32 v3, 0x7fc0, v4, vcc_lo
.LBB767_647:
	s_or_b32 exec_lo, exec_lo, s1
	global_store_b16 v[0:1], v3, off offset:64
	s_and_b32 exec_lo, exec_lo, s64
	s_cbranch_execz .LBB767_834
; %bb.648:
	v_mov_b32_e32 v3, 0x7fc0
	s_and_saveexec_b32 s1, s0
	s_cbranch_execz .LBB767_650
; %bb.649:
	v_div_scale_f32 v3, null, v2, v2, v70
	s_delay_alu instid0(VALU_DEP_1) | instskip(SKIP_2) | instid1(VALU_DEP_1)
	v_rcp_f32_e32 v4, v3
	s_waitcnt_depctr 0xfff
	v_fma_f32 v6, -v3, v4, 1.0
	v_fmac_f32_e32 v4, v6, v4
	v_div_scale_f32 v6, vcc_lo, v70, v2, v70
	s_delay_alu instid0(VALU_DEP_1) | instskip(NEXT) | instid1(VALU_DEP_1)
	v_mul_f32_e32 v7, v6, v4
	v_fma_f32 v8, -v3, v7, v6
	s_delay_alu instid0(VALU_DEP_1) | instskip(NEXT) | instid1(VALU_DEP_1)
	v_fmac_f32_e32 v7, v8, v4
	v_fma_f32 v3, -v3, v7, v6
	s_delay_alu instid0(VALU_DEP_1) | instskip(NEXT) | instid1(VALU_DEP_1)
	v_div_fmas_f32 v3, v3, v4, v7
	v_div_fixup_f32 v3, v3, v2, v70
	s_delay_alu instid0(VALU_DEP_1) | instskip(SKIP_1) | instid1(VALU_DEP_2)
	v_bfe_u32 v4, v3, 16, 1
	v_cmp_o_f32_e32 vcc_lo, v3, v3
	v_add3_u32 v4, v3, v4, 0x7fff
	s_delay_alu instid0(VALU_DEP_1) | instskip(NEXT) | instid1(VALU_DEP_1)
	v_lshrrev_b32_e32 v4, 16, v4
	v_cndmask_b32_e32 v3, 0x7fc0, v4, vcc_lo
.LBB767_650:
	s_or_b32 exec_lo, exec_lo, s1
	global_store_b16 v[0:1], v3, off offset:128
	s_and_b32 exec_lo, exec_lo, s63
	s_cbranch_execz .LBB767_834
; %bb.651:
	v_mov_b32_e32 v3, 0x7fc0
	s_and_saveexec_b32 s1, s0
	s_cbranch_execz .LBB767_653
; %bb.652:
	v_div_scale_f32 v3, null, v2, v2, v5
	s_delay_alu instid0(VALU_DEP_1) | instskip(SKIP_2) | instid1(VALU_DEP_1)
	v_rcp_f32_e32 v4, v3
	s_waitcnt_depctr 0xfff
	v_fma_f32 v6, -v3, v4, 1.0
	v_fmac_f32_e32 v4, v6, v4
	v_div_scale_f32 v6, vcc_lo, v5, v2, v5
	s_delay_alu instid0(VALU_DEP_1) | instskip(NEXT) | instid1(VALU_DEP_1)
	v_mul_f32_e32 v7, v6, v4
	v_fma_f32 v8, -v3, v7, v6
	s_delay_alu instid0(VALU_DEP_1) | instskip(NEXT) | instid1(VALU_DEP_1)
	v_fmac_f32_e32 v7, v8, v4
	v_fma_f32 v3, -v3, v7, v6
	s_delay_alu instid0(VALU_DEP_1) | instskip(NEXT) | instid1(VALU_DEP_1)
	v_div_fmas_f32 v3, v3, v4, v7
	v_div_fixup_f32 v3, v3, v2, v5
	s_delay_alu instid0(VALU_DEP_1) | instskip(SKIP_1) | instid1(VALU_DEP_2)
	v_bfe_u32 v4, v3, 16, 1
	v_cmp_o_f32_e32 vcc_lo, v3, v3
	v_add3_u32 v4, v3, v4, 0x7fff
	s_delay_alu instid0(VALU_DEP_1) | instskip(NEXT) | instid1(VALU_DEP_1)
	v_lshrrev_b32_e32 v4, 16, v4
	v_cndmask_b32_e32 v3, 0x7fc0, v4, vcc_lo
.LBB767_653:
	s_or_b32 exec_lo, exec_lo, s1
	global_store_b16 v[0:1], v3, off offset:192
	s_and_b32 exec_lo, exec_lo, s62
	s_cbranch_execz .LBB767_834
; %bb.654:
	v_mov_b32_e32 v3, 0x7fc0
	s_and_saveexec_b32 s1, s0
	s_cbranch_execz .LBB767_656
; %bb.655:
	v_div_scale_f32 v3, null, v2, v2, v69
	s_delay_alu instid0(VALU_DEP_1) | instskip(SKIP_2) | instid1(VALU_DEP_1)
	v_rcp_f32_e32 v4, v3
	s_waitcnt_depctr 0xfff
	v_fma_f32 v5, -v3, v4, 1.0
	v_fmac_f32_e32 v4, v5, v4
	v_div_scale_f32 v5, vcc_lo, v69, v2, v69
	s_delay_alu instid0(VALU_DEP_1) | instskip(NEXT) | instid1(VALU_DEP_1)
	v_mul_f32_e32 v6, v5, v4
	v_fma_f32 v7, -v3, v6, v5
	s_delay_alu instid0(VALU_DEP_1) | instskip(NEXT) | instid1(VALU_DEP_1)
	v_fmac_f32_e32 v6, v7, v4
	v_fma_f32 v3, -v3, v6, v5
	s_delay_alu instid0(VALU_DEP_1) | instskip(NEXT) | instid1(VALU_DEP_1)
	v_div_fmas_f32 v3, v3, v4, v6
	v_div_fixup_f32 v3, v3, v2, v69
	s_delay_alu instid0(VALU_DEP_1) | instskip(SKIP_1) | instid1(VALU_DEP_2)
	v_bfe_u32 v4, v3, 16, 1
	v_cmp_o_f32_e32 vcc_lo, v3, v3
	v_add3_u32 v4, v3, v4, 0x7fff
	s_delay_alu instid0(VALU_DEP_1) | instskip(NEXT) | instid1(VALU_DEP_1)
	v_lshrrev_b32_e32 v4, 16, v4
	v_cndmask_b32_e32 v3, 0x7fc0, v4, vcc_lo
.LBB767_656:
	s_or_b32 exec_lo, exec_lo, s1
	global_store_b16 v[0:1], v3, off offset:256
	s_and_b32 exec_lo, exec_lo, s61
	s_cbranch_execz .LBB767_834
; %bb.657:
	v_mov_b32_e32 v3, 0x7fc0
	s_and_saveexec_b32 s1, s0
	s_cbranch_execz .LBB767_659
; %bb.658:
	v_div_scale_f32 v3, null, v2, v2, v68
	s_delay_alu instid0(VALU_DEP_1) | instskip(SKIP_2) | instid1(VALU_DEP_1)
	v_rcp_f32_e32 v4, v3
	s_waitcnt_depctr 0xfff
	v_fma_f32 v5, -v3, v4, 1.0
	v_fmac_f32_e32 v4, v5, v4
	v_div_scale_f32 v5, vcc_lo, v68, v2, v68
	s_delay_alu instid0(VALU_DEP_1) | instskip(NEXT) | instid1(VALU_DEP_1)
	v_mul_f32_e32 v6, v5, v4
	v_fma_f32 v7, -v3, v6, v5
	s_delay_alu instid0(VALU_DEP_1) | instskip(NEXT) | instid1(VALU_DEP_1)
	v_fmac_f32_e32 v6, v7, v4
	v_fma_f32 v3, -v3, v6, v5
	s_delay_alu instid0(VALU_DEP_1) | instskip(NEXT) | instid1(VALU_DEP_1)
	v_div_fmas_f32 v3, v3, v4, v6
	v_div_fixup_f32 v3, v3, v2, v68
	s_delay_alu instid0(VALU_DEP_1) | instskip(SKIP_1) | instid1(VALU_DEP_2)
	v_bfe_u32 v4, v3, 16, 1
	v_cmp_o_f32_e32 vcc_lo, v3, v3
	v_add3_u32 v4, v3, v4, 0x7fff
	s_delay_alu instid0(VALU_DEP_1) | instskip(NEXT) | instid1(VALU_DEP_1)
	v_lshrrev_b32_e32 v4, 16, v4
	v_cndmask_b32_e32 v3, 0x7fc0, v4, vcc_lo
.LBB767_659:
	s_or_b32 exec_lo, exec_lo, s1
	global_store_b16 v[0:1], v3, off offset:320
	s_and_b32 exec_lo, exec_lo, s60
	s_cbranch_execz .LBB767_834
; %bb.660:
	v_mov_b32_e32 v3, 0x7fc0
	s_and_saveexec_b32 s1, s0
	s_cbranch_execz .LBB767_662
; %bb.661:
	v_div_scale_f32 v3, null, v2, v2, v67
	s_delay_alu instid0(VALU_DEP_1) | instskip(SKIP_2) | instid1(VALU_DEP_1)
	v_rcp_f32_e32 v4, v3
	s_waitcnt_depctr 0xfff
	v_fma_f32 v5, -v3, v4, 1.0
	v_fmac_f32_e32 v4, v5, v4
	v_div_scale_f32 v5, vcc_lo, v67, v2, v67
	s_delay_alu instid0(VALU_DEP_1) | instskip(NEXT) | instid1(VALU_DEP_1)
	v_mul_f32_e32 v6, v5, v4
	v_fma_f32 v7, -v3, v6, v5
	s_delay_alu instid0(VALU_DEP_1) | instskip(NEXT) | instid1(VALU_DEP_1)
	v_fmac_f32_e32 v6, v7, v4
	v_fma_f32 v3, -v3, v6, v5
	s_delay_alu instid0(VALU_DEP_1) | instskip(NEXT) | instid1(VALU_DEP_1)
	v_div_fmas_f32 v3, v3, v4, v6
	v_div_fixup_f32 v3, v3, v2, v67
	s_delay_alu instid0(VALU_DEP_1) | instskip(SKIP_1) | instid1(VALU_DEP_2)
	v_bfe_u32 v4, v3, 16, 1
	v_cmp_o_f32_e32 vcc_lo, v3, v3
	v_add3_u32 v4, v3, v4, 0x7fff
	s_delay_alu instid0(VALU_DEP_1) | instskip(NEXT) | instid1(VALU_DEP_1)
	v_lshrrev_b32_e32 v4, 16, v4
	v_cndmask_b32_e32 v3, 0x7fc0, v4, vcc_lo
.LBB767_662:
	s_or_b32 exec_lo, exec_lo, s1
	global_store_b16 v[0:1], v3, off offset:384
	s_and_b32 exec_lo, exec_lo, s59
	s_cbranch_execz .LBB767_834
; %bb.663:
	v_mov_b32_e32 v3, 0x7fc0
	s_and_saveexec_b32 s1, s0
	s_cbranch_execz .LBB767_665
; %bb.664:
	v_div_scale_f32 v3, null, v2, v2, v66
	s_delay_alu instid0(VALU_DEP_1) | instskip(SKIP_2) | instid1(VALU_DEP_1)
	v_rcp_f32_e32 v4, v3
	s_waitcnt_depctr 0xfff
	v_fma_f32 v5, -v3, v4, 1.0
	v_fmac_f32_e32 v4, v5, v4
	v_div_scale_f32 v5, vcc_lo, v66, v2, v66
	s_delay_alu instid0(VALU_DEP_1) | instskip(NEXT) | instid1(VALU_DEP_1)
	v_mul_f32_e32 v6, v5, v4
	v_fma_f32 v7, -v3, v6, v5
	s_delay_alu instid0(VALU_DEP_1) | instskip(NEXT) | instid1(VALU_DEP_1)
	v_fmac_f32_e32 v6, v7, v4
	v_fma_f32 v3, -v3, v6, v5
	s_delay_alu instid0(VALU_DEP_1) | instskip(NEXT) | instid1(VALU_DEP_1)
	v_div_fmas_f32 v3, v3, v4, v6
	v_div_fixup_f32 v3, v3, v2, v66
	s_delay_alu instid0(VALU_DEP_1) | instskip(SKIP_1) | instid1(VALU_DEP_2)
	v_bfe_u32 v4, v3, 16, 1
	v_cmp_o_f32_e32 vcc_lo, v3, v3
	v_add3_u32 v4, v3, v4, 0x7fff
	s_delay_alu instid0(VALU_DEP_1) | instskip(NEXT) | instid1(VALU_DEP_1)
	v_lshrrev_b32_e32 v4, 16, v4
	v_cndmask_b32_e32 v3, 0x7fc0, v4, vcc_lo
.LBB767_665:
	s_or_b32 exec_lo, exec_lo, s1
	global_store_b16 v[0:1], v3, off offset:448
	s_and_b32 exec_lo, exec_lo, s58
	s_cbranch_execz .LBB767_834
; %bb.666:
	v_mov_b32_e32 v3, 0x7fc0
	s_and_saveexec_b32 s1, s0
	s_cbranch_execz .LBB767_668
; %bb.667:
	v_div_scale_f32 v3, null, v2, v2, v65
	s_delay_alu instid0(VALU_DEP_1) | instskip(SKIP_2) | instid1(VALU_DEP_1)
	v_rcp_f32_e32 v4, v3
	s_waitcnt_depctr 0xfff
	v_fma_f32 v5, -v3, v4, 1.0
	v_fmac_f32_e32 v4, v5, v4
	v_div_scale_f32 v5, vcc_lo, v65, v2, v65
	s_delay_alu instid0(VALU_DEP_1) | instskip(NEXT) | instid1(VALU_DEP_1)
	v_mul_f32_e32 v6, v5, v4
	v_fma_f32 v7, -v3, v6, v5
	s_delay_alu instid0(VALU_DEP_1) | instskip(NEXT) | instid1(VALU_DEP_1)
	v_fmac_f32_e32 v6, v7, v4
	v_fma_f32 v3, -v3, v6, v5
	s_delay_alu instid0(VALU_DEP_1) | instskip(NEXT) | instid1(VALU_DEP_1)
	v_div_fmas_f32 v3, v3, v4, v6
	v_div_fixup_f32 v3, v3, v2, v65
	s_delay_alu instid0(VALU_DEP_1) | instskip(SKIP_1) | instid1(VALU_DEP_2)
	v_bfe_u32 v4, v3, 16, 1
	v_cmp_o_f32_e32 vcc_lo, v3, v3
	v_add3_u32 v4, v3, v4, 0x7fff
	s_delay_alu instid0(VALU_DEP_1) | instskip(NEXT) | instid1(VALU_DEP_1)
	v_lshrrev_b32_e32 v4, 16, v4
	v_cndmask_b32_e32 v3, 0x7fc0, v4, vcc_lo
.LBB767_668:
	s_or_b32 exec_lo, exec_lo, s1
	global_store_b16 v[0:1], v3, off offset:512
	s_and_b32 exec_lo, exec_lo, s57
	s_cbranch_execz .LBB767_834
; %bb.669:
	v_mov_b32_e32 v3, 0x7fc0
	s_and_saveexec_b32 s1, s0
	s_cbranch_execz .LBB767_671
; %bb.670:
	v_div_scale_f32 v3, null, v2, v2, v64
	s_delay_alu instid0(VALU_DEP_1) | instskip(SKIP_2) | instid1(VALU_DEP_1)
	v_rcp_f32_e32 v4, v3
	s_waitcnt_depctr 0xfff
	v_fma_f32 v5, -v3, v4, 1.0
	v_fmac_f32_e32 v4, v5, v4
	v_div_scale_f32 v5, vcc_lo, v64, v2, v64
	s_delay_alu instid0(VALU_DEP_1) | instskip(NEXT) | instid1(VALU_DEP_1)
	v_mul_f32_e32 v6, v5, v4
	v_fma_f32 v7, -v3, v6, v5
	s_delay_alu instid0(VALU_DEP_1) | instskip(NEXT) | instid1(VALU_DEP_1)
	v_fmac_f32_e32 v6, v7, v4
	v_fma_f32 v3, -v3, v6, v5
	s_delay_alu instid0(VALU_DEP_1) | instskip(NEXT) | instid1(VALU_DEP_1)
	v_div_fmas_f32 v3, v3, v4, v6
	v_div_fixup_f32 v3, v3, v2, v64
	s_delay_alu instid0(VALU_DEP_1) | instskip(SKIP_1) | instid1(VALU_DEP_2)
	v_bfe_u32 v4, v3, 16, 1
	v_cmp_o_f32_e32 vcc_lo, v3, v3
	v_add3_u32 v4, v3, v4, 0x7fff
	s_delay_alu instid0(VALU_DEP_1) | instskip(NEXT) | instid1(VALU_DEP_1)
	v_lshrrev_b32_e32 v4, 16, v4
	v_cndmask_b32_e32 v3, 0x7fc0, v4, vcc_lo
.LBB767_671:
	s_or_b32 exec_lo, exec_lo, s1
	global_store_b16 v[0:1], v3, off offset:576
	s_and_b32 exec_lo, exec_lo, s56
	s_cbranch_execz .LBB767_834
; %bb.672:
	v_mov_b32_e32 v3, 0x7fc0
	s_and_saveexec_b32 s1, s0
	s_cbranch_execz .LBB767_674
; %bb.673:
	v_div_scale_f32 v3, null, v2, v2, v63
	s_delay_alu instid0(VALU_DEP_1) | instskip(SKIP_2) | instid1(VALU_DEP_1)
	v_rcp_f32_e32 v4, v3
	s_waitcnt_depctr 0xfff
	v_fma_f32 v5, -v3, v4, 1.0
	v_fmac_f32_e32 v4, v5, v4
	v_div_scale_f32 v5, vcc_lo, v63, v2, v63
	s_delay_alu instid0(VALU_DEP_1) | instskip(NEXT) | instid1(VALU_DEP_1)
	v_mul_f32_e32 v6, v5, v4
	v_fma_f32 v7, -v3, v6, v5
	s_delay_alu instid0(VALU_DEP_1) | instskip(NEXT) | instid1(VALU_DEP_1)
	v_fmac_f32_e32 v6, v7, v4
	v_fma_f32 v3, -v3, v6, v5
	s_delay_alu instid0(VALU_DEP_1) | instskip(NEXT) | instid1(VALU_DEP_1)
	v_div_fmas_f32 v3, v3, v4, v6
	v_div_fixup_f32 v3, v3, v2, v63
	s_delay_alu instid0(VALU_DEP_1) | instskip(SKIP_1) | instid1(VALU_DEP_2)
	v_bfe_u32 v4, v3, 16, 1
	v_cmp_o_f32_e32 vcc_lo, v3, v3
	v_add3_u32 v4, v3, v4, 0x7fff
	s_delay_alu instid0(VALU_DEP_1) | instskip(NEXT) | instid1(VALU_DEP_1)
	v_lshrrev_b32_e32 v4, 16, v4
	v_cndmask_b32_e32 v3, 0x7fc0, v4, vcc_lo
.LBB767_674:
	s_or_b32 exec_lo, exec_lo, s1
	global_store_b16 v[0:1], v3, off offset:640
	s_and_b32 exec_lo, exec_lo, s55
	s_cbranch_execz .LBB767_834
; %bb.675:
	v_mov_b32_e32 v3, 0x7fc0
	s_and_saveexec_b32 s1, s0
	s_cbranch_execz .LBB767_677
; %bb.676:
	v_div_scale_f32 v3, null, v2, v2, v62
	s_delay_alu instid0(VALU_DEP_1) | instskip(SKIP_2) | instid1(VALU_DEP_1)
	v_rcp_f32_e32 v4, v3
	s_waitcnt_depctr 0xfff
	v_fma_f32 v5, -v3, v4, 1.0
	v_fmac_f32_e32 v4, v5, v4
	v_div_scale_f32 v5, vcc_lo, v62, v2, v62
	s_delay_alu instid0(VALU_DEP_1) | instskip(NEXT) | instid1(VALU_DEP_1)
	v_mul_f32_e32 v6, v5, v4
	v_fma_f32 v7, -v3, v6, v5
	s_delay_alu instid0(VALU_DEP_1) | instskip(NEXT) | instid1(VALU_DEP_1)
	v_fmac_f32_e32 v6, v7, v4
	v_fma_f32 v3, -v3, v6, v5
	s_delay_alu instid0(VALU_DEP_1) | instskip(NEXT) | instid1(VALU_DEP_1)
	v_div_fmas_f32 v3, v3, v4, v6
	v_div_fixup_f32 v3, v3, v2, v62
	s_delay_alu instid0(VALU_DEP_1) | instskip(SKIP_1) | instid1(VALU_DEP_2)
	v_bfe_u32 v4, v3, 16, 1
	v_cmp_o_f32_e32 vcc_lo, v3, v3
	v_add3_u32 v4, v3, v4, 0x7fff
	s_delay_alu instid0(VALU_DEP_1) | instskip(NEXT) | instid1(VALU_DEP_1)
	v_lshrrev_b32_e32 v4, 16, v4
	v_cndmask_b32_e32 v3, 0x7fc0, v4, vcc_lo
.LBB767_677:
	s_or_b32 exec_lo, exec_lo, s1
	global_store_b16 v[0:1], v3, off offset:704
	s_and_b32 exec_lo, exec_lo, s54
	s_cbranch_execz .LBB767_834
; %bb.678:
	v_mov_b32_e32 v3, 0x7fc0
	s_and_saveexec_b32 s1, s0
	s_cbranch_execz .LBB767_680
; %bb.679:
	v_div_scale_f32 v3, null, v2, v2, v61
	s_delay_alu instid0(VALU_DEP_1) | instskip(SKIP_2) | instid1(VALU_DEP_1)
	v_rcp_f32_e32 v4, v3
	s_waitcnt_depctr 0xfff
	v_fma_f32 v5, -v3, v4, 1.0
	v_fmac_f32_e32 v4, v5, v4
	v_div_scale_f32 v5, vcc_lo, v61, v2, v61
	s_delay_alu instid0(VALU_DEP_1) | instskip(NEXT) | instid1(VALU_DEP_1)
	v_mul_f32_e32 v6, v5, v4
	v_fma_f32 v7, -v3, v6, v5
	s_delay_alu instid0(VALU_DEP_1) | instskip(NEXT) | instid1(VALU_DEP_1)
	v_fmac_f32_e32 v6, v7, v4
	v_fma_f32 v3, -v3, v6, v5
	s_delay_alu instid0(VALU_DEP_1) | instskip(NEXT) | instid1(VALU_DEP_1)
	v_div_fmas_f32 v3, v3, v4, v6
	v_div_fixup_f32 v3, v3, v2, v61
	s_delay_alu instid0(VALU_DEP_1) | instskip(SKIP_1) | instid1(VALU_DEP_2)
	v_bfe_u32 v4, v3, 16, 1
	v_cmp_o_f32_e32 vcc_lo, v3, v3
	v_add3_u32 v4, v3, v4, 0x7fff
	s_delay_alu instid0(VALU_DEP_1) | instskip(NEXT) | instid1(VALU_DEP_1)
	v_lshrrev_b32_e32 v4, 16, v4
	v_cndmask_b32_e32 v3, 0x7fc0, v4, vcc_lo
.LBB767_680:
	s_or_b32 exec_lo, exec_lo, s1
	global_store_b16 v[0:1], v3, off offset:768
	s_and_b32 exec_lo, exec_lo, s53
	s_cbranch_execz .LBB767_834
; %bb.681:
	v_mov_b32_e32 v3, 0x7fc0
	s_and_saveexec_b32 s1, s0
	s_cbranch_execz .LBB767_683
; %bb.682:
	v_div_scale_f32 v3, null, v2, v2, v60
	s_delay_alu instid0(VALU_DEP_1) | instskip(SKIP_2) | instid1(VALU_DEP_1)
	v_rcp_f32_e32 v4, v3
	s_waitcnt_depctr 0xfff
	v_fma_f32 v5, -v3, v4, 1.0
	v_fmac_f32_e32 v4, v5, v4
	v_div_scale_f32 v5, vcc_lo, v60, v2, v60
	s_delay_alu instid0(VALU_DEP_1) | instskip(NEXT) | instid1(VALU_DEP_1)
	v_mul_f32_e32 v6, v5, v4
	v_fma_f32 v7, -v3, v6, v5
	s_delay_alu instid0(VALU_DEP_1) | instskip(NEXT) | instid1(VALU_DEP_1)
	v_fmac_f32_e32 v6, v7, v4
	v_fma_f32 v3, -v3, v6, v5
	s_delay_alu instid0(VALU_DEP_1) | instskip(NEXT) | instid1(VALU_DEP_1)
	v_div_fmas_f32 v3, v3, v4, v6
	v_div_fixup_f32 v3, v3, v2, v60
	s_delay_alu instid0(VALU_DEP_1) | instskip(SKIP_1) | instid1(VALU_DEP_2)
	v_bfe_u32 v4, v3, 16, 1
	v_cmp_o_f32_e32 vcc_lo, v3, v3
	v_add3_u32 v4, v3, v4, 0x7fff
	s_delay_alu instid0(VALU_DEP_1) | instskip(NEXT) | instid1(VALU_DEP_1)
	v_lshrrev_b32_e32 v4, 16, v4
	v_cndmask_b32_e32 v3, 0x7fc0, v4, vcc_lo
.LBB767_683:
	s_or_b32 exec_lo, exec_lo, s1
	global_store_b16 v[0:1], v3, off offset:832
	s_and_b32 exec_lo, exec_lo, s52
	s_cbranch_execz .LBB767_834
; %bb.684:
	v_mov_b32_e32 v3, 0x7fc0
	s_and_saveexec_b32 s1, s0
	s_cbranch_execz .LBB767_686
; %bb.685:
	v_div_scale_f32 v3, null, v2, v2, v59
	s_delay_alu instid0(VALU_DEP_1) | instskip(SKIP_2) | instid1(VALU_DEP_1)
	v_rcp_f32_e32 v4, v3
	s_waitcnt_depctr 0xfff
	v_fma_f32 v5, -v3, v4, 1.0
	v_fmac_f32_e32 v4, v5, v4
	v_div_scale_f32 v5, vcc_lo, v59, v2, v59
	s_delay_alu instid0(VALU_DEP_1) | instskip(NEXT) | instid1(VALU_DEP_1)
	v_mul_f32_e32 v6, v5, v4
	v_fma_f32 v7, -v3, v6, v5
	s_delay_alu instid0(VALU_DEP_1) | instskip(NEXT) | instid1(VALU_DEP_1)
	v_fmac_f32_e32 v6, v7, v4
	v_fma_f32 v3, -v3, v6, v5
	s_delay_alu instid0(VALU_DEP_1) | instskip(NEXT) | instid1(VALU_DEP_1)
	v_div_fmas_f32 v3, v3, v4, v6
	v_div_fixup_f32 v3, v3, v2, v59
	s_delay_alu instid0(VALU_DEP_1) | instskip(SKIP_1) | instid1(VALU_DEP_2)
	v_bfe_u32 v4, v3, 16, 1
	v_cmp_o_f32_e32 vcc_lo, v3, v3
	v_add3_u32 v4, v3, v4, 0x7fff
	s_delay_alu instid0(VALU_DEP_1) | instskip(NEXT) | instid1(VALU_DEP_1)
	v_lshrrev_b32_e32 v4, 16, v4
	v_cndmask_b32_e32 v3, 0x7fc0, v4, vcc_lo
.LBB767_686:
	s_or_b32 exec_lo, exec_lo, s1
	global_store_b16 v[0:1], v3, off offset:896
	s_and_b32 exec_lo, exec_lo, s51
	s_cbranch_execz .LBB767_834
; %bb.687:
	v_mov_b32_e32 v3, 0x7fc0
	s_and_saveexec_b32 s1, s0
	s_cbranch_execz .LBB767_689
; %bb.688:
	v_div_scale_f32 v3, null, v2, v2, v58
	s_delay_alu instid0(VALU_DEP_1) | instskip(SKIP_2) | instid1(VALU_DEP_1)
	v_rcp_f32_e32 v4, v3
	s_waitcnt_depctr 0xfff
	v_fma_f32 v5, -v3, v4, 1.0
	v_fmac_f32_e32 v4, v5, v4
	v_div_scale_f32 v5, vcc_lo, v58, v2, v58
	s_delay_alu instid0(VALU_DEP_1) | instskip(NEXT) | instid1(VALU_DEP_1)
	v_mul_f32_e32 v6, v5, v4
	v_fma_f32 v7, -v3, v6, v5
	s_delay_alu instid0(VALU_DEP_1) | instskip(NEXT) | instid1(VALU_DEP_1)
	v_fmac_f32_e32 v6, v7, v4
	v_fma_f32 v3, -v3, v6, v5
	s_delay_alu instid0(VALU_DEP_1) | instskip(NEXT) | instid1(VALU_DEP_1)
	v_div_fmas_f32 v3, v3, v4, v6
	v_div_fixup_f32 v3, v3, v2, v58
	s_delay_alu instid0(VALU_DEP_1) | instskip(SKIP_1) | instid1(VALU_DEP_2)
	v_bfe_u32 v4, v3, 16, 1
	v_cmp_o_f32_e32 vcc_lo, v3, v3
	v_add3_u32 v4, v3, v4, 0x7fff
	s_delay_alu instid0(VALU_DEP_1) | instskip(NEXT) | instid1(VALU_DEP_1)
	v_lshrrev_b32_e32 v4, 16, v4
	v_cndmask_b32_e32 v3, 0x7fc0, v4, vcc_lo
.LBB767_689:
	s_or_b32 exec_lo, exec_lo, s1
	global_store_b16 v[0:1], v3, off offset:960
	s_and_b32 exec_lo, exec_lo, s50
	s_cbranch_execz .LBB767_834
; %bb.690:
	v_mov_b32_e32 v3, 0x7fc0
	s_and_saveexec_b32 s1, s0
	s_cbranch_execz .LBB767_692
; %bb.691:
	v_div_scale_f32 v3, null, v2, v2, v57
	s_delay_alu instid0(VALU_DEP_1) | instskip(SKIP_2) | instid1(VALU_DEP_1)
	v_rcp_f32_e32 v4, v3
	s_waitcnt_depctr 0xfff
	v_fma_f32 v5, -v3, v4, 1.0
	v_fmac_f32_e32 v4, v5, v4
	v_div_scale_f32 v5, vcc_lo, v57, v2, v57
	s_delay_alu instid0(VALU_DEP_1) | instskip(NEXT) | instid1(VALU_DEP_1)
	v_mul_f32_e32 v6, v5, v4
	v_fma_f32 v7, -v3, v6, v5
	s_delay_alu instid0(VALU_DEP_1) | instskip(NEXT) | instid1(VALU_DEP_1)
	v_fmac_f32_e32 v6, v7, v4
	v_fma_f32 v3, -v3, v6, v5
	s_delay_alu instid0(VALU_DEP_1) | instskip(NEXT) | instid1(VALU_DEP_1)
	v_div_fmas_f32 v3, v3, v4, v6
	v_div_fixup_f32 v3, v3, v2, v57
	s_delay_alu instid0(VALU_DEP_1) | instskip(SKIP_1) | instid1(VALU_DEP_2)
	v_bfe_u32 v4, v3, 16, 1
	v_cmp_o_f32_e32 vcc_lo, v3, v3
	v_add3_u32 v4, v3, v4, 0x7fff
	s_delay_alu instid0(VALU_DEP_1) | instskip(NEXT) | instid1(VALU_DEP_1)
	v_lshrrev_b32_e32 v4, 16, v4
	v_cndmask_b32_e32 v3, 0x7fc0, v4, vcc_lo
.LBB767_692:
	s_or_b32 exec_lo, exec_lo, s1
	global_store_b16 v[0:1], v3, off offset:1024
	s_and_b32 exec_lo, exec_lo, s49
	s_cbranch_execz .LBB767_834
; %bb.693:
	v_mov_b32_e32 v3, 0x7fc0
	s_and_saveexec_b32 s1, s0
	s_cbranch_execz .LBB767_695
; %bb.694:
	v_div_scale_f32 v3, null, v2, v2, v56
	s_delay_alu instid0(VALU_DEP_1) | instskip(SKIP_2) | instid1(VALU_DEP_1)
	v_rcp_f32_e32 v4, v3
	s_waitcnt_depctr 0xfff
	v_fma_f32 v5, -v3, v4, 1.0
	v_fmac_f32_e32 v4, v5, v4
	v_div_scale_f32 v5, vcc_lo, v56, v2, v56
	s_delay_alu instid0(VALU_DEP_1) | instskip(NEXT) | instid1(VALU_DEP_1)
	v_mul_f32_e32 v6, v5, v4
	v_fma_f32 v7, -v3, v6, v5
	s_delay_alu instid0(VALU_DEP_1) | instskip(NEXT) | instid1(VALU_DEP_1)
	v_fmac_f32_e32 v6, v7, v4
	v_fma_f32 v3, -v3, v6, v5
	s_delay_alu instid0(VALU_DEP_1) | instskip(NEXT) | instid1(VALU_DEP_1)
	v_div_fmas_f32 v3, v3, v4, v6
	v_div_fixup_f32 v3, v3, v2, v56
	s_delay_alu instid0(VALU_DEP_1) | instskip(SKIP_1) | instid1(VALU_DEP_2)
	v_bfe_u32 v4, v3, 16, 1
	v_cmp_o_f32_e32 vcc_lo, v3, v3
	v_add3_u32 v4, v3, v4, 0x7fff
	s_delay_alu instid0(VALU_DEP_1) | instskip(NEXT) | instid1(VALU_DEP_1)
	v_lshrrev_b32_e32 v4, 16, v4
	v_cndmask_b32_e32 v3, 0x7fc0, v4, vcc_lo
.LBB767_695:
	s_or_b32 exec_lo, exec_lo, s1
	global_store_b16 v[0:1], v3, off offset:1088
	s_and_b32 exec_lo, exec_lo, s48
	s_cbranch_execz .LBB767_834
; %bb.696:
	v_mov_b32_e32 v3, 0x7fc0
	s_and_saveexec_b32 s1, s0
	s_cbranch_execz .LBB767_698
; %bb.697:
	v_div_scale_f32 v3, null, v2, v2, v55
	s_delay_alu instid0(VALU_DEP_1) | instskip(SKIP_2) | instid1(VALU_DEP_1)
	v_rcp_f32_e32 v4, v3
	s_waitcnt_depctr 0xfff
	v_fma_f32 v5, -v3, v4, 1.0
	v_fmac_f32_e32 v4, v5, v4
	v_div_scale_f32 v5, vcc_lo, v55, v2, v55
	s_delay_alu instid0(VALU_DEP_1) | instskip(NEXT) | instid1(VALU_DEP_1)
	v_mul_f32_e32 v6, v5, v4
	v_fma_f32 v7, -v3, v6, v5
	s_delay_alu instid0(VALU_DEP_1) | instskip(NEXT) | instid1(VALU_DEP_1)
	v_fmac_f32_e32 v6, v7, v4
	v_fma_f32 v3, -v3, v6, v5
	s_delay_alu instid0(VALU_DEP_1) | instskip(NEXT) | instid1(VALU_DEP_1)
	v_div_fmas_f32 v3, v3, v4, v6
	v_div_fixup_f32 v3, v3, v2, v55
	s_delay_alu instid0(VALU_DEP_1) | instskip(SKIP_1) | instid1(VALU_DEP_2)
	v_bfe_u32 v4, v3, 16, 1
	v_cmp_o_f32_e32 vcc_lo, v3, v3
	v_add3_u32 v4, v3, v4, 0x7fff
	s_delay_alu instid0(VALU_DEP_1) | instskip(NEXT) | instid1(VALU_DEP_1)
	v_lshrrev_b32_e32 v4, 16, v4
	v_cndmask_b32_e32 v3, 0x7fc0, v4, vcc_lo
.LBB767_698:
	s_or_b32 exec_lo, exec_lo, s1
	global_store_b16 v[0:1], v3, off offset:1152
	s_and_b32 exec_lo, exec_lo, s47
	s_cbranch_execz .LBB767_834
; %bb.699:
	v_mov_b32_e32 v3, 0x7fc0
	s_and_saveexec_b32 s1, s0
	s_cbranch_execz .LBB767_701
; %bb.700:
	v_div_scale_f32 v3, null, v2, v2, v54
	s_delay_alu instid0(VALU_DEP_1) | instskip(SKIP_2) | instid1(VALU_DEP_1)
	v_rcp_f32_e32 v4, v3
	s_waitcnt_depctr 0xfff
	v_fma_f32 v5, -v3, v4, 1.0
	v_fmac_f32_e32 v4, v5, v4
	v_div_scale_f32 v5, vcc_lo, v54, v2, v54
	s_delay_alu instid0(VALU_DEP_1) | instskip(NEXT) | instid1(VALU_DEP_1)
	v_mul_f32_e32 v6, v5, v4
	v_fma_f32 v7, -v3, v6, v5
	s_delay_alu instid0(VALU_DEP_1) | instskip(NEXT) | instid1(VALU_DEP_1)
	v_fmac_f32_e32 v6, v7, v4
	v_fma_f32 v3, -v3, v6, v5
	s_delay_alu instid0(VALU_DEP_1) | instskip(NEXT) | instid1(VALU_DEP_1)
	v_div_fmas_f32 v3, v3, v4, v6
	v_div_fixup_f32 v3, v3, v2, v54
	s_delay_alu instid0(VALU_DEP_1) | instskip(SKIP_1) | instid1(VALU_DEP_2)
	v_bfe_u32 v4, v3, 16, 1
	v_cmp_o_f32_e32 vcc_lo, v3, v3
	v_add3_u32 v4, v3, v4, 0x7fff
	s_delay_alu instid0(VALU_DEP_1) | instskip(NEXT) | instid1(VALU_DEP_1)
	v_lshrrev_b32_e32 v4, 16, v4
	v_cndmask_b32_e32 v3, 0x7fc0, v4, vcc_lo
.LBB767_701:
	s_or_b32 exec_lo, exec_lo, s1
	global_store_b16 v[0:1], v3, off offset:1216
	s_and_b32 exec_lo, exec_lo, s46
	s_cbranch_execz .LBB767_834
; %bb.702:
	v_mov_b32_e32 v3, 0x7fc0
	s_and_saveexec_b32 s1, s0
	s_cbranch_execz .LBB767_704
; %bb.703:
	v_div_scale_f32 v3, null, v2, v2, v53
	s_delay_alu instid0(VALU_DEP_1) | instskip(SKIP_2) | instid1(VALU_DEP_1)
	v_rcp_f32_e32 v4, v3
	s_waitcnt_depctr 0xfff
	v_fma_f32 v5, -v3, v4, 1.0
	v_fmac_f32_e32 v4, v5, v4
	v_div_scale_f32 v5, vcc_lo, v53, v2, v53
	s_delay_alu instid0(VALU_DEP_1) | instskip(NEXT) | instid1(VALU_DEP_1)
	v_mul_f32_e32 v6, v5, v4
	v_fma_f32 v7, -v3, v6, v5
	s_delay_alu instid0(VALU_DEP_1) | instskip(NEXT) | instid1(VALU_DEP_1)
	v_fmac_f32_e32 v6, v7, v4
	v_fma_f32 v3, -v3, v6, v5
	s_delay_alu instid0(VALU_DEP_1) | instskip(NEXT) | instid1(VALU_DEP_1)
	v_div_fmas_f32 v3, v3, v4, v6
	v_div_fixup_f32 v3, v3, v2, v53
	s_delay_alu instid0(VALU_DEP_1) | instskip(SKIP_1) | instid1(VALU_DEP_2)
	v_bfe_u32 v4, v3, 16, 1
	v_cmp_o_f32_e32 vcc_lo, v3, v3
	v_add3_u32 v4, v3, v4, 0x7fff
	s_delay_alu instid0(VALU_DEP_1) | instskip(NEXT) | instid1(VALU_DEP_1)
	v_lshrrev_b32_e32 v4, 16, v4
	v_cndmask_b32_e32 v3, 0x7fc0, v4, vcc_lo
.LBB767_704:
	s_or_b32 exec_lo, exec_lo, s1
	global_store_b16 v[0:1], v3, off offset:1280
	s_and_b32 exec_lo, exec_lo, s45
	s_cbranch_execz .LBB767_834
; %bb.705:
	v_mov_b32_e32 v3, 0x7fc0
	s_and_saveexec_b32 s1, s0
	s_cbranch_execz .LBB767_707
; %bb.706:
	v_div_scale_f32 v3, null, v2, v2, v52
	s_delay_alu instid0(VALU_DEP_1) | instskip(SKIP_2) | instid1(VALU_DEP_1)
	v_rcp_f32_e32 v4, v3
	s_waitcnt_depctr 0xfff
	v_fma_f32 v5, -v3, v4, 1.0
	v_fmac_f32_e32 v4, v5, v4
	v_div_scale_f32 v5, vcc_lo, v52, v2, v52
	s_delay_alu instid0(VALU_DEP_1) | instskip(NEXT) | instid1(VALU_DEP_1)
	v_mul_f32_e32 v6, v5, v4
	v_fma_f32 v7, -v3, v6, v5
	s_delay_alu instid0(VALU_DEP_1) | instskip(NEXT) | instid1(VALU_DEP_1)
	v_fmac_f32_e32 v6, v7, v4
	v_fma_f32 v3, -v3, v6, v5
	s_delay_alu instid0(VALU_DEP_1) | instskip(NEXT) | instid1(VALU_DEP_1)
	v_div_fmas_f32 v3, v3, v4, v6
	v_div_fixup_f32 v3, v3, v2, v52
	s_delay_alu instid0(VALU_DEP_1) | instskip(SKIP_1) | instid1(VALU_DEP_2)
	v_bfe_u32 v4, v3, 16, 1
	v_cmp_o_f32_e32 vcc_lo, v3, v3
	v_add3_u32 v4, v3, v4, 0x7fff
	s_delay_alu instid0(VALU_DEP_1) | instskip(NEXT) | instid1(VALU_DEP_1)
	v_lshrrev_b32_e32 v4, 16, v4
	v_cndmask_b32_e32 v3, 0x7fc0, v4, vcc_lo
.LBB767_707:
	s_or_b32 exec_lo, exec_lo, s1
	global_store_b16 v[0:1], v3, off offset:1344
	s_and_b32 exec_lo, exec_lo, s44
	s_cbranch_execz .LBB767_834
; %bb.708:
	v_mov_b32_e32 v3, 0x7fc0
	s_and_saveexec_b32 s1, s0
	s_cbranch_execz .LBB767_710
; %bb.709:
	v_div_scale_f32 v3, null, v2, v2, v51
	s_delay_alu instid0(VALU_DEP_1) | instskip(SKIP_2) | instid1(VALU_DEP_1)
	v_rcp_f32_e32 v4, v3
	s_waitcnt_depctr 0xfff
	v_fma_f32 v5, -v3, v4, 1.0
	v_fmac_f32_e32 v4, v5, v4
	v_div_scale_f32 v5, vcc_lo, v51, v2, v51
	s_delay_alu instid0(VALU_DEP_1) | instskip(NEXT) | instid1(VALU_DEP_1)
	v_mul_f32_e32 v6, v5, v4
	v_fma_f32 v7, -v3, v6, v5
	s_delay_alu instid0(VALU_DEP_1) | instskip(NEXT) | instid1(VALU_DEP_1)
	v_fmac_f32_e32 v6, v7, v4
	v_fma_f32 v3, -v3, v6, v5
	s_delay_alu instid0(VALU_DEP_1) | instskip(NEXT) | instid1(VALU_DEP_1)
	v_div_fmas_f32 v3, v3, v4, v6
	v_div_fixup_f32 v3, v3, v2, v51
	s_delay_alu instid0(VALU_DEP_1) | instskip(SKIP_1) | instid1(VALU_DEP_2)
	v_bfe_u32 v4, v3, 16, 1
	v_cmp_o_f32_e32 vcc_lo, v3, v3
	v_add3_u32 v4, v3, v4, 0x7fff
	s_delay_alu instid0(VALU_DEP_1) | instskip(NEXT) | instid1(VALU_DEP_1)
	v_lshrrev_b32_e32 v4, 16, v4
	v_cndmask_b32_e32 v3, 0x7fc0, v4, vcc_lo
.LBB767_710:
	s_or_b32 exec_lo, exec_lo, s1
	global_store_b16 v[0:1], v3, off offset:1408
	s_and_b32 exec_lo, exec_lo, s43
	s_cbranch_execz .LBB767_834
; %bb.711:
	v_mov_b32_e32 v3, 0x7fc0
	s_and_saveexec_b32 s1, s0
	s_cbranch_execz .LBB767_713
; %bb.712:
	v_div_scale_f32 v3, null, v2, v2, v50
	s_delay_alu instid0(VALU_DEP_1) | instskip(SKIP_2) | instid1(VALU_DEP_1)
	v_rcp_f32_e32 v4, v3
	s_waitcnt_depctr 0xfff
	v_fma_f32 v5, -v3, v4, 1.0
	v_fmac_f32_e32 v4, v5, v4
	v_div_scale_f32 v5, vcc_lo, v50, v2, v50
	s_delay_alu instid0(VALU_DEP_1) | instskip(NEXT) | instid1(VALU_DEP_1)
	v_mul_f32_e32 v6, v5, v4
	v_fma_f32 v7, -v3, v6, v5
	s_delay_alu instid0(VALU_DEP_1) | instskip(NEXT) | instid1(VALU_DEP_1)
	v_fmac_f32_e32 v6, v7, v4
	v_fma_f32 v3, -v3, v6, v5
	s_delay_alu instid0(VALU_DEP_1) | instskip(NEXT) | instid1(VALU_DEP_1)
	v_div_fmas_f32 v3, v3, v4, v6
	v_div_fixup_f32 v3, v3, v2, v50
	s_delay_alu instid0(VALU_DEP_1) | instskip(SKIP_1) | instid1(VALU_DEP_2)
	v_bfe_u32 v4, v3, 16, 1
	v_cmp_o_f32_e32 vcc_lo, v3, v3
	v_add3_u32 v4, v3, v4, 0x7fff
	s_delay_alu instid0(VALU_DEP_1) | instskip(NEXT) | instid1(VALU_DEP_1)
	v_lshrrev_b32_e32 v4, 16, v4
	v_cndmask_b32_e32 v3, 0x7fc0, v4, vcc_lo
.LBB767_713:
	s_or_b32 exec_lo, exec_lo, s1
	global_store_b16 v[0:1], v3, off offset:1472
	s_and_b32 exec_lo, exec_lo, s42
	s_cbranch_execz .LBB767_834
; %bb.714:
	v_mov_b32_e32 v3, 0x7fc0
	s_and_saveexec_b32 s1, s0
	s_cbranch_execz .LBB767_716
; %bb.715:
	v_div_scale_f32 v3, null, v2, v2, v49
	s_delay_alu instid0(VALU_DEP_1) | instskip(SKIP_2) | instid1(VALU_DEP_1)
	v_rcp_f32_e32 v4, v3
	s_waitcnt_depctr 0xfff
	v_fma_f32 v5, -v3, v4, 1.0
	v_fmac_f32_e32 v4, v5, v4
	v_div_scale_f32 v5, vcc_lo, v49, v2, v49
	s_delay_alu instid0(VALU_DEP_1) | instskip(NEXT) | instid1(VALU_DEP_1)
	v_mul_f32_e32 v6, v5, v4
	v_fma_f32 v7, -v3, v6, v5
	s_delay_alu instid0(VALU_DEP_1) | instskip(NEXT) | instid1(VALU_DEP_1)
	v_fmac_f32_e32 v6, v7, v4
	v_fma_f32 v3, -v3, v6, v5
	s_delay_alu instid0(VALU_DEP_1) | instskip(NEXT) | instid1(VALU_DEP_1)
	v_div_fmas_f32 v3, v3, v4, v6
	v_div_fixup_f32 v3, v3, v2, v49
	s_delay_alu instid0(VALU_DEP_1) | instskip(SKIP_1) | instid1(VALU_DEP_2)
	v_bfe_u32 v4, v3, 16, 1
	v_cmp_o_f32_e32 vcc_lo, v3, v3
	v_add3_u32 v4, v3, v4, 0x7fff
	s_delay_alu instid0(VALU_DEP_1) | instskip(NEXT) | instid1(VALU_DEP_1)
	v_lshrrev_b32_e32 v4, 16, v4
	v_cndmask_b32_e32 v3, 0x7fc0, v4, vcc_lo
.LBB767_716:
	s_or_b32 exec_lo, exec_lo, s1
	global_store_b16 v[0:1], v3, off offset:1536
	s_and_b32 exec_lo, exec_lo, s41
	s_cbranch_execz .LBB767_834
; %bb.717:
	v_mov_b32_e32 v3, 0x7fc0
	s_and_saveexec_b32 s1, s0
	s_cbranch_execz .LBB767_719
; %bb.718:
	v_div_scale_f32 v3, null, v2, v2, v48
	s_delay_alu instid0(VALU_DEP_1) | instskip(SKIP_2) | instid1(VALU_DEP_1)
	v_rcp_f32_e32 v4, v3
	s_waitcnt_depctr 0xfff
	v_fma_f32 v5, -v3, v4, 1.0
	v_fmac_f32_e32 v4, v5, v4
	v_div_scale_f32 v5, vcc_lo, v48, v2, v48
	s_delay_alu instid0(VALU_DEP_1) | instskip(NEXT) | instid1(VALU_DEP_1)
	v_mul_f32_e32 v6, v5, v4
	v_fma_f32 v7, -v3, v6, v5
	s_delay_alu instid0(VALU_DEP_1) | instskip(NEXT) | instid1(VALU_DEP_1)
	v_fmac_f32_e32 v6, v7, v4
	v_fma_f32 v3, -v3, v6, v5
	s_delay_alu instid0(VALU_DEP_1) | instskip(NEXT) | instid1(VALU_DEP_1)
	v_div_fmas_f32 v3, v3, v4, v6
	v_div_fixup_f32 v3, v3, v2, v48
	s_delay_alu instid0(VALU_DEP_1) | instskip(SKIP_1) | instid1(VALU_DEP_2)
	v_bfe_u32 v4, v3, 16, 1
	v_cmp_o_f32_e32 vcc_lo, v3, v3
	v_add3_u32 v4, v3, v4, 0x7fff
	s_delay_alu instid0(VALU_DEP_1) | instskip(NEXT) | instid1(VALU_DEP_1)
	v_lshrrev_b32_e32 v4, 16, v4
	v_cndmask_b32_e32 v3, 0x7fc0, v4, vcc_lo
.LBB767_719:
	s_or_b32 exec_lo, exec_lo, s1
	global_store_b16 v[0:1], v3, off offset:1600
	s_and_b32 exec_lo, exec_lo, s40
	s_cbranch_execz .LBB767_834
; %bb.720:
	v_mov_b32_e32 v3, 0x7fc0
	s_and_saveexec_b32 s1, s0
	s_cbranch_execz .LBB767_722
; %bb.721:
	v_div_scale_f32 v3, null, v2, v2, v47
	s_delay_alu instid0(VALU_DEP_1) | instskip(SKIP_2) | instid1(VALU_DEP_1)
	v_rcp_f32_e32 v4, v3
	s_waitcnt_depctr 0xfff
	v_fma_f32 v5, -v3, v4, 1.0
	v_fmac_f32_e32 v4, v5, v4
	v_div_scale_f32 v5, vcc_lo, v47, v2, v47
	s_delay_alu instid0(VALU_DEP_1) | instskip(NEXT) | instid1(VALU_DEP_1)
	v_mul_f32_e32 v6, v5, v4
	v_fma_f32 v7, -v3, v6, v5
	s_delay_alu instid0(VALU_DEP_1) | instskip(NEXT) | instid1(VALU_DEP_1)
	v_fmac_f32_e32 v6, v7, v4
	v_fma_f32 v3, -v3, v6, v5
	s_delay_alu instid0(VALU_DEP_1) | instskip(NEXT) | instid1(VALU_DEP_1)
	v_div_fmas_f32 v3, v3, v4, v6
	v_div_fixup_f32 v3, v3, v2, v47
	s_delay_alu instid0(VALU_DEP_1) | instskip(SKIP_1) | instid1(VALU_DEP_2)
	v_bfe_u32 v4, v3, 16, 1
	v_cmp_o_f32_e32 vcc_lo, v3, v3
	v_add3_u32 v4, v3, v4, 0x7fff
	s_delay_alu instid0(VALU_DEP_1) | instskip(NEXT) | instid1(VALU_DEP_1)
	v_lshrrev_b32_e32 v4, 16, v4
	v_cndmask_b32_e32 v3, 0x7fc0, v4, vcc_lo
.LBB767_722:
	s_or_b32 exec_lo, exec_lo, s1
	global_store_b16 v[0:1], v3, off offset:1664
	s_and_b32 exec_lo, exec_lo, s39
	s_cbranch_execz .LBB767_834
; %bb.723:
	v_mov_b32_e32 v3, 0x7fc0
	s_and_saveexec_b32 s1, s0
	s_cbranch_execz .LBB767_725
; %bb.724:
	v_div_scale_f32 v3, null, v2, v2, v46
	s_delay_alu instid0(VALU_DEP_1) | instskip(SKIP_2) | instid1(VALU_DEP_1)
	v_rcp_f32_e32 v4, v3
	s_waitcnt_depctr 0xfff
	v_fma_f32 v5, -v3, v4, 1.0
	v_fmac_f32_e32 v4, v5, v4
	v_div_scale_f32 v5, vcc_lo, v46, v2, v46
	s_delay_alu instid0(VALU_DEP_1) | instskip(NEXT) | instid1(VALU_DEP_1)
	v_mul_f32_e32 v6, v5, v4
	v_fma_f32 v7, -v3, v6, v5
	s_delay_alu instid0(VALU_DEP_1) | instskip(NEXT) | instid1(VALU_DEP_1)
	v_fmac_f32_e32 v6, v7, v4
	v_fma_f32 v3, -v3, v6, v5
	s_delay_alu instid0(VALU_DEP_1) | instskip(NEXT) | instid1(VALU_DEP_1)
	v_div_fmas_f32 v3, v3, v4, v6
	v_div_fixup_f32 v3, v3, v2, v46
	s_delay_alu instid0(VALU_DEP_1) | instskip(SKIP_1) | instid1(VALU_DEP_2)
	v_bfe_u32 v4, v3, 16, 1
	v_cmp_o_f32_e32 vcc_lo, v3, v3
	v_add3_u32 v4, v3, v4, 0x7fff
	s_delay_alu instid0(VALU_DEP_1) | instskip(NEXT) | instid1(VALU_DEP_1)
	v_lshrrev_b32_e32 v4, 16, v4
	v_cndmask_b32_e32 v3, 0x7fc0, v4, vcc_lo
.LBB767_725:
	s_or_b32 exec_lo, exec_lo, s1
	global_store_b16 v[0:1], v3, off offset:1728
	s_and_b32 exec_lo, exec_lo, s38
	s_cbranch_execz .LBB767_834
; %bb.726:
	v_mov_b32_e32 v3, 0x7fc0
	s_and_saveexec_b32 s1, s0
	s_cbranch_execz .LBB767_728
; %bb.727:
	v_div_scale_f32 v3, null, v2, v2, v45
	s_delay_alu instid0(VALU_DEP_1) | instskip(SKIP_2) | instid1(VALU_DEP_1)
	v_rcp_f32_e32 v4, v3
	s_waitcnt_depctr 0xfff
	v_fma_f32 v5, -v3, v4, 1.0
	v_fmac_f32_e32 v4, v5, v4
	v_div_scale_f32 v5, vcc_lo, v45, v2, v45
	s_delay_alu instid0(VALU_DEP_1) | instskip(NEXT) | instid1(VALU_DEP_1)
	v_mul_f32_e32 v6, v5, v4
	v_fma_f32 v7, -v3, v6, v5
	s_delay_alu instid0(VALU_DEP_1) | instskip(NEXT) | instid1(VALU_DEP_1)
	v_fmac_f32_e32 v6, v7, v4
	v_fma_f32 v3, -v3, v6, v5
	s_delay_alu instid0(VALU_DEP_1) | instskip(NEXT) | instid1(VALU_DEP_1)
	v_div_fmas_f32 v3, v3, v4, v6
	v_div_fixup_f32 v3, v3, v2, v45
	s_delay_alu instid0(VALU_DEP_1) | instskip(SKIP_1) | instid1(VALU_DEP_2)
	v_bfe_u32 v4, v3, 16, 1
	v_cmp_o_f32_e32 vcc_lo, v3, v3
	v_add3_u32 v4, v3, v4, 0x7fff
	s_delay_alu instid0(VALU_DEP_1) | instskip(NEXT) | instid1(VALU_DEP_1)
	v_lshrrev_b32_e32 v4, 16, v4
	v_cndmask_b32_e32 v3, 0x7fc0, v4, vcc_lo
.LBB767_728:
	s_or_b32 exec_lo, exec_lo, s1
	global_store_b16 v[0:1], v3, off offset:1792
	s_and_b32 exec_lo, exec_lo, s37
	s_cbranch_execz .LBB767_834
; %bb.729:
	v_mov_b32_e32 v3, 0x7fc0
	s_and_saveexec_b32 s1, s0
	s_cbranch_execz .LBB767_731
; %bb.730:
	v_div_scale_f32 v3, null, v2, v2, v44
	s_delay_alu instid0(VALU_DEP_1) | instskip(SKIP_2) | instid1(VALU_DEP_1)
	v_rcp_f32_e32 v4, v3
	s_waitcnt_depctr 0xfff
	v_fma_f32 v5, -v3, v4, 1.0
	v_fmac_f32_e32 v4, v5, v4
	v_div_scale_f32 v5, vcc_lo, v44, v2, v44
	s_delay_alu instid0(VALU_DEP_1) | instskip(NEXT) | instid1(VALU_DEP_1)
	v_mul_f32_e32 v6, v5, v4
	v_fma_f32 v7, -v3, v6, v5
	s_delay_alu instid0(VALU_DEP_1) | instskip(NEXT) | instid1(VALU_DEP_1)
	v_fmac_f32_e32 v6, v7, v4
	v_fma_f32 v3, -v3, v6, v5
	s_delay_alu instid0(VALU_DEP_1) | instskip(NEXT) | instid1(VALU_DEP_1)
	v_div_fmas_f32 v3, v3, v4, v6
	v_div_fixup_f32 v3, v3, v2, v44
	s_delay_alu instid0(VALU_DEP_1) | instskip(SKIP_1) | instid1(VALU_DEP_2)
	v_bfe_u32 v4, v3, 16, 1
	v_cmp_o_f32_e32 vcc_lo, v3, v3
	v_add3_u32 v4, v3, v4, 0x7fff
	s_delay_alu instid0(VALU_DEP_1) | instskip(NEXT) | instid1(VALU_DEP_1)
	v_lshrrev_b32_e32 v4, 16, v4
	v_cndmask_b32_e32 v3, 0x7fc0, v4, vcc_lo
.LBB767_731:
	s_or_b32 exec_lo, exec_lo, s1
	global_store_b16 v[0:1], v3, off offset:1856
	s_and_b32 exec_lo, exec_lo, s36
	s_cbranch_execz .LBB767_834
; %bb.732:
	v_mov_b32_e32 v3, 0x7fc0
	s_and_saveexec_b32 s1, s0
	s_cbranch_execz .LBB767_734
; %bb.733:
	v_div_scale_f32 v3, null, v2, v2, v43
	s_delay_alu instid0(VALU_DEP_1) | instskip(SKIP_2) | instid1(VALU_DEP_1)
	v_rcp_f32_e32 v4, v3
	s_waitcnt_depctr 0xfff
	v_fma_f32 v5, -v3, v4, 1.0
	v_fmac_f32_e32 v4, v5, v4
	v_div_scale_f32 v5, vcc_lo, v43, v2, v43
	s_delay_alu instid0(VALU_DEP_1) | instskip(NEXT) | instid1(VALU_DEP_1)
	v_mul_f32_e32 v6, v5, v4
	v_fma_f32 v7, -v3, v6, v5
	s_delay_alu instid0(VALU_DEP_1) | instskip(NEXT) | instid1(VALU_DEP_1)
	v_fmac_f32_e32 v6, v7, v4
	v_fma_f32 v3, -v3, v6, v5
	s_delay_alu instid0(VALU_DEP_1) | instskip(NEXT) | instid1(VALU_DEP_1)
	v_div_fmas_f32 v3, v3, v4, v6
	v_div_fixup_f32 v3, v3, v2, v43
	s_delay_alu instid0(VALU_DEP_1) | instskip(SKIP_1) | instid1(VALU_DEP_2)
	v_bfe_u32 v4, v3, 16, 1
	v_cmp_o_f32_e32 vcc_lo, v3, v3
	v_add3_u32 v4, v3, v4, 0x7fff
	s_delay_alu instid0(VALU_DEP_1) | instskip(NEXT) | instid1(VALU_DEP_1)
	v_lshrrev_b32_e32 v4, 16, v4
	v_cndmask_b32_e32 v3, 0x7fc0, v4, vcc_lo
.LBB767_734:
	s_or_b32 exec_lo, exec_lo, s1
	global_store_b16 v[0:1], v3, off offset:1920
	s_and_b32 exec_lo, exec_lo, s35
	s_cbranch_execz .LBB767_834
; %bb.735:
	v_mov_b32_e32 v3, 0x7fc0
	s_and_saveexec_b32 s1, s0
	s_cbranch_execz .LBB767_737
; %bb.736:
	v_div_scale_f32 v3, null, v2, v2, v42
	s_delay_alu instid0(VALU_DEP_1) | instskip(SKIP_2) | instid1(VALU_DEP_1)
	v_rcp_f32_e32 v4, v3
	s_waitcnt_depctr 0xfff
	v_fma_f32 v5, -v3, v4, 1.0
	v_fmac_f32_e32 v4, v5, v4
	v_div_scale_f32 v5, vcc_lo, v42, v2, v42
	s_delay_alu instid0(VALU_DEP_1) | instskip(NEXT) | instid1(VALU_DEP_1)
	v_mul_f32_e32 v6, v5, v4
	v_fma_f32 v7, -v3, v6, v5
	s_delay_alu instid0(VALU_DEP_1) | instskip(NEXT) | instid1(VALU_DEP_1)
	v_fmac_f32_e32 v6, v7, v4
	v_fma_f32 v3, -v3, v6, v5
	s_delay_alu instid0(VALU_DEP_1) | instskip(NEXT) | instid1(VALU_DEP_1)
	v_div_fmas_f32 v3, v3, v4, v6
	v_div_fixup_f32 v3, v3, v2, v42
	s_delay_alu instid0(VALU_DEP_1) | instskip(SKIP_1) | instid1(VALU_DEP_2)
	v_bfe_u32 v4, v3, 16, 1
	v_cmp_o_f32_e32 vcc_lo, v3, v3
	v_add3_u32 v4, v3, v4, 0x7fff
	s_delay_alu instid0(VALU_DEP_1) | instskip(NEXT) | instid1(VALU_DEP_1)
	v_lshrrev_b32_e32 v4, 16, v4
	v_cndmask_b32_e32 v3, 0x7fc0, v4, vcc_lo
.LBB767_737:
	s_or_b32 exec_lo, exec_lo, s1
	global_store_b16 v[0:1], v3, off offset:1984
	s_and_b32 exec_lo, exec_lo, s34
	s_cbranch_execz .LBB767_834
; %bb.738:
	v_mov_b32_e32 v3, 0x7fc0
	s_and_saveexec_b32 s1, s0
	s_cbranch_execz .LBB767_740
; %bb.739:
	v_div_scale_f32 v3, null, v2, v2, v41
	s_delay_alu instid0(VALU_DEP_1) | instskip(SKIP_2) | instid1(VALU_DEP_1)
	v_rcp_f32_e32 v4, v3
	s_waitcnt_depctr 0xfff
	v_fma_f32 v5, -v3, v4, 1.0
	v_fmac_f32_e32 v4, v5, v4
	v_div_scale_f32 v5, vcc_lo, v41, v2, v41
	s_delay_alu instid0(VALU_DEP_1) | instskip(NEXT) | instid1(VALU_DEP_1)
	v_mul_f32_e32 v6, v5, v4
	v_fma_f32 v7, -v3, v6, v5
	s_delay_alu instid0(VALU_DEP_1) | instskip(NEXT) | instid1(VALU_DEP_1)
	v_fmac_f32_e32 v6, v7, v4
	v_fma_f32 v3, -v3, v6, v5
	s_delay_alu instid0(VALU_DEP_1) | instskip(NEXT) | instid1(VALU_DEP_1)
	v_div_fmas_f32 v3, v3, v4, v6
	v_div_fixup_f32 v3, v3, v2, v41
	s_delay_alu instid0(VALU_DEP_1) | instskip(SKIP_1) | instid1(VALU_DEP_2)
	v_bfe_u32 v4, v3, 16, 1
	v_cmp_o_f32_e32 vcc_lo, v3, v3
	v_add3_u32 v4, v3, v4, 0x7fff
	s_delay_alu instid0(VALU_DEP_1) | instskip(NEXT) | instid1(VALU_DEP_1)
	v_lshrrev_b32_e32 v4, 16, v4
	v_cndmask_b32_e32 v3, 0x7fc0, v4, vcc_lo
.LBB767_740:
	s_or_b32 exec_lo, exec_lo, s1
	global_store_b16 v[0:1], v3, off offset:2048
	s_and_b32 exec_lo, exec_lo, s33
	s_cbranch_execz .LBB767_834
; %bb.741:
	v_mov_b32_e32 v3, 0x7fc0
	s_and_saveexec_b32 s1, s0
	s_cbranch_execz .LBB767_743
; %bb.742:
	v_div_scale_f32 v3, null, v2, v2, v40
	s_delay_alu instid0(VALU_DEP_1) | instskip(SKIP_2) | instid1(VALU_DEP_1)
	v_rcp_f32_e32 v4, v3
	s_waitcnt_depctr 0xfff
	v_fma_f32 v5, -v3, v4, 1.0
	v_fmac_f32_e32 v4, v5, v4
	v_div_scale_f32 v5, vcc_lo, v40, v2, v40
	s_delay_alu instid0(VALU_DEP_1) | instskip(NEXT) | instid1(VALU_DEP_1)
	v_mul_f32_e32 v6, v5, v4
	v_fma_f32 v7, -v3, v6, v5
	s_delay_alu instid0(VALU_DEP_1) | instskip(NEXT) | instid1(VALU_DEP_1)
	v_fmac_f32_e32 v6, v7, v4
	v_fma_f32 v3, -v3, v6, v5
	s_delay_alu instid0(VALU_DEP_1) | instskip(NEXT) | instid1(VALU_DEP_1)
	v_div_fmas_f32 v3, v3, v4, v6
	v_div_fixup_f32 v3, v3, v2, v40
	s_delay_alu instid0(VALU_DEP_1) | instskip(SKIP_1) | instid1(VALU_DEP_2)
	v_bfe_u32 v4, v3, 16, 1
	v_cmp_o_f32_e32 vcc_lo, v3, v3
	v_add3_u32 v4, v3, v4, 0x7fff
	s_delay_alu instid0(VALU_DEP_1) | instskip(NEXT) | instid1(VALU_DEP_1)
	v_lshrrev_b32_e32 v4, 16, v4
	v_cndmask_b32_e32 v3, 0x7fc0, v4, vcc_lo
.LBB767_743:
	s_or_b32 exec_lo, exec_lo, s1
	global_store_b16 v[0:1], v3, off offset:2112
	s_and_b32 exec_lo, exec_lo, s31
	s_cbranch_execz .LBB767_834
; %bb.744:
	v_mov_b32_e32 v3, 0x7fc0
	s_and_saveexec_b32 s1, s0
	s_cbranch_execz .LBB767_746
; %bb.745:
	v_div_scale_f32 v3, null, v2, v2, v39
	s_delay_alu instid0(VALU_DEP_1) | instskip(SKIP_2) | instid1(VALU_DEP_1)
	v_rcp_f32_e32 v4, v3
	s_waitcnt_depctr 0xfff
	v_fma_f32 v5, -v3, v4, 1.0
	v_fmac_f32_e32 v4, v5, v4
	v_div_scale_f32 v5, vcc_lo, v39, v2, v39
	s_delay_alu instid0(VALU_DEP_1) | instskip(NEXT) | instid1(VALU_DEP_1)
	v_mul_f32_e32 v6, v5, v4
	v_fma_f32 v7, -v3, v6, v5
	s_delay_alu instid0(VALU_DEP_1) | instskip(NEXT) | instid1(VALU_DEP_1)
	v_fmac_f32_e32 v6, v7, v4
	v_fma_f32 v3, -v3, v6, v5
	s_delay_alu instid0(VALU_DEP_1) | instskip(NEXT) | instid1(VALU_DEP_1)
	v_div_fmas_f32 v3, v3, v4, v6
	v_div_fixup_f32 v3, v3, v2, v39
	s_delay_alu instid0(VALU_DEP_1) | instskip(SKIP_1) | instid1(VALU_DEP_2)
	v_bfe_u32 v4, v3, 16, 1
	v_cmp_o_f32_e32 vcc_lo, v3, v3
	v_add3_u32 v4, v3, v4, 0x7fff
	s_delay_alu instid0(VALU_DEP_1) | instskip(NEXT) | instid1(VALU_DEP_1)
	v_lshrrev_b32_e32 v4, 16, v4
	v_cndmask_b32_e32 v3, 0x7fc0, v4, vcc_lo
.LBB767_746:
	s_or_b32 exec_lo, exec_lo, s1
	global_store_b16 v[0:1], v3, off offset:2176
	s_and_b32 exec_lo, exec_lo, s30
	s_cbranch_execz .LBB767_834
; %bb.747:
	v_mov_b32_e32 v3, 0x7fc0
	s_and_saveexec_b32 s1, s0
	s_cbranch_execz .LBB767_749
; %bb.748:
	v_div_scale_f32 v3, null, v2, v2, v38
	s_delay_alu instid0(VALU_DEP_1) | instskip(SKIP_2) | instid1(VALU_DEP_1)
	v_rcp_f32_e32 v4, v3
	s_waitcnt_depctr 0xfff
	v_fma_f32 v5, -v3, v4, 1.0
	v_fmac_f32_e32 v4, v5, v4
	v_div_scale_f32 v5, vcc_lo, v38, v2, v38
	s_delay_alu instid0(VALU_DEP_1) | instskip(NEXT) | instid1(VALU_DEP_1)
	v_mul_f32_e32 v6, v5, v4
	v_fma_f32 v7, -v3, v6, v5
	s_delay_alu instid0(VALU_DEP_1) | instskip(NEXT) | instid1(VALU_DEP_1)
	v_fmac_f32_e32 v6, v7, v4
	v_fma_f32 v3, -v3, v6, v5
	s_delay_alu instid0(VALU_DEP_1) | instskip(NEXT) | instid1(VALU_DEP_1)
	v_div_fmas_f32 v3, v3, v4, v6
	v_div_fixup_f32 v3, v3, v2, v38
	s_delay_alu instid0(VALU_DEP_1) | instskip(SKIP_1) | instid1(VALU_DEP_2)
	v_bfe_u32 v4, v3, 16, 1
	v_cmp_o_f32_e32 vcc_lo, v3, v3
	v_add3_u32 v4, v3, v4, 0x7fff
	s_delay_alu instid0(VALU_DEP_1) | instskip(NEXT) | instid1(VALU_DEP_1)
	v_lshrrev_b32_e32 v4, 16, v4
	v_cndmask_b32_e32 v3, 0x7fc0, v4, vcc_lo
.LBB767_749:
	s_or_b32 exec_lo, exec_lo, s1
	global_store_b16 v[0:1], v3, off offset:2240
	s_and_b32 exec_lo, exec_lo, s29
	s_cbranch_execz .LBB767_834
; %bb.750:
	v_mov_b32_e32 v3, 0x7fc0
	s_and_saveexec_b32 s1, s0
	s_cbranch_execz .LBB767_752
; %bb.751:
	v_div_scale_f32 v3, null, v2, v2, v37
	s_delay_alu instid0(VALU_DEP_1) | instskip(SKIP_2) | instid1(VALU_DEP_1)
	v_rcp_f32_e32 v4, v3
	s_waitcnt_depctr 0xfff
	v_fma_f32 v5, -v3, v4, 1.0
	v_fmac_f32_e32 v4, v5, v4
	v_div_scale_f32 v5, vcc_lo, v37, v2, v37
	s_delay_alu instid0(VALU_DEP_1) | instskip(NEXT) | instid1(VALU_DEP_1)
	v_mul_f32_e32 v6, v5, v4
	v_fma_f32 v7, -v3, v6, v5
	s_delay_alu instid0(VALU_DEP_1) | instskip(NEXT) | instid1(VALU_DEP_1)
	v_fmac_f32_e32 v6, v7, v4
	v_fma_f32 v3, -v3, v6, v5
	s_delay_alu instid0(VALU_DEP_1) | instskip(NEXT) | instid1(VALU_DEP_1)
	v_div_fmas_f32 v3, v3, v4, v6
	v_div_fixup_f32 v3, v3, v2, v37
	s_delay_alu instid0(VALU_DEP_1) | instskip(SKIP_1) | instid1(VALU_DEP_2)
	v_bfe_u32 v4, v3, 16, 1
	v_cmp_o_f32_e32 vcc_lo, v3, v3
	v_add3_u32 v4, v3, v4, 0x7fff
	s_delay_alu instid0(VALU_DEP_1) | instskip(NEXT) | instid1(VALU_DEP_1)
	v_lshrrev_b32_e32 v4, 16, v4
	v_cndmask_b32_e32 v3, 0x7fc0, v4, vcc_lo
.LBB767_752:
	s_or_b32 exec_lo, exec_lo, s1
	v_readlane_b32 s1, v80, 4
	global_store_b16 v[0:1], v3, off offset:2304
	s_and_b32 exec_lo, exec_lo, s1
	s_cbranch_execz .LBB767_834
; %bb.753:
	v_mov_b32_e32 v3, 0x7fc0
	s_and_saveexec_b32 s1, s0
	s_cbranch_execz .LBB767_755
; %bb.754:
	v_div_scale_f32 v3, null, v2, v2, v36
	s_delay_alu instid0(VALU_DEP_1) | instskip(SKIP_2) | instid1(VALU_DEP_1)
	v_rcp_f32_e32 v4, v3
	s_waitcnt_depctr 0xfff
	v_fma_f32 v5, -v3, v4, 1.0
	v_fmac_f32_e32 v4, v5, v4
	v_div_scale_f32 v5, vcc_lo, v36, v2, v36
	s_delay_alu instid0(VALU_DEP_1) | instskip(NEXT) | instid1(VALU_DEP_1)
	v_mul_f32_e32 v6, v5, v4
	v_fma_f32 v7, -v3, v6, v5
	s_delay_alu instid0(VALU_DEP_1) | instskip(NEXT) | instid1(VALU_DEP_1)
	v_fmac_f32_e32 v6, v7, v4
	v_fma_f32 v3, -v3, v6, v5
	s_delay_alu instid0(VALU_DEP_1) | instskip(NEXT) | instid1(VALU_DEP_1)
	v_div_fmas_f32 v3, v3, v4, v6
	v_div_fixup_f32 v3, v3, v2, v36
	s_delay_alu instid0(VALU_DEP_1) | instskip(SKIP_1) | instid1(VALU_DEP_2)
	v_bfe_u32 v4, v3, 16, 1
	v_cmp_o_f32_e32 vcc_lo, v3, v3
	v_add3_u32 v4, v3, v4, 0x7fff
	s_delay_alu instid0(VALU_DEP_1) | instskip(NEXT) | instid1(VALU_DEP_1)
	v_lshrrev_b32_e32 v4, 16, v4
	v_cndmask_b32_e32 v3, 0x7fc0, v4, vcc_lo
.LBB767_755:
	s_or_b32 exec_lo, exec_lo, s1
	v_readlane_b32 s1, v80, 5
	global_store_b16 v[0:1], v3, off offset:2368
	;; [unrolled: 34-line block ×27, first 2 shown]
	s_and_b32 exec_lo, exec_lo, s1
	s_cbranch_execz .LBB767_834
; %bb.831:
	v_mov_b32_e32 v3, 0x7fc0
	s_and_saveexec_b32 s1, s0
	s_cbranch_execz .LBB767_833
; %bb.832:
	v_div_scale_f32 v3, null, v2, v2, v10
	s_delay_alu instid0(VALU_DEP_1) | instskip(SKIP_2) | instid1(VALU_DEP_1)
	v_rcp_f32_e32 v4, v3
	s_waitcnt_depctr 0xfff
	v_fma_f32 v5, -v3, v4, 1.0
	v_fmac_f32_e32 v4, v5, v4
	v_div_scale_f32 v5, vcc_lo, v10, v2, v10
	s_delay_alu instid0(VALU_DEP_1) | instskip(NEXT) | instid1(VALU_DEP_1)
	v_mul_f32_e32 v6, v5, v4
	v_fma_f32 v7, -v3, v6, v5
	s_delay_alu instid0(VALU_DEP_1) | instskip(NEXT) | instid1(VALU_DEP_1)
	v_fmac_f32_e32 v6, v7, v4
	v_fma_f32 v3, -v3, v6, v5
	s_delay_alu instid0(VALU_DEP_1) | instskip(NEXT) | instid1(VALU_DEP_1)
	v_div_fmas_f32 v3, v3, v4, v6
	v_div_fixup_f32 v2, v3, v2, v10
	s_delay_alu instid0(VALU_DEP_1) | instskip(SKIP_1) | instid1(VALU_DEP_2)
	v_bfe_u32 v3, v2, 16, 1
	v_cmp_o_f32_e32 vcc_lo, v2, v2
	v_add3_u32 v3, v2, v3, 0x7fff
	s_delay_alu instid0(VALU_DEP_1) | instskip(NEXT) | instid1(VALU_DEP_1)
	v_lshrrev_b32_e32 v3, 16, v3
	v_cndmask_b32_e32 v3, 0x7fc0, v3, vcc_lo
.LBB767_833:
	s_or_b32 exec_lo, exec_lo, s1
	global_store_b16 v[0:1], v3, off offset:4032
.LBB767_834:
	s_nop 0
	s_sendmsg sendmsg(MSG_DEALLOC_VGPRS)
	s_endpgm
	.section	.rodata,"a",@progbits
	.p2align	6, 0x0
	.amdhsa_kernel _ZN12_GLOBAL__N_120softmax_warp_forwardIN3c108BFloat16ES2_fLi11ELb0ELb1ELi32EEEvPT0_PKT_iiiPKbib
		.amdhsa_group_segment_fixed_size 0
		.amdhsa_private_segment_fixed_size 0
		.amdhsa_kernarg_size 304
		.amdhsa_user_sgpr_count 15
		.amdhsa_user_sgpr_dispatch_ptr 0
		.amdhsa_user_sgpr_queue_ptr 0
		.amdhsa_user_sgpr_kernarg_segment_ptr 1
		.amdhsa_user_sgpr_dispatch_id 0
		.amdhsa_user_sgpr_private_segment_size 0
		.amdhsa_wavefront_size32 1
		.amdhsa_uses_dynamic_stack 0
		.amdhsa_enable_private_segment 0
		.amdhsa_system_sgpr_workgroup_id_x 1
		.amdhsa_system_sgpr_workgroup_id_y 0
		.amdhsa_system_sgpr_workgroup_id_z 0
		.amdhsa_system_sgpr_workgroup_info 0
		.amdhsa_system_vgpr_workitem_id 1
		.amdhsa_next_free_vgpr 81
		.amdhsa_next_free_sgpr 105
		.amdhsa_reserve_vcc 1
		.amdhsa_float_round_mode_32 0
		.amdhsa_float_round_mode_16_64 0
		.amdhsa_float_denorm_mode_32 3
		.amdhsa_float_denorm_mode_16_64 3
		.amdhsa_dx10_clamp 1
		.amdhsa_ieee_mode 1
		.amdhsa_fp16_overflow 0
		.amdhsa_workgroup_processor_mode 1
		.amdhsa_memory_ordered 1
		.amdhsa_forward_progress 0
		.amdhsa_shared_vgpr_count 0
		.amdhsa_exception_fp_ieee_invalid_op 0
		.amdhsa_exception_fp_denorm_src 0
		.amdhsa_exception_fp_ieee_div_zero 0
		.amdhsa_exception_fp_ieee_overflow 0
		.amdhsa_exception_fp_ieee_underflow 0
		.amdhsa_exception_fp_ieee_inexact 0
		.amdhsa_exception_int_div_zero 0
	.end_amdhsa_kernel
	.section	.text._ZN12_GLOBAL__N_120softmax_warp_forwardIN3c108BFloat16ES2_fLi11ELb0ELb1ELi32EEEvPT0_PKT_iiiPKbib,"axG",@progbits,_ZN12_GLOBAL__N_120softmax_warp_forwardIN3c108BFloat16ES2_fLi11ELb0ELb1ELi32EEEvPT0_PKT_iiiPKbib,comdat
.Lfunc_end767:
	.size	_ZN12_GLOBAL__N_120softmax_warp_forwardIN3c108BFloat16ES2_fLi11ELb0ELb1ELi32EEEvPT0_PKT_iiiPKbib, .Lfunc_end767-_ZN12_GLOBAL__N_120softmax_warp_forwardIN3c108BFloat16ES2_fLi11ELb0ELb1ELi32EEEvPT0_PKT_iiiPKbib
                                        ; -- End function
	.section	.AMDGPU.csdata,"",@progbits
; Kernel info:
; codeLenInByte = 36096
; NumSgprs: 107
; NumVgprs: 81
; ScratchSize: 0
; MemoryBound: 0
; FloatMode: 240
; IeeeMode: 1
; LDSByteSize: 0 bytes/workgroup (compile time only)
; SGPRBlocks: 13
; VGPRBlocks: 10
; NumSGPRsForWavesPerEU: 107
; NumVGPRsForWavesPerEU: 81
; Occupancy: 16
; WaveLimiterHint : 0
; COMPUTE_PGM_RSRC2:SCRATCH_EN: 0
; COMPUTE_PGM_RSRC2:USER_SGPR: 15
; COMPUTE_PGM_RSRC2:TRAP_HANDLER: 0
; COMPUTE_PGM_RSRC2:TGID_X_EN: 1
; COMPUTE_PGM_RSRC2:TGID_Y_EN: 0
; COMPUTE_PGM_RSRC2:TGID_Z_EN: 0
; COMPUTE_PGM_RSRC2:TIDIG_COMP_CNT: 1
	.section	.text._ZN12_GLOBAL__N_121softmax_warp_backwardIdddLi0ELb0ELb1ELi64EEEvPT0_PKT_S5_iiiPKb,"axG",@progbits,_ZN12_GLOBAL__N_121softmax_warp_backwardIdddLi0ELb0ELb1ELi64EEEvPT0_PKT_S5_iiiPKb,comdat
	.globl	_ZN12_GLOBAL__N_121softmax_warp_backwardIdddLi0ELb0ELb1ELi64EEEvPT0_PKT_S5_iiiPKb ; -- Begin function _ZN12_GLOBAL__N_121softmax_warp_backwardIdddLi0ELb0ELb1ELi64EEEvPT0_PKT_S5_iiiPKb
	.p2align	8
	.type	_ZN12_GLOBAL__N_121softmax_warp_backwardIdddLi0ELb0ELb1ELi64EEEvPT0_PKT_S5_iiiPKb,@function
_ZN12_GLOBAL__N_121softmax_warp_backwardIdddLi0ELb0ELb1ELi64EEEvPT0_PKT_S5_iiiPKb: ; @_ZN12_GLOBAL__N_121softmax_warp_backwardIdddLi0ELb0ELb1ELi64EEEvPT0_PKT_S5_iiiPKb
; %bb.0:
	s_clause 0x1
	s_load_b32 s2, s[0:1], 0x3c
	s_load_b128 s[4:7], s[0:1], 0x18
	v_bfe_u32 v0, v0, 10, 10
	s_clause 0x1
	s_load_b128 s[8:11], s[0:1], 0x0
	s_load_b64 s[12:13], s[0:1], 0x10
	s_waitcnt lgkmcnt(0)
	s_lshr_b32 s2, s2, 16
	s_cmp_gt_i32 s6, 0
	s_mul_i32 s15, s15, s2
	s_cselect_b32 s3, -1, 0
	v_add_lshl_u32 v2, s15, v0, 1
	v_mov_b32_e32 v0, 0
	v_mov_b32_e32 v1, 0
	s_delay_alu instid0(VALU_DEP_3) | instskip(SKIP_1) | instid1(VALU_DEP_3)
	v_mul_lo_u32 v10, v2, s5
	v_sub_nc_u32_e32 v16, s4, v2
	v_dual_mov_b32 v3, v1 :: v_dual_mov_b32 v2, v0
	v_dual_mov_b32 v7, v1 :: v_dual_mov_b32 v6, v0
	s_delay_alu instid0(VALU_DEP_3) | instskip(SKIP_2) | instid1(VALU_DEP_1)
	v_cmp_lt_i32_e32 vcc_lo, 0, v16
	v_ashrrev_i32_e32 v11, 31, v10
	s_and_b32 s4, s3, vcc_lo
	v_lshlrev_b64 v[4:5], 3, v[10:11]
	s_delay_alu instid0(VALU_DEP_1) | instskip(NEXT) | instid1(VALU_DEP_1)
	v_add_co_u32 v14, s2, s10, v4
	v_add_co_ci_u32_e64 v15, s2, s11, v5, s2
	v_add_co_u32 v12, s2, s12, v4
	s_delay_alu instid0(VALU_DEP_1)
	v_add_co_ci_u32_e64 v13, s2, s13, v5, s2
	s_and_saveexec_b32 s2, s4
	s_cbranch_execz .LBB768_2
; %bb.1:
	global_load_b64 v[2:3], v[14:15], off
	global_load_b64 v[6:7], v[12:13], off
.LBB768_2:
	s_or_b32 exec_lo, exec_lo, s2
	v_cmp_lt_i32_e64 s2, 1, v16
	v_dual_mov_b32 v9, v1 :: v_dual_mov_b32 v8, v0
	s_delay_alu instid0(VALU_DEP_2) | instskip(NEXT) | instid1(SALU_CYCLE_1)
	s_and_b32 s2, s3, s2
	s_and_saveexec_b32 s4, s2
	s_cbranch_execz .LBB768_4
; %bb.3:
	s_mov_b32 s7, 0
	s_delay_alu instid0(SALU_CYCLE_1) | instskip(NEXT) | instid1(SALU_CYCLE_1)
	s_lshl_b64 s[10:11], s[6:7], 3
	v_add_co_u32 v0, s2, v14, s10
	s_delay_alu instid0(VALU_DEP_1) | instskip(SKIP_1) | instid1(VALU_DEP_1)
	v_add_co_ci_u32_e64 v1, s2, s11, v15, s2
	v_add_co_u32 v8, s2, v12, s10
	v_add_co_ci_u32_e64 v9, s2, s11, v13, s2
	global_load_b64 v[0:1], v[0:1], off
	global_load_b64 v[8:9], v[8:9], off
.LBB768_4:
	s_or_b32 exec_lo, exec_lo, s4
	s_and_saveexec_b32 s2, vcc_lo
	s_cbranch_execz .LBB768_10
; %bb.5:
	s_load_b64 s[0:1], s[0:1], 0x28
	s_waitcnt vmcnt(1)
	v_add_f64 v[17:18], v[0:1], 0
	s_waitcnt lgkmcnt(0)
	v_add_co_u32 v10, vcc_lo, s0, v10
	v_add_co_ci_u32_e32 v11, vcc_lo, s1, v11, vcc_lo
	s_ashr_i32 s0, s6, 31
	s_delay_alu instid0(VALU_DEP_2) | instskip(NEXT) | instid1(VALU_DEP_2)
	v_add_co_u32 v12, vcc_lo, v10, s6
	v_add_co_ci_u32_e32 v13, vcc_lo, s0, v11, vcc_lo
	v_add_co_u32 v4, vcc_lo, s8, v4
	s_clause 0x1
	global_load_u8 v14, v[10:11], off
	global_load_u8 v12, v[12:13], off
	v_add_f64 v[10:11], v[2:3], 0
	v_add_co_ci_u32_e32 v5, vcc_lo, s9, v5, vcc_lo
	s_and_not1_b32 vcc_lo, exec_lo, s3
	s_waitcnt vmcnt(1)
	v_and_b32_e32 v13, 1, v14
	s_waitcnt vmcnt(0)
	v_and_b32_e32 v12, 1, v12
	v_cndmask_b32_e64 v14, 0, 1, s3
	s_delay_alu instid0(VALU_DEP_3) | instskip(NEXT) | instid1(VALU_DEP_3)
	v_cmp_eq_u32_e64 s1, 1, v13
	v_cmp_eq_u32_e64 s0, 1, v12
	s_delay_alu instid0(VALU_DEP_2) | instskip(SKIP_1) | instid1(VALU_DEP_3)
	v_cndmask_b32_e64 v13, v11, 0, s1
	v_cndmask_b32_e64 v12, v10, 0, s1
	;; [unrolled: 1-line block ×4, first 2 shown]
	s_cbranch_vccnz .LBB768_7
; %bb.6:
	s_delay_alu instid0(VALU_DEP_3) | instskip(NEXT) | instid1(VALU_DEP_1)
	v_fma_f64 v[2:3], -v[12:13], v[6:7], v[2:3]
	v_cndmask_b32_e64 v3, v3, 0, s1
	s_delay_alu instid0(VALU_DEP_2)
	v_cndmask_b32_e64 v2, v2, 0, s1
	global_store_b64 v[4:5], v[2:3], off
.LBB768_7:
	v_cmp_ne_u32_e32 vcc_lo, 1, v16
	s_and_b32 exec_lo, exec_lo, vcc_lo
	s_cbranch_execz .LBB768_10
; %bb.8:
	v_cmp_ne_u32_e32 vcc_lo, 1, v14
	s_cbranch_vccnz .LBB768_10
; %bb.9:
	v_fma_f64 v[0:1], -v[10:11], v[8:9], v[0:1]
	s_mov_b32 s7, 0
	s_delay_alu instid0(SALU_CYCLE_1) | instskip(NEXT) | instid1(SALU_CYCLE_1)
	s_lshl_b64 s[2:3], s[6:7], 3
	v_add_co_u32 v2, vcc_lo, v4, s2
	v_add_co_ci_u32_e32 v3, vcc_lo, s3, v5, vcc_lo
	s_delay_alu instid0(VALU_DEP_3) | instskip(NEXT) | instid1(VALU_DEP_4)
	v_cndmask_b32_e64 v1, v1, 0, s0
	v_cndmask_b32_e64 v0, v0, 0, s0
	global_store_b64 v[2:3], v[0:1], off
.LBB768_10:
	s_nop 0
	s_sendmsg sendmsg(MSG_DEALLOC_VGPRS)
	s_endpgm
	.section	.rodata,"a",@progbits
	.p2align	6, 0x0
	.amdhsa_kernel _ZN12_GLOBAL__N_121softmax_warp_backwardIdddLi0ELb0ELb1ELi64EEEvPT0_PKT_S5_iiiPKb
		.amdhsa_group_segment_fixed_size 0
		.amdhsa_private_segment_fixed_size 0
		.amdhsa_kernarg_size 304
		.amdhsa_user_sgpr_count 15
		.amdhsa_user_sgpr_dispatch_ptr 0
		.amdhsa_user_sgpr_queue_ptr 0
		.amdhsa_user_sgpr_kernarg_segment_ptr 1
		.amdhsa_user_sgpr_dispatch_id 0
		.amdhsa_user_sgpr_private_segment_size 0
		.amdhsa_wavefront_size32 1
		.amdhsa_uses_dynamic_stack 0
		.amdhsa_enable_private_segment 0
		.amdhsa_system_sgpr_workgroup_id_x 1
		.amdhsa_system_sgpr_workgroup_id_y 0
		.amdhsa_system_sgpr_workgroup_id_z 0
		.amdhsa_system_sgpr_workgroup_info 0
		.amdhsa_system_vgpr_workitem_id 1
		.amdhsa_next_free_vgpr 19
		.amdhsa_next_free_sgpr 16
		.amdhsa_reserve_vcc 1
		.amdhsa_float_round_mode_32 0
		.amdhsa_float_round_mode_16_64 0
		.amdhsa_float_denorm_mode_32 3
		.amdhsa_float_denorm_mode_16_64 3
		.amdhsa_dx10_clamp 1
		.amdhsa_ieee_mode 1
		.amdhsa_fp16_overflow 0
		.amdhsa_workgroup_processor_mode 1
		.amdhsa_memory_ordered 1
		.amdhsa_forward_progress 0
		.amdhsa_shared_vgpr_count 0
		.amdhsa_exception_fp_ieee_invalid_op 0
		.amdhsa_exception_fp_denorm_src 0
		.amdhsa_exception_fp_ieee_div_zero 0
		.amdhsa_exception_fp_ieee_overflow 0
		.amdhsa_exception_fp_ieee_underflow 0
		.amdhsa_exception_fp_ieee_inexact 0
		.amdhsa_exception_int_div_zero 0
	.end_amdhsa_kernel
	.section	.text._ZN12_GLOBAL__N_121softmax_warp_backwardIdddLi0ELb0ELb1ELi64EEEvPT0_PKT_S5_iiiPKb,"axG",@progbits,_ZN12_GLOBAL__N_121softmax_warp_backwardIdddLi0ELb0ELb1ELi64EEEvPT0_PKT_S5_iiiPKb,comdat
.Lfunc_end768:
	.size	_ZN12_GLOBAL__N_121softmax_warp_backwardIdddLi0ELb0ELb1ELi64EEEvPT0_PKT_S5_iiiPKb, .Lfunc_end768-_ZN12_GLOBAL__N_121softmax_warp_backwardIdddLi0ELb0ELb1ELi64EEEvPT0_PKT_S5_iiiPKb
                                        ; -- End function
	.section	.AMDGPU.csdata,"",@progbits
; Kernel info:
; codeLenInByte = 632
; NumSgprs: 18
; NumVgprs: 19
; ScratchSize: 0
; MemoryBound: 0
; FloatMode: 240
; IeeeMode: 1
; LDSByteSize: 0 bytes/workgroup (compile time only)
; SGPRBlocks: 2
; VGPRBlocks: 2
; NumSGPRsForWavesPerEU: 18
; NumVGPRsForWavesPerEU: 19
; Occupancy: 16
; WaveLimiterHint : 0
; COMPUTE_PGM_RSRC2:SCRATCH_EN: 0
; COMPUTE_PGM_RSRC2:USER_SGPR: 15
; COMPUTE_PGM_RSRC2:TRAP_HANDLER: 0
; COMPUTE_PGM_RSRC2:TGID_X_EN: 1
; COMPUTE_PGM_RSRC2:TGID_Y_EN: 0
; COMPUTE_PGM_RSRC2:TGID_Z_EN: 0
; COMPUTE_PGM_RSRC2:TIDIG_COMP_CNT: 1
	.section	.text._ZN12_GLOBAL__N_121softmax_warp_backwardIdddLi0ELb0ELb1ELi32EEEvPT0_PKT_S5_iiiPKb,"axG",@progbits,_ZN12_GLOBAL__N_121softmax_warp_backwardIdddLi0ELb0ELb1ELi32EEEvPT0_PKT_S5_iiiPKb,comdat
	.globl	_ZN12_GLOBAL__N_121softmax_warp_backwardIdddLi0ELb0ELb1ELi32EEEvPT0_PKT_S5_iiiPKb ; -- Begin function _ZN12_GLOBAL__N_121softmax_warp_backwardIdddLi0ELb0ELb1ELi32EEEvPT0_PKT_S5_iiiPKb
	.p2align	8
	.type	_ZN12_GLOBAL__N_121softmax_warp_backwardIdddLi0ELb0ELb1ELi32EEEvPT0_PKT_S5_iiiPKb,@function
_ZN12_GLOBAL__N_121softmax_warp_backwardIdddLi0ELb0ELb1ELi32EEEvPT0_PKT_S5_iiiPKb: ; @_ZN12_GLOBAL__N_121softmax_warp_backwardIdddLi0ELb0ELb1ELi32EEEvPT0_PKT_S5_iiiPKb
; %bb.0:
	s_clause 0x1
	s_load_b32 s2, s[0:1], 0x3c
	s_load_b128 s[4:7], s[0:1], 0x18
	v_bfe_u32 v0, v0, 10, 10
	s_clause 0x1
	s_load_b128 s[8:11], s[0:1], 0x0
	s_load_b64 s[12:13], s[0:1], 0x10
	s_waitcnt lgkmcnt(0)
	s_lshr_b32 s2, s2, 16
	s_cmp_gt_i32 s6, 0
	s_mul_i32 s15, s15, s2
	s_cselect_b32 s3, -1, 0
	v_add_lshl_u32 v2, s15, v0, 1
	v_mov_b32_e32 v0, 0
	v_mov_b32_e32 v1, 0
	s_delay_alu instid0(VALU_DEP_3) | instskip(SKIP_1) | instid1(VALU_DEP_3)
	v_mul_lo_u32 v10, v2, s5
	v_sub_nc_u32_e32 v16, s4, v2
	v_dual_mov_b32 v3, v1 :: v_dual_mov_b32 v2, v0
	v_dual_mov_b32 v7, v1 :: v_dual_mov_b32 v6, v0
	s_delay_alu instid0(VALU_DEP_3) | instskip(SKIP_2) | instid1(VALU_DEP_1)
	v_cmp_lt_i32_e32 vcc_lo, 0, v16
	v_ashrrev_i32_e32 v11, 31, v10
	s_and_b32 s4, s3, vcc_lo
	v_lshlrev_b64 v[4:5], 3, v[10:11]
	s_delay_alu instid0(VALU_DEP_1) | instskip(NEXT) | instid1(VALU_DEP_1)
	v_add_co_u32 v14, s2, s10, v4
	v_add_co_ci_u32_e64 v15, s2, s11, v5, s2
	v_add_co_u32 v12, s2, s12, v4
	s_delay_alu instid0(VALU_DEP_1)
	v_add_co_ci_u32_e64 v13, s2, s13, v5, s2
	s_and_saveexec_b32 s2, s4
	s_cbranch_execz .LBB769_2
; %bb.1:
	global_load_b64 v[2:3], v[14:15], off
	global_load_b64 v[6:7], v[12:13], off
.LBB769_2:
	s_or_b32 exec_lo, exec_lo, s2
	v_cmp_lt_i32_e64 s2, 1, v16
	v_dual_mov_b32 v9, v1 :: v_dual_mov_b32 v8, v0
	s_delay_alu instid0(VALU_DEP_2) | instskip(NEXT) | instid1(SALU_CYCLE_1)
	s_and_b32 s2, s3, s2
	s_and_saveexec_b32 s4, s2
	s_cbranch_execz .LBB769_4
; %bb.3:
	s_mov_b32 s7, 0
	s_delay_alu instid0(SALU_CYCLE_1) | instskip(NEXT) | instid1(SALU_CYCLE_1)
	s_lshl_b64 s[10:11], s[6:7], 3
	v_add_co_u32 v0, s2, v14, s10
	s_delay_alu instid0(VALU_DEP_1) | instskip(SKIP_1) | instid1(VALU_DEP_1)
	v_add_co_ci_u32_e64 v1, s2, s11, v15, s2
	v_add_co_u32 v8, s2, v12, s10
	v_add_co_ci_u32_e64 v9, s2, s11, v13, s2
	global_load_b64 v[0:1], v[0:1], off
	global_load_b64 v[8:9], v[8:9], off
.LBB769_4:
	s_or_b32 exec_lo, exec_lo, s4
	s_and_saveexec_b32 s2, vcc_lo
	s_cbranch_execz .LBB769_10
; %bb.5:
	s_load_b64 s[0:1], s[0:1], 0x28
	s_waitcnt vmcnt(1)
	v_add_f64 v[17:18], v[0:1], 0
	s_waitcnt lgkmcnt(0)
	v_add_co_u32 v10, vcc_lo, s0, v10
	v_add_co_ci_u32_e32 v11, vcc_lo, s1, v11, vcc_lo
	s_ashr_i32 s0, s6, 31
	s_delay_alu instid0(VALU_DEP_2) | instskip(NEXT) | instid1(VALU_DEP_2)
	v_add_co_u32 v12, vcc_lo, v10, s6
	v_add_co_ci_u32_e32 v13, vcc_lo, s0, v11, vcc_lo
	v_add_co_u32 v4, vcc_lo, s8, v4
	s_clause 0x1
	global_load_u8 v14, v[10:11], off
	global_load_u8 v12, v[12:13], off
	v_add_f64 v[10:11], v[2:3], 0
	v_add_co_ci_u32_e32 v5, vcc_lo, s9, v5, vcc_lo
	s_and_not1_b32 vcc_lo, exec_lo, s3
	s_waitcnt vmcnt(1)
	v_and_b32_e32 v13, 1, v14
	s_waitcnt vmcnt(0)
	v_and_b32_e32 v12, 1, v12
	v_cndmask_b32_e64 v14, 0, 1, s3
	s_delay_alu instid0(VALU_DEP_3) | instskip(NEXT) | instid1(VALU_DEP_3)
	v_cmp_eq_u32_e64 s1, 1, v13
	v_cmp_eq_u32_e64 s0, 1, v12
	s_delay_alu instid0(VALU_DEP_2) | instskip(SKIP_1) | instid1(VALU_DEP_3)
	v_cndmask_b32_e64 v13, v11, 0, s1
	v_cndmask_b32_e64 v12, v10, 0, s1
	;; [unrolled: 1-line block ×4, first 2 shown]
	s_cbranch_vccnz .LBB769_7
; %bb.6:
	s_delay_alu instid0(VALU_DEP_3) | instskip(NEXT) | instid1(VALU_DEP_1)
	v_fma_f64 v[2:3], -v[12:13], v[6:7], v[2:3]
	v_cndmask_b32_e64 v3, v3, 0, s1
	s_delay_alu instid0(VALU_DEP_2)
	v_cndmask_b32_e64 v2, v2, 0, s1
	global_store_b64 v[4:5], v[2:3], off
.LBB769_7:
	v_cmp_ne_u32_e32 vcc_lo, 1, v16
	s_and_b32 exec_lo, exec_lo, vcc_lo
	s_cbranch_execz .LBB769_10
; %bb.8:
	v_cmp_ne_u32_e32 vcc_lo, 1, v14
	s_cbranch_vccnz .LBB769_10
; %bb.9:
	v_fma_f64 v[0:1], -v[10:11], v[8:9], v[0:1]
	s_mov_b32 s7, 0
	s_delay_alu instid0(SALU_CYCLE_1) | instskip(NEXT) | instid1(SALU_CYCLE_1)
	s_lshl_b64 s[2:3], s[6:7], 3
	v_add_co_u32 v2, vcc_lo, v4, s2
	v_add_co_ci_u32_e32 v3, vcc_lo, s3, v5, vcc_lo
	s_delay_alu instid0(VALU_DEP_3) | instskip(NEXT) | instid1(VALU_DEP_4)
	v_cndmask_b32_e64 v1, v1, 0, s0
	v_cndmask_b32_e64 v0, v0, 0, s0
	global_store_b64 v[2:3], v[0:1], off
.LBB769_10:
	s_nop 0
	s_sendmsg sendmsg(MSG_DEALLOC_VGPRS)
	s_endpgm
	.section	.rodata,"a",@progbits
	.p2align	6, 0x0
	.amdhsa_kernel _ZN12_GLOBAL__N_121softmax_warp_backwardIdddLi0ELb0ELb1ELi32EEEvPT0_PKT_S5_iiiPKb
		.amdhsa_group_segment_fixed_size 0
		.amdhsa_private_segment_fixed_size 0
		.amdhsa_kernarg_size 304
		.amdhsa_user_sgpr_count 15
		.amdhsa_user_sgpr_dispatch_ptr 0
		.amdhsa_user_sgpr_queue_ptr 0
		.amdhsa_user_sgpr_kernarg_segment_ptr 1
		.amdhsa_user_sgpr_dispatch_id 0
		.amdhsa_user_sgpr_private_segment_size 0
		.amdhsa_wavefront_size32 1
		.amdhsa_uses_dynamic_stack 0
		.amdhsa_enable_private_segment 0
		.amdhsa_system_sgpr_workgroup_id_x 1
		.amdhsa_system_sgpr_workgroup_id_y 0
		.amdhsa_system_sgpr_workgroup_id_z 0
		.amdhsa_system_sgpr_workgroup_info 0
		.amdhsa_system_vgpr_workitem_id 1
		.amdhsa_next_free_vgpr 19
		.amdhsa_next_free_sgpr 16
		.amdhsa_reserve_vcc 1
		.amdhsa_float_round_mode_32 0
		.amdhsa_float_round_mode_16_64 0
		.amdhsa_float_denorm_mode_32 3
		.amdhsa_float_denorm_mode_16_64 3
		.amdhsa_dx10_clamp 1
		.amdhsa_ieee_mode 1
		.amdhsa_fp16_overflow 0
		.amdhsa_workgroup_processor_mode 1
		.amdhsa_memory_ordered 1
		.amdhsa_forward_progress 0
		.amdhsa_shared_vgpr_count 0
		.amdhsa_exception_fp_ieee_invalid_op 0
		.amdhsa_exception_fp_denorm_src 0
		.amdhsa_exception_fp_ieee_div_zero 0
		.amdhsa_exception_fp_ieee_overflow 0
		.amdhsa_exception_fp_ieee_underflow 0
		.amdhsa_exception_fp_ieee_inexact 0
		.amdhsa_exception_int_div_zero 0
	.end_amdhsa_kernel
	.section	.text._ZN12_GLOBAL__N_121softmax_warp_backwardIdddLi0ELb0ELb1ELi32EEEvPT0_PKT_S5_iiiPKb,"axG",@progbits,_ZN12_GLOBAL__N_121softmax_warp_backwardIdddLi0ELb0ELb1ELi32EEEvPT0_PKT_S5_iiiPKb,comdat
.Lfunc_end769:
	.size	_ZN12_GLOBAL__N_121softmax_warp_backwardIdddLi0ELb0ELb1ELi32EEEvPT0_PKT_S5_iiiPKb, .Lfunc_end769-_ZN12_GLOBAL__N_121softmax_warp_backwardIdddLi0ELb0ELb1ELi32EEEvPT0_PKT_S5_iiiPKb
                                        ; -- End function
	.section	.AMDGPU.csdata,"",@progbits
; Kernel info:
; codeLenInByte = 632
; NumSgprs: 18
; NumVgprs: 19
; ScratchSize: 0
; MemoryBound: 0
; FloatMode: 240
; IeeeMode: 1
; LDSByteSize: 0 bytes/workgroup (compile time only)
; SGPRBlocks: 2
; VGPRBlocks: 2
; NumSGPRsForWavesPerEU: 18
; NumVGPRsForWavesPerEU: 19
; Occupancy: 16
; WaveLimiterHint : 0
; COMPUTE_PGM_RSRC2:SCRATCH_EN: 0
; COMPUTE_PGM_RSRC2:USER_SGPR: 15
; COMPUTE_PGM_RSRC2:TRAP_HANDLER: 0
; COMPUTE_PGM_RSRC2:TGID_X_EN: 1
; COMPUTE_PGM_RSRC2:TGID_Y_EN: 0
; COMPUTE_PGM_RSRC2:TGID_Z_EN: 0
; COMPUTE_PGM_RSRC2:TIDIG_COMP_CNT: 1
	.section	.text._ZN12_GLOBAL__N_121softmax_warp_backwardIdddLi1ELb0ELb1ELi64EEEvPT0_PKT_S5_iiiPKb,"axG",@progbits,_ZN12_GLOBAL__N_121softmax_warp_backwardIdddLi1ELb0ELb1ELi64EEEvPT0_PKT_S5_iiiPKb,comdat
	.globl	_ZN12_GLOBAL__N_121softmax_warp_backwardIdddLi1ELb0ELb1ELi64EEEvPT0_PKT_S5_iiiPKb ; -- Begin function _ZN12_GLOBAL__N_121softmax_warp_backwardIdddLi1ELb0ELb1ELi64EEEvPT0_PKT_S5_iiiPKb
	.p2align	8
	.type	_ZN12_GLOBAL__N_121softmax_warp_backwardIdddLi1ELb0ELb1ELi64EEEvPT0_PKT_S5_iiiPKb,@function
_ZN12_GLOBAL__N_121softmax_warp_backwardIdddLi1ELb0ELb1ELi64EEEvPT0_PKT_S5_iiiPKb: ; @_ZN12_GLOBAL__N_121softmax_warp_backwardIdddLi1ELb0ELb1ELi64EEEvPT0_PKT_S5_iiiPKb
; %bb.0:
	s_clause 0x1
	s_load_b32 s2, s[0:1], 0x3c
	s_load_b128 s[4:7], s[0:1], 0x18
	v_bfe_u32 v1, v0, 10, 10
	v_and_b32_e32 v4, 1, v0
	s_clause 0x1
	s_load_b128 s[8:11], s[0:1], 0x0
	s_load_b64 s[12:13], s[0:1], 0x10
	s_waitcnt lgkmcnt(0)
	s_lshr_b32 s2, s2, 16
	s_delay_alu instid0(SALU_CYCLE_1) | instskip(NEXT) | instid1(SALU_CYCLE_1)
	s_mul_i32 s15, s15, s2
	v_add_lshl_u32 v2, s15, v1, 1
	s_delay_alu instid0(VALU_DEP_1) | instskip(SKIP_1) | instid1(VALU_DEP_1)
	v_mul_lo_u32 v1, v2, s5
	v_sub_nc_u32_e32 v18, s4, v2
	v_cmp_lt_i32_e64 s2, 0, v18
	s_delay_alu instid0(VALU_DEP_3) | instskip(SKIP_3) | instid1(VALU_DEP_4)
	v_or_b32_e32 v10, v1, v4
	v_mov_b32_e32 v0, 0
	v_mov_b32_e32 v1, 0
	v_cmp_gt_i32_e32 vcc_lo, s6, v4
	v_ashrrev_i32_e32 v11, 31, v10
	s_delay_alu instid0(VALU_DEP_3) | instskip(SKIP_1) | instid1(VALU_DEP_3)
	v_dual_mov_b32 v3, v1 :: v_dual_mov_b32 v2, v0
	v_dual_mov_b32 v5, v1 :: v_dual_mov_b32 v4, v0
	v_lshlrev_b64 v[8:9], 3, v[10:11]
	s_and_b32 s4, vcc_lo, s2
	s_delay_alu instid0(VALU_DEP_1) | instskip(NEXT) | instid1(VALU_DEP_1)
	v_add_co_u32 v14, s3, s10, v8
	v_add_co_ci_u32_e64 v15, s3, s11, v9, s3
	v_add_co_u32 v12, s3, s12, v8
	s_delay_alu instid0(VALU_DEP_1)
	v_add_co_ci_u32_e64 v13, s3, s13, v9, s3
	s_and_saveexec_b32 s3, s4
	s_cbranch_execz .LBB770_2
; %bb.1:
	global_load_b64 v[2:3], v[14:15], off
	global_load_b64 v[4:5], v[12:13], off
.LBB770_2:
	s_or_b32 exec_lo, exec_lo, s3
	v_cmp_lt_i32_e64 s3, 1, v18
	v_dual_mov_b32 v7, v1 :: v_dual_mov_b32 v6, v0
	s_delay_alu instid0(VALU_DEP_2) | instskip(NEXT) | instid1(SALU_CYCLE_1)
	s_and_b32 s3, vcc_lo, s3
	s_and_saveexec_b32 s4, s3
	s_cbranch_execz .LBB770_4
; %bb.3:
	s_mov_b32 s7, 0
	s_delay_alu instid0(SALU_CYCLE_1) | instskip(NEXT) | instid1(SALU_CYCLE_1)
	s_lshl_b64 s[10:11], s[6:7], 3
	v_add_co_u32 v0, s3, v14, s10
	s_delay_alu instid0(VALU_DEP_1) | instskip(SKIP_1) | instid1(VALU_DEP_1)
	v_add_co_ci_u32_e64 v1, s3, s11, v15, s3
	v_add_co_u32 v6, s3, v12, s10
	v_add_co_ci_u32_e64 v7, s3, s11, v13, s3
	global_load_b64 v[0:1], v[0:1], off
	global_load_b64 v[6:7], v[6:7], off
.LBB770_4:
	s_or_b32 exec_lo, exec_lo, s4
	s_load_b64 s[0:1], s[0:1], 0x28
	v_mbcnt_lo_u32_b32 v16, -1, 0
	s_delay_alu instid0(VALU_DEP_1) | instskip(SKIP_1) | instid1(VALU_DEP_2)
	v_and_b32_e32 v17, 30, v16
	v_xor_b32_e32 v19, 1, v16
	v_add_nc_u32_e32 v17, 2, v17
	s_waitcnt lgkmcnt(0)
	v_add_co_u32 v10, s0, s0, v10
	s_delay_alu instid0(VALU_DEP_1) | instskip(SKIP_1) | instid1(VALU_DEP_2)
	v_add_co_ci_u32_e64 v11, s0, s1, v11, s0
	s_ashr_i32 s1, s6, 31
	v_add_co_u32 v12, s0, v10, s6
	s_delay_alu instid0(VALU_DEP_1)
	v_add_co_ci_u32_e64 v13, s0, s1, v11, s0
	v_cmp_lt_i32_e64 s0, v19, v17
	s_clause 0x1
	global_load_u8 v14, v[10:11], off
	global_load_u8 v15, v[12:13], off
	s_waitcnt vmcnt(3)
	v_add_f64 v[10:11], v[2:3], 0
	v_add_f64 v[12:13], v[0:1], 0
	v_cndmask_b32_e64 v16, v16, v19, s0
	s_delay_alu instid0(VALU_DEP_1) | instskip(SKIP_4) | instid1(VALU_DEP_2)
	v_lshlrev_b32_e32 v19, 2, v16
	s_waitcnt vmcnt(1)
	v_and_b32_e32 v14, 1, v14
	s_waitcnt vmcnt(0)
	v_and_b32_e32 v15, 1, v15
	v_cmp_eq_u32_e64 s1, 1, v14
	s_delay_alu instid0(VALU_DEP_2) | instskip(NEXT) | instid1(VALU_DEP_2)
	v_cmp_eq_u32_e64 s0, 1, v15
	v_cndmask_b32_e64 v15, v11, 0, s1
	v_cndmask_b32_e64 v14, v10, 0, s1
	s_delay_alu instid0(VALU_DEP_3)
	v_cndmask_b32_e64 v11, v13, 0, s0
	v_cndmask_b32_e64 v10, v12, 0, s0
	ds_bpermute_b32 v17, v19, v15
	ds_bpermute_b32 v16, v19, v14
	;; [unrolled: 1-line block ×4, first 2 shown]
	s_and_saveexec_b32 s3, s2
	s_cbranch_execz .LBB770_10
; %bb.5:
	v_add_co_u32 v8, s2, s8, v8
	s_delay_alu instid0(VALU_DEP_1)
	v_add_co_ci_u32_e64 v9, s2, s9, v9, s2
	s_and_saveexec_b32 s2, vcc_lo
	s_cbranch_execz .LBB770_7
; %bb.6:
	s_waitcnt lgkmcnt(2)
	v_add_f64 v[14:15], v[14:15], v[16:17]
	s_delay_alu instid0(VALU_DEP_1) | instskip(NEXT) | instid1(VALU_DEP_1)
	v_fma_f64 v[2:3], -v[14:15], v[4:5], v[2:3]
	v_cndmask_b32_e64 v3, v3, 0, s1
	s_delay_alu instid0(VALU_DEP_2)
	v_cndmask_b32_e64 v2, v2, 0, s1
	global_store_b64 v[8:9], v[2:3], off
.LBB770_7:
	s_or_b32 exec_lo, exec_lo, s2
	v_cmp_ne_u32_e64 s1, 1, v18
	s_delay_alu instid0(VALU_DEP_1)
	s_and_b32 exec_lo, exec_lo, s1
	s_cbranch_execz .LBB770_10
; %bb.8:
	s_and_b32 exec_lo, exec_lo, vcc_lo
	s_cbranch_execz .LBB770_10
; %bb.9:
	s_waitcnt lgkmcnt(0)
	v_add_f64 v[2:3], v[10:11], v[12:13]
	s_mov_b32 s7, 0
	s_delay_alu instid0(SALU_CYCLE_1) | instskip(NEXT) | instid1(VALU_DEP_1)
	s_lshl_b64 s[2:3], s[6:7], 3
	v_fma_f64 v[0:1], -v[2:3], v[6:7], v[0:1]
	v_add_co_u32 v2, vcc_lo, v8, s2
	v_add_co_ci_u32_e32 v3, vcc_lo, s3, v9, vcc_lo
	s_delay_alu instid0(VALU_DEP_3) | instskip(NEXT) | instid1(VALU_DEP_4)
	v_cndmask_b32_e64 v1, v1, 0, s0
	v_cndmask_b32_e64 v0, v0, 0, s0
	global_store_b64 v[2:3], v[0:1], off
.LBB770_10:
	s_nop 0
	s_sendmsg sendmsg(MSG_DEALLOC_VGPRS)
	s_endpgm
	.section	.rodata,"a",@progbits
	.p2align	6, 0x0
	.amdhsa_kernel _ZN12_GLOBAL__N_121softmax_warp_backwardIdddLi1ELb0ELb1ELi64EEEvPT0_PKT_S5_iiiPKb
		.amdhsa_group_segment_fixed_size 0
		.amdhsa_private_segment_fixed_size 0
		.amdhsa_kernarg_size 304
		.amdhsa_user_sgpr_count 15
		.amdhsa_user_sgpr_dispatch_ptr 0
		.amdhsa_user_sgpr_queue_ptr 0
		.amdhsa_user_sgpr_kernarg_segment_ptr 1
		.amdhsa_user_sgpr_dispatch_id 0
		.amdhsa_user_sgpr_private_segment_size 0
		.amdhsa_wavefront_size32 1
		.amdhsa_uses_dynamic_stack 0
		.amdhsa_enable_private_segment 0
		.amdhsa_system_sgpr_workgroup_id_x 1
		.amdhsa_system_sgpr_workgroup_id_y 0
		.amdhsa_system_sgpr_workgroup_id_z 0
		.amdhsa_system_sgpr_workgroup_info 0
		.amdhsa_system_vgpr_workitem_id 1
		.amdhsa_next_free_vgpr 20
		.amdhsa_next_free_sgpr 16
		.amdhsa_reserve_vcc 1
		.amdhsa_float_round_mode_32 0
		.amdhsa_float_round_mode_16_64 0
		.amdhsa_float_denorm_mode_32 3
		.amdhsa_float_denorm_mode_16_64 3
		.amdhsa_dx10_clamp 1
		.amdhsa_ieee_mode 1
		.amdhsa_fp16_overflow 0
		.amdhsa_workgroup_processor_mode 1
		.amdhsa_memory_ordered 1
		.amdhsa_forward_progress 0
		.amdhsa_shared_vgpr_count 0
		.amdhsa_exception_fp_ieee_invalid_op 0
		.amdhsa_exception_fp_denorm_src 0
		.amdhsa_exception_fp_ieee_div_zero 0
		.amdhsa_exception_fp_ieee_overflow 0
		.amdhsa_exception_fp_ieee_underflow 0
		.amdhsa_exception_fp_ieee_inexact 0
		.amdhsa_exception_int_div_zero 0
	.end_amdhsa_kernel
	.section	.text._ZN12_GLOBAL__N_121softmax_warp_backwardIdddLi1ELb0ELb1ELi64EEEvPT0_PKT_S5_iiiPKb,"axG",@progbits,_ZN12_GLOBAL__N_121softmax_warp_backwardIdddLi1ELb0ELb1ELi64EEEvPT0_PKT_S5_iiiPKb,comdat
.Lfunc_end770:
	.size	_ZN12_GLOBAL__N_121softmax_warp_backwardIdddLi1ELb0ELb1ELi64EEEvPT0_PKT_S5_iiiPKb, .Lfunc_end770-_ZN12_GLOBAL__N_121softmax_warp_backwardIdddLi1ELb0ELb1ELi64EEEvPT0_PKT_S5_iiiPKb
                                        ; -- End function
	.section	.AMDGPU.csdata,"",@progbits
; Kernel info:
; codeLenInByte = 776
; NumSgprs: 18
; NumVgprs: 20
; ScratchSize: 0
; MemoryBound: 0
; FloatMode: 240
; IeeeMode: 1
; LDSByteSize: 0 bytes/workgroup (compile time only)
; SGPRBlocks: 2
; VGPRBlocks: 2
; NumSGPRsForWavesPerEU: 18
; NumVGPRsForWavesPerEU: 20
; Occupancy: 16
; WaveLimiterHint : 0
; COMPUTE_PGM_RSRC2:SCRATCH_EN: 0
; COMPUTE_PGM_RSRC2:USER_SGPR: 15
; COMPUTE_PGM_RSRC2:TRAP_HANDLER: 0
; COMPUTE_PGM_RSRC2:TGID_X_EN: 1
; COMPUTE_PGM_RSRC2:TGID_Y_EN: 0
; COMPUTE_PGM_RSRC2:TGID_Z_EN: 0
; COMPUTE_PGM_RSRC2:TIDIG_COMP_CNT: 1
	.section	.text._ZN12_GLOBAL__N_121softmax_warp_backwardIdddLi1ELb0ELb1ELi32EEEvPT0_PKT_S5_iiiPKb,"axG",@progbits,_ZN12_GLOBAL__N_121softmax_warp_backwardIdddLi1ELb0ELb1ELi32EEEvPT0_PKT_S5_iiiPKb,comdat
	.globl	_ZN12_GLOBAL__N_121softmax_warp_backwardIdddLi1ELb0ELb1ELi32EEEvPT0_PKT_S5_iiiPKb ; -- Begin function _ZN12_GLOBAL__N_121softmax_warp_backwardIdddLi1ELb0ELb1ELi32EEEvPT0_PKT_S5_iiiPKb
	.p2align	8
	.type	_ZN12_GLOBAL__N_121softmax_warp_backwardIdddLi1ELb0ELb1ELi32EEEvPT0_PKT_S5_iiiPKb,@function
_ZN12_GLOBAL__N_121softmax_warp_backwardIdddLi1ELb0ELb1ELi32EEEvPT0_PKT_S5_iiiPKb: ; @_ZN12_GLOBAL__N_121softmax_warp_backwardIdddLi1ELb0ELb1ELi32EEEvPT0_PKT_S5_iiiPKb
; %bb.0:
	s_clause 0x1
	s_load_b32 s2, s[0:1], 0x3c
	s_load_b128 s[4:7], s[0:1], 0x18
	v_bfe_u32 v1, v0, 10, 10
	v_and_b32_e32 v4, 1, v0
	s_clause 0x1
	s_load_b128 s[8:11], s[0:1], 0x0
	s_load_b64 s[12:13], s[0:1], 0x10
	s_waitcnt lgkmcnt(0)
	s_lshr_b32 s2, s2, 16
	s_delay_alu instid0(SALU_CYCLE_1) | instskip(NEXT) | instid1(SALU_CYCLE_1)
	s_mul_i32 s15, s15, s2
	v_add_lshl_u32 v2, s15, v1, 1
	s_delay_alu instid0(VALU_DEP_1) | instskip(SKIP_1) | instid1(VALU_DEP_1)
	v_mul_lo_u32 v1, v2, s5
	v_sub_nc_u32_e32 v18, s4, v2
	v_cmp_lt_i32_e64 s2, 0, v18
	s_delay_alu instid0(VALU_DEP_3) | instskip(SKIP_3) | instid1(VALU_DEP_4)
	v_or_b32_e32 v10, v1, v4
	v_mov_b32_e32 v0, 0
	v_mov_b32_e32 v1, 0
	v_cmp_gt_i32_e32 vcc_lo, s6, v4
	v_ashrrev_i32_e32 v11, 31, v10
	s_delay_alu instid0(VALU_DEP_3) | instskip(SKIP_1) | instid1(VALU_DEP_3)
	v_dual_mov_b32 v3, v1 :: v_dual_mov_b32 v2, v0
	v_dual_mov_b32 v5, v1 :: v_dual_mov_b32 v4, v0
	v_lshlrev_b64 v[8:9], 3, v[10:11]
	s_and_b32 s4, vcc_lo, s2
	s_delay_alu instid0(VALU_DEP_1) | instskip(NEXT) | instid1(VALU_DEP_1)
	v_add_co_u32 v14, s3, s10, v8
	v_add_co_ci_u32_e64 v15, s3, s11, v9, s3
	v_add_co_u32 v12, s3, s12, v8
	s_delay_alu instid0(VALU_DEP_1)
	v_add_co_ci_u32_e64 v13, s3, s13, v9, s3
	s_and_saveexec_b32 s3, s4
	s_cbranch_execz .LBB771_2
; %bb.1:
	global_load_b64 v[2:3], v[14:15], off
	global_load_b64 v[4:5], v[12:13], off
.LBB771_2:
	s_or_b32 exec_lo, exec_lo, s3
	v_cmp_lt_i32_e64 s3, 1, v18
	v_dual_mov_b32 v7, v1 :: v_dual_mov_b32 v6, v0
	s_delay_alu instid0(VALU_DEP_2) | instskip(NEXT) | instid1(SALU_CYCLE_1)
	s_and_b32 s3, vcc_lo, s3
	s_and_saveexec_b32 s4, s3
	s_cbranch_execz .LBB771_4
; %bb.3:
	s_mov_b32 s7, 0
	s_delay_alu instid0(SALU_CYCLE_1) | instskip(NEXT) | instid1(SALU_CYCLE_1)
	s_lshl_b64 s[10:11], s[6:7], 3
	v_add_co_u32 v0, s3, v14, s10
	s_delay_alu instid0(VALU_DEP_1) | instskip(SKIP_1) | instid1(VALU_DEP_1)
	v_add_co_ci_u32_e64 v1, s3, s11, v15, s3
	v_add_co_u32 v6, s3, v12, s10
	v_add_co_ci_u32_e64 v7, s3, s11, v13, s3
	global_load_b64 v[0:1], v[0:1], off
	global_load_b64 v[6:7], v[6:7], off
.LBB771_4:
	s_or_b32 exec_lo, exec_lo, s4
	s_load_b64 s[0:1], s[0:1], 0x28
	v_mbcnt_lo_u32_b32 v16, -1, 0
	s_delay_alu instid0(VALU_DEP_1) | instskip(SKIP_1) | instid1(VALU_DEP_2)
	v_and_b32_e32 v17, 30, v16
	v_xor_b32_e32 v19, 1, v16
	v_add_nc_u32_e32 v17, 2, v17
	s_waitcnt lgkmcnt(0)
	v_add_co_u32 v10, s0, s0, v10
	s_delay_alu instid0(VALU_DEP_1) | instskip(SKIP_1) | instid1(VALU_DEP_2)
	v_add_co_ci_u32_e64 v11, s0, s1, v11, s0
	s_ashr_i32 s1, s6, 31
	v_add_co_u32 v12, s0, v10, s6
	s_delay_alu instid0(VALU_DEP_1)
	v_add_co_ci_u32_e64 v13, s0, s1, v11, s0
	v_cmp_lt_i32_e64 s0, v19, v17
	s_clause 0x1
	global_load_u8 v14, v[10:11], off
	global_load_u8 v15, v[12:13], off
	s_waitcnt vmcnt(3)
	v_add_f64 v[10:11], v[2:3], 0
	v_add_f64 v[12:13], v[0:1], 0
	v_cndmask_b32_e64 v16, v16, v19, s0
	s_delay_alu instid0(VALU_DEP_1) | instskip(SKIP_4) | instid1(VALU_DEP_2)
	v_lshlrev_b32_e32 v19, 2, v16
	s_waitcnt vmcnt(1)
	v_and_b32_e32 v14, 1, v14
	s_waitcnt vmcnt(0)
	v_and_b32_e32 v15, 1, v15
	v_cmp_eq_u32_e64 s1, 1, v14
	s_delay_alu instid0(VALU_DEP_2) | instskip(NEXT) | instid1(VALU_DEP_2)
	v_cmp_eq_u32_e64 s0, 1, v15
	v_cndmask_b32_e64 v15, v11, 0, s1
	v_cndmask_b32_e64 v14, v10, 0, s1
	s_delay_alu instid0(VALU_DEP_3)
	v_cndmask_b32_e64 v11, v13, 0, s0
	v_cndmask_b32_e64 v10, v12, 0, s0
	ds_bpermute_b32 v17, v19, v15
	ds_bpermute_b32 v16, v19, v14
	;; [unrolled: 1-line block ×4, first 2 shown]
	s_and_saveexec_b32 s3, s2
	s_cbranch_execz .LBB771_10
; %bb.5:
	v_add_co_u32 v8, s2, s8, v8
	s_delay_alu instid0(VALU_DEP_1)
	v_add_co_ci_u32_e64 v9, s2, s9, v9, s2
	s_and_saveexec_b32 s2, vcc_lo
	s_cbranch_execz .LBB771_7
; %bb.6:
	s_waitcnt lgkmcnt(2)
	v_add_f64 v[14:15], v[14:15], v[16:17]
	s_delay_alu instid0(VALU_DEP_1) | instskip(NEXT) | instid1(VALU_DEP_1)
	v_fma_f64 v[2:3], -v[14:15], v[4:5], v[2:3]
	v_cndmask_b32_e64 v3, v3, 0, s1
	s_delay_alu instid0(VALU_DEP_2)
	v_cndmask_b32_e64 v2, v2, 0, s1
	global_store_b64 v[8:9], v[2:3], off
.LBB771_7:
	s_or_b32 exec_lo, exec_lo, s2
	v_cmp_ne_u32_e64 s1, 1, v18
	s_delay_alu instid0(VALU_DEP_1)
	s_and_b32 exec_lo, exec_lo, s1
	s_cbranch_execz .LBB771_10
; %bb.8:
	s_and_b32 exec_lo, exec_lo, vcc_lo
	s_cbranch_execz .LBB771_10
; %bb.9:
	s_waitcnt lgkmcnt(0)
	v_add_f64 v[2:3], v[10:11], v[12:13]
	s_mov_b32 s7, 0
	s_delay_alu instid0(SALU_CYCLE_1) | instskip(NEXT) | instid1(VALU_DEP_1)
	s_lshl_b64 s[2:3], s[6:7], 3
	v_fma_f64 v[0:1], -v[2:3], v[6:7], v[0:1]
	v_add_co_u32 v2, vcc_lo, v8, s2
	v_add_co_ci_u32_e32 v3, vcc_lo, s3, v9, vcc_lo
	s_delay_alu instid0(VALU_DEP_3) | instskip(NEXT) | instid1(VALU_DEP_4)
	v_cndmask_b32_e64 v1, v1, 0, s0
	v_cndmask_b32_e64 v0, v0, 0, s0
	global_store_b64 v[2:3], v[0:1], off
.LBB771_10:
	s_nop 0
	s_sendmsg sendmsg(MSG_DEALLOC_VGPRS)
	s_endpgm
	.section	.rodata,"a",@progbits
	.p2align	6, 0x0
	.amdhsa_kernel _ZN12_GLOBAL__N_121softmax_warp_backwardIdddLi1ELb0ELb1ELi32EEEvPT0_PKT_S5_iiiPKb
		.amdhsa_group_segment_fixed_size 0
		.amdhsa_private_segment_fixed_size 0
		.amdhsa_kernarg_size 304
		.amdhsa_user_sgpr_count 15
		.amdhsa_user_sgpr_dispatch_ptr 0
		.amdhsa_user_sgpr_queue_ptr 0
		.amdhsa_user_sgpr_kernarg_segment_ptr 1
		.amdhsa_user_sgpr_dispatch_id 0
		.amdhsa_user_sgpr_private_segment_size 0
		.amdhsa_wavefront_size32 1
		.amdhsa_uses_dynamic_stack 0
		.amdhsa_enable_private_segment 0
		.amdhsa_system_sgpr_workgroup_id_x 1
		.amdhsa_system_sgpr_workgroup_id_y 0
		.amdhsa_system_sgpr_workgroup_id_z 0
		.amdhsa_system_sgpr_workgroup_info 0
		.amdhsa_system_vgpr_workitem_id 1
		.amdhsa_next_free_vgpr 20
		.amdhsa_next_free_sgpr 16
		.amdhsa_reserve_vcc 1
		.amdhsa_float_round_mode_32 0
		.amdhsa_float_round_mode_16_64 0
		.amdhsa_float_denorm_mode_32 3
		.amdhsa_float_denorm_mode_16_64 3
		.amdhsa_dx10_clamp 1
		.amdhsa_ieee_mode 1
		.amdhsa_fp16_overflow 0
		.amdhsa_workgroup_processor_mode 1
		.amdhsa_memory_ordered 1
		.amdhsa_forward_progress 0
		.amdhsa_shared_vgpr_count 0
		.amdhsa_exception_fp_ieee_invalid_op 0
		.amdhsa_exception_fp_denorm_src 0
		.amdhsa_exception_fp_ieee_div_zero 0
		.amdhsa_exception_fp_ieee_overflow 0
		.amdhsa_exception_fp_ieee_underflow 0
		.amdhsa_exception_fp_ieee_inexact 0
		.amdhsa_exception_int_div_zero 0
	.end_amdhsa_kernel
	.section	.text._ZN12_GLOBAL__N_121softmax_warp_backwardIdddLi1ELb0ELb1ELi32EEEvPT0_PKT_S5_iiiPKb,"axG",@progbits,_ZN12_GLOBAL__N_121softmax_warp_backwardIdddLi1ELb0ELb1ELi32EEEvPT0_PKT_S5_iiiPKb,comdat
.Lfunc_end771:
	.size	_ZN12_GLOBAL__N_121softmax_warp_backwardIdddLi1ELb0ELb1ELi32EEEvPT0_PKT_S5_iiiPKb, .Lfunc_end771-_ZN12_GLOBAL__N_121softmax_warp_backwardIdddLi1ELb0ELb1ELi32EEEvPT0_PKT_S5_iiiPKb
                                        ; -- End function
	.section	.AMDGPU.csdata,"",@progbits
; Kernel info:
; codeLenInByte = 776
; NumSgprs: 18
; NumVgprs: 20
; ScratchSize: 0
; MemoryBound: 0
; FloatMode: 240
; IeeeMode: 1
; LDSByteSize: 0 bytes/workgroup (compile time only)
; SGPRBlocks: 2
; VGPRBlocks: 2
; NumSGPRsForWavesPerEU: 18
; NumVGPRsForWavesPerEU: 20
; Occupancy: 16
; WaveLimiterHint : 0
; COMPUTE_PGM_RSRC2:SCRATCH_EN: 0
; COMPUTE_PGM_RSRC2:USER_SGPR: 15
; COMPUTE_PGM_RSRC2:TRAP_HANDLER: 0
; COMPUTE_PGM_RSRC2:TGID_X_EN: 1
; COMPUTE_PGM_RSRC2:TGID_Y_EN: 0
; COMPUTE_PGM_RSRC2:TGID_Z_EN: 0
; COMPUTE_PGM_RSRC2:TIDIG_COMP_CNT: 1
	.section	.text._ZN12_GLOBAL__N_121softmax_warp_backwardIdddLi2ELb0ELb1ELi64EEEvPT0_PKT_S5_iiiPKb,"axG",@progbits,_ZN12_GLOBAL__N_121softmax_warp_backwardIdddLi2ELb0ELb1ELi64EEEvPT0_PKT_S5_iiiPKb,comdat
	.globl	_ZN12_GLOBAL__N_121softmax_warp_backwardIdddLi2ELb0ELb1ELi64EEEvPT0_PKT_S5_iiiPKb ; -- Begin function _ZN12_GLOBAL__N_121softmax_warp_backwardIdddLi2ELb0ELb1ELi64EEEvPT0_PKT_S5_iiiPKb
	.p2align	8
	.type	_ZN12_GLOBAL__N_121softmax_warp_backwardIdddLi2ELb0ELb1ELi64EEEvPT0_PKT_S5_iiiPKb,@function
_ZN12_GLOBAL__N_121softmax_warp_backwardIdddLi2ELb0ELb1ELi64EEEvPT0_PKT_S5_iiiPKb: ; @_ZN12_GLOBAL__N_121softmax_warp_backwardIdddLi2ELb0ELb1ELi64EEEvPT0_PKT_S5_iiiPKb
; %bb.0:
	s_clause 0x1
	s_load_b32 s2, s[0:1], 0x3c
	s_load_b128 s[4:7], s[0:1], 0x18
	v_bfe_u32 v1, v0, 10, 10
	v_and_b32_e32 v4, 3, v0
	s_clause 0x1
	s_load_b128 s[8:11], s[0:1], 0x0
	s_load_b64 s[12:13], s[0:1], 0x10
	s_waitcnt lgkmcnt(0)
	s_lshr_b32 s2, s2, 16
	s_delay_alu instid0(SALU_CYCLE_1) | instskip(NEXT) | instid1(SALU_CYCLE_1)
	s_mul_i32 s15, s15, s2
	v_add_lshl_u32 v2, s15, v1, 1
	v_mov_b32_e32 v0, 0
	v_mov_b32_e32 v1, 0
	v_cmp_gt_i32_e32 vcc_lo, s6, v4
	s_delay_alu instid0(VALU_DEP_4) | instskip(SKIP_1) | instid1(VALU_DEP_4)
	v_mad_u64_u32 v[10:11], null, v2, s5, v[4:5]
	v_sub_nc_u32_e32 v18, s4, v2
	v_dual_mov_b32 v3, v1 :: v_dual_mov_b32 v2, v0
	v_dual_mov_b32 v5, v1 :: v_dual_mov_b32 v4, v0
	s_delay_alu instid0(VALU_DEP_3) | instskip(SKIP_1) | instid1(VALU_DEP_2)
	v_cmp_lt_i32_e64 s2, 0, v18
	v_ashrrev_i32_e32 v11, 31, v10
	s_and_b32 s4, vcc_lo, s2
	s_delay_alu instid0(VALU_DEP_1) | instskip(NEXT) | instid1(VALU_DEP_1)
	v_lshlrev_b64 v[6:7], 3, v[10:11]
	v_add_co_u32 v14, s3, s10, v6
	s_delay_alu instid0(VALU_DEP_1) | instskip(SKIP_1) | instid1(VALU_DEP_1)
	v_add_co_ci_u32_e64 v15, s3, s11, v7, s3
	v_add_co_u32 v12, s3, s12, v6
	v_add_co_ci_u32_e64 v13, s3, s13, v7, s3
	s_and_saveexec_b32 s3, s4
	s_cbranch_execz .LBB772_2
; %bb.1:
	global_load_b64 v[2:3], v[14:15], off
	global_load_b64 v[4:5], v[12:13], off
.LBB772_2:
	s_or_b32 exec_lo, exec_lo, s3
	v_cmp_lt_i32_e64 s3, 1, v18
	v_dual_mov_b32 v9, v1 :: v_dual_mov_b32 v8, v0
	s_delay_alu instid0(VALU_DEP_2) | instskip(NEXT) | instid1(SALU_CYCLE_1)
	s_and_b32 s3, vcc_lo, s3
	s_and_saveexec_b32 s4, s3
	s_cbranch_execz .LBB772_4
; %bb.3:
	s_mov_b32 s7, 0
	s_delay_alu instid0(SALU_CYCLE_1) | instskip(NEXT) | instid1(SALU_CYCLE_1)
	s_lshl_b64 s[10:11], s[6:7], 3
	v_add_co_u32 v0, s3, v14, s10
	s_delay_alu instid0(VALU_DEP_1) | instskip(SKIP_1) | instid1(VALU_DEP_1)
	v_add_co_ci_u32_e64 v1, s3, s11, v15, s3
	v_add_co_u32 v8, s3, v12, s10
	v_add_co_ci_u32_e64 v9, s3, s11, v13, s3
	global_load_b64 v[0:1], v[0:1], off
	global_load_b64 v[8:9], v[8:9], off
.LBB772_4:
	s_or_b32 exec_lo, exec_lo, s4
	s_load_b64 s[0:1], s[0:1], 0x28
	v_mbcnt_lo_u32_b32 v19, -1, 0
	s_delay_alu instid0(VALU_DEP_1) | instskip(SKIP_1) | instid1(VALU_DEP_2)
	v_and_b32_e32 v16, 28, v19
	v_xor_b32_e32 v17, 2, v19
	v_add_nc_u32_e32 v20, 4, v16
	s_waitcnt lgkmcnt(0)
	v_add_co_u32 v10, s0, s0, v10
	s_delay_alu instid0(VALU_DEP_1) | instskip(SKIP_1) | instid1(VALU_DEP_2)
	v_add_co_ci_u32_e64 v11, s0, s1, v11, s0
	s_ashr_i32 s1, s6, 31
	v_add_co_u32 v12, s0, v10, s6
	s_delay_alu instid0(VALU_DEP_1)
	v_add_co_ci_u32_e64 v13, s0, s1, v11, s0
	v_cmp_lt_i32_e64 s0, v17, v20
	s_clause 0x1
	global_load_u8 v14, v[10:11], off
	global_load_u8 v15, v[12:13], off
	s_waitcnt vmcnt(3)
	v_add_f64 v[10:11], v[2:3], 0
	v_add_f64 v[12:13], v[0:1], 0
	v_cndmask_b32_e64 v16, v19, v17, s0
	s_delay_alu instid0(VALU_DEP_1) | instskip(SKIP_4) | instid1(VALU_DEP_2)
	v_lshlrev_b32_e32 v16, 2, v16
	s_waitcnt vmcnt(1)
	v_and_b32_e32 v14, 1, v14
	s_waitcnt vmcnt(0)
	v_and_b32_e32 v15, 1, v15
	v_cmp_eq_u32_e64 s1, 1, v14
	s_delay_alu instid0(VALU_DEP_2) | instskip(NEXT) | instid1(VALU_DEP_2)
	v_cmp_eq_u32_e64 s0, 1, v15
	v_cndmask_b32_e64 v11, v11, 0, s1
	v_cndmask_b32_e64 v10, v10, 0, s1
	s_delay_alu instid0(VALU_DEP_3)
	v_cndmask_b32_e64 v13, v13, 0, s0
	v_cndmask_b32_e64 v12, v12, 0, s0
	ds_bpermute_b32 v15, v16, v11
	ds_bpermute_b32 v14, v16, v10
	;; [unrolled: 1-line block ×4, first 2 shown]
	s_waitcnt lgkmcnt(2)
	v_add_f64 v[14:15], v[10:11], v[14:15]
	s_waitcnt lgkmcnt(0)
	v_add_f64 v[10:11], v[12:13], v[16:17]
	v_xor_b32_e32 v12, 1, v19
	s_delay_alu instid0(VALU_DEP_1) | instskip(NEXT) | instid1(VALU_DEP_1)
	v_cmp_lt_i32_e64 s3, v12, v20
	v_cndmask_b32_e64 v12, v19, v12, s3
	s_delay_alu instid0(VALU_DEP_1)
	v_lshlrev_b32_e32 v13, 2, v12
	ds_bpermute_b32 v16, v13, v14
	ds_bpermute_b32 v17, v13, v15
	;; [unrolled: 1-line block ×4, first 2 shown]
	s_and_saveexec_b32 s3, s2
	s_cbranch_execz .LBB772_10
; %bb.5:
	v_add_co_u32 v6, s2, s8, v6
	s_delay_alu instid0(VALU_DEP_1)
	v_add_co_ci_u32_e64 v7, s2, s9, v7, s2
	s_and_saveexec_b32 s2, vcc_lo
	s_cbranch_execz .LBB772_7
; %bb.6:
	s_waitcnt lgkmcnt(2)
	v_add_f64 v[14:15], v[14:15], v[16:17]
	s_delay_alu instid0(VALU_DEP_1) | instskip(NEXT) | instid1(VALU_DEP_1)
	v_fma_f64 v[2:3], -v[14:15], v[4:5], v[2:3]
	v_cndmask_b32_e64 v3, v3, 0, s1
	s_delay_alu instid0(VALU_DEP_2)
	v_cndmask_b32_e64 v2, v2, 0, s1
	global_store_b64 v[6:7], v[2:3], off
.LBB772_7:
	s_or_b32 exec_lo, exec_lo, s2
	v_cmp_ne_u32_e64 s1, 1, v18
	s_delay_alu instid0(VALU_DEP_1)
	s_and_b32 exec_lo, exec_lo, s1
	s_cbranch_execz .LBB772_10
; %bb.8:
	s_and_b32 exec_lo, exec_lo, vcc_lo
	s_cbranch_execz .LBB772_10
; %bb.9:
	s_waitcnt lgkmcnt(0)
	v_add_f64 v[2:3], v[10:11], v[12:13]
	s_mov_b32 s7, 0
	s_delay_alu instid0(SALU_CYCLE_1) | instskip(NEXT) | instid1(VALU_DEP_1)
	s_lshl_b64 s[2:3], s[6:7], 3
	v_fma_f64 v[0:1], -v[2:3], v[8:9], v[0:1]
	v_add_co_u32 v2, vcc_lo, v6, s2
	v_add_co_ci_u32_e32 v3, vcc_lo, s3, v7, vcc_lo
	s_delay_alu instid0(VALU_DEP_3) | instskip(NEXT) | instid1(VALU_DEP_4)
	v_cndmask_b32_e64 v1, v1, 0, s0
	v_cndmask_b32_e64 v0, v0, 0, s0
	global_store_b64 v[2:3], v[0:1], off
.LBB772_10:
	s_nop 0
	s_sendmsg sendmsg(MSG_DEALLOC_VGPRS)
	s_endpgm
	.section	.rodata,"a",@progbits
	.p2align	6, 0x0
	.amdhsa_kernel _ZN12_GLOBAL__N_121softmax_warp_backwardIdddLi2ELb0ELb1ELi64EEEvPT0_PKT_S5_iiiPKb
		.amdhsa_group_segment_fixed_size 0
		.amdhsa_private_segment_fixed_size 0
		.amdhsa_kernarg_size 304
		.amdhsa_user_sgpr_count 15
		.amdhsa_user_sgpr_dispatch_ptr 0
		.amdhsa_user_sgpr_queue_ptr 0
		.amdhsa_user_sgpr_kernarg_segment_ptr 1
		.amdhsa_user_sgpr_dispatch_id 0
		.amdhsa_user_sgpr_private_segment_size 0
		.amdhsa_wavefront_size32 1
		.amdhsa_uses_dynamic_stack 0
		.amdhsa_enable_private_segment 0
		.amdhsa_system_sgpr_workgroup_id_x 1
		.amdhsa_system_sgpr_workgroup_id_y 0
		.amdhsa_system_sgpr_workgroup_id_z 0
		.amdhsa_system_sgpr_workgroup_info 0
		.amdhsa_system_vgpr_workitem_id 1
		.amdhsa_next_free_vgpr 21
		.amdhsa_next_free_sgpr 16
		.amdhsa_reserve_vcc 1
		.amdhsa_float_round_mode_32 0
		.amdhsa_float_round_mode_16_64 0
		.amdhsa_float_denorm_mode_32 3
		.amdhsa_float_denorm_mode_16_64 3
		.amdhsa_dx10_clamp 1
		.amdhsa_ieee_mode 1
		.amdhsa_fp16_overflow 0
		.amdhsa_workgroup_processor_mode 1
		.amdhsa_memory_ordered 1
		.amdhsa_forward_progress 0
		.amdhsa_shared_vgpr_count 0
		.amdhsa_exception_fp_ieee_invalid_op 0
		.amdhsa_exception_fp_denorm_src 0
		.amdhsa_exception_fp_ieee_div_zero 0
		.amdhsa_exception_fp_ieee_overflow 0
		.amdhsa_exception_fp_ieee_underflow 0
		.amdhsa_exception_fp_ieee_inexact 0
		.amdhsa_exception_int_div_zero 0
	.end_amdhsa_kernel
	.section	.text._ZN12_GLOBAL__N_121softmax_warp_backwardIdddLi2ELb0ELb1ELi64EEEvPT0_PKT_S5_iiiPKb,"axG",@progbits,_ZN12_GLOBAL__N_121softmax_warp_backwardIdddLi2ELb0ELb1ELi64EEEvPT0_PKT_S5_iiiPKb,comdat
.Lfunc_end772:
	.size	_ZN12_GLOBAL__N_121softmax_warp_backwardIdddLi2ELb0ELb1ELi64EEEvPT0_PKT_S5_iiiPKb, .Lfunc_end772-_ZN12_GLOBAL__N_121softmax_warp_backwardIdddLi2ELb0ELb1ELi64EEEvPT0_PKT_S5_iiiPKb
                                        ; -- End function
	.section	.AMDGPU.csdata,"",@progbits
; Kernel info:
; codeLenInByte = 856
; NumSgprs: 18
; NumVgprs: 21
; ScratchSize: 0
; MemoryBound: 0
; FloatMode: 240
; IeeeMode: 1
; LDSByteSize: 0 bytes/workgroup (compile time only)
; SGPRBlocks: 2
; VGPRBlocks: 2
; NumSGPRsForWavesPerEU: 18
; NumVGPRsForWavesPerEU: 21
; Occupancy: 16
; WaveLimiterHint : 0
; COMPUTE_PGM_RSRC2:SCRATCH_EN: 0
; COMPUTE_PGM_RSRC2:USER_SGPR: 15
; COMPUTE_PGM_RSRC2:TRAP_HANDLER: 0
; COMPUTE_PGM_RSRC2:TGID_X_EN: 1
; COMPUTE_PGM_RSRC2:TGID_Y_EN: 0
; COMPUTE_PGM_RSRC2:TGID_Z_EN: 0
; COMPUTE_PGM_RSRC2:TIDIG_COMP_CNT: 1
	.section	.text._ZN12_GLOBAL__N_121softmax_warp_backwardIdddLi2ELb0ELb1ELi32EEEvPT0_PKT_S5_iiiPKb,"axG",@progbits,_ZN12_GLOBAL__N_121softmax_warp_backwardIdddLi2ELb0ELb1ELi32EEEvPT0_PKT_S5_iiiPKb,comdat
	.globl	_ZN12_GLOBAL__N_121softmax_warp_backwardIdddLi2ELb0ELb1ELi32EEEvPT0_PKT_S5_iiiPKb ; -- Begin function _ZN12_GLOBAL__N_121softmax_warp_backwardIdddLi2ELb0ELb1ELi32EEEvPT0_PKT_S5_iiiPKb
	.p2align	8
	.type	_ZN12_GLOBAL__N_121softmax_warp_backwardIdddLi2ELb0ELb1ELi32EEEvPT0_PKT_S5_iiiPKb,@function
_ZN12_GLOBAL__N_121softmax_warp_backwardIdddLi2ELb0ELb1ELi32EEEvPT0_PKT_S5_iiiPKb: ; @_ZN12_GLOBAL__N_121softmax_warp_backwardIdddLi2ELb0ELb1ELi32EEEvPT0_PKT_S5_iiiPKb
; %bb.0:
	s_clause 0x1
	s_load_b32 s2, s[0:1], 0x3c
	s_load_b128 s[4:7], s[0:1], 0x18
	v_bfe_u32 v1, v0, 10, 10
	v_and_b32_e32 v4, 3, v0
	s_clause 0x1
	s_load_b128 s[8:11], s[0:1], 0x0
	s_load_b64 s[12:13], s[0:1], 0x10
	s_waitcnt lgkmcnt(0)
	s_lshr_b32 s2, s2, 16
	s_delay_alu instid0(SALU_CYCLE_1) | instskip(NEXT) | instid1(SALU_CYCLE_1)
	s_mul_i32 s15, s15, s2
	v_add_lshl_u32 v2, s15, v1, 1
	v_mov_b32_e32 v0, 0
	v_mov_b32_e32 v1, 0
	v_cmp_gt_i32_e32 vcc_lo, s6, v4
	s_delay_alu instid0(VALU_DEP_4) | instskip(SKIP_1) | instid1(VALU_DEP_4)
	v_mad_u64_u32 v[10:11], null, v2, s5, v[4:5]
	v_sub_nc_u32_e32 v18, s4, v2
	v_dual_mov_b32 v3, v1 :: v_dual_mov_b32 v2, v0
	v_dual_mov_b32 v5, v1 :: v_dual_mov_b32 v4, v0
	s_delay_alu instid0(VALU_DEP_3) | instskip(SKIP_1) | instid1(VALU_DEP_2)
	v_cmp_lt_i32_e64 s2, 0, v18
	v_ashrrev_i32_e32 v11, 31, v10
	s_and_b32 s4, vcc_lo, s2
	s_delay_alu instid0(VALU_DEP_1) | instskip(NEXT) | instid1(VALU_DEP_1)
	v_lshlrev_b64 v[6:7], 3, v[10:11]
	v_add_co_u32 v14, s3, s10, v6
	s_delay_alu instid0(VALU_DEP_1) | instskip(SKIP_1) | instid1(VALU_DEP_1)
	v_add_co_ci_u32_e64 v15, s3, s11, v7, s3
	v_add_co_u32 v12, s3, s12, v6
	v_add_co_ci_u32_e64 v13, s3, s13, v7, s3
	s_and_saveexec_b32 s3, s4
	s_cbranch_execz .LBB773_2
; %bb.1:
	global_load_b64 v[2:3], v[14:15], off
	global_load_b64 v[4:5], v[12:13], off
.LBB773_2:
	s_or_b32 exec_lo, exec_lo, s3
	v_cmp_lt_i32_e64 s3, 1, v18
	v_dual_mov_b32 v9, v1 :: v_dual_mov_b32 v8, v0
	s_delay_alu instid0(VALU_DEP_2) | instskip(NEXT) | instid1(SALU_CYCLE_1)
	s_and_b32 s3, vcc_lo, s3
	s_and_saveexec_b32 s4, s3
	s_cbranch_execz .LBB773_4
; %bb.3:
	s_mov_b32 s7, 0
	s_delay_alu instid0(SALU_CYCLE_1) | instskip(NEXT) | instid1(SALU_CYCLE_1)
	s_lshl_b64 s[10:11], s[6:7], 3
	v_add_co_u32 v0, s3, v14, s10
	s_delay_alu instid0(VALU_DEP_1) | instskip(SKIP_1) | instid1(VALU_DEP_1)
	v_add_co_ci_u32_e64 v1, s3, s11, v15, s3
	v_add_co_u32 v8, s3, v12, s10
	v_add_co_ci_u32_e64 v9, s3, s11, v13, s3
	global_load_b64 v[0:1], v[0:1], off
	global_load_b64 v[8:9], v[8:9], off
.LBB773_4:
	s_or_b32 exec_lo, exec_lo, s4
	s_load_b64 s[0:1], s[0:1], 0x28
	v_mbcnt_lo_u32_b32 v19, -1, 0
	s_delay_alu instid0(VALU_DEP_1) | instskip(SKIP_1) | instid1(VALU_DEP_2)
	v_and_b32_e32 v16, 28, v19
	v_xor_b32_e32 v17, 2, v19
	v_add_nc_u32_e32 v20, 4, v16
	s_waitcnt lgkmcnt(0)
	v_add_co_u32 v10, s0, s0, v10
	s_delay_alu instid0(VALU_DEP_1) | instskip(SKIP_1) | instid1(VALU_DEP_2)
	v_add_co_ci_u32_e64 v11, s0, s1, v11, s0
	s_ashr_i32 s1, s6, 31
	v_add_co_u32 v12, s0, v10, s6
	s_delay_alu instid0(VALU_DEP_1)
	v_add_co_ci_u32_e64 v13, s0, s1, v11, s0
	v_cmp_lt_i32_e64 s0, v17, v20
	s_clause 0x1
	global_load_u8 v14, v[10:11], off
	global_load_u8 v15, v[12:13], off
	s_waitcnt vmcnt(3)
	v_add_f64 v[10:11], v[2:3], 0
	v_add_f64 v[12:13], v[0:1], 0
	v_cndmask_b32_e64 v16, v19, v17, s0
	s_delay_alu instid0(VALU_DEP_1) | instskip(SKIP_4) | instid1(VALU_DEP_2)
	v_lshlrev_b32_e32 v16, 2, v16
	s_waitcnt vmcnt(1)
	v_and_b32_e32 v14, 1, v14
	s_waitcnt vmcnt(0)
	v_and_b32_e32 v15, 1, v15
	v_cmp_eq_u32_e64 s1, 1, v14
	s_delay_alu instid0(VALU_DEP_2) | instskip(NEXT) | instid1(VALU_DEP_2)
	v_cmp_eq_u32_e64 s0, 1, v15
	v_cndmask_b32_e64 v11, v11, 0, s1
	v_cndmask_b32_e64 v10, v10, 0, s1
	s_delay_alu instid0(VALU_DEP_3)
	v_cndmask_b32_e64 v13, v13, 0, s0
	v_cndmask_b32_e64 v12, v12, 0, s0
	ds_bpermute_b32 v15, v16, v11
	ds_bpermute_b32 v14, v16, v10
	;; [unrolled: 1-line block ×4, first 2 shown]
	s_waitcnt lgkmcnt(2)
	v_add_f64 v[14:15], v[10:11], v[14:15]
	s_waitcnt lgkmcnt(0)
	v_add_f64 v[10:11], v[12:13], v[16:17]
	v_xor_b32_e32 v12, 1, v19
	s_delay_alu instid0(VALU_DEP_1) | instskip(NEXT) | instid1(VALU_DEP_1)
	v_cmp_lt_i32_e64 s3, v12, v20
	v_cndmask_b32_e64 v12, v19, v12, s3
	s_delay_alu instid0(VALU_DEP_1)
	v_lshlrev_b32_e32 v13, 2, v12
	ds_bpermute_b32 v16, v13, v14
	ds_bpermute_b32 v17, v13, v15
	;; [unrolled: 1-line block ×4, first 2 shown]
	s_and_saveexec_b32 s3, s2
	s_cbranch_execz .LBB773_10
; %bb.5:
	v_add_co_u32 v6, s2, s8, v6
	s_delay_alu instid0(VALU_DEP_1)
	v_add_co_ci_u32_e64 v7, s2, s9, v7, s2
	s_and_saveexec_b32 s2, vcc_lo
	s_cbranch_execz .LBB773_7
; %bb.6:
	s_waitcnt lgkmcnt(2)
	v_add_f64 v[14:15], v[14:15], v[16:17]
	s_delay_alu instid0(VALU_DEP_1) | instskip(NEXT) | instid1(VALU_DEP_1)
	v_fma_f64 v[2:3], -v[14:15], v[4:5], v[2:3]
	v_cndmask_b32_e64 v3, v3, 0, s1
	s_delay_alu instid0(VALU_DEP_2)
	v_cndmask_b32_e64 v2, v2, 0, s1
	global_store_b64 v[6:7], v[2:3], off
.LBB773_7:
	s_or_b32 exec_lo, exec_lo, s2
	v_cmp_ne_u32_e64 s1, 1, v18
	s_delay_alu instid0(VALU_DEP_1)
	s_and_b32 exec_lo, exec_lo, s1
	s_cbranch_execz .LBB773_10
; %bb.8:
	s_and_b32 exec_lo, exec_lo, vcc_lo
	s_cbranch_execz .LBB773_10
; %bb.9:
	s_waitcnt lgkmcnt(0)
	v_add_f64 v[2:3], v[10:11], v[12:13]
	s_mov_b32 s7, 0
	s_delay_alu instid0(SALU_CYCLE_1) | instskip(NEXT) | instid1(VALU_DEP_1)
	s_lshl_b64 s[2:3], s[6:7], 3
	v_fma_f64 v[0:1], -v[2:3], v[8:9], v[0:1]
	v_add_co_u32 v2, vcc_lo, v6, s2
	v_add_co_ci_u32_e32 v3, vcc_lo, s3, v7, vcc_lo
	s_delay_alu instid0(VALU_DEP_3) | instskip(NEXT) | instid1(VALU_DEP_4)
	v_cndmask_b32_e64 v1, v1, 0, s0
	v_cndmask_b32_e64 v0, v0, 0, s0
	global_store_b64 v[2:3], v[0:1], off
.LBB773_10:
	s_nop 0
	s_sendmsg sendmsg(MSG_DEALLOC_VGPRS)
	s_endpgm
	.section	.rodata,"a",@progbits
	.p2align	6, 0x0
	.amdhsa_kernel _ZN12_GLOBAL__N_121softmax_warp_backwardIdddLi2ELb0ELb1ELi32EEEvPT0_PKT_S5_iiiPKb
		.amdhsa_group_segment_fixed_size 0
		.amdhsa_private_segment_fixed_size 0
		.amdhsa_kernarg_size 304
		.amdhsa_user_sgpr_count 15
		.amdhsa_user_sgpr_dispatch_ptr 0
		.amdhsa_user_sgpr_queue_ptr 0
		.amdhsa_user_sgpr_kernarg_segment_ptr 1
		.amdhsa_user_sgpr_dispatch_id 0
		.amdhsa_user_sgpr_private_segment_size 0
		.amdhsa_wavefront_size32 1
		.amdhsa_uses_dynamic_stack 0
		.amdhsa_enable_private_segment 0
		.amdhsa_system_sgpr_workgroup_id_x 1
		.amdhsa_system_sgpr_workgroup_id_y 0
		.amdhsa_system_sgpr_workgroup_id_z 0
		.amdhsa_system_sgpr_workgroup_info 0
		.amdhsa_system_vgpr_workitem_id 1
		.amdhsa_next_free_vgpr 21
		.amdhsa_next_free_sgpr 16
		.amdhsa_reserve_vcc 1
		.amdhsa_float_round_mode_32 0
		.amdhsa_float_round_mode_16_64 0
		.amdhsa_float_denorm_mode_32 3
		.amdhsa_float_denorm_mode_16_64 3
		.amdhsa_dx10_clamp 1
		.amdhsa_ieee_mode 1
		.amdhsa_fp16_overflow 0
		.amdhsa_workgroup_processor_mode 1
		.amdhsa_memory_ordered 1
		.amdhsa_forward_progress 0
		.amdhsa_shared_vgpr_count 0
		.amdhsa_exception_fp_ieee_invalid_op 0
		.amdhsa_exception_fp_denorm_src 0
		.amdhsa_exception_fp_ieee_div_zero 0
		.amdhsa_exception_fp_ieee_overflow 0
		.amdhsa_exception_fp_ieee_underflow 0
		.amdhsa_exception_fp_ieee_inexact 0
		.amdhsa_exception_int_div_zero 0
	.end_amdhsa_kernel
	.section	.text._ZN12_GLOBAL__N_121softmax_warp_backwardIdddLi2ELb0ELb1ELi32EEEvPT0_PKT_S5_iiiPKb,"axG",@progbits,_ZN12_GLOBAL__N_121softmax_warp_backwardIdddLi2ELb0ELb1ELi32EEEvPT0_PKT_S5_iiiPKb,comdat
.Lfunc_end773:
	.size	_ZN12_GLOBAL__N_121softmax_warp_backwardIdddLi2ELb0ELb1ELi32EEEvPT0_PKT_S5_iiiPKb, .Lfunc_end773-_ZN12_GLOBAL__N_121softmax_warp_backwardIdddLi2ELb0ELb1ELi32EEEvPT0_PKT_S5_iiiPKb
                                        ; -- End function
	.section	.AMDGPU.csdata,"",@progbits
; Kernel info:
; codeLenInByte = 856
; NumSgprs: 18
; NumVgprs: 21
; ScratchSize: 0
; MemoryBound: 0
; FloatMode: 240
; IeeeMode: 1
; LDSByteSize: 0 bytes/workgroup (compile time only)
; SGPRBlocks: 2
; VGPRBlocks: 2
; NumSGPRsForWavesPerEU: 18
; NumVGPRsForWavesPerEU: 21
; Occupancy: 16
; WaveLimiterHint : 0
; COMPUTE_PGM_RSRC2:SCRATCH_EN: 0
; COMPUTE_PGM_RSRC2:USER_SGPR: 15
; COMPUTE_PGM_RSRC2:TRAP_HANDLER: 0
; COMPUTE_PGM_RSRC2:TGID_X_EN: 1
; COMPUTE_PGM_RSRC2:TGID_Y_EN: 0
; COMPUTE_PGM_RSRC2:TGID_Z_EN: 0
; COMPUTE_PGM_RSRC2:TIDIG_COMP_CNT: 1
	.section	.text._ZN12_GLOBAL__N_121softmax_warp_backwardIdddLi3ELb0ELb1ELi64EEEvPT0_PKT_S5_iiiPKb,"axG",@progbits,_ZN12_GLOBAL__N_121softmax_warp_backwardIdddLi3ELb0ELb1ELi64EEEvPT0_PKT_S5_iiiPKb,comdat
	.globl	_ZN12_GLOBAL__N_121softmax_warp_backwardIdddLi3ELb0ELb1ELi64EEEvPT0_PKT_S5_iiiPKb ; -- Begin function _ZN12_GLOBAL__N_121softmax_warp_backwardIdddLi3ELb0ELb1ELi64EEEvPT0_PKT_S5_iiiPKb
	.p2align	8
	.type	_ZN12_GLOBAL__N_121softmax_warp_backwardIdddLi3ELb0ELb1ELi64EEEvPT0_PKT_S5_iiiPKb,@function
_ZN12_GLOBAL__N_121softmax_warp_backwardIdddLi3ELb0ELb1ELi64EEEvPT0_PKT_S5_iiiPKb: ; @_ZN12_GLOBAL__N_121softmax_warp_backwardIdddLi3ELb0ELb1ELi64EEEvPT0_PKT_S5_iiiPKb
; %bb.0:
	s_clause 0x1
	s_load_b32 s2, s[0:1], 0x3c
	s_load_b128 s[4:7], s[0:1], 0x18
	v_bfe_u32 v1, v0, 10, 10
	v_and_b32_e32 v4, 7, v0
	s_clause 0x1
	s_load_b128 s[8:11], s[0:1], 0x0
	s_load_b64 s[12:13], s[0:1], 0x10
	s_waitcnt lgkmcnt(0)
	s_lshr_b32 s2, s2, 16
	s_delay_alu instid0(SALU_CYCLE_1) | instskip(NEXT) | instid1(SALU_CYCLE_1)
	s_mul_i32 s15, s15, s2
	v_add_lshl_u32 v2, s15, v1, 1
	v_mov_b32_e32 v0, 0
	v_mov_b32_e32 v1, 0
	v_cmp_gt_i32_e32 vcc_lo, s6, v4
	s_delay_alu instid0(VALU_DEP_4) | instskip(SKIP_1) | instid1(VALU_DEP_4)
	v_mad_u64_u32 v[10:11], null, v2, s5, v[4:5]
	v_sub_nc_u32_e32 v18, s4, v2
	v_dual_mov_b32 v3, v1 :: v_dual_mov_b32 v2, v0
	v_dual_mov_b32 v5, v1 :: v_dual_mov_b32 v4, v0
	s_delay_alu instid0(VALU_DEP_3) | instskip(SKIP_1) | instid1(VALU_DEP_2)
	v_cmp_lt_i32_e64 s2, 0, v18
	v_ashrrev_i32_e32 v11, 31, v10
	s_and_b32 s4, vcc_lo, s2
	s_delay_alu instid0(VALU_DEP_1) | instskip(NEXT) | instid1(VALU_DEP_1)
	v_lshlrev_b64 v[6:7], 3, v[10:11]
	v_add_co_u32 v14, s3, s10, v6
	s_delay_alu instid0(VALU_DEP_1) | instskip(SKIP_1) | instid1(VALU_DEP_1)
	v_add_co_ci_u32_e64 v15, s3, s11, v7, s3
	v_add_co_u32 v12, s3, s12, v6
	v_add_co_ci_u32_e64 v13, s3, s13, v7, s3
	s_and_saveexec_b32 s3, s4
	s_cbranch_execz .LBB774_2
; %bb.1:
	global_load_b64 v[2:3], v[14:15], off
	global_load_b64 v[4:5], v[12:13], off
.LBB774_2:
	s_or_b32 exec_lo, exec_lo, s3
	v_cmp_lt_i32_e64 s3, 1, v18
	v_dual_mov_b32 v9, v1 :: v_dual_mov_b32 v8, v0
	s_delay_alu instid0(VALU_DEP_2) | instskip(NEXT) | instid1(SALU_CYCLE_1)
	s_and_b32 s3, vcc_lo, s3
	s_and_saveexec_b32 s4, s3
	s_cbranch_execz .LBB774_4
; %bb.3:
	s_mov_b32 s7, 0
	s_delay_alu instid0(SALU_CYCLE_1) | instskip(NEXT) | instid1(SALU_CYCLE_1)
	s_lshl_b64 s[10:11], s[6:7], 3
	v_add_co_u32 v0, s3, v14, s10
	s_delay_alu instid0(VALU_DEP_1) | instskip(SKIP_1) | instid1(VALU_DEP_1)
	v_add_co_ci_u32_e64 v1, s3, s11, v15, s3
	v_add_co_u32 v8, s3, v12, s10
	v_add_co_ci_u32_e64 v9, s3, s11, v13, s3
	global_load_b64 v[0:1], v[0:1], off
	global_load_b64 v[8:9], v[8:9], off
.LBB774_4:
	s_or_b32 exec_lo, exec_lo, s4
	s_load_b64 s[0:1], s[0:1], 0x28
	v_mbcnt_lo_u32_b32 v19, -1, 0
	s_delay_alu instid0(VALU_DEP_1) | instskip(SKIP_1) | instid1(VALU_DEP_2)
	v_and_b32_e32 v16, 24, v19
	v_xor_b32_e32 v17, 4, v19
	v_add_nc_u32_e32 v20, 8, v16
	s_waitcnt lgkmcnt(0)
	v_add_co_u32 v10, s0, s0, v10
	s_delay_alu instid0(VALU_DEP_1) | instskip(SKIP_1) | instid1(VALU_DEP_2)
	v_add_co_ci_u32_e64 v11, s0, s1, v11, s0
	s_ashr_i32 s1, s6, 31
	v_add_co_u32 v12, s0, v10, s6
	s_delay_alu instid0(VALU_DEP_1)
	v_add_co_ci_u32_e64 v13, s0, s1, v11, s0
	v_cmp_lt_i32_e64 s0, v17, v20
	s_clause 0x1
	global_load_u8 v14, v[10:11], off
	global_load_u8 v15, v[12:13], off
	s_waitcnt vmcnt(3)
	v_add_f64 v[10:11], v[2:3], 0
	v_add_f64 v[12:13], v[0:1], 0
	v_cndmask_b32_e64 v16, v19, v17, s0
	s_delay_alu instid0(VALU_DEP_1) | instskip(SKIP_4) | instid1(VALU_DEP_2)
	v_lshlrev_b32_e32 v16, 2, v16
	s_waitcnt vmcnt(1)
	v_and_b32_e32 v14, 1, v14
	s_waitcnt vmcnt(0)
	v_and_b32_e32 v15, 1, v15
	v_cmp_eq_u32_e64 s1, 1, v14
	s_delay_alu instid0(VALU_DEP_2) | instskip(NEXT) | instid1(VALU_DEP_2)
	v_cmp_eq_u32_e64 s0, 1, v15
	v_cndmask_b32_e64 v11, v11, 0, s1
	v_cndmask_b32_e64 v10, v10, 0, s1
	s_delay_alu instid0(VALU_DEP_3)
	v_cndmask_b32_e64 v13, v13, 0, s0
	v_cndmask_b32_e64 v12, v12, 0, s0
	ds_bpermute_b32 v15, v16, v11
	ds_bpermute_b32 v14, v16, v10
	;; [unrolled: 1-line block ×4, first 2 shown]
	s_waitcnt lgkmcnt(2)
	v_add_f64 v[10:11], v[10:11], v[14:15]
	v_xor_b32_e32 v14, 2, v19
	s_waitcnt lgkmcnt(0)
	v_add_f64 v[12:13], v[12:13], v[16:17]
	s_delay_alu instid0(VALU_DEP_2) | instskip(NEXT) | instid1(VALU_DEP_1)
	v_cmp_lt_i32_e64 s3, v14, v20
	v_cndmask_b32_e64 v14, v19, v14, s3
	s_delay_alu instid0(VALU_DEP_1)
	v_lshlrev_b32_e32 v17, 2, v14
	ds_bpermute_b32 v14, v17, v10
	ds_bpermute_b32 v15, v17, v11
	;; [unrolled: 1-line block ×4, first 2 shown]
	s_waitcnt lgkmcnt(2)
	v_add_f64 v[14:15], v[10:11], v[14:15]
	s_waitcnt lgkmcnt(0)
	v_add_f64 v[10:11], v[12:13], v[16:17]
	v_xor_b32_e32 v12, 1, v19
	s_delay_alu instid0(VALU_DEP_1) | instskip(NEXT) | instid1(VALU_DEP_1)
	v_cmp_lt_i32_e64 s3, v12, v20
	v_cndmask_b32_e64 v12, v19, v12, s3
	s_delay_alu instid0(VALU_DEP_1)
	v_lshlrev_b32_e32 v13, 2, v12
	ds_bpermute_b32 v16, v13, v14
	ds_bpermute_b32 v17, v13, v15
	;; [unrolled: 1-line block ×4, first 2 shown]
	s_and_saveexec_b32 s3, s2
	s_cbranch_execz .LBB774_10
; %bb.5:
	v_add_co_u32 v6, s2, s8, v6
	s_delay_alu instid0(VALU_DEP_1)
	v_add_co_ci_u32_e64 v7, s2, s9, v7, s2
	s_and_saveexec_b32 s2, vcc_lo
	s_cbranch_execz .LBB774_7
; %bb.6:
	s_waitcnt lgkmcnt(2)
	v_add_f64 v[14:15], v[14:15], v[16:17]
	s_delay_alu instid0(VALU_DEP_1) | instskip(NEXT) | instid1(VALU_DEP_1)
	v_fma_f64 v[2:3], -v[14:15], v[4:5], v[2:3]
	v_cndmask_b32_e64 v3, v3, 0, s1
	s_delay_alu instid0(VALU_DEP_2)
	v_cndmask_b32_e64 v2, v2, 0, s1
	global_store_b64 v[6:7], v[2:3], off
.LBB774_7:
	s_or_b32 exec_lo, exec_lo, s2
	v_cmp_ne_u32_e64 s1, 1, v18
	s_delay_alu instid0(VALU_DEP_1)
	s_and_b32 exec_lo, exec_lo, s1
	s_cbranch_execz .LBB774_10
; %bb.8:
	s_and_b32 exec_lo, exec_lo, vcc_lo
	s_cbranch_execz .LBB774_10
; %bb.9:
	s_waitcnt lgkmcnt(0)
	v_add_f64 v[2:3], v[10:11], v[12:13]
	s_mov_b32 s7, 0
	s_delay_alu instid0(SALU_CYCLE_1) | instskip(NEXT) | instid1(VALU_DEP_1)
	s_lshl_b64 s[2:3], s[6:7], 3
	v_fma_f64 v[0:1], -v[2:3], v[8:9], v[0:1]
	v_add_co_u32 v2, vcc_lo, v6, s2
	v_add_co_ci_u32_e32 v3, vcc_lo, s3, v7, vcc_lo
	s_delay_alu instid0(VALU_DEP_3) | instskip(NEXT) | instid1(VALU_DEP_4)
	v_cndmask_b32_e64 v1, v1, 0, s0
	v_cndmask_b32_e64 v0, v0, 0, s0
	global_store_b64 v[2:3], v[0:1], off
.LBB774_10:
	s_nop 0
	s_sendmsg sendmsg(MSG_DEALLOC_VGPRS)
	s_endpgm
	.section	.rodata,"a",@progbits
	.p2align	6, 0x0
	.amdhsa_kernel _ZN12_GLOBAL__N_121softmax_warp_backwardIdddLi3ELb0ELb1ELi64EEEvPT0_PKT_S5_iiiPKb
		.amdhsa_group_segment_fixed_size 0
		.amdhsa_private_segment_fixed_size 0
		.amdhsa_kernarg_size 304
		.amdhsa_user_sgpr_count 15
		.amdhsa_user_sgpr_dispatch_ptr 0
		.amdhsa_user_sgpr_queue_ptr 0
		.amdhsa_user_sgpr_kernarg_segment_ptr 1
		.amdhsa_user_sgpr_dispatch_id 0
		.amdhsa_user_sgpr_private_segment_size 0
		.amdhsa_wavefront_size32 1
		.amdhsa_uses_dynamic_stack 0
		.amdhsa_enable_private_segment 0
		.amdhsa_system_sgpr_workgroup_id_x 1
		.amdhsa_system_sgpr_workgroup_id_y 0
		.amdhsa_system_sgpr_workgroup_id_z 0
		.amdhsa_system_sgpr_workgroup_info 0
		.amdhsa_system_vgpr_workitem_id 1
		.amdhsa_next_free_vgpr 21
		.amdhsa_next_free_sgpr 16
		.amdhsa_reserve_vcc 1
		.amdhsa_float_round_mode_32 0
		.amdhsa_float_round_mode_16_64 0
		.amdhsa_float_denorm_mode_32 3
		.amdhsa_float_denorm_mode_16_64 3
		.amdhsa_dx10_clamp 1
		.amdhsa_ieee_mode 1
		.amdhsa_fp16_overflow 0
		.amdhsa_workgroup_processor_mode 1
		.amdhsa_memory_ordered 1
		.amdhsa_forward_progress 0
		.amdhsa_shared_vgpr_count 0
		.amdhsa_exception_fp_ieee_invalid_op 0
		.amdhsa_exception_fp_denorm_src 0
		.amdhsa_exception_fp_ieee_div_zero 0
		.amdhsa_exception_fp_ieee_overflow 0
		.amdhsa_exception_fp_ieee_underflow 0
		.amdhsa_exception_fp_ieee_inexact 0
		.amdhsa_exception_int_div_zero 0
	.end_amdhsa_kernel
	.section	.text._ZN12_GLOBAL__N_121softmax_warp_backwardIdddLi3ELb0ELb1ELi64EEEvPT0_PKT_S5_iiiPKb,"axG",@progbits,_ZN12_GLOBAL__N_121softmax_warp_backwardIdddLi3ELb0ELb1ELi64EEEvPT0_PKT_S5_iiiPKb,comdat
.Lfunc_end774:
	.size	_ZN12_GLOBAL__N_121softmax_warp_backwardIdddLi3ELb0ELb1ELi64EEEvPT0_PKT_S5_iiiPKb, .Lfunc_end774-_ZN12_GLOBAL__N_121softmax_warp_backwardIdddLi3ELb0ELb1ELi64EEEvPT0_PKT_S5_iiiPKb
                                        ; -- End function
	.section	.AMDGPU.csdata,"",@progbits
; Kernel info:
; codeLenInByte = 944
; NumSgprs: 18
; NumVgprs: 21
; ScratchSize: 0
; MemoryBound: 0
; FloatMode: 240
; IeeeMode: 1
; LDSByteSize: 0 bytes/workgroup (compile time only)
; SGPRBlocks: 2
; VGPRBlocks: 2
; NumSGPRsForWavesPerEU: 18
; NumVGPRsForWavesPerEU: 21
; Occupancy: 16
; WaveLimiterHint : 0
; COMPUTE_PGM_RSRC2:SCRATCH_EN: 0
; COMPUTE_PGM_RSRC2:USER_SGPR: 15
; COMPUTE_PGM_RSRC2:TRAP_HANDLER: 0
; COMPUTE_PGM_RSRC2:TGID_X_EN: 1
; COMPUTE_PGM_RSRC2:TGID_Y_EN: 0
; COMPUTE_PGM_RSRC2:TGID_Z_EN: 0
; COMPUTE_PGM_RSRC2:TIDIG_COMP_CNT: 1
	.section	.text._ZN12_GLOBAL__N_121softmax_warp_backwardIdddLi3ELb0ELb1ELi32EEEvPT0_PKT_S5_iiiPKb,"axG",@progbits,_ZN12_GLOBAL__N_121softmax_warp_backwardIdddLi3ELb0ELb1ELi32EEEvPT0_PKT_S5_iiiPKb,comdat
	.globl	_ZN12_GLOBAL__N_121softmax_warp_backwardIdddLi3ELb0ELb1ELi32EEEvPT0_PKT_S5_iiiPKb ; -- Begin function _ZN12_GLOBAL__N_121softmax_warp_backwardIdddLi3ELb0ELb1ELi32EEEvPT0_PKT_S5_iiiPKb
	.p2align	8
	.type	_ZN12_GLOBAL__N_121softmax_warp_backwardIdddLi3ELb0ELb1ELi32EEEvPT0_PKT_S5_iiiPKb,@function
_ZN12_GLOBAL__N_121softmax_warp_backwardIdddLi3ELb0ELb1ELi32EEEvPT0_PKT_S5_iiiPKb: ; @_ZN12_GLOBAL__N_121softmax_warp_backwardIdddLi3ELb0ELb1ELi32EEEvPT0_PKT_S5_iiiPKb
; %bb.0:
	s_clause 0x1
	s_load_b32 s2, s[0:1], 0x3c
	s_load_b128 s[4:7], s[0:1], 0x18
	v_bfe_u32 v1, v0, 10, 10
	v_and_b32_e32 v4, 7, v0
	s_clause 0x1
	s_load_b128 s[8:11], s[0:1], 0x0
	s_load_b64 s[12:13], s[0:1], 0x10
	s_waitcnt lgkmcnt(0)
	s_lshr_b32 s2, s2, 16
	s_delay_alu instid0(SALU_CYCLE_1) | instskip(NEXT) | instid1(SALU_CYCLE_1)
	s_mul_i32 s15, s15, s2
	v_add_lshl_u32 v2, s15, v1, 1
	v_mov_b32_e32 v0, 0
	v_mov_b32_e32 v1, 0
	v_cmp_gt_i32_e32 vcc_lo, s6, v4
	s_delay_alu instid0(VALU_DEP_4) | instskip(SKIP_1) | instid1(VALU_DEP_4)
	v_mad_u64_u32 v[10:11], null, v2, s5, v[4:5]
	v_sub_nc_u32_e32 v18, s4, v2
	v_dual_mov_b32 v3, v1 :: v_dual_mov_b32 v2, v0
	v_dual_mov_b32 v5, v1 :: v_dual_mov_b32 v4, v0
	s_delay_alu instid0(VALU_DEP_3) | instskip(SKIP_1) | instid1(VALU_DEP_2)
	v_cmp_lt_i32_e64 s2, 0, v18
	v_ashrrev_i32_e32 v11, 31, v10
	s_and_b32 s4, vcc_lo, s2
	s_delay_alu instid0(VALU_DEP_1) | instskip(NEXT) | instid1(VALU_DEP_1)
	v_lshlrev_b64 v[6:7], 3, v[10:11]
	v_add_co_u32 v14, s3, s10, v6
	s_delay_alu instid0(VALU_DEP_1) | instskip(SKIP_1) | instid1(VALU_DEP_1)
	v_add_co_ci_u32_e64 v15, s3, s11, v7, s3
	v_add_co_u32 v12, s3, s12, v6
	v_add_co_ci_u32_e64 v13, s3, s13, v7, s3
	s_and_saveexec_b32 s3, s4
	s_cbranch_execz .LBB775_2
; %bb.1:
	global_load_b64 v[2:3], v[14:15], off
	global_load_b64 v[4:5], v[12:13], off
.LBB775_2:
	s_or_b32 exec_lo, exec_lo, s3
	v_cmp_lt_i32_e64 s3, 1, v18
	v_dual_mov_b32 v9, v1 :: v_dual_mov_b32 v8, v0
	s_delay_alu instid0(VALU_DEP_2) | instskip(NEXT) | instid1(SALU_CYCLE_1)
	s_and_b32 s3, vcc_lo, s3
	s_and_saveexec_b32 s4, s3
	s_cbranch_execz .LBB775_4
; %bb.3:
	s_mov_b32 s7, 0
	s_delay_alu instid0(SALU_CYCLE_1) | instskip(NEXT) | instid1(SALU_CYCLE_1)
	s_lshl_b64 s[10:11], s[6:7], 3
	v_add_co_u32 v0, s3, v14, s10
	s_delay_alu instid0(VALU_DEP_1) | instskip(SKIP_1) | instid1(VALU_DEP_1)
	v_add_co_ci_u32_e64 v1, s3, s11, v15, s3
	v_add_co_u32 v8, s3, v12, s10
	v_add_co_ci_u32_e64 v9, s3, s11, v13, s3
	global_load_b64 v[0:1], v[0:1], off
	global_load_b64 v[8:9], v[8:9], off
.LBB775_4:
	s_or_b32 exec_lo, exec_lo, s4
	s_load_b64 s[0:1], s[0:1], 0x28
	v_mbcnt_lo_u32_b32 v19, -1, 0
	s_delay_alu instid0(VALU_DEP_1) | instskip(SKIP_1) | instid1(VALU_DEP_2)
	v_and_b32_e32 v16, 24, v19
	v_xor_b32_e32 v17, 4, v19
	v_add_nc_u32_e32 v20, 8, v16
	s_waitcnt lgkmcnt(0)
	v_add_co_u32 v10, s0, s0, v10
	s_delay_alu instid0(VALU_DEP_1) | instskip(SKIP_1) | instid1(VALU_DEP_2)
	v_add_co_ci_u32_e64 v11, s0, s1, v11, s0
	s_ashr_i32 s1, s6, 31
	v_add_co_u32 v12, s0, v10, s6
	s_delay_alu instid0(VALU_DEP_1)
	v_add_co_ci_u32_e64 v13, s0, s1, v11, s0
	v_cmp_lt_i32_e64 s0, v17, v20
	s_clause 0x1
	global_load_u8 v14, v[10:11], off
	global_load_u8 v15, v[12:13], off
	s_waitcnt vmcnt(3)
	v_add_f64 v[10:11], v[2:3], 0
	v_add_f64 v[12:13], v[0:1], 0
	v_cndmask_b32_e64 v16, v19, v17, s0
	s_delay_alu instid0(VALU_DEP_1) | instskip(SKIP_4) | instid1(VALU_DEP_2)
	v_lshlrev_b32_e32 v16, 2, v16
	s_waitcnt vmcnt(1)
	v_and_b32_e32 v14, 1, v14
	s_waitcnt vmcnt(0)
	v_and_b32_e32 v15, 1, v15
	v_cmp_eq_u32_e64 s1, 1, v14
	s_delay_alu instid0(VALU_DEP_2) | instskip(NEXT) | instid1(VALU_DEP_2)
	v_cmp_eq_u32_e64 s0, 1, v15
	v_cndmask_b32_e64 v11, v11, 0, s1
	v_cndmask_b32_e64 v10, v10, 0, s1
	s_delay_alu instid0(VALU_DEP_3)
	v_cndmask_b32_e64 v13, v13, 0, s0
	v_cndmask_b32_e64 v12, v12, 0, s0
	ds_bpermute_b32 v15, v16, v11
	ds_bpermute_b32 v14, v16, v10
	;; [unrolled: 1-line block ×4, first 2 shown]
	s_waitcnt lgkmcnt(2)
	v_add_f64 v[10:11], v[10:11], v[14:15]
	v_xor_b32_e32 v14, 2, v19
	s_waitcnt lgkmcnt(0)
	v_add_f64 v[12:13], v[12:13], v[16:17]
	s_delay_alu instid0(VALU_DEP_2) | instskip(NEXT) | instid1(VALU_DEP_1)
	v_cmp_lt_i32_e64 s3, v14, v20
	v_cndmask_b32_e64 v14, v19, v14, s3
	s_delay_alu instid0(VALU_DEP_1)
	v_lshlrev_b32_e32 v17, 2, v14
	ds_bpermute_b32 v14, v17, v10
	ds_bpermute_b32 v15, v17, v11
	;; [unrolled: 1-line block ×4, first 2 shown]
	s_waitcnt lgkmcnt(2)
	v_add_f64 v[14:15], v[10:11], v[14:15]
	s_waitcnt lgkmcnt(0)
	v_add_f64 v[10:11], v[12:13], v[16:17]
	v_xor_b32_e32 v12, 1, v19
	s_delay_alu instid0(VALU_DEP_1) | instskip(NEXT) | instid1(VALU_DEP_1)
	v_cmp_lt_i32_e64 s3, v12, v20
	v_cndmask_b32_e64 v12, v19, v12, s3
	s_delay_alu instid0(VALU_DEP_1)
	v_lshlrev_b32_e32 v13, 2, v12
	ds_bpermute_b32 v16, v13, v14
	ds_bpermute_b32 v17, v13, v15
	;; [unrolled: 1-line block ×4, first 2 shown]
	s_and_saveexec_b32 s3, s2
	s_cbranch_execz .LBB775_10
; %bb.5:
	v_add_co_u32 v6, s2, s8, v6
	s_delay_alu instid0(VALU_DEP_1)
	v_add_co_ci_u32_e64 v7, s2, s9, v7, s2
	s_and_saveexec_b32 s2, vcc_lo
	s_cbranch_execz .LBB775_7
; %bb.6:
	s_waitcnt lgkmcnt(2)
	v_add_f64 v[14:15], v[14:15], v[16:17]
	s_delay_alu instid0(VALU_DEP_1) | instskip(NEXT) | instid1(VALU_DEP_1)
	v_fma_f64 v[2:3], -v[14:15], v[4:5], v[2:3]
	v_cndmask_b32_e64 v3, v3, 0, s1
	s_delay_alu instid0(VALU_DEP_2)
	v_cndmask_b32_e64 v2, v2, 0, s1
	global_store_b64 v[6:7], v[2:3], off
.LBB775_7:
	s_or_b32 exec_lo, exec_lo, s2
	v_cmp_ne_u32_e64 s1, 1, v18
	s_delay_alu instid0(VALU_DEP_1)
	s_and_b32 exec_lo, exec_lo, s1
	s_cbranch_execz .LBB775_10
; %bb.8:
	s_and_b32 exec_lo, exec_lo, vcc_lo
	s_cbranch_execz .LBB775_10
; %bb.9:
	s_waitcnt lgkmcnt(0)
	v_add_f64 v[2:3], v[10:11], v[12:13]
	s_mov_b32 s7, 0
	s_delay_alu instid0(SALU_CYCLE_1) | instskip(NEXT) | instid1(VALU_DEP_1)
	s_lshl_b64 s[2:3], s[6:7], 3
	v_fma_f64 v[0:1], -v[2:3], v[8:9], v[0:1]
	v_add_co_u32 v2, vcc_lo, v6, s2
	v_add_co_ci_u32_e32 v3, vcc_lo, s3, v7, vcc_lo
	s_delay_alu instid0(VALU_DEP_3) | instskip(NEXT) | instid1(VALU_DEP_4)
	v_cndmask_b32_e64 v1, v1, 0, s0
	v_cndmask_b32_e64 v0, v0, 0, s0
	global_store_b64 v[2:3], v[0:1], off
.LBB775_10:
	s_nop 0
	s_sendmsg sendmsg(MSG_DEALLOC_VGPRS)
	s_endpgm
	.section	.rodata,"a",@progbits
	.p2align	6, 0x0
	.amdhsa_kernel _ZN12_GLOBAL__N_121softmax_warp_backwardIdddLi3ELb0ELb1ELi32EEEvPT0_PKT_S5_iiiPKb
		.amdhsa_group_segment_fixed_size 0
		.amdhsa_private_segment_fixed_size 0
		.amdhsa_kernarg_size 304
		.amdhsa_user_sgpr_count 15
		.amdhsa_user_sgpr_dispatch_ptr 0
		.amdhsa_user_sgpr_queue_ptr 0
		.amdhsa_user_sgpr_kernarg_segment_ptr 1
		.amdhsa_user_sgpr_dispatch_id 0
		.amdhsa_user_sgpr_private_segment_size 0
		.amdhsa_wavefront_size32 1
		.amdhsa_uses_dynamic_stack 0
		.amdhsa_enable_private_segment 0
		.amdhsa_system_sgpr_workgroup_id_x 1
		.amdhsa_system_sgpr_workgroup_id_y 0
		.amdhsa_system_sgpr_workgroup_id_z 0
		.amdhsa_system_sgpr_workgroup_info 0
		.amdhsa_system_vgpr_workitem_id 1
		.amdhsa_next_free_vgpr 21
		.amdhsa_next_free_sgpr 16
		.amdhsa_reserve_vcc 1
		.amdhsa_float_round_mode_32 0
		.amdhsa_float_round_mode_16_64 0
		.amdhsa_float_denorm_mode_32 3
		.amdhsa_float_denorm_mode_16_64 3
		.amdhsa_dx10_clamp 1
		.amdhsa_ieee_mode 1
		.amdhsa_fp16_overflow 0
		.amdhsa_workgroup_processor_mode 1
		.amdhsa_memory_ordered 1
		.amdhsa_forward_progress 0
		.amdhsa_shared_vgpr_count 0
		.amdhsa_exception_fp_ieee_invalid_op 0
		.amdhsa_exception_fp_denorm_src 0
		.amdhsa_exception_fp_ieee_div_zero 0
		.amdhsa_exception_fp_ieee_overflow 0
		.amdhsa_exception_fp_ieee_underflow 0
		.amdhsa_exception_fp_ieee_inexact 0
		.amdhsa_exception_int_div_zero 0
	.end_amdhsa_kernel
	.section	.text._ZN12_GLOBAL__N_121softmax_warp_backwardIdddLi3ELb0ELb1ELi32EEEvPT0_PKT_S5_iiiPKb,"axG",@progbits,_ZN12_GLOBAL__N_121softmax_warp_backwardIdddLi3ELb0ELb1ELi32EEEvPT0_PKT_S5_iiiPKb,comdat
.Lfunc_end775:
	.size	_ZN12_GLOBAL__N_121softmax_warp_backwardIdddLi3ELb0ELb1ELi32EEEvPT0_PKT_S5_iiiPKb, .Lfunc_end775-_ZN12_GLOBAL__N_121softmax_warp_backwardIdddLi3ELb0ELb1ELi32EEEvPT0_PKT_S5_iiiPKb
                                        ; -- End function
	.section	.AMDGPU.csdata,"",@progbits
; Kernel info:
; codeLenInByte = 944
; NumSgprs: 18
; NumVgprs: 21
; ScratchSize: 0
; MemoryBound: 0
; FloatMode: 240
; IeeeMode: 1
; LDSByteSize: 0 bytes/workgroup (compile time only)
; SGPRBlocks: 2
; VGPRBlocks: 2
; NumSGPRsForWavesPerEU: 18
; NumVGPRsForWavesPerEU: 21
; Occupancy: 16
; WaveLimiterHint : 0
; COMPUTE_PGM_RSRC2:SCRATCH_EN: 0
; COMPUTE_PGM_RSRC2:USER_SGPR: 15
; COMPUTE_PGM_RSRC2:TRAP_HANDLER: 0
; COMPUTE_PGM_RSRC2:TGID_X_EN: 1
; COMPUTE_PGM_RSRC2:TGID_Y_EN: 0
; COMPUTE_PGM_RSRC2:TGID_Z_EN: 0
; COMPUTE_PGM_RSRC2:TIDIG_COMP_CNT: 1
	.section	.text._ZN12_GLOBAL__N_121softmax_warp_backwardIdddLi4ELb0ELb1ELi64EEEvPT0_PKT_S5_iiiPKb,"axG",@progbits,_ZN12_GLOBAL__N_121softmax_warp_backwardIdddLi4ELb0ELb1ELi64EEEvPT0_PKT_S5_iiiPKb,comdat
	.globl	_ZN12_GLOBAL__N_121softmax_warp_backwardIdddLi4ELb0ELb1ELi64EEEvPT0_PKT_S5_iiiPKb ; -- Begin function _ZN12_GLOBAL__N_121softmax_warp_backwardIdddLi4ELb0ELb1ELi64EEEvPT0_PKT_S5_iiiPKb
	.p2align	8
	.type	_ZN12_GLOBAL__N_121softmax_warp_backwardIdddLi4ELb0ELb1ELi64EEEvPT0_PKT_S5_iiiPKb,@function
_ZN12_GLOBAL__N_121softmax_warp_backwardIdddLi4ELb0ELb1ELi64EEEvPT0_PKT_S5_iiiPKb: ; @_ZN12_GLOBAL__N_121softmax_warp_backwardIdddLi4ELb0ELb1ELi64EEEvPT0_PKT_S5_iiiPKb
; %bb.0:
	s_clause 0x1
	s_load_b32 s2, s[0:1], 0x3c
	s_load_b128 s[4:7], s[0:1], 0x18
	v_bfe_u32 v1, v0, 10, 10
	v_and_b32_e32 v4, 15, v0
	s_clause 0x1
	s_load_b128 s[8:11], s[0:1], 0x0
	s_load_b64 s[12:13], s[0:1], 0x10
	s_waitcnt lgkmcnt(0)
	s_lshr_b32 s2, s2, 16
	s_delay_alu instid0(SALU_CYCLE_1) | instskip(NEXT) | instid1(SALU_CYCLE_1)
	s_mul_i32 s15, s15, s2
	v_add_lshl_u32 v2, s15, v1, 1
	v_mov_b32_e32 v0, 0
	v_mov_b32_e32 v1, 0
	v_cmp_gt_i32_e32 vcc_lo, s6, v4
	s_delay_alu instid0(VALU_DEP_4) | instskip(SKIP_1) | instid1(VALU_DEP_4)
	v_mad_u64_u32 v[10:11], null, v2, s5, v[4:5]
	v_sub_nc_u32_e32 v22, s4, v2
	v_dual_mov_b32 v3, v1 :: v_dual_mov_b32 v2, v0
	v_dual_mov_b32 v7, v1 :: v_dual_mov_b32 v6, v0
	s_delay_alu instid0(VALU_DEP_3) | instskip(SKIP_1) | instid1(VALU_DEP_2)
	v_cmp_lt_i32_e64 s2, 0, v22
	v_ashrrev_i32_e32 v11, 31, v10
	s_and_b32 s4, vcc_lo, s2
	s_delay_alu instid0(VALU_DEP_1) | instskip(NEXT) | instid1(VALU_DEP_1)
	v_lshlrev_b64 v[8:9], 3, v[10:11]
	v_add_co_u32 v14, s3, s10, v8
	s_delay_alu instid0(VALU_DEP_1) | instskip(SKIP_1) | instid1(VALU_DEP_1)
	v_add_co_ci_u32_e64 v15, s3, s11, v9, s3
	v_add_co_u32 v12, s3, s12, v8
	v_add_co_ci_u32_e64 v13, s3, s13, v9, s3
	s_and_saveexec_b32 s3, s4
	s_cbranch_execz .LBB776_2
; %bb.1:
	global_load_b64 v[2:3], v[14:15], off
	global_load_b64 v[6:7], v[12:13], off
.LBB776_2:
	s_or_b32 exec_lo, exec_lo, s3
	v_cmp_lt_i32_e64 s3, 1, v22
	v_dual_mov_b32 v5, v1 :: v_dual_mov_b32 v4, v0
	s_delay_alu instid0(VALU_DEP_2) | instskip(NEXT) | instid1(SALU_CYCLE_1)
	s_and_b32 s3, vcc_lo, s3
	s_and_saveexec_b32 s4, s3
	s_cbranch_execz .LBB776_4
; %bb.3:
	s_mov_b32 s7, 0
	s_delay_alu instid0(SALU_CYCLE_1) | instskip(NEXT) | instid1(SALU_CYCLE_1)
	s_lshl_b64 s[10:11], s[6:7], 3
	v_add_co_u32 v0, s3, v14, s10
	s_delay_alu instid0(VALU_DEP_1) | instskip(SKIP_1) | instid1(VALU_DEP_1)
	v_add_co_ci_u32_e64 v1, s3, s11, v15, s3
	v_add_co_u32 v4, s3, v12, s10
	v_add_co_ci_u32_e64 v5, s3, s11, v13, s3
	global_load_b64 v[0:1], v[0:1], off
	global_load_b64 v[4:5], v[4:5], off
.LBB776_4:
	s_or_b32 exec_lo, exec_lo, s4
	s_load_b64 s[0:1], s[0:1], 0x28
	s_waitcnt vmcnt(1)
	v_add_f64 v[15:16], v[0:1], 0
	v_mbcnt_lo_u32_b32 v23, -1, 0
	s_delay_alu instid0(VALU_DEP_1) | instskip(SKIP_1) | instid1(VALU_DEP_2)
	v_and_b32_e32 v18, 16, v23
	v_xor_b32_e32 v19, 8, v23
	v_add_nc_u32_e32 v24, 16, v18
	s_waitcnt lgkmcnt(0)
	v_add_co_u32 v10, s0, s0, v10
	s_delay_alu instid0(VALU_DEP_1) | instskip(SKIP_1) | instid1(VALU_DEP_2)
	v_add_co_ci_u32_e64 v11, s0, s1, v11, s0
	s_ashr_i32 s1, s6, 31
	v_add_co_u32 v12, s0, v10, s6
	s_delay_alu instid0(VALU_DEP_1)
	v_add_co_ci_u32_e64 v13, s1, s1, v11, s0
	v_cmp_lt_i32_e64 s1, v19, v24
	s_clause 0x1
	global_load_u8 v10, v[10:11], off
	global_load_u8 v17, v[12:13], off
	v_add_f64 v[13:14], v[2:3], 0
	v_cndmask_b32_e64 v18, v23, v19, s1
	s_waitcnt vmcnt(1)
	v_and_b32_e32 v10, 1, v10
	s_waitcnt vmcnt(0)
	v_and_b32_e32 v17, 1, v17
	s_delay_alu instid0(VALU_DEP_2) | instskip(NEXT) | instid1(VALU_DEP_2)
	v_cmp_eq_u32_e64 s1, 1, v10
	v_cmp_eq_u32_e64 s3, 1, v17
	v_lshlrev_b32_e32 v10, 2, v18
	s_delay_alu instid0(VALU_DEP_3) | instskip(SKIP_1) | instid1(VALU_DEP_4)
	v_cndmask_b32_e64 v14, v14, 0, s1
	v_cndmask_b32_e64 v13, v13, 0, s1
	;; [unrolled: 1-line block ×4, first 2 shown]
	ds_bpermute_b32 v18, v10, v14
	ds_bpermute_b32 v17, v10, v13
	ds_bpermute_b32 v20, v10, v16
	ds_bpermute_b32 v19, v10, v15
	v_xor_b32_e32 v10, 4, v23
	s_delay_alu instid0(VALU_DEP_1) | instskip(NEXT) | instid1(VALU_DEP_1)
	v_cmp_lt_i32_e64 s3, v10, v24
	v_cndmask_b32_e64 v10, v23, v10, s3
	s_delay_alu instid0(VALU_DEP_1)
	v_lshlrev_b32_e32 v10, 2, v10
	s_waitcnt lgkmcnt(2)
	v_add_f64 v[13:14], v[13:14], v[17:18]
	s_waitcnt lgkmcnt(0)
	v_add_f64 v[15:16], v[15:16], v[19:20]
	ds_bpermute_b32 v17, v10, v13
	ds_bpermute_b32 v18, v10, v14
	ds_bpermute_b32 v19, v10, v15
	ds_bpermute_b32 v20, v10, v16
	v_xor_b32_e32 v10, 2, v23
	s_delay_alu instid0(VALU_DEP_1) | instskip(NEXT) | instid1(VALU_DEP_1)
	v_cmp_lt_i32_e64 s3, v10, v24
	v_cndmask_b32_e64 v10, v23, v10, s3
	s_delay_alu instid0(VALU_DEP_1)
	v_lshlrev_b32_e32 v10, 2, v10
	s_waitcnt lgkmcnt(2)
	v_add_f64 v[13:14], v[13:14], v[17:18]
	s_waitcnt lgkmcnt(0)
	v_add_f64 v[15:16], v[15:16], v[19:20]
	;; [unrolled: 14-line block ×3, first 2 shown]
	ds_bpermute_b32 v20, v10, v18
	ds_bpermute_b32 v21, v10, v19
	ds_bpermute_b32 v16, v10, v14
	ds_bpermute_b32 v17, v10, v15
	s_and_saveexec_b32 s3, s2
	s_cbranch_execz .LBB776_10
; %bb.5:
	v_add_co_u32 v8, s2, s8, v8
	s_delay_alu instid0(VALU_DEP_1)
	v_add_co_ci_u32_e64 v9, s2, s9, v9, s2
	s_and_saveexec_b32 s2, vcc_lo
	s_cbranch_execz .LBB776_7
; %bb.6:
	s_waitcnt lgkmcnt(2)
	v_add_f64 v[18:19], v[18:19], v[20:21]
	s_delay_alu instid0(VALU_DEP_1) | instskip(NEXT) | instid1(VALU_DEP_1)
	v_fma_f64 v[2:3], -v[18:19], v[6:7], v[2:3]
	v_cndmask_b32_e64 v3, v3, 0, s1
	s_delay_alu instid0(VALU_DEP_2)
	v_cndmask_b32_e64 v2, v2, 0, s1
	global_store_b64 v[8:9], v[2:3], off
.LBB776_7:
	s_or_b32 exec_lo, exec_lo, s2
	v_cmp_ne_u32_e64 s1, 1, v22
	s_delay_alu instid0(VALU_DEP_1)
	s_and_b32 exec_lo, exec_lo, s1
	s_cbranch_execz .LBB776_10
; %bb.8:
	s_and_b32 exec_lo, exec_lo, vcc_lo
	s_cbranch_execz .LBB776_10
; %bb.9:
	v_add_co_ci_u32_e64 v13, vcc_lo, 0, v11, s0
	s_waitcnt lgkmcnt(0)
	v_add_f64 v[2:3], v[14:15], v[16:17]
	s_mov_b32 s7, 0
	s_delay_alu instid0(SALU_CYCLE_1) | instskip(SKIP_4) | instid1(VALU_DEP_1)
	s_lshl_b64 s[0:1], s[6:7], 3
	global_load_u8 v6, v[12:13], off
	v_fma_f64 v[0:1], -v[2:3], v[4:5], v[0:1]
	s_waitcnt vmcnt(0)
	v_and_b32_e32 v2, 1, v6
	v_cmp_eq_u32_e32 vcc_lo, 1, v2
	v_add_co_u32 v2, s0, v8, s0
	s_delay_alu instid0(VALU_DEP_1)
	v_add_co_ci_u32_e64 v3, s0, s1, v9, s0
	v_cndmask_b32_e64 v1, v1, 0, vcc_lo
	v_cndmask_b32_e64 v0, v0, 0, vcc_lo
	global_store_b64 v[2:3], v[0:1], off
.LBB776_10:
	s_nop 0
	s_sendmsg sendmsg(MSG_DEALLOC_VGPRS)
	s_endpgm
	.section	.rodata,"a",@progbits
	.p2align	6, 0x0
	.amdhsa_kernel _ZN12_GLOBAL__N_121softmax_warp_backwardIdddLi4ELb0ELb1ELi64EEEvPT0_PKT_S5_iiiPKb
		.amdhsa_group_segment_fixed_size 0
		.amdhsa_private_segment_fixed_size 0
		.amdhsa_kernarg_size 304
		.amdhsa_user_sgpr_count 15
		.amdhsa_user_sgpr_dispatch_ptr 0
		.amdhsa_user_sgpr_queue_ptr 0
		.amdhsa_user_sgpr_kernarg_segment_ptr 1
		.amdhsa_user_sgpr_dispatch_id 0
		.amdhsa_user_sgpr_private_segment_size 0
		.amdhsa_wavefront_size32 1
		.amdhsa_uses_dynamic_stack 0
		.amdhsa_enable_private_segment 0
		.amdhsa_system_sgpr_workgroup_id_x 1
		.amdhsa_system_sgpr_workgroup_id_y 0
		.amdhsa_system_sgpr_workgroup_id_z 0
		.amdhsa_system_sgpr_workgroup_info 0
		.amdhsa_system_vgpr_workitem_id 1
		.amdhsa_next_free_vgpr 25
		.amdhsa_next_free_sgpr 16
		.amdhsa_reserve_vcc 1
		.amdhsa_float_round_mode_32 0
		.amdhsa_float_round_mode_16_64 0
		.amdhsa_float_denorm_mode_32 3
		.amdhsa_float_denorm_mode_16_64 3
		.amdhsa_dx10_clamp 1
		.amdhsa_ieee_mode 1
		.amdhsa_fp16_overflow 0
		.amdhsa_workgroup_processor_mode 1
		.amdhsa_memory_ordered 1
		.amdhsa_forward_progress 0
		.amdhsa_shared_vgpr_count 0
		.amdhsa_exception_fp_ieee_invalid_op 0
		.amdhsa_exception_fp_denorm_src 0
		.amdhsa_exception_fp_ieee_div_zero 0
		.amdhsa_exception_fp_ieee_overflow 0
		.amdhsa_exception_fp_ieee_underflow 0
		.amdhsa_exception_fp_ieee_inexact 0
		.amdhsa_exception_int_div_zero 0
	.end_amdhsa_kernel
	.section	.text._ZN12_GLOBAL__N_121softmax_warp_backwardIdddLi4ELb0ELb1ELi64EEEvPT0_PKT_S5_iiiPKb,"axG",@progbits,_ZN12_GLOBAL__N_121softmax_warp_backwardIdddLi4ELb0ELb1ELi64EEEvPT0_PKT_S5_iiiPKb,comdat
.Lfunc_end776:
	.size	_ZN12_GLOBAL__N_121softmax_warp_backwardIdddLi4ELb0ELb1ELi64EEEvPT0_PKT_S5_iiiPKb, .Lfunc_end776-_ZN12_GLOBAL__N_121softmax_warp_backwardIdddLi4ELb0ELb1ELi64EEEvPT0_PKT_S5_iiiPKb
                                        ; -- End function
	.section	.AMDGPU.csdata,"",@progbits
; Kernel info:
; codeLenInByte = 1060
; NumSgprs: 18
; NumVgprs: 25
; ScratchSize: 0
; MemoryBound: 0
; FloatMode: 240
; IeeeMode: 1
; LDSByteSize: 0 bytes/workgroup (compile time only)
; SGPRBlocks: 2
; VGPRBlocks: 3
; NumSGPRsForWavesPerEU: 18
; NumVGPRsForWavesPerEU: 25
; Occupancy: 16
; WaveLimiterHint : 0
; COMPUTE_PGM_RSRC2:SCRATCH_EN: 0
; COMPUTE_PGM_RSRC2:USER_SGPR: 15
; COMPUTE_PGM_RSRC2:TRAP_HANDLER: 0
; COMPUTE_PGM_RSRC2:TGID_X_EN: 1
; COMPUTE_PGM_RSRC2:TGID_Y_EN: 0
; COMPUTE_PGM_RSRC2:TGID_Z_EN: 0
; COMPUTE_PGM_RSRC2:TIDIG_COMP_CNT: 1
	.section	.text._ZN12_GLOBAL__N_121softmax_warp_backwardIdddLi4ELb0ELb1ELi32EEEvPT0_PKT_S5_iiiPKb,"axG",@progbits,_ZN12_GLOBAL__N_121softmax_warp_backwardIdddLi4ELb0ELb1ELi32EEEvPT0_PKT_S5_iiiPKb,comdat
	.globl	_ZN12_GLOBAL__N_121softmax_warp_backwardIdddLi4ELb0ELb1ELi32EEEvPT0_PKT_S5_iiiPKb ; -- Begin function _ZN12_GLOBAL__N_121softmax_warp_backwardIdddLi4ELb0ELb1ELi32EEEvPT0_PKT_S5_iiiPKb
	.p2align	8
	.type	_ZN12_GLOBAL__N_121softmax_warp_backwardIdddLi4ELb0ELb1ELi32EEEvPT0_PKT_S5_iiiPKb,@function
_ZN12_GLOBAL__N_121softmax_warp_backwardIdddLi4ELb0ELb1ELi32EEEvPT0_PKT_S5_iiiPKb: ; @_ZN12_GLOBAL__N_121softmax_warp_backwardIdddLi4ELb0ELb1ELi32EEEvPT0_PKT_S5_iiiPKb
; %bb.0:
	s_clause 0x1
	s_load_b32 s2, s[0:1], 0x3c
	s_load_b128 s[4:7], s[0:1], 0x18
	v_bfe_u32 v1, v0, 10, 10
	v_and_b32_e32 v4, 15, v0
	s_clause 0x1
	s_load_b128 s[8:11], s[0:1], 0x0
	s_load_b64 s[12:13], s[0:1], 0x10
	s_waitcnt lgkmcnt(0)
	s_lshr_b32 s2, s2, 16
	s_delay_alu instid0(SALU_CYCLE_1) | instskip(NEXT) | instid1(SALU_CYCLE_1)
	s_mul_i32 s15, s15, s2
	v_add_lshl_u32 v2, s15, v1, 1
	v_mov_b32_e32 v0, 0
	v_mov_b32_e32 v1, 0
	v_cmp_gt_i32_e32 vcc_lo, s6, v4
	s_delay_alu instid0(VALU_DEP_4) | instskip(SKIP_1) | instid1(VALU_DEP_4)
	v_mad_u64_u32 v[10:11], null, v2, s5, v[4:5]
	v_sub_nc_u32_e32 v22, s4, v2
	v_dual_mov_b32 v3, v1 :: v_dual_mov_b32 v2, v0
	v_dual_mov_b32 v7, v1 :: v_dual_mov_b32 v6, v0
	s_delay_alu instid0(VALU_DEP_3) | instskip(SKIP_1) | instid1(VALU_DEP_2)
	v_cmp_lt_i32_e64 s2, 0, v22
	v_ashrrev_i32_e32 v11, 31, v10
	s_and_b32 s4, vcc_lo, s2
	s_delay_alu instid0(VALU_DEP_1) | instskip(NEXT) | instid1(VALU_DEP_1)
	v_lshlrev_b64 v[8:9], 3, v[10:11]
	v_add_co_u32 v14, s3, s10, v8
	s_delay_alu instid0(VALU_DEP_1) | instskip(SKIP_1) | instid1(VALU_DEP_1)
	v_add_co_ci_u32_e64 v15, s3, s11, v9, s3
	v_add_co_u32 v12, s3, s12, v8
	v_add_co_ci_u32_e64 v13, s3, s13, v9, s3
	s_and_saveexec_b32 s3, s4
	s_cbranch_execz .LBB777_2
; %bb.1:
	global_load_b64 v[2:3], v[14:15], off
	global_load_b64 v[6:7], v[12:13], off
.LBB777_2:
	s_or_b32 exec_lo, exec_lo, s3
	v_cmp_lt_i32_e64 s3, 1, v22
	v_dual_mov_b32 v5, v1 :: v_dual_mov_b32 v4, v0
	s_delay_alu instid0(VALU_DEP_2) | instskip(NEXT) | instid1(SALU_CYCLE_1)
	s_and_b32 s3, vcc_lo, s3
	s_and_saveexec_b32 s4, s3
	s_cbranch_execz .LBB777_4
; %bb.3:
	s_mov_b32 s7, 0
	s_delay_alu instid0(SALU_CYCLE_1) | instskip(NEXT) | instid1(SALU_CYCLE_1)
	s_lshl_b64 s[10:11], s[6:7], 3
	v_add_co_u32 v0, s3, v14, s10
	s_delay_alu instid0(VALU_DEP_1) | instskip(SKIP_1) | instid1(VALU_DEP_1)
	v_add_co_ci_u32_e64 v1, s3, s11, v15, s3
	v_add_co_u32 v4, s3, v12, s10
	v_add_co_ci_u32_e64 v5, s3, s11, v13, s3
	global_load_b64 v[0:1], v[0:1], off
	global_load_b64 v[4:5], v[4:5], off
.LBB777_4:
	s_or_b32 exec_lo, exec_lo, s4
	s_load_b64 s[0:1], s[0:1], 0x28
	s_waitcnt vmcnt(1)
	v_add_f64 v[15:16], v[0:1], 0
	v_mbcnt_lo_u32_b32 v23, -1, 0
	s_delay_alu instid0(VALU_DEP_1) | instskip(SKIP_1) | instid1(VALU_DEP_2)
	v_and_b32_e32 v18, 16, v23
	v_xor_b32_e32 v19, 8, v23
	v_add_nc_u32_e32 v24, 16, v18
	s_waitcnt lgkmcnt(0)
	v_add_co_u32 v10, s0, s0, v10
	s_delay_alu instid0(VALU_DEP_1) | instskip(SKIP_1) | instid1(VALU_DEP_2)
	v_add_co_ci_u32_e64 v11, s0, s1, v11, s0
	s_ashr_i32 s1, s6, 31
	v_add_co_u32 v12, s0, v10, s6
	s_delay_alu instid0(VALU_DEP_1)
	v_add_co_ci_u32_e64 v13, s1, s1, v11, s0
	v_cmp_lt_i32_e64 s1, v19, v24
	s_clause 0x1
	global_load_u8 v10, v[10:11], off
	global_load_u8 v17, v[12:13], off
	v_add_f64 v[13:14], v[2:3], 0
	v_cndmask_b32_e64 v18, v23, v19, s1
	s_waitcnt vmcnt(1)
	v_and_b32_e32 v10, 1, v10
	s_waitcnt vmcnt(0)
	v_and_b32_e32 v17, 1, v17
	s_delay_alu instid0(VALU_DEP_2) | instskip(NEXT) | instid1(VALU_DEP_2)
	v_cmp_eq_u32_e64 s1, 1, v10
	v_cmp_eq_u32_e64 s3, 1, v17
	v_lshlrev_b32_e32 v10, 2, v18
	s_delay_alu instid0(VALU_DEP_3) | instskip(SKIP_1) | instid1(VALU_DEP_4)
	v_cndmask_b32_e64 v14, v14, 0, s1
	v_cndmask_b32_e64 v13, v13, 0, s1
	v_cndmask_b32_e64 v16, v16, 0, s3
	v_cndmask_b32_e64 v15, v15, 0, s3
	ds_bpermute_b32 v18, v10, v14
	ds_bpermute_b32 v17, v10, v13
	ds_bpermute_b32 v20, v10, v16
	ds_bpermute_b32 v19, v10, v15
	v_xor_b32_e32 v10, 4, v23
	s_delay_alu instid0(VALU_DEP_1) | instskip(NEXT) | instid1(VALU_DEP_1)
	v_cmp_lt_i32_e64 s3, v10, v24
	v_cndmask_b32_e64 v10, v23, v10, s3
	s_delay_alu instid0(VALU_DEP_1)
	v_lshlrev_b32_e32 v10, 2, v10
	s_waitcnt lgkmcnt(2)
	v_add_f64 v[13:14], v[13:14], v[17:18]
	s_waitcnt lgkmcnt(0)
	v_add_f64 v[15:16], v[15:16], v[19:20]
	ds_bpermute_b32 v17, v10, v13
	ds_bpermute_b32 v18, v10, v14
	ds_bpermute_b32 v19, v10, v15
	ds_bpermute_b32 v20, v10, v16
	v_xor_b32_e32 v10, 2, v23
	s_delay_alu instid0(VALU_DEP_1) | instskip(NEXT) | instid1(VALU_DEP_1)
	v_cmp_lt_i32_e64 s3, v10, v24
	v_cndmask_b32_e64 v10, v23, v10, s3
	s_delay_alu instid0(VALU_DEP_1)
	v_lshlrev_b32_e32 v10, 2, v10
	s_waitcnt lgkmcnt(2)
	v_add_f64 v[13:14], v[13:14], v[17:18]
	s_waitcnt lgkmcnt(0)
	v_add_f64 v[15:16], v[15:16], v[19:20]
	;; [unrolled: 14-line block ×3, first 2 shown]
	ds_bpermute_b32 v20, v10, v18
	ds_bpermute_b32 v21, v10, v19
	;; [unrolled: 1-line block ×4, first 2 shown]
	s_and_saveexec_b32 s3, s2
	s_cbranch_execz .LBB777_10
; %bb.5:
	v_add_co_u32 v8, s2, s8, v8
	s_delay_alu instid0(VALU_DEP_1)
	v_add_co_ci_u32_e64 v9, s2, s9, v9, s2
	s_and_saveexec_b32 s2, vcc_lo
	s_cbranch_execz .LBB777_7
; %bb.6:
	s_waitcnt lgkmcnt(2)
	v_add_f64 v[18:19], v[18:19], v[20:21]
	s_delay_alu instid0(VALU_DEP_1) | instskip(NEXT) | instid1(VALU_DEP_1)
	v_fma_f64 v[2:3], -v[18:19], v[6:7], v[2:3]
	v_cndmask_b32_e64 v3, v3, 0, s1
	s_delay_alu instid0(VALU_DEP_2)
	v_cndmask_b32_e64 v2, v2, 0, s1
	global_store_b64 v[8:9], v[2:3], off
.LBB777_7:
	s_or_b32 exec_lo, exec_lo, s2
	v_cmp_ne_u32_e64 s1, 1, v22
	s_delay_alu instid0(VALU_DEP_1)
	s_and_b32 exec_lo, exec_lo, s1
	s_cbranch_execz .LBB777_10
; %bb.8:
	s_and_b32 exec_lo, exec_lo, vcc_lo
	s_cbranch_execz .LBB777_10
; %bb.9:
	v_add_co_ci_u32_e64 v13, vcc_lo, 0, v11, s0
	s_waitcnt lgkmcnt(0)
	v_add_f64 v[2:3], v[14:15], v[16:17]
	s_mov_b32 s7, 0
	s_delay_alu instid0(SALU_CYCLE_1) | instskip(SKIP_4) | instid1(VALU_DEP_1)
	s_lshl_b64 s[0:1], s[6:7], 3
	global_load_u8 v6, v[12:13], off
	v_fma_f64 v[0:1], -v[2:3], v[4:5], v[0:1]
	s_waitcnt vmcnt(0)
	v_and_b32_e32 v2, 1, v6
	v_cmp_eq_u32_e32 vcc_lo, 1, v2
	v_add_co_u32 v2, s0, v8, s0
	s_delay_alu instid0(VALU_DEP_1)
	v_add_co_ci_u32_e64 v3, s0, s1, v9, s0
	v_cndmask_b32_e64 v1, v1, 0, vcc_lo
	v_cndmask_b32_e64 v0, v0, 0, vcc_lo
	global_store_b64 v[2:3], v[0:1], off
.LBB777_10:
	s_nop 0
	s_sendmsg sendmsg(MSG_DEALLOC_VGPRS)
	s_endpgm
	.section	.rodata,"a",@progbits
	.p2align	6, 0x0
	.amdhsa_kernel _ZN12_GLOBAL__N_121softmax_warp_backwardIdddLi4ELb0ELb1ELi32EEEvPT0_PKT_S5_iiiPKb
		.amdhsa_group_segment_fixed_size 0
		.amdhsa_private_segment_fixed_size 0
		.amdhsa_kernarg_size 304
		.amdhsa_user_sgpr_count 15
		.amdhsa_user_sgpr_dispatch_ptr 0
		.amdhsa_user_sgpr_queue_ptr 0
		.amdhsa_user_sgpr_kernarg_segment_ptr 1
		.amdhsa_user_sgpr_dispatch_id 0
		.amdhsa_user_sgpr_private_segment_size 0
		.amdhsa_wavefront_size32 1
		.amdhsa_uses_dynamic_stack 0
		.amdhsa_enable_private_segment 0
		.amdhsa_system_sgpr_workgroup_id_x 1
		.amdhsa_system_sgpr_workgroup_id_y 0
		.amdhsa_system_sgpr_workgroup_id_z 0
		.amdhsa_system_sgpr_workgroup_info 0
		.amdhsa_system_vgpr_workitem_id 1
		.amdhsa_next_free_vgpr 25
		.amdhsa_next_free_sgpr 16
		.amdhsa_reserve_vcc 1
		.amdhsa_float_round_mode_32 0
		.amdhsa_float_round_mode_16_64 0
		.amdhsa_float_denorm_mode_32 3
		.amdhsa_float_denorm_mode_16_64 3
		.amdhsa_dx10_clamp 1
		.amdhsa_ieee_mode 1
		.amdhsa_fp16_overflow 0
		.amdhsa_workgroup_processor_mode 1
		.amdhsa_memory_ordered 1
		.amdhsa_forward_progress 0
		.amdhsa_shared_vgpr_count 0
		.amdhsa_exception_fp_ieee_invalid_op 0
		.amdhsa_exception_fp_denorm_src 0
		.amdhsa_exception_fp_ieee_div_zero 0
		.amdhsa_exception_fp_ieee_overflow 0
		.amdhsa_exception_fp_ieee_underflow 0
		.amdhsa_exception_fp_ieee_inexact 0
		.amdhsa_exception_int_div_zero 0
	.end_amdhsa_kernel
	.section	.text._ZN12_GLOBAL__N_121softmax_warp_backwardIdddLi4ELb0ELb1ELi32EEEvPT0_PKT_S5_iiiPKb,"axG",@progbits,_ZN12_GLOBAL__N_121softmax_warp_backwardIdddLi4ELb0ELb1ELi32EEEvPT0_PKT_S5_iiiPKb,comdat
.Lfunc_end777:
	.size	_ZN12_GLOBAL__N_121softmax_warp_backwardIdddLi4ELb0ELb1ELi32EEEvPT0_PKT_S5_iiiPKb, .Lfunc_end777-_ZN12_GLOBAL__N_121softmax_warp_backwardIdddLi4ELb0ELb1ELi32EEEvPT0_PKT_S5_iiiPKb
                                        ; -- End function
	.section	.AMDGPU.csdata,"",@progbits
; Kernel info:
; codeLenInByte = 1060
; NumSgprs: 18
; NumVgprs: 25
; ScratchSize: 0
; MemoryBound: 0
; FloatMode: 240
; IeeeMode: 1
; LDSByteSize: 0 bytes/workgroup (compile time only)
; SGPRBlocks: 2
; VGPRBlocks: 3
; NumSGPRsForWavesPerEU: 18
; NumVGPRsForWavesPerEU: 25
; Occupancy: 16
; WaveLimiterHint : 0
; COMPUTE_PGM_RSRC2:SCRATCH_EN: 0
; COMPUTE_PGM_RSRC2:USER_SGPR: 15
; COMPUTE_PGM_RSRC2:TRAP_HANDLER: 0
; COMPUTE_PGM_RSRC2:TGID_X_EN: 1
; COMPUTE_PGM_RSRC2:TGID_Y_EN: 0
; COMPUTE_PGM_RSRC2:TGID_Z_EN: 0
; COMPUTE_PGM_RSRC2:TIDIG_COMP_CNT: 1
	.section	.text._ZN12_GLOBAL__N_121softmax_warp_backwardIdddLi5ELb0ELb1ELi64EEEvPT0_PKT_S5_iiiPKb,"axG",@progbits,_ZN12_GLOBAL__N_121softmax_warp_backwardIdddLi5ELb0ELb1ELi64EEEvPT0_PKT_S5_iiiPKb,comdat
	.globl	_ZN12_GLOBAL__N_121softmax_warp_backwardIdddLi5ELb0ELb1ELi64EEEvPT0_PKT_S5_iiiPKb ; -- Begin function _ZN12_GLOBAL__N_121softmax_warp_backwardIdddLi5ELb0ELb1ELi64EEEvPT0_PKT_S5_iiiPKb
	.p2align	8
	.type	_ZN12_GLOBAL__N_121softmax_warp_backwardIdddLi5ELb0ELb1ELi64EEEvPT0_PKT_S5_iiiPKb,@function
_ZN12_GLOBAL__N_121softmax_warp_backwardIdddLi5ELb0ELb1ELi64EEEvPT0_PKT_S5_iiiPKb: ; @_ZN12_GLOBAL__N_121softmax_warp_backwardIdddLi5ELb0ELb1ELi64EEEvPT0_PKT_S5_iiiPKb
; %bb.0:
	s_clause 0x1
	s_load_b32 s2, s[0:1], 0x3c
	s_load_b128 s[4:7], s[0:1], 0x18
	v_bfe_u32 v1, v0, 10, 10
	v_and_b32_e32 v4, 31, v0
	s_clause 0x1
	s_load_b128 s[8:11], s[0:1], 0x0
	s_load_b64 s[12:13], s[0:1], 0x10
	s_waitcnt lgkmcnt(0)
	s_lshr_b32 s2, s2, 16
	s_delay_alu instid0(SALU_CYCLE_1) | instskip(NEXT) | instid1(SALU_CYCLE_1)
	s_mul_i32 s15, s15, s2
	v_add_lshl_u32 v2, s15, v1, 1
	v_mov_b32_e32 v0, 0
	v_mov_b32_e32 v1, 0
	v_cmp_gt_i32_e32 vcc_lo, s6, v4
	s_delay_alu instid0(VALU_DEP_4) | instskip(SKIP_1) | instid1(VALU_DEP_4)
	v_mad_u64_u32 v[10:11], null, v2, s5, v[4:5]
	v_sub_nc_u32_e32 v22, s4, v2
	v_dual_mov_b32 v3, v1 :: v_dual_mov_b32 v2, v0
	v_dual_mov_b32 v7, v1 :: v_dual_mov_b32 v6, v0
	s_delay_alu instid0(VALU_DEP_3) | instskip(SKIP_1) | instid1(VALU_DEP_2)
	v_cmp_lt_i32_e64 s2, 0, v22
	v_ashrrev_i32_e32 v11, 31, v10
	s_and_b32 s4, vcc_lo, s2
	s_delay_alu instid0(VALU_DEP_1) | instskip(NEXT) | instid1(VALU_DEP_1)
	v_lshlrev_b64 v[8:9], 3, v[10:11]
	v_add_co_u32 v14, s3, s10, v8
	s_delay_alu instid0(VALU_DEP_1) | instskip(SKIP_1) | instid1(VALU_DEP_1)
	v_add_co_ci_u32_e64 v15, s3, s11, v9, s3
	v_add_co_u32 v12, s3, s12, v8
	v_add_co_ci_u32_e64 v13, s3, s13, v9, s3
	s_and_saveexec_b32 s3, s4
	s_cbranch_execz .LBB778_2
; %bb.1:
	global_load_b64 v[2:3], v[14:15], off
	global_load_b64 v[6:7], v[12:13], off
.LBB778_2:
	s_or_b32 exec_lo, exec_lo, s3
	v_cmp_lt_i32_e64 s3, 1, v22
	v_dual_mov_b32 v5, v1 :: v_dual_mov_b32 v4, v0
	s_delay_alu instid0(VALU_DEP_2) | instskip(NEXT) | instid1(SALU_CYCLE_1)
	s_and_b32 s3, vcc_lo, s3
	s_and_saveexec_b32 s4, s3
	s_cbranch_execz .LBB778_4
; %bb.3:
	s_mov_b32 s7, 0
	s_delay_alu instid0(SALU_CYCLE_1) | instskip(NEXT) | instid1(SALU_CYCLE_1)
	s_lshl_b64 s[10:11], s[6:7], 3
	v_add_co_u32 v0, s3, v14, s10
	s_delay_alu instid0(VALU_DEP_1) | instskip(SKIP_1) | instid1(VALU_DEP_1)
	v_add_co_ci_u32_e64 v1, s3, s11, v15, s3
	v_add_co_u32 v4, s3, v12, s10
	v_add_co_ci_u32_e64 v5, s3, s11, v13, s3
	global_load_b64 v[0:1], v[0:1], off
	global_load_b64 v[4:5], v[4:5], off
.LBB778_4:
	s_or_b32 exec_lo, exec_lo, s4
	s_load_b64 s[0:1], s[0:1], 0x28
	s_waitcnt vmcnt(1)
	v_add_f64 v[15:16], v[0:1], 0
	v_mbcnt_lo_u32_b32 v23, -1, 0
	s_delay_alu instid0(VALU_DEP_1) | instskip(SKIP_2) | instid1(VALU_DEP_1)
	v_xor_b32_e32 v18, 16, v23
	s_waitcnt lgkmcnt(0)
	v_add_co_u32 v10, s0, s0, v10
	v_add_co_ci_u32_e64 v11, s0, s1, v11, s0
	s_ashr_i32 s1, s6, 31
	s_delay_alu instid0(VALU_DEP_2) | instskip(NEXT) | instid1(VALU_DEP_1)
	v_add_co_u32 v12, s0, v10, s6
	v_add_co_ci_u32_e64 v13, s1, s1, v11, s0
	v_cmp_gt_i32_e64 s1, 32, v18
	s_clause 0x1
	global_load_u8 v10, v[10:11], off
	global_load_u8 v17, v[12:13], off
	v_add_f64 v[13:14], v[2:3], 0
	v_cndmask_b32_e64 v18, v23, v18, s1
	s_waitcnt vmcnt(1)
	v_and_b32_e32 v10, 1, v10
	s_waitcnt vmcnt(0)
	v_and_b32_e32 v17, 1, v17
	s_delay_alu instid0(VALU_DEP_2) | instskip(NEXT) | instid1(VALU_DEP_2)
	v_cmp_eq_u32_e64 s1, 1, v10
	v_cmp_eq_u32_e64 s3, 1, v17
	v_lshlrev_b32_e32 v10, 2, v18
	s_delay_alu instid0(VALU_DEP_3) | instskip(SKIP_1) | instid1(VALU_DEP_4)
	v_cndmask_b32_e64 v14, v14, 0, s1
	v_cndmask_b32_e64 v13, v13, 0, s1
	;; [unrolled: 1-line block ×4, first 2 shown]
	ds_bpermute_b32 v18, v10, v14
	ds_bpermute_b32 v17, v10, v13
	ds_bpermute_b32 v20, v10, v16
	ds_bpermute_b32 v19, v10, v15
	v_xor_b32_e32 v10, 8, v23
	s_delay_alu instid0(VALU_DEP_1) | instskip(NEXT) | instid1(VALU_DEP_1)
	v_cmp_gt_i32_e64 s3, 32, v10
	v_cndmask_b32_e64 v10, v23, v10, s3
	s_delay_alu instid0(VALU_DEP_1)
	v_lshlrev_b32_e32 v10, 2, v10
	s_waitcnt lgkmcnt(2)
	v_add_f64 v[13:14], v[13:14], v[17:18]
	s_waitcnt lgkmcnt(0)
	v_add_f64 v[15:16], v[15:16], v[19:20]
	ds_bpermute_b32 v17, v10, v13
	ds_bpermute_b32 v18, v10, v14
	ds_bpermute_b32 v19, v10, v15
	ds_bpermute_b32 v20, v10, v16
	v_xor_b32_e32 v10, 4, v23
	s_delay_alu instid0(VALU_DEP_1) | instskip(NEXT) | instid1(VALU_DEP_1)
	v_cmp_gt_i32_e64 s3, 32, v10
	v_cndmask_b32_e64 v10, v23, v10, s3
	s_delay_alu instid0(VALU_DEP_1)
	v_lshlrev_b32_e32 v10, 2, v10
	s_waitcnt lgkmcnt(2)
	v_add_f64 v[13:14], v[13:14], v[17:18]
	s_waitcnt lgkmcnt(0)
	v_add_f64 v[15:16], v[15:16], v[19:20]
	;; [unrolled: 14-line block ×4, first 2 shown]
	ds_bpermute_b32 v20, v10, v18
	ds_bpermute_b32 v21, v10, v19
	;; [unrolled: 1-line block ×4, first 2 shown]
	s_and_saveexec_b32 s3, s2
	s_cbranch_execz .LBB778_10
; %bb.5:
	v_add_co_u32 v8, s2, s8, v8
	s_delay_alu instid0(VALU_DEP_1)
	v_add_co_ci_u32_e64 v9, s2, s9, v9, s2
	s_and_saveexec_b32 s2, vcc_lo
	s_cbranch_execz .LBB778_7
; %bb.6:
	s_waitcnt lgkmcnt(2)
	v_add_f64 v[18:19], v[18:19], v[20:21]
	s_delay_alu instid0(VALU_DEP_1) | instskip(NEXT) | instid1(VALU_DEP_1)
	v_fma_f64 v[2:3], -v[18:19], v[6:7], v[2:3]
	v_cndmask_b32_e64 v3, v3, 0, s1
	s_delay_alu instid0(VALU_DEP_2)
	v_cndmask_b32_e64 v2, v2, 0, s1
	global_store_b64 v[8:9], v[2:3], off
.LBB778_7:
	s_or_b32 exec_lo, exec_lo, s2
	v_cmp_ne_u32_e64 s1, 1, v22
	s_delay_alu instid0(VALU_DEP_1)
	s_and_b32 exec_lo, exec_lo, s1
	s_cbranch_execz .LBB778_10
; %bb.8:
	s_and_b32 exec_lo, exec_lo, vcc_lo
	s_cbranch_execz .LBB778_10
; %bb.9:
	v_add_co_ci_u32_e64 v13, vcc_lo, 0, v11, s0
	s_waitcnt lgkmcnt(0)
	v_add_f64 v[2:3], v[14:15], v[16:17]
	s_mov_b32 s7, 0
	s_delay_alu instid0(SALU_CYCLE_1) | instskip(SKIP_4) | instid1(VALU_DEP_1)
	s_lshl_b64 s[0:1], s[6:7], 3
	global_load_u8 v6, v[12:13], off
	v_fma_f64 v[0:1], -v[2:3], v[4:5], v[0:1]
	s_waitcnt vmcnt(0)
	v_and_b32_e32 v2, 1, v6
	v_cmp_eq_u32_e32 vcc_lo, 1, v2
	v_add_co_u32 v2, s0, v8, s0
	s_delay_alu instid0(VALU_DEP_1)
	v_add_co_ci_u32_e64 v3, s0, s1, v9, s0
	v_cndmask_b32_e64 v1, v1, 0, vcc_lo
	v_cndmask_b32_e64 v0, v0, 0, vcc_lo
	global_store_b64 v[2:3], v[0:1], off
.LBB778_10:
	s_nop 0
	s_sendmsg sendmsg(MSG_DEALLOC_VGPRS)
	s_endpgm
	.section	.rodata,"a",@progbits
	.p2align	6, 0x0
	.amdhsa_kernel _ZN12_GLOBAL__N_121softmax_warp_backwardIdddLi5ELb0ELb1ELi64EEEvPT0_PKT_S5_iiiPKb
		.amdhsa_group_segment_fixed_size 0
		.amdhsa_private_segment_fixed_size 0
		.amdhsa_kernarg_size 304
		.amdhsa_user_sgpr_count 15
		.amdhsa_user_sgpr_dispatch_ptr 0
		.amdhsa_user_sgpr_queue_ptr 0
		.amdhsa_user_sgpr_kernarg_segment_ptr 1
		.amdhsa_user_sgpr_dispatch_id 0
		.amdhsa_user_sgpr_private_segment_size 0
		.amdhsa_wavefront_size32 1
		.amdhsa_uses_dynamic_stack 0
		.amdhsa_enable_private_segment 0
		.amdhsa_system_sgpr_workgroup_id_x 1
		.amdhsa_system_sgpr_workgroup_id_y 0
		.amdhsa_system_sgpr_workgroup_id_z 0
		.amdhsa_system_sgpr_workgroup_info 0
		.amdhsa_system_vgpr_workitem_id 1
		.amdhsa_next_free_vgpr 24
		.amdhsa_next_free_sgpr 16
		.amdhsa_reserve_vcc 1
		.amdhsa_float_round_mode_32 0
		.amdhsa_float_round_mode_16_64 0
		.amdhsa_float_denorm_mode_32 3
		.amdhsa_float_denorm_mode_16_64 3
		.amdhsa_dx10_clamp 1
		.amdhsa_ieee_mode 1
		.amdhsa_fp16_overflow 0
		.amdhsa_workgroup_processor_mode 1
		.amdhsa_memory_ordered 1
		.amdhsa_forward_progress 0
		.amdhsa_shared_vgpr_count 0
		.amdhsa_exception_fp_ieee_invalid_op 0
		.amdhsa_exception_fp_denorm_src 0
		.amdhsa_exception_fp_ieee_div_zero 0
		.amdhsa_exception_fp_ieee_overflow 0
		.amdhsa_exception_fp_ieee_underflow 0
		.amdhsa_exception_fp_ieee_inexact 0
		.amdhsa_exception_int_div_zero 0
	.end_amdhsa_kernel
	.section	.text._ZN12_GLOBAL__N_121softmax_warp_backwardIdddLi5ELb0ELb1ELi64EEEvPT0_PKT_S5_iiiPKb,"axG",@progbits,_ZN12_GLOBAL__N_121softmax_warp_backwardIdddLi5ELb0ELb1ELi64EEEvPT0_PKT_S5_iiiPKb,comdat
.Lfunc_end778:
	.size	_ZN12_GLOBAL__N_121softmax_warp_backwardIdddLi5ELb0ELb1ELi64EEEvPT0_PKT_S5_iiiPKb, .Lfunc_end778-_ZN12_GLOBAL__N_121softmax_warp_backwardIdddLi5ELb0ELb1ELi64EEEvPT0_PKT_S5_iiiPKb
                                        ; -- End function
	.section	.AMDGPU.csdata,"",@progbits
; Kernel info:
; codeLenInByte = 1136
; NumSgprs: 18
; NumVgprs: 24
; ScratchSize: 0
; MemoryBound: 0
; FloatMode: 240
; IeeeMode: 1
; LDSByteSize: 0 bytes/workgroup (compile time only)
; SGPRBlocks: 2
; VGPRBlocks: 2
; NumSGPRsForWavesPerEU: 18
; NumVGPRsForWavesPerEU: 24
; Occupancy: 16
; WaveLimiterHint : 0
; COMPUTE_PGM_RSRC2:SCRATCH_EN: 0
; COMPUTE_PGM_RSRC2:USER_SGPR: 15
; COMPUTE_PGM_RSRC2:TRAP_HANDLER: 0
; COMPUTE_PGM_RSRC2:TGID_X_EN: 1
; COMPUTE_PGM_RSRC2:TGID_Y_EN: 0
; COMPUTE_PGM_RSRC2:TGID_Z_EN: 0
; COMPUTE_PGM_RSRC2:TIDIG_COMP_CNT: 1
	.section	.text._ZN12_GLOBAL__N_121softmax_warp_backwardIdddLi5ELb0ELb1ELi32EEEvPT0_PKT_S5_iiiPKb,"axG",@progbits,_ZN12_GLOBAL__N_121softmax_warp_backwardIdddLi5ELb0ELb1ELi32EEEvPT0_PKT_S5_iiiPKb,comdat
	.globl	_ZN12_GLOBAL__N_121softmax_warp_backwardIdddLi5ELb0ELb1ELi32EEEvPT0_PKT_S5_iiiPKb ; -- Begin function _ZN12_GLOBAL__N_121softmax_warp_backwardIdddLi5ELb0ELb1ELi32EEEvPT0_PKT_S5_iiiPKb
	.p2align	8
	.type	_ZN12_GLOBAL__N_121softmax_warp_backwardIdddLi5ELb0ELb1ELi32EEEvPT0_PKT_S5_iiiPKb,@function
_ZN12_GLOBAL__N_121softmax_warp_backwardIdddLi5ELb0ELb1ELi32EEEvPT0_PKT_S5_iiiPKb: ; @_ZN12_GLOBAL__N_121softmax_warp_backwardIdddLi5ELb0ELb1ELi32EEEvPT0_PKT_S5_iiiPKb
; %bb.0:
	s_clause 0x1
	s_load_b32 s2, s[0:1], 0x3c
	s_load_b128 s[4:7], s[0:1], 0x18
	v_bfe_u32 v1, v0, 10, 10
	v_and_b32_e32 v4, 31, v0
	s_clause 0x1
	s_load_b128 s[8:11], s[0:1], 0x0
	s_load_b64 s[12:13], s[0:1], 0x10
	s_waitcnt lgkmcnt(0)
	s_lshr_b32 s2, s2, 16
	s_delay_alu instid0(SALU_CYCLE_1) | instskip(NEXT) | instid1(SALU_CYCLE_1)
	s_mul_i32 s15, s15, s2
	v_add_lshl_u32 v2, s15, v1, 1
	v_mov_b32_e32 v0, 0
	v_mov_b32_e32 v1, 0
	v_cmp_gt_i32_e32 vcc_lo, s6, v4
	s_delay_alu instid0(VALU_DEP_4) | instskip(SKIP_1) | instid1(VALU_DEP_4)
	v_mad_u64_u32 v[10:11], null, v2, s5, v[4:5]
	v_sub_nc_u32_e32 v22, s4, v2
	v_dual_mov_b32 v3, v1 :: v_dual_mov_b32 v2, v0
	v_dual_mov_b32 v7, v1 :: v_dual_mov_b32 v6, v0
	s_delay_alu instid0(VALU_DEP_3) | instskip(SKIP_1) | instid1(VALU_DEP_2)
	v_cmp_lt_i32_e64 s2, 0, v22
	v_ashrrev_i32_e32 v11, 31, v10
	s_and_b32 s4, vcc_lo, s2
	s_delay_alu instid0(VALU_DEP_1) | instskip(NEXT) | instid1(VALU_DEP_1)
	v_lshlrev_b64 v[8:9], 3, v[10:11]
	v_add_co_u32 v14, s3, s10, v8
	s_delay_alu instid0(VALU_DEP_1) | instskip(SKIP_1) | instid1(VALU_DEP_1)
	v_add_co_ci_u32_e64 v15, s3, s11, v9, s3
	v_add_co_u32 v12, s3, s12, v8
	v_add_co_ci_u32_e64 v13, s3, s13, v9, s3
	s_and_saveexec_b32 s3, s4
	s_cbranch_execz .LBB779_2
; %bb.1:
	global_load_b64 v[2:3], v[14:15], off
	global_load_b64 v[6:7], v[12:13], off
.LBB779_2:
	s_or_b32 exec_lo, exec_lo, s3
	v_cmp_lt_i32_e64 s3, 1, v22
	v_dual_mov_b32 v5, v1 :: v_dual_mov_b32 v4, v0
	s_delay_alu instid0(VALU_DEP_2) | instskip(NEXT) | instid1(SALU_CYCLE_1)
	s_and_b32 s3, vcc_lo, s3
	s_and_saveexec_b32 s4, s3
	s_cbranch_execz .LBB779_4
; %bb.3:
	s_mov_b32 s7, 0
	s_delay_alu instid0(SALU_CYCLE_1) | instskip(NEXT) | instid1(SALU_CYCLE_1)
	s_lshl_b64 s[10:11], s[6:7], 3
	v_add_co_u32 v0, s3, v14, s10
	s_delay_alu instid0(VALU_DEP_1) | instskip(SKIP_1) | instid1(VALU_DEP_1)
	v_add_co_ci_u32_e64 v1, s3, s11, v15, s3
	v_add_co_u32 v4, s3, v12, s10
	v_add_co_ci_u32_e64 v5, s3, s11, v13, s3
	global_load_b64 v[0:1], v[0:1], off
	global_load_b64 v[4:5], v[4:5], off
.LBB779_4:
	s_or_b32 exec_lo, exec_lo, s4
	s_load_b64 s[0:1], s[0:1], 0x28
	s_waitcnt vmcnt(1)
	v_add_f64 v[15:16], v[0:1], 0
	v_mbcnt_lo_u32_b32 v23, -1, 0
	s_delay_alu instid0(VALU_DEP_1) | instskip(SKIP_2) | instid1(VALU_DEP_1)
	v_xor_b32_e32 v18, 16, v23
	s_waitcnt lgkmcnt(0)
	v_add_co_u32 v10, s0, s0, v10
	v_add_co_ci_u32_e64 v11, s0, s1, v11, s0
	s_ashr_i32 s1, s6, 31
	s_delay_alu instid0(VALU_DEP_2) | instskip(NEXT) | instid1(VALU_DEP_1)
	v_add_co_u32 v12, s0, v10, s6
	v_add_co_ci_u32_e64 v13, s1, s1, v11, s0
	v_cmp_gt_i32_e64 s1, 32, v18
	s_clause 0x1
	global_load_u8 v10, v[10:11], off
	global_load_u8 v17, v[12:13], off
	v_add_f64 v[13:14], v[2:3], 0
	v_cndmask_b32_e64 v18, v23, v18, s1
	s_waitcnt vmcnt(1)
	v_and_b32_e32 v10, 1, v10
	s_waitcnt vmcnt(0)
	v_and_b32_e32 v17, 1, v17
	s_delay_alu instid0(VALU_DEP_2) | instskip(NEXT) | instid1(VALU_DEP_2)
	v_cmp_eq_u32_e64 s1, 1, v10
	v_cmp_eq_u32_e64 s3, 1, v17
	v_lshlrev_b32_e32 v10, 2, v18
	s_delay_alu instid0(VALU_DEP_3) | instskip(SKIP_1) | instid1(VALU_DEP_4)
	v_cndmask_b32_e64 v14, v14, 0, s1
	v_cndmask_b32_e64 v13, v13, 0, s1
	;; [unrolled: 1-line block ×4, first 2 shown]
	ds_bpermute_b32 v18, v10, v14
	ds_bpermute_b32 v17, v10, v13
	ds_bpermute_b32 v20, v10, v16
	ds_bpermute_b32 v19, v10, v15
	v_xor_b32_e32 v10, 8, v23
	s_delay_alu instid0(VALU_DEP_1) | instskip(NEXT) | instid1(VALU_DEP_1)
	v_cmp_gt_i32_e64 s3, 32, v10
	v_cndmask_b32_e64 v10, v23, v10, s3
	s_delay_alu instid0(VALU_DEP_1)
	v_lshlrev_b32_e32 v10, 2, v10
	s_waitcnt lgkmcnt(2)
	v_add_f64 v[13:14], v[13:14], v[17:18]
	s_waitcnt lgkmcnt(0)
	v_add_f64 v[15:16], v[15:16], v[19:20]
	ds_bpermute_b32 v17, v10, v13
	ds_bpermute_b32 v18, v10, v14
	ds_bpermute_b32 v19, v10, v15
	ds_bpermute_b32 v20, v10, v16
	v_xor_b32_e32 v10, 4, v23
	s_delay_alu instid0(VALU_DEP_1) | instskip(NEXT) | instid1(VALU_DEP_1)
	v_cmp_gt_i32_e64 s3, 32, v10
	v_cndmask_b32_e64 v10, v23, v10, s3
	s_delay_alu instid0(VALU_DEP_1)
	v_lshlrev_b32_e32 v10, 2, v10
	s_waitcnt lgkmcnt(2)
	v_add_f64 v[13:14], v[13:14], v[17:18]
	s_waitcnt lgkmcnt(0)
	v_add_f64 v[15:16], v[15:16], v[19:20]
	;; [unrolled: 14-line block ×4, first 2 shown]
	ds_bpermute_b32 v20, v10, v18
	ds_bpermute_b32 v21, v10, v19
	ds_bpermute_b32 v16, v10, v14
	ds_bpermute_b32 v17, v10, v15
	s_and_saveexec_b32 s3, s2
	s_cbranch_execz .LBB779_10
; %bb.5:
	v_add_co_u32 v8, s2, s8, v8
	s_delay_alu instid0(VALU_DEP_1)
	v_add_co_ci_u32_e64 v9, s2, s9, v9, s2
	s_and_saveexec_b32 s2, vcc_lo
	s_cbranch_execz .LBB779_7
; %bb.6:
	s_waitcnt lgkmcnt(2)
	v_add_f64 v[18:19], v[18:19], v[20:21]
	s_delay_alu instid0(VALU_DEP_1) | instskip(NEXT) | instid1(VALU_DEP_1)
	v_fma_f64 v[2:3], -v[18:19], v[6:7], v[2:3]
	v_cndmask_b32_e64 v3, v3, 0, s1
	s_delay_alu instid0(VALU_DEP_2)
	v_cndmask_b32_e64 v2, v2, 0, s1
	global_store_b64 v[8:9], v[2:3], off
.LBB779_7:
	s_or_b32 exec_lo, exec_lo, s2
	v_cmp_ne_u32_e64 s1, 1, v22
	s_delay_alu instid0(VALU_DEP_1)
	s_and_b32 exec_lo, exec_lo, s1
	s_cbranch_execz .LBB779_10
; %bb.8:
	s_and_b32 exec_lo, exec_lo, vcc_lo
	s_cbranch_execz .LBB779_10
; %bb.9:
	v_add_co_ci_u32_e64 v13, vcc_lo, 0, v11, s0
	s_waitcnt lgkmcnt(0)
	v_add_f64 v[2:3], v[14:15], v[16:17]
	s_mov_b32 s7, 0
	s_delay_alu instid0(SALU_CYCLE_1) | instskip(SKIP_4) | instid1(VALU_DEP_1)
	s_lshl_b64 s[0:1], s[6:7], 3
	global_load_u8 v6, v[12:13], off
	v_fma_f64 v[0:1], -v[2:3], v[4:5], v[0:1]
	s_waitcnt vmcnt(0)
	v_and_b32_e32 v2, 1, v6
	v_cmp_eq_u32_e32 vcc_lo, 1, v2
	v_add_co_u32 v2, s0, v8, s0
	s_delay_alu instid0(VALU_DEP_1)
	v_add_co_ci_u32_e64 v3, s0, s1, v9, s0
	v_cndmask_b32_e64 v1, v1, 0, vcc_lo
	v_cndmask_b32_e64 v0, v0, 0, vcc_lo
	global_store_b64 v[2:3], v[0:1], off
.LBB779_10:
	s_nop 0
	s_sendmsg sendmsg(MSG_DEALLOC_VGPRS)
	s_endpgm
	.section	.rodata,"a",@progbits
	.p2align	6, 0x0
	.amdhsa_kernel _ZN12_GLOBAL__N_121softmax_warp_backwardIdddLi5ELb0ELb1ELi32EEEvPT0_PKT_S5_iiiPKb
		.amdhsa_group_segment_fixed_size 0
		.amdhsa_private_segment_fixed_size 0
		.amdhsa_kernarg_size 304
		.amdhsa_user_sgpr_count 15
		.amdhsa_user_sgpr_dispatch_ptr 0
		.amdhsa_user_sgpr_queue_ptr 0
		.amdhsa_user_sgpr_kernarg_segment_ptr 1
		.amdhsa_user_sgpr_dispatch_id 0
		.amdhsa_user_sgpr_private_segment_size 0
		.amdhsa_wavefront_size32 1
		.amdhsa_uses_dynamic_stack 0
		.amdhsa_enable_private_segment 0
		.amdhsa_system_sgpr_workgroup_id_x 1
		.amdhsa_system_sgpr_workgroup_id_y 0
		.amdhsa_system_sgpr_workgroup_id_z 0
		.amdhsa_system_sgpr_workgroup_info 0
		.amdhsa_system_vgpr_workitem_id 1
		.amdhsa_next_free_vgpr 24
		.amdhsa_next_free_sgpr 16
		.amdhsa_reserve_vcc 1
		.amdhsa_float_round_mode_32 0
		.amdhsa_float_round_mode_16_64 0
		.amdhsa_float_denorm_mode_32 3
		.amdhsa_float_denorm_mode_16_64 3
		.amdhsa_dx10_clamp 1
		.amdhsa_ieee_mode 1
		.amdhsa_fp16_overflow 0
		.amdhsa_workgroup_processor_mode 1
		.amdhsa_memory_ordered 1
		.amdhsa_forward_progress 0
		.amdhsa_shared_vgpr_count 0
		.amdhsa_exception_fp_ieee_invalid_op 0
		.amdhsa_exception_fp_denorm_src 0
		.amdhsa_exception_fp_ieee_div_zero 0
		.amdhsa_exception_fp_ieee_overflow 0
		.amdhsa_exception_fp_ieee_underflow 0
		.amdhsa_exception_fp_ieee_inexact 0
		.amdhsa_exception_int_div_zero 0
	.end_amdhsa_kernel
	.section	.text._ZN12_GLOBAL__N_121softmax_warp_backwardIdddLi5ELb0ELb1ELi32EEEvPT0_PKT_S5_iiiPKb,"axG",@progbits,_ZN12_GLOBAL__N_121softmax_warp_backwardIdddLi5ELb0ELb1ELi32EEEvPT0_PKT_S5_iiiPKb,comdat
.Lfunc_end779:
	.size	_ZN12_GLOBAL__N_121softmax_warp_backwardIdddLi5ELb0ELb1ELi32EEEvPT0_PKT_S5_iiiPKb, .Lfunc_end779-_ZN12_GLOBAL__N_121softmax_warp_backwardIdddLi5ELb0ELb1ELi32EEEvPT0_PKT_S5_iiiPKb
                                        ; -- End function
	.section	.AMDGPU.csdata,"",@progbits
; Kernel info:
; codeLenInByte = 1136
; NumSgprs: 18
; NumVgprs: 24
; ScratchSize: 0
; MemoryBound: 0
; FloatMode: 240
; IeeeMode: 1
; LDSByteSize: 0 bytes/workgroup (compile time only)
; SGPRBlocks: 2
; VGPRBlocks: 2
; NumSGPRsForWavesPerEU: 18
; NumVGPRsForWavesPerEU: 24
; Occupancy: 16
; WaveLimiterHint : 0
; COMPUTE_PGM_RSRC2:SCRATCH_EN: 0
; COMPUTE_PGM_RSRC2:USER_SGPR: 15
; COMPUTE_PGM_RSRC2:TRAP_HANDLER: 0
; COMPUTE_PGM_RSRC2:TGID_X_EN: 1
; COMPUTE_PGM_RSRC2:TGID_Y_EN: 0
; COMPUTE_PGM_RSRC2:TGID_Z_EN: 0
; COMPUTE_PGM_RSRC2:TIDIG_COMP_CNT: 1
	.section	.text._ZN12_GLOBAL__N_121softmax_warp_backwardIdddLi6ELb0ELb1ELi64EEEvPT0_PKT_S5_iiiPKb,"axG",@progbits,_ZN12_GLOBAL__N_121softmax_warp_backwardIdddLi6ELb0ELb1ELi64EEEvPT0_PKT_S5_iiiPKb,comdat
	.globl	_ZN12_GLOBAL__N_121softmax_warp_backwardIdddLi6ELb0ELb1ELi64EEEvPT0_PKT_S5_iiiPKb ; -- Begin function _ZN12_GLOBAL__N_121softmax_warp_backwardIdddLi6ELb0ELb1ELi64EEEvPT0_PKT_S5_iiiPKb
	.p2align	8
	.type	_ZN12_GLOBAL__N_121softmax_warp_backwardIdddLi6ELb0ELb1ELi64EEEvPT0_PKT_S5_iiiPKb,@function
_ZN12_GLOBAL__N_121softmax_warp_backwardIdddLi6ELb0ELb1ELi64EEEvPT0_PKT_S5_iiiPKb: ; @_ZN12_GLOBAL__N_121softmax_warp_backwardIdddLi6ELb0ELb1ELi64EEEvPT0_PKT_S5_iiiPKb
; %bb.0:
	s_clause 0x1
	s_load_b32 s2, s[0:1], 0x3c
	s_load_b128 s[4:7], s[0:1], 0x18
	v_bfe_u32 v1, v0, 10, 10
	v_and_b32_e32 v4, 63, v0
	s_clause 0x1
	s_load_b128 s[8:11], s[0:1], 0x0
	s_load_b64 s[12:13], s[0:1], 0x10
	s_waitcnt lgkmcnt(0)
	s_lshr_b32 s2, s2, 16
	s_delay_alu instid0(SALU_CYCLE_1) | instskip(NEXT) | instid1(SALU_CYCLE_1)
	s_mul_i32 s15, s15, s2
	v_add_lshl_u32 v2, s15, v1, 1
	v_mov_b32_e32 v0, 0
	v_mov_b32_e32 v1, 0
	v_cmp_gt_i32_e32 vcc_lo, s6, v4
	s_delay_alu instid0(VALU_DEP_4) | instskip(SKIP_1) | instid1(VALU_DEP_4)
	v_mad_u64_u32 v[10:11], null, v2, s5, v[4:5]
	v_sub_nc_u32_e32 v22, s4, v2
	v_dual_mov_b32 v3, v1 :: v_dual_mov_b32 v2, v0
	v_dual_mov_b32 v7, v1 :: v_dual_mov_b32 v6, v0
	s_delay_alu instid0(VALU_DEP_3) | instskip(SKIP_1) | instid1(VALU_DEP_2)
	v_cmp_lt_i32_e64 s2, 0, v22
	v_ashrrev_i32_e32 v11, 31, v10
	s_and_b32 s4, vcc_lo, s2
	s_delay_alu instid0(VALU_DEP_1) | instskip(NEXT) | instid1(VALU_DEP_1)
	v_lshlrev_b64 v[8:9], 3, v[10:11]
	v_add_co_u32 v14, s3, s10, v8
	s_delay_alu instid0(VALU_DEP_1) | instskip(SKIP_1) | instid1(VALU_DEP_1)
	v_add_co_ci_u32_e64 v15, s3, s11, v9, s3
	v_add_co_u32 v12, s3, s12, v8
	v_add_co_ci_u32_e64 v13, s3, s13, v9, s3
	s_and_saveexec_b32 s3, s4
	s_cbranch_execz .LBB780_2
; %bb.1:
	global_load_b64 v[2:3], v[14:15], off
	global_load_b64 v[6:7], v[12:13], off
.LBB780_2:
	s_or_b32 exec_lo, exec_lo, s3
	v_cmp_lt_i32_e64 s3, 1, v22
	v_dual_mov_b32 v5, v1 :: v_dual_mov_b32 v4, v0
	s_delay_alu instid0(VALU_DEP_2) | instskip(NEXT) | instid1(SALU_CYCLE_1)
	s_and_b32 s3, vcc_lo, s3
	s_and_saveexec_b32 s4, s3
	s_cbranch_execz .LBB780_4
; %bb.3:
	s_mov_b32 s7, 0
	s_delay_alu instid0(SALU_CYCLE_1) | instskip(NEXT) | instid1(SALU_CYCLE_1)
	s_lshl_b64 s[10:11], s[6:7], 3
	v_add_co_u32 v0, s3, v14, s10
	s_delay_alu instid0(VALU_DEP_1) | instskip(SKIP_1) | instid1(VALU_DEP_1)
	v_add_co_ci_u32_e64 v1, s3, s11, v15, s3
	v_add_co_u32 v4, s3, v12, s10
	v_add_co_ci_u32_e64 v5, s3, s11, v13, s3
	global_load_b64 v[0:1], v[0:1], off
	global_load_b64 v[4:5], v[4:5], off
.LBB780_4:
	s_or_b32 exec_lo, exec_lo, s4
	s_load_b64 s[0:1], s[0:1], 0x28
	s_waitcnt vmcnt(1)
	v_add_f64 v[15:16], v[0:1], 0
	v_mbcnt_lo_u32_b32 v23, -1, 0
	s_delay_alu instid0(VALU_DEP_1) | instskip(SKIP_2) | instid1(VALU_DEP_1)
	v_or_b32_e32 v18, 32, v23
	s_waitcnt lgkmcnt(0)
	v_add_co_u32 v10, s0, s0, v10
	v_add_co_ci_u32_e64 v11, s0, s1, v11, s0
	s_ashr_i32 s1, s6, 31
	s_delay_alu instid0(VALU_DEP_2) | instskip(NEXT) | instid1(VALU_DEP_1)
	v_add_co_u32 v12, s0, v10, s6
	v_add_co_ci_u32_e64 v13, s1, s1, v11, s0
	v_cmp_gt_i32_e64 s1, 64, v18
	s_clause 0x1
	global_load_u8 v10, v[10:11], off
	global_load_u8 v17, v[12:13], off
	v_add_f64 v[13:14], v[2:3], 0
	v_cndmask_b32_e64 v18, v23, v18, s1
	s_waitcnt vmcnt(1)
	v_and_b32_e32 v10, 1, v10
	s_waitcnt vmcnt(0)
	v_and_b32_e32 v17, 1, v17
	s_delay_alu instid0(VALU_DEP_2) | instskip(NEXT) | instid1(VALU_DEP_2)
	v_cmp_eq_u32_e64 s1, 1, v10
	v_cmp_eq_u32_e64 s3, 1, v17
	v_lshlrev_b32_e32 v10, 2, v18
	s_delay_alu instid0(VALU_DEP_3) | instskip(SKIP_1) | instid1(VALU_DEP_4)
	v_cndmask_b32_e64 v14, v14, 0, s1
	v_cndmask_b32_e64 v13, v13, 0, s1
	;; [unrolled: 1-line block ×4, first 2 shown]
	ds_bpermute_b32 v18, v10, v14
	ds_bpermute_b32 v17, v10, v13
	ds_bpermute_b32 v20, v10, v16
	ds_bpermute_b32 v19, v10, v15
	v_xor_b32_e32 v10, 16, v23
	s_delay_alu instid0(VALU_DEP_1) | instskip(NEXT) | instid1(VALU_DEP_1)
	v_cmp_gt_i32_e64 s3, 64, v10
	v_cndmask_b32_e64 v10, v23, v10, s3
	s_delay_alu instid0(VALU_DEP_1)
	v_lshlrev_b32_e32 v10, 2, v10
	s_waitcnt lgkmcnt(2)
	v_add_f64 v[13:14], v[13:14], v[17:18]
	s_waitcnt lgkmcnt(0)
	v_add_f64 v[15:16], v[15:16], v[19:20]
	ds_bpermute_b32 v17, v10, v13
	ds_bpermute_b32 v18, v10, v14
	ds_bpermute_b32 v19, v10, v15
	ds_bpermute_b32 v20, v10, v16
	v_xor_b32_e32 v10, 8, v23
	s_delay_alu instid0(VALU_DEP_1) | instskip(NEXT) | instid1(VALU_DEP_1)
	v_cmp_gt_i32_e64 s3, 64, v10
	v_cndmask_b32_e64 v10, v23, v10, s3
	s_delay_alu instid0(VALU_DEP_1)
	v_lshlrev_b32_e32 v10, 2, v10
	s_waitcnt lgkmcnt(2)
	v_add_f64 v[13:14], v[13:14], v[17:18]
	s_waitcnt lgkmcnt(0)
	v_add_f64 v[15:16], v[15:16], v[19:20]
	;; [unrolled: 14-line block ×5, first 2 shown]
	ds_bpermute_b32 v20, v10, v18
	ds_bpermute_b32 v21, v10, v19
	;; [unrolled: 1-line block ×4, first 2 shown]
	s_and_saveexec_b32 s3, s2
	s_cbranch_execz .LBB780_10
; %bb.5:
	v_add_co_u32 v8, s2, s8, v8
	s_delay_alu instid0(VALU_DEP_1)
	v_add_co_ci_u32_e64 v9, s2, s9, v9, s2
	s_and_saveexec_b32 s2, vcc_lo
	s_cbranch_execz .LBB780_7
; %bb.6:
	s_waitcnt lgkmcnt(2)
	v_add_f64 v[18:19], v[18:19], v[20:21]
	s_delay_alu instid0(VALU_DEP_1) | instskip(NEXT) | instid1(VALU_DEP_1)
	v_fma_f64 v[2:3], -v[18:19], v[6:7], v[2:3]
	v_cndmask_b32_e64 v3, v3, 0, s1
	s_delay_alu instid0(VALU_DEP_2)
	v_cndmask_b32_e64 v2, v2, 0, s1
	global_store_b64 v[8:9], v[2:3], off
.LBB780_7:
	s_or_b32 exec_lo, exec_lo, s2
	v_cmp_ne_u32_e64 s1, 1, v22
	s_delay_alu instid0(VALU_DEP_1)
	s_and_b32 exec_lo, exec_lo, s1
	s_cbranch_execz .LBB780_10
; %bb.8:
	s_and_b32 exec_lo, exec_lo, vcc_lo
	s_cbranch_execz .LBB780_10
; %bb.9:
	v_add_co_ci_u32_e64 v13, vcc_lo, 0, v11, s0
	s_waitcnt lgkmcnt(0)
	v_add_f64 v[2:3], v[14:15], v[16:17]
	s_mov_b32 s7, 0
	s_delay_alu instid0(SALU_CYCLE_1) | instskip(SKIP_4) | instid1(VALU_DEP_1)
	s_lshl_b64 s[0:1], s[6:7], 3
	global_load_u8 v6, v[12:13], off
	v_fma_f64 v[0:1], -v[2:3], v[4:5], v[0:1]
	s_waitcnt vmcnt(0)
	v_and_b32_e32 v2, 1, v6
	v_cmp_eq_u32_e32 vcc_lo, 1, v2
	v_add_co_u32 v2, s0, v8, s0
	s_delay_alu instid0(VALU_DEP_1)
	v_add_co_ci_u32_e64 v3, s0, s1, v9, s0
	v_cndmask_b32_e64 v1, v1, 0, vcc_lo
	v_cndmask_b32_e64 v0, v0, 0, vcc_lo
	global_store_b64 v[2:3], v[0:1], off
.LBB780_10:
	s_nop 0
	s_sendmsg sendmsg(MSG_DEALLOC_VGPRS)
	s_endpgm
	.section	.rodata,"a",@progbits
	.p2align	6, 0x0
	.amdhsa_kernel _ZN12_GLOBAL__N_121softmax_warp_backwardIdddLi6ELb0ELb1ELi64EEEvPT0_PKT_S5_iiiPKb
		.amdhsa_group_segment_fixed_size 0
		.amdhsa_private_segment_fixed_size 0
		.amdhsa_kernarg_size 304
		.amdhsa_user_sgpr_count 15
		.amdhsa_user_sgpr_dispatch_ptr 0
		.amdhsa_user_sgpr_queue_ptr 0
		.amdhsa_user_sgpr_kernarg_segment_ptr 1
		.amdhsa_user_sgpr_dispatch_id 0
		.amdhsa_user_sgpr_private_segment_size 0
		.amdhsa_wavefront_size32 1
		.amdhsa_uses_dynamic_stack 0
		.amdhsa_enable_private_segment 0
		.amdhsa_system_sgpr_workgroup_id_x 1
		.amdhsa_system_sgpr_workgroup_id_y 0
		.amdhsa_system_sgpr_workgroup_id_z 0
		.amdhsa_system_sgpr_workgroup_info 0
		.amdhsa_system_vgpr_workitem_id 1
		.amdhsa_next_free_vgpr 24
		.amdhsa_next_free_sgpr 16
		.amdhsa_reserve_vcc 1
		.amdhsa_float_round_mode_32 0
		.amdhsa_float_round_mode_16_64 0
		.amdhsa_float_denorm_mode_32 3
		.amdhsa_float_denorm_mode_16_64 3
		.amdhsa_dx10_clamp 1
		.amdhsa_ieee_mode 1
		.amdhsa_fp16_overflow 0
		.amdhsa_workgroup_processor_mode 1
		.amdhsa_memory_ordered 1
		.amdhsa_forward_progress 0
		.amdhsa_shared_vgpr_count 0
		.amdhsa_exception_fp_ieee_invalid_op 0
		.amdhsa_exception_fp_denorm_src 0
		.amdhsa_exception_fp_ieee_div_zero 0
		.amdhsa_exception_fp_ieee_overflow 0
		.amdhsa_exception_fp_ieee_underflow 0
		.amdhsa_exception_fp_ieee_inexact 0
		.amdhsa_exception_int_div_zero 0
	.end_amdhsa_kernel
	.section	.text._ZN12_GLOBAL__N_121softmax_warp_backwardIdddLi6ELb0ELb1ELi64EEEvPT0_PKT_S5_iiiPKb,"axG",@progbits,_ZN12_GLOBAL__N_121softmax_warp_backwardIdddLi6ELb0ELb1ELi64EEEvPT0_PKT_S5_iiiPKb,comdat
.Lfunc_end780:
	.size	_ZN12_GLOBAL__N_121softmax_warp_backwardIdddLi6ELb0ELb1ELi64EEEvPT0_PKT_S5_iiiPKb, .Lfunc_end780-_ZN12_GLOBAL__N_121softmax_warp_backwardIdddLi6ELb0ELb1ELi64EEEvPT0_PKT_S5_iiiPKb
                                        ; -- End function
	.section	.AMDGPU.csdata,"",@progbits
; Kernel info:
; codeLenInByte = 1224
; NumSgprs: 18
; NumVgprs: 24
; ScratchSize: 0
; MemoryBound: 0
; FloatMode: 240
; IeeeMode: 1
; LDSByteSize: 0 bytes/workgroup (compile time only)
; SGPRBlocks: 2
; VGPRBlocks: 2
; NumSGPRsForWavesPerEU: 18
; NumVGPRsForWavesPerEU: 24
; Occupancy: 16
; WaveLimiterHint : 0
; COMPUTE_PGM_RSRC2:SCRATCH_EN: 0
; COMPUTE_PGM_RSRC2:USER_SGPR: 15
; COMPUTE_PGM_RSRC2:TRAP_HANDLER: 0
; COMPUTE_PGM_RSRC2:TGID_X_EN: 1
; COMPUTE_PGM_RSRC2:TGID_Y_EN: 0
; COMPUTE_PGM_RSRC2:TGID_Z_EN: 0
; COMPUTE_PGM_RSRC2:TIDIG_COMP_CNT: 1
	.section	.text._ZN12_GLOBAL__N_121softmax_warp_backwardIdddLi6ELb0ELb1ELi32EEEvPT0_PKT_S5_iiiPKb,"axG",@progbits,_ZN12_GLOBAL__N_121softmax_warp_backwardIdddLi6ELb0ELb1ELi32EEEvPT0_PKT_S5_iiiPKb,comdat
	.globl	_ZN12_GLOBAL__N_121softmax_warp_backwardIdddLi6ELb0ELb1ELi32EEEvPT0_PKT_S5_iiiPKb ; -- Begin function _ZN12_GLOBAL__N_121softmax_warp_backwardIdddLi6ELb0ELb1ELi32EEEvPT0_PKT_S5_iiiPKb
	.p2align	8
	.type	_ZN12_GLOBAL__N_121softmax_warp_backwardIdddLi6ELb0ELb1ELi32EEEvPT0_PKT_S5_iiiPKb,@function
_ZN12_GLOBAL__N_121softmax_warp_backwardIdddLi6ELb0ELb1ELi32EEEvPT0_PKT_S5_iiiPKb: ; @_ZN12_GLOBAL__N_121softmax_warp_backwardIdddLi6ELb0ELb1ELi32EEEvPT0_PKT_S5_iiiPKb
; %bb.0:
	s_clause 0x1
	s_load_b32 s2, s[0:1], 0x3c
	s_load_b128 s[4:7], s[0:1], 0x18
	v_bfe_u32 v1, v0, 10, 10
	v_and_b32_e32 v2, 31, v0
	s_clause 0x1
	s_load_b128 s[8:11], s[0:1], 0x0
	s_load_b64 s[12:13], s[0:1], 0x10
	s_waitcnt lgkmcnt(0)
	s_lshr_b32 s2, s2, 16
	s_delay_alu instid0(SALU_CYCLE_1) | instskip(NEXT) | instid1(SALU_CYCLE_1)
	s_mul_i32 s15, s15, s2
	v_add_lshl_u32 v3, s15, v1, 1
	v_mov_b32_e32 v0, 0
	v_mov_b32_e32 v1, 0
	v_cmp_gt_i32_e32 vcc_lo, s6, v2
	s_delay_alu instid0(VALU_DEP_4) | instskip(SKIP_1) | instid1(VALU_DEP_4)
	v_mad_u64_u32 v[18:19], null, v3, s5, v[2:3]
	v_sub_nc_u32_e32 v30, s4, v3
	v_dual_mov_b32 v5, v1 :: v_dual_mov_b32 v4, v0
	v_dual_mov_b32 v13, v1 :: v_dual_mov_b32 v12, v0
	s_delay_alu instid0(VALU_DEP_3) | instskip(SKIP_1) | instid1(VALU_DEP_2)
	v_cmp_lt_i32_e64 s3, 0, v30
	v_ashrrev_i32_e32 v19, 31, v18
	s_and_b32 s4, s3, vcc_lo
	s_delay_alu instid0(VALU_DEP_1) | instskip(NEXT) | instid1(VALU_DEP_1)
	v_lshlrev_b64 v[10:11], 3, v[18:19]
	v_add_co_u32 v22, s2, s10, v10
	s_delay_alu instid0(VALU_DEP_1) | instskip(SKIP_1) | instid1(VALU_DEP_1)
	v_add_co_ci_u32_e64 v23, s2, s11, v11, s2
	v_add_co_u32 v20, s2, s12, v10
	v_add_co_ci_u32_e64 v21, s2, s13, v11, s2
	s_and_saveexec_b32 s2, s4
	s_cbranch_execz .LBB781_2
; %bb.1:
	global_load_b64 v[4:5], v[22:23], off
	global_load_b64 v[12:13], v[20:21], off
.LBB781_2:
	s_or_b32 exec_lo, exec_lo, s2
	v_or_b32_e32 v2, 32, v2
	v_dual_mov_b32 v15, v1 :: v_dual_mov_b32 v14, v0
	s_delay_alu instid0(VALU_DEP_2) | instskip(NEXT) | instid1(VALU_DEP_1)
	v_cmp_gt_i32_e64 s2, s6, v2
	s_and_b32 s5, s3, s2
	s_delay_alu instid0(SALU_CYCLE_1)
	s_and_saveexec_b32 s4, s5
	s_cbranch_execz .LBB781_4
; %bb.3:
	global_load_b64 v[0:1], v[22:23], off offset:256
	global_load_b64 v[14:15], v[20:21], off offset:256
.LBB781_4:
	s_or_b32 exec_lo, exec_lo, s4
	v_mov_b32_e32 v2, 0
	v_mov_b32_e32 v3, 0
	v_cmp_lt_i32_e64 s4, 1, v30
	s_delay_alu instid0(VALU_DEP_2) | instskip(SKIP_1) | instid1(VALU_DEP_3)
	v_dual_mov_b32 v7, v3 :: v_dual_mov_b32 v6, v2
	v_dual_mov_b32 v9, v3 :: v_dual_mov_b32 v8, v2
	s_and_b32 s5, s4, vcc_lo
	s_delay_alu instid0(SALU_CYCLE_1)
	s_and_saveexec_b32 s10, s5
	s_cbranch_execz .LBB781_6
; %bb.5:
	s_mov_b32 s7, 0
	s_delay_alu instid0(SALU_CYCLE_1) | instskip(NEXT) | instid1(SALU_CYCLE_1)
	s_lshl_b64 s[12:13], s[6:7], 3
	v_add_co_u32 v6, s5, v22, s12
	s_delay_alu instid0(VALU_DEP_1) | instskip(SKIP_1) | instid1(VALU_DEP_1)
	v_add_co_ci_u32_e64 v7, s5, s13, v23, s5
	v_add_co_u32 v8, s5, v20, s12
	v_add_co_ci_u32_e64 v9, s5, s13, v21, s5
	global_load_b64 v[6:7], v[6:7], off
	global_load_b64 v[8:9], v[8:9], off
.LBB781_6:
	s_or_b32 exec_lo, exec_lo, s10
	v_dual_mov_b32 v17, v3 :: v_dual_mov_b32 v16, v2
	s_and_b32 s4, s4, s2
	s_delay_alu instid0(SALU_CYCLE_1)
	s_and_saveexec_b32 s5, s4
	s_cbranch_execz .LBB781_8
; %bb.7:
	s_mov_b32 s7, 0
	s_delay_alu instid0(SALU_CYCLE_1) | instskip(NEXT) | instid1(SALU_CYCLE_1)
	s_lshl_b64 s[10:11], s[6:7], 3
	v_add_co_u32 v2, s4, v22, s10
	s_delay_alu instid0(VALU_DEP_1) | instskip(SKIP_1) | instid1(VALU_DEP_1)
	v_add_co_ci_u32_e64 v3, s4, s11, v23, s4
	v_add_co_u32 v16, s4, v20, s10
	v_add_co_ci_u32_e64 v17, s4, s11, v21, s4
	global_load_b64 v[2:3], v[2:3], off offset:256
	global_load_b64 v[16:17], v[16:17], off offset:256
.LBB781_8:
	s_or_b32 exec_lo, exec_lo, s5
	s_load_b64 s[0:1], s[0:1], 0x28
	s_waitcnt vmcnt(1)
	v_add_f64 v[22:23], v[4:5], 0
	v_add_f64 v[24:25], v[6:7], 0
	v_mbcnt_lo_u32_b32 v32, -1, 0
	s_delay_alu instid0(VALU_DEP_1) | instskip(SKIP_2) | instid1(VALU_DEP_1)
	v_xor_b32_e32 v33, 16, v32
	s_waitcnt lgkmcnt(0)
	v_add_co_u32 v20, s0, s0, v18
	v_add_co_ci_u32_e64 v21, s0, s1, v19, s0
	s_ashr_i32 s1, s6, 31
	s_delay_alu instid0(VALU_DEP_2) | instskip(NEXT) | instid1(VALU_DEP_1)
	v_add_co_u32 v18, s0, v20, s6
	v_add_co_ci_u32_e64 v19, s1, s1, v21, s0
	s_clause 0x3
	global_load_u8 v26, v[20:21], off
	global_load_u8 v27, v[18:19], off
	global_load_u8 v31, v[20:21], off offset:32
	global_load_u8 v19, v[18:19], off offset:32
	s_waitcnt vmcnt(3)
	v_and_b32_e32 v26, 1, v26
	s_waitcnt vmcnt(2)
	v_and_b32_e32 v27, 1, v27
	;; [unrolled: 2-line block ×4, first 2 shown]
	v_cmp_eq_u32_e64 s1, 1, v26
	v_cmp_eq_u32_e64 s4, 1, v27
	s_delay_alu instid0(VALU_DEP_3) | instskip(NEXT) | instid1(VALU_DEP_3)
	v_cmp_eq_u32_e64 s5, 1, v19
	v_cndmask_b32_e64 v23, v23, 0, s1
	v_cndmask_b32_e64 v22, v22, 0, s1
	s_delay_alu instid0(VALU_DEP_4) | instskip(SKIP_2) | instid1(VALU_DEP_4)
	v_cndmask_b32_e64 v25, v25, 0, s4
	v_cndmask_b32_e64 v24, v24, 0, s4
	v_cmp_gt_i32_e64 s4, 32, v33
	v_add_f64 v[26:27], v[22:23], v[0:1]
	s_delay_alu instid0(VALU_DEP_3) | instskip(NEXT) | instid1(VALU_DEP_3)
	v_add_f64 v[28:29], v[24:25], v[2:3]
	v_cndmask_b32_e64 v33, v32, v33, s4
	v_cmp_eq_u32_e64 s4, 1, v31
	s_delay_alu instid0(VALU_DEP_2) | instskip(NEXT) | instid1(VALU_DEP_2)
	v_lshlrev_b32_e32 v19, 2, v33
	v_cndmask_b32_e64 v23, v27, v23, s4
	v_cndmask_b32_e64 v22, v26, v22, s4
	;; [unrolled: 1-line block ×4, first 2 shown]
	ds_bpermute_b32 v27, v19, v23
	ds_bpermute_b32 v26, v19, v22
	ds_bpermute_b32 v29, v19, v25
	ds_bpermute_b32 v28, v19, v24
	v_xor_b32_e32 v19, 8, v32
	s_delay_alu instid0(VALU_DEP_1) | instskip(NEXT) | instid1(VALU_DEP_1)
	v_cmp_gt_i32_e64 s4, 32, v19
	v_cndmask_b32_e64 v19, v32, v19, s4
	s_delay_alu instid0(VALU_DEP_1)
	v_lshlrev_b32_e32 v19, 2, v19
	s_waitcnt lgkmcnt(2)
	v_add_f64 v[22:23], v[22:23], v[26:27]
	s_waitcnt lgkmcnt(0)
	v_add_f64 v[24:25], v[24:25], v[28:29]
	ds_bpermute_b32 v26, v19, v22
	ds_bpermute_b32 v27, v19, v23
	ds_bpermute_b32 v28, v19, v24
	ds_bpermute_b32 v29, v19, v25
	v_xor_b32_e32 v19, 4, v32
	s_delay_alu instid0(VALU_DEP_1) | instskip(NEXT) | instid1(VALU_DEP_1)
	v_cmp_gt_i32_e64 s4, 32, v19
	v_cndmask_b32_e64 v19, v32, v19, s4
	s_delay_alu instid0(VALU_DEP_1)
	v_lshlrev_b32_e32 v19, 2, v19
	s_waitcnt lgkmcnt(2)
	v_add_f64 v[22:23], v[22:23], v[26:27]
	s_waitcnt lgkmcnt(0)
	v_add_f64 v[24:25], v[24:25], v[28:29]
	;; [unrolled: 14-line block ×4, first 2 shown]
	ds_bpermute_b32 v28, v19, v26
	ds_bpermute_b32 v29, v19, v27
	;; [unrolled: 1-line block ×4, first 2 shown]
	s_and_saveexec_b32 s4, s3
	s_cbranch_execz .LBB781_12
; %bb.9:
	s_waitcnt lgkmcnt(2)
	v_add_f64 v[26:27], v[26:27], v[28:29]
	v_add_co_u32 v10, s3, s8, v10
	s_delay_alu instid0(VALU_DEP_1)
	v_add_co_ci_u32_e64 v11, s3, s9, v11, s3
	s_and_saveexec_b32 s3, vcc_lo
	s_cbranch_execnz .LBB781_13
; %bb.10:
	s_or_b32 exec_lo, exec_lo, s3
	s_and_saveexec_b32 s3, s2
	s_cbranch_execnz .LBB781_14
.LBB781_11:
	s_or_b32 exec_lo, exec_lo, s3
	v_cmp_ne_u32_e64 s1, 1, v30
	s_delay_alu instid0(VALU_DEP_1)
	s_and_b32 exec_lo, exec_lo, s1
	s_cbranch_execnz .LBB781_15
.LBB781_12:
	s_nop 0
	s_sendmsg sendmsg(MSG_DEALLOC_VGPRS)
	s_endpgm
.LBB781_13:
	s_delay_alu instid0(VALU_DEP_3) | instskip(NEXT) | instid1(VALU_DEP_1)
	v_fma_f64 v[4:5], -v[26:27], v[12:13], v[4:5]
	v_cndmask_b32_e64 v5, v5, 0, s1
	s_delay_alu instid0(VALU_DEP_2)
	v_cndmask_b32_e64 v4, v4, 0, s1
	global_store_b64 v[10:11], v[4:5], off
	s_or_b32 exec_lo, exec_lo, s3
	s_and_saveexec_b32 s3, s2
	s_cbranch_execz .LBB781_11
.LBB781_14:
	global_load_u8 v4, v[20:21], off offset:32
	v_fma_f64 v[0:1], -v[26:27], v[14:15], v[0:1]
	s_waitcnt vmcnt(0)
	v_and_b32_e32 v4, 1, v4
	s_delay_alu instid0(VALU_DEP_1) | instskip(NEXT) | instid1(VALU_DEP_1)
	v_cmp_eq_u32_e64 s1, 1, v4
	v_cndmask_b32_e64 v1, v1, 0, s1
	s_delay_alu instid0(VALU_DEP_4) | instskip(SKIP_3) | instid1(VALU_DEP_1)
	v_cndmask_b32_e64 v0, v0, 0, s1
	global_store_b64 v[10:11], v[0:1], off offset:256
	s_or_b32 exec_lo, exec_lo, s3
	v_cmp_ne_u32_e64 s1, 1, v30
	s_and_b32 exec_lo, exec_lo, s1
	s_cbranch_execz .LBB781_12
.LBB781_15:
	s_waitcnt lgkmcnt(0)
	v_add_f64 v[0:1], v[22:23], v[24:25]
	s_mov_b32 s7, 0
	v_add_co_ci_u32_e64 v19, s0, 0, v21, s0
	s_lshl_b64 s[0:1], s[6:7], 3
	s_delay_alu instid0(SALU_CYCLE_1) | instskip(NEXT) | instid1(VALU_DEP_1)
	v_add_co_u32 v4, s0, v10, s0
	v_add_co_ci_u32_e64 v5, s0, s1, v11, s0
	s_and_saveexec_b32 s0, vcc_lo
	s_cbranch_execz .LBB781_17
; %bb.16:
	global_load_u8 v10, v[18:19], off
	v_fma_f64 v[6:7], -v[0:1], v[8:9], v[6:7]
	s_waitcnt vmcnt(0)
	v_and_b32_e32 v8, 1, v10
	s_delay_alu instid0(VALU_DEP_1) | instskip(NEXT) | instid1(VALU_DEP_3)
	v_cmp_eq_u32_e32 vcc_lo, 1, v8
	v_cndmask_b32_e64 v7, v7, 0, vcc_lo
	s_delay_alu instid0(VALU_DEP_4)
	v_cndmask_b32_e64 v6, v6, 0, vcc_lo
	global_store_b64 v[4:5], v[6:7], off
.LBB781_17:
	s_or_b32 exec_lo, exec_lo, s0
	s_delay_alu instid0(SALU_CYCLE_1)
	s_and_b32 exec_lo, exec_lo, s2
	s_cbranch_execz .LBB781_12
; %bb.18:
	global_load_u8 v6, v[18:19], off offset:32
	v_fma_f64 v[0:1], -v[0:1], v[16:17], v[2:3]
	s_waitcnt vmcnt(0)
	v_and_b32_e32 v2, 1, v6
	s_delay_alu instid0(VALU_DEP_1) | instskip(NEXT) | instid1(VALU_DEP_3)
	v_cmp_eq_u32_e32 vcc_lo, 1, v2
	v_cndmask_b32_e64 v1, v1, 0, vcc_lo
	s_delay_alu instid0(VALU_DEP_4)
	v_cndmask_b32_e64 v0, v0, 0, vcc_lo
	global_store_b64 v[4:5], v[0:1], off offset:256
	s_nop 0
	s_sendmsg sendmsg(MSG_DEALLOC_VGPRS)
	s_endpgm
	.section	.rodata,"a",@progbits
	.p2align	6, 0x0
	.amdhsa_kernel _ZN12_GLOBAL__N_121softmax_warp_backwardIdddLi6ELb0ELb1ELi32EEEvPT0_PKT_S5_iiiPKb
		.amdhsa_group_segment_fixed_size 0
		.amdhsa_private_segment_fixed_size 0
		.amdhsa_kernarg_size 304
		.amdhsa_user_sgpr_count 15
		.amdhsa_user_sgpr_dispatch_ptr 0
		.amdhsa_user_sgpr_queue_ptr 0
		.amdhsa_user_sgpr_kernarg_segment_ptr 1
		.amdhsa_user_sgpr_dispatch_id 0
		.amdhsa_user_sgpr_private_segment_size 0
		.amdhsa_wavefront_size32 1
		.amdhsa_uses_dynamic_stack 0
		.amdhsa_enable_private_segment 0
		.amdhsa_system_sgpr_workgroup_id_x 1
		.amdhsa_system_sgpr_workgroup_id_y 0
		.amdhsa_system_sgpr_workgroup_id_z 0
		.amdhsa_system_sgpr_workgroup_info 0
		.amdhsa_system_vgpr_workitem_id 1
		.amdhsa_next_free_vgpr 34
		.amdhsa_next_free_sgpr 16
		.amdhsa_reserve_vcc 1
		.amdhsa_float_round_mode_32 0
		.amdhsa_float_round_mode_16_64 0
		.amdhsa_float_denorm_mode_32 3
		.amdhsa_float_denorm_mode_16_64 3
		.amdhsa_dx10_clamp 1
		.amdhsa_ieee_mode 1
		.amdhsa_fp16_overflow 0
		.amdhsa_workgroup_processor_mode 1
		.amdhsa_memory_ordered 1
		.amdhsa_forward_progress 0
		.amdhsa_shared_vgpr_count 0
		.amdhsa_exception_fp_ieee_invalid_op 0
		.amdhsa_exception_fp_denorm_src 0
		.amdhsa_exception_fp_ieee_div_zero 0
		.amdhsa_exception_fp_ieee_overflow 0
		.amdhsa_exception_fp_ieee_underflow 0
		.amdhsa_exception_fp_ieee_inexact 0
		.amdhsa_exception_int_div_zero 0
	.end_amdhsa_kernel
	.section	.text._ZN12_GLOBAL__N_121softmax_warp_backwardIdddLi6ELb0ELb1ELi32EEEvPT0_PKT_S5_iiiPKb,"axG",@progbits,_ZN12_GLOBAL__N_121softmax_warp_backwardIdddLi6ELb0ELb1ELi32EEEvPT0_PKT_S5_iiiPKb,comdat
.Lfunc_end781:
	.size	_ZN12_GLOBAL__N_121softmax_warp_backwardIdddLi6ELb0ELb1ELi32EEEvPT0_PKT_S5_iiiPKb, .Lfunc_end781-_ZN12_GLOBAL__N_121softmax_warp_backwardIdddLi6ELb0ELb1ELi32EEEvPT0_PKT_S5_iiiPKb
                                        ; -- End function
	.section	.AMDGPU.csdata,"",@progbits
; Kernel info:
; codeLenInByte = 1612
; NumSgprs: 18
; NumVgprs: 34
; ScratchSize: 0
; MemoryBound: 0
; FloatMode: 240
; IeeeMode: 1
; LDSByteSize: 0 bytes/workgroup (compile time only)
; SGPRBlocks: 2
; VGPRBlocks: 4
; NumSGPRsForWavesPerEU: 18
; NumVGPRsForWavesPerEU: 34
; Occupancy: 16
; WaveLimiterHint : 0
; COMPUTE_PGM_RSRC2:SCRATCH_EN: 0
; COMPUTE_PGM_RSRC2:USER_SGPR: 15
; COMPUTE_PGM_RSRC2:TRAP_HANDLER: 0
; COMPUTE_PGM_RSRC2:TGID_X_EN: 1
; COMPUTE_PGM_RSRC2:TGID_Y_EN: 0
; COMPUTE_PGM_RSRC2:TGID_Z_EN: 0
; COMPUTE_PGM_RSRC2:TIDIG_COMP_CNT: 1
	.section	.text._ZN12_GLOBAL__N_121softmax_warp_backwardIdddLi7ELb0ELb1ELi64EEEvPT0_PKT_S5_iiiPKb,"axG",@progbits,_ZN12_GLOBAL__N_121softmax_warp_backwardIdddLi7ELb0ELb1ELi64EEEvPT0_PKT_S5_iiiPKb,comdat
	.globl	_ZN12_GLOBAL__N_121softmax_warp_backwardIdddLi7ELb0ELb1ELi64EEEvPT0_PKT_S5_iiiPKb ; -- Begin function _ZN12_GLOBAL__N_121softmax_warp_backwardIdddLi7ELb0ELb1ELi64EEEvPT0_PKT_S5_iiiPKb
	.p2align	8
	.type	_ZN12_GLOBAL__N_121softmax_warp_backwardIdddLi7ELb0ELb1ELi64EEEvPT0_PKT_S5_iiiPKb,@function
_ZN12_GLOBAL__N_121softmax_warp_backwardIdddLi7ELb0ELb1ELi64EEEvPT0_PKT_S5_iiiPKb: ; @_ZN12_GLOBAL__N_121softmax_warp_backwardIdddLi7ELb0ELb1ELi64EEEvPT0_PKT_S5_iiiPKb
; %bb.0:
	s_clause 0x1
	s_load_b32 s2, s[0:1], 0x3c
	s_load_b128 s[4:7], s[0:1], 0x18
	v_bfe_u32 v1, v0, 10, 10
	v_and_b32_e32 v2, 63, v0
	s_clause 0x1
	s_load_b128 s[8:11], s[0:1], 0x0
	s_load_b64 s[12:13], s[0:1], 0x10
	s_waitcnt lgkmcnt(0)
	s_lshr_b32 s2, s2, 16
	s_delay_alu instid0(SALU_CYCLE_1) | instskip(NEXT) | instid1(SALU_CYCLE_1)
	s_mul_i32 s15, s15, s2
	v_add_lshl_u32 v3, s15, v1, 1
	v_mov_b32_e32 v0, 0
	v_mov_b32_e32 v1, 0
	v_cmp_gt_i32_e32 vcc_lo, s6, v2
	s_delay_alu instid0(VALU_DEP_4) | instskip(SKIP_1) | instid1(VALU_DEP_4)
	v_mad_u64_u32 v[18:19], null, v3, s5, v[2:3]
	v_sub_nc_u32_e32 v30, s4, v3
	v_dual_mov_b32 v5, v1 :: v_dual_mov_b32 v4, v0
	v_dual_mov_b32 v13, v1 :: v_dual_mov_b32 v12, v0
	s_delay_alu instid0(VALU_DEP_3) | instskip(SKIP_1) | instid1(VALU_DEP_2)
	v_cmp_lt_i32_e64 s3, 0, v30
	v_ashrrev_i32_e32 v19, 31, v18
	s_and_b32 s4, s3, vcc_lo
	s_delay_alu instid0(VALU_DEP_1) | instskip(NEXT) | instid1(VALU_DEP_1)
	v_lshlrev_b64 v[10:11], 3, v[18:19]
	v_add_co_u32 v22, s2, s10, v10
	s_delay_alu instid0(VALU_DEP_1) | instskip(SKIP_1) | instid1(VALU_DEP_1)
	v_add_co_ci_u32_e64 v23, s2, s11, v11, s2
	v_add_co_u32 v20, s2, s12, v10
	v_add_co_ci_u32_e64 v21, s2, s13, v11, s2
	s_and_saveexec_b32 s2, s4
	s_cbranch_execz .LBB782_2
; %bb.1:
	global_load_b64 v[4:5], v[22:23], off
	global_load_b64 v[12:13], v[20:21], off
.LBB782_2:
	s_or_b32 exec_lo, exec_lo, s2
	v_or_b32_e32 v2, 64, v2
	v_dual_mov_b32 v15, v1 :: v_dual_mov_b32 v14, v0
	s_delay_alu instid0(VALU_DEP_2) | instskip(NEXT) | instid1(VALU_DEP_1)
	v_cmp_gt_i32_e64 s2, s6, v2
	s_and_b32 s5, s3, s2
	s_delay_alu instid0(SALU_CYCLE_1)
	s_and_saveexec_b32 s4, s5
	s_cbranch_execz .LBB782_4
; %bb.3:
	global_load_b64 v[0:1], v[22:23], off offset:512
	global_load_b64 v[14:15], v[20:21], off offset:512
.LBB782_4:
	s_or_b32 exec_lo, exec_lo, s4
	v_mov_b32_e32 v2, 0
	v_mov_b32_e32 v3, 0
	v_cmp_lt_i32_e64 s4, 1, v30
	s_delay_alu instid0(VALU_DEP_2) | instskip(SKIP_1) | instid1(VALU_DEP_3)
	v_dual_mov_b32 v7, v3 :: v_dual_mov_b32 v6, v2
	v_dual_mov_b32 v9, v3 :: v_dual_mov_b32 v8, v2
	s_and_b32 s5, s4, vcc_lo
	s_delay_alu instid0(SALU_CYCLE_1)
	s_and_saveexec_b32 s10, s5
	s_cbranch_execz .LBB782_6
; %bb.5:
	s_mov_b32 s7, 0
	s_delay_alu instid0(SALU_CYCLE_1) | instskip(NEXT) | instid1(SALU_CYCLE_1)
	s_lshl_b64 s[12:13], s[6:7], 3
	v_add_co_u32 v6, s5, v22, s12
	s_delay_alu instid0(VALU_DEP_1) | instskip(SKIP_1) | instid1(VALU_DEP_1)
	v_add_co_ci_u32_e64 v7, s5, s13, v23, s5
	v_add_co_u32 v8, s5, v20, s12
	v_add_co_ci_u32_e64 v9, s5, s13, v21, s5
	global_load_b64 v[6:7], v[6:7], off
	global_load_b64 v[8:9], v[8:9], off
.LBB782_6:
	s_or_b32 exec_lo, exec_lo, s10
	v_dual_mov_b32 v17, v3 :: v_dual_mov_b32 v16, v2
	s_and_b32 s4, s4, s2
	s_delay_alu instid0(SALU_CYCLE_1)
	s_and_saveexec_b32 s5, s4
	s_cbranch_execz .LBB782_8
; %bb.7:
	s_mov_b32 s7, 0
	s_delay_alu instid0(SALU_CYCLE_1) | instskip(NEXT) | instid1(SALU_CYCLE_1)
	s_lshl_b64 s[10:11], s[6:7], 3
	v_add_co_u32 v2, s4, v22, s10
	s_delay_alu instid0(VALU_DEP_1) | instskip(SKIP_1) | instid1(VALU_DEP_1)
	v_add_co_ci_u32_e64 v3, s4, s11, v23, s4
	v_add_co_u32 v16, s4, v20, s10
	v_add_co_ci_u32_e64 v17, s4, s11, v21, s4
	global_load_b64 v[2:3], v[2:3], off offset:512
	global_load_b64 v[16:17], v[16:17], off offset:512
.LBB782_8:
	s_or_b32 exec_lo, exec_lo, s5
	s_load_b64 s[0:1], s[0:1], 0x28
	s_waitcnt vmcnt(1)
	v_add_f64 v[22:23], v[4:5], 0
	v_add_f64 v[24:25], v[6:7], 0
	v_mbcnt_lo_u32_b32 v32, -1, 0
	s_delay_alu instid0(VALU_DEP_1) | instskip(SKIP_2) | instid1(VALU_DEP_1)
	v_or_b32_e32 v33, 32, v32
	s_waitcnt lgkmcnt(0)
	v_add_co_u32 v20, s0, s0, v18
	v_add_co_ci_u32_e64 v21, s0, s1, v19, s0
	s_ashr_i32 s1, s6, 31
	s_delay_alu instid0(VALU_DEP_2) | instskip(NEXT) | instid1(VALU_DEP_1)
	v_add_co_u32 v18, s0, v20, s6
	v_add_co_ci_u32_e64 v19, s1, s1, v21, s0
	s_clause 0x3
	global_load_u8 v26, v[20:21], off
	global_load_u8 v27, v[18:19], off
	global_load_u8 v31, v[20:21], off offset:64
	global_load_u8 v19, v[18:19], off offset:64
	s_waitcnt vmcnt(3)
	v_and_b32_e32 v26, 1, v26
	s_waitcnt vmcnt(2)
	v_and_b32_e32 v27, 1, v27
	;; [unrolled: 2-line block ×4, first 2 shown]
	v_cmp_eq_u32_e64 s1, 1, v26
	v_cmp_eq_u32_e64 s4, 1, v27
	s_delay_alu instid0(VALU_DEP_3) | instskip(NEXT) | instid1(VALU_DEP_3)
	v_cmp_eq_u32_e64 s5, 1, v19
	v_cndmask_b32_e64 v23, v23, 0, s1
	v_cndmask_b32_e64 v22, v22, 0, s1
	s_delay_alu instid0(VALU_DEP_4) | instskip(SKIP_2) | instid1(VALU_DEP_4)
	v_cndmask_b32_e64 v25, v25, 0, s4
	v_cndmask_b32_e64 v24, v24, 0, s4
	v_cmp_gt_i32_e64 s4, 64, v33
	v_add_f64 v[26:27], v[22:23], v[0:1]
	s_delay_alu instid0(VALU_DEP_3) | instskip(NEXT) | instid1(VALU_DEP_3)
	v_add_f64 v[28:29], v[24:25], v[2:3]
	v_cndmask_b32_e64 v33, v32, v33, s4
	v_cmp_eq_u32_e64 s4, 1, v31
	s_delay_alu instid0(VALU_DEP_2) | instskip(NEXT) | instid1(VALU_DEP_2)
	v_lshlrev_b32_e32 v19, 2, v33
	v_cndmask_b32_e64 v23, v27, v23, s4
	v_cndmask_b32_e64 v22, v26, v22, s4
	;; [unrolled: 1-line block ×4, first 2 shown]
	ds_bpermute_b32 v27, v19, v23
	ds_bpermute_b32 v26, v19, v22
	ds_bpermute_b32 v29, v19, v25
	ds_bpermute_b32 v28, v19, v24
	v_xor_b32_e32 v19, 16, v32
	s_delay_alu instid0(VALU_DEP_1) | instskip(NEXT) | instid1(VALU_DEP_1)
	v_cmp_gt_i32_e64 s4, 64, v19
	v_cndmask_b32_e64 v19, v32, v19, s4
	s_delay_alu instid0(VALU_DEP_1)
	v_lshlrev_b32_e32 v19, 2, v19
	s_waitcnt lgkmcnt(2)
	v_add_f64 v[22:23], v[22:23], v[26:27]
	s_waitcnt lgkmcnt(0)
	v_add_f64 v[24:25], v[24:25], v[28:29]
	ds_bpermute_b32 v26, v19, v22
	ds_bpermute_b32 v27, v19, v23
	ds_bpermute_b32 v28, v19, v24
	ds_bpermute_b32 v29, v19, v25
	v_xor_b32_e32 v19, 8, v32
	s_delay_alu instid0(VALU_DEP_1) | instskip(NEXT) | instid1(VALU_DEP_1)
	v_cmp_gt_i32_e64 s4, 64, v19
	v_cndmask_b32_e64 v19, v32, v19, s4
	s_delay_alu instid0(VALU_DEP_1)
	v_lshlrev_b32_e32 v19, 2, v19
	s_waitcnt lgkmcnt(2)
	v_add_f64 v[22:23], v[22:23], v[26:27]
	s_waitcnt lgkmcnt(0)
	v_add_f64 v[24:25], v[24:25], v[28:29]
	;; [unrolled: 14-line block ×5, first 2 shown]
	ds_bpermute_b32 v28, v19, v26
	ds_bpermute_b32 v29, v19, v27
	;; [unrolled: 1-line block ×4, first 2 shown]
	s_and_saveexec_b32 s4, s3
	s_cbranch_execz .LBB782_12
; %bb.9:
	s_waitcnt lgkmcnt(2)
	v_add_f64 v[26:27], v[26:27], v[28:29]
	v_add_co_u32 v10, s3, s8, v10
	s_delay_alu instid0(VALU_DEP_1)
	v_add_co_ci_u32_e64 v11, s3, s9, v11, s3
	s_and_saveexec_b32 s3, vcc_lo
	s_cbranch_execnz .LBB782_13
; %bb.10:
	s_or_b32 exec_lo, exec_lo, s3
	s_and_saveexec_b32 s3, s2
	s_cbranch_execnz .LBB782_14
.LBB782_11:
	s_or_b32 exec_lo, exec_lo, s3
	v_cmp_ne_u32_e64 s1, 1, v30
	s_delay_alu instid0(VALU_DEP_1)
	s_and_b32 exec_lo, exec_lo, s1
	s_cbranch_execnz .LBB782_15
.LBB782_12:
	s_nop 0
	s_sendmsg sendmsg(MSG_DEALLOC_VGPRS)
	s_endpgm
.LBB782_13:
	s_delay_alu instid0(VALU_DEP_3) | instskip(NEXT) | instid1(VALU_DEP_1)
	v_fma_f64 v[4:5], -v[26:27], v[12:13], v[4:5]
	v_cndmask_b32_e64 v5, v5, 0, s1
	s_delay_alu instid0(VALU_DEP_2)
	v_cndmask_b32_e64 v4, v4, 0, s1
	global_store_b64 v[10:11], v[4:5], off
	s_or_b32 exec_lo, exec_lo, s3
	s_and_saveexec_b32 s3, s2
	s_cbranch_execz .LBB782_11
.LBB782_14:
	global_load_u8 v4, v[20:21], off offset:64
	v_fma_f64 v[0:1], -v[26:27], v[14:15], v[0:1]
	s_waitcnt vmcnt(0)
	v_and_b32_e32 v4, 1, v4
	s_delay_alu instid0(VALU_DEP_1) | instskip(NEXT) | instid1(VALU_DEP_1)
	v_cmp_eq_u32_e64 s1, 1, v4
	v_cndmask_b32_e64 v1, v1, 0, s1
	s_delay_alu instid0(VALU_DEP_4) | instskip(SKIP_3) | instid1(VALU_DEP_1)
	v_cndmask_b32_e64 v0, v0, 0, s1
	global_store_b64 v[10:11], v[0:1], off offset:512
	s_or_b32 exec_lo, exec_lo, s3
	v_cmp_ne_u32_e64 s1, 1, v30
	s_and_b32 exec_lo, exec_lo, s1
	s_cbranch_execz .LBB782_12
.LBB782_15:
	s_waitcnt lgkmcnt(0)
	v_add_f64 v[0:1], v[22:23], v[24:25]
	s_mov_b32 s7, 0
	v_add_co_ci_u32_e64 v19, s0, 0, v21, s0
	s_lshl_b64 s[0:1], s[6:7], 3
	s_delay_alu instid0(SALU_CYCLE_1) | instskip(NEXT) | instid1(VALU_DEP_1)
	v_add_co_u32 v4, s0, v10, s0
	v_add_co_ci_u32_e64 v5, s0, s1, v11, s0
	s_and_saveexec_b32 s0, vcc_lo
	s_cbranch_execz .LBB782_17
; %bb.16:
	global_load_u8 v10, v[18:19], off
	v_fma_f64 v[6:7], -v[0:1], v[8:9], v[6:7]
	s_waitcnt vmcnt(0)
	v_and_b32_e32 v8, 1, v10
	s_delay_alu instid0(VALU_DEP_1) | instskip(NEXT) | instid1(VALU_DEP_3)
	v_cmp_eq_u32_e32 vcc_lo, 1, v8
	v_cndmask_b32_e64 v7, v7, 0, vcc_lo
	s_delay_alu instid0(VALU_DEP_4)
	v_cndmask_b32_e64 v6, v6, 0, vcc_lo
	global_store_b64 v[4:5], v[6:7], off
.LBB782_17:
	s_or_b32 exec_lo, exec_lo, s0
	s_delay_alu instid0(SALU_CYCLE_1)
	s_and_b32 exec_lo, exec_lo, s2
	s_cbranch_execz .LBB782_12
; %bb.18:
	global_load_u8 v6, v[18:19], off offset:64
	v_fma_f64 v[0:1], -v[0:1], v[16:17], v[2:3]
	s_waitcnt vmcnt(0)
	v_and_b32_e32 v2, 1, v6
	s_delay_alu instid0(VALU_DEP_1) | instskip(NEXT) | instid1(VALU_DEP_3)
	v_cmp_eq_u32_e32 vcc_lo, 1, v2
	v_cndmask_b32_e64 v1, v1, 0, vcc_lo
	s_delay_alu instid0(VALU_DEP_4)
	v_cndmask_b32_e64 v0, v0, 0, vcc_lo
	global_store_b64 v[4:5], v[0:1], off offset:512
	s_nop 0
	s_sendmsg sendmsg(MSG_DEALLOC_VGPRS)
	s_endpgm
	.section	.rodata,"a",@progbits
	.p2align	6, 0x0
	.amdhsa_kernel _ZN12_GLOBAL__N_121softmax_warp_backwardIdddLi7ELb0ELb1ELi64EEEvPT0_PKT_S5_iiiPKb
		.amdhsa_group_segment_fixed_size 0
		.amdhsa_private_segment_fixed_size 0
		.amdhsa_kernarg_size 304
		.amdhsa_user_sgpr_count 15
		.amdhsa_user_sgpr_dispatch_ptr 0
		.amdhsa_user_sgpr_queue_ptr 0
		.amdhsa_user_sgpr_kernarg_segment_ptr 1
		.amdhsa_user_sgpr_dispatch_id 0
		.amdhsa_user_sgpr_private_segment_size 0
		.amdhsa_wavefront_size32 1
		.amdhsa_uses_dynamic_stack 0
		.amdhsa_enable_private_segment 0
		.amdhsa_system_sgpr_workgroup_id_x 1
		.amdhsa_system_sgpr_workgroup_id_y 0
		.amdhsa_system_sgpr_workgroup_id_z 0
		.amdhsa_system_sgpr_workgroup_info 0
		.amdhsa_system_vgpr_workitem_id 1
		.amdhsa_next_free_vgpr 34
		.amdhsa_next_free_sgpr 16
		.amdhsa_reserve_vcc 1
		.amdhsa_float_round_mode_32 0
		.amdhsa_float_round_mode_16_64 0
		.amdhsa_float_denorm_mode_32 3
		.amdhsa_float_denorm_mode_16_64 3
		.amdhsa_dx10_clamp 1
		.amdhsa_ieee_mode 1
		.amdhsa_fp16_overflow 0
		.amdhsa_workgroup_processor_mode 1
		.amdhsa_memory_ordered 1
		.amdhsa_forward_progress 0
		.amdhsa_shared_vgpr_count 0
		.amdhsa_exception_fp_ieee_invalid_op 0
		.amdhsa_exception_fp_denorm_src 0
		.amdhsa_exception_fp_ieee_div_zero 0
		.amdhsa_exception_fp_ieee_overflow 0
		.amdhsa_exception_fp_ieee_underflow 0
		.amdhsa_exception_fp_ieee_inexact 0
		.amdhsa_exception_int_div_zero 0
	.end_amdhsa_kernel
	.section	.text._ZN12_GLOBAL__N_121softmax_warp_backwardIdddLi7ELb0ELb1ELi64EEEvPT0_PKT_S5_iiiPKb,"axG",@progbits,_ZN12_GLOBAL__N_121softmax_warp_backwardIdddLi7ELb0ELb1ELi64EEEvPT0_PKT_S5_iiiPKb,comdat
.Lfunc_end782:
	.size	_ZN12_GLOBAL__N_121softmax_warp_backwardIdddLi7ELb0ELb1ELi64EEEvPT0_PKT_S5_iiiPKb, .Lfunc_end782-_ZN12_GLOBAL__N_121softmax_warp_backwardIdddLi7ELb0ELb1ELi64EEEvPT0_PKT_S5_iiiPKb
                                        ; -- End function
	.section	.AMDGPU.csdata,"",@progbits
; Kernel info:
; codeLenInByte = 1700
; NumSgprs: 18
; NumVgprs: 34
; ScratchSize: 0
; MemoryBound: 0
; FloatMode: 240
; IeeeMode: 1
; LDSByteSize: 0 bytes/workgroup (compile time only)
; SGPRBlocks: 2
; VGPRBlocks: 4
; NumSGPRsForWavesPerEU: 18
; NumVGPRsForWavesPerEU: 34
; Occupancy: 16
; WaveLimiterHint : 0
; COMPUTE_PGM_RSRC2:SCRATCH_EN: 0
; COMPUTE_PGM_RSRC2:USER_SGPR: 15
; COMPUTE_PGM_RSRC2:TRAP_HANDLER: 0
; COMPUTE_PGM_RSRC2:TGID_X_EN: 1
; COMPUTE_PGM_RSRC2:TGID_Y_EN: 0
; COMPUTE_PGM_RSRC2:TGID_Z_EN: 0
; COMPUTE_PGM_RSRC2:TIDIG_COMP_CNT: 1
	.section	.text._ZN12_GLOBAL__N_121softmax_warp_backwardIdddLi7ELb0ELb1ELi32EEEvPT0_PKT_S5_iiiPKb,"axG",@progbits,_ZN12_GLOBAL__N_121softmax_warp_backwardIdddLi7ELb0ELb1ELi32EEEvPT0_PKT_S5_iiiPKb,comdat
	.globl	_ZN12_GLOBAL__N_121softmax_warp_backwardIdddLi7ELb0ELb1ELi32EEEvPT0_PKT_S5_iiiPKb ; -- Begin function _ZN12_GLOBAL__N_121softmax_warp_backwardIdddLi7ELb0ELb1ELi32EEEvPT0_PKT_S5_iiiPKb
	.p2align	8
	.type	_ZN12_GLOBAL__N_121softmax_warp_backwardIdddLi7ELb0ELb1ELi32EEEvPT0_PKT_S5_iiiPKb,@function
_ZN12_GLOBAL__N_121softmax_warp_backwardIdddLi7ELb0ELb1ELi32EEEvPT0_PKT_S5_iiiPKb: ; @_ZN12_GLOBAL__N_121softmax_warp_backwardIdddLi7ELb0ELb1ELi32EEEvPT0_PKT_S5_iiiPKb
; %bb.0:
	s_clause 0x1
	s_load_b32 s2, s[0:1], 0x3c
	s_load_b128 s[8:11], s[0:1], 0x18
	v_bfe_u32 v1, v0, 10, 10
	v_and_b32_e32 v4, 31, v0
	s_load_b64 s[6:7], s[0:1], 0x10
	s_waitcnt lgkmcnt(0)
	s_lshr_b32 s2, s2, 16
	s_delay_alu instid0(SALU_CYCLE_1) | instskip(NEXT) | instid1(SALU_CYCLE_1)
	s_mul_i32 s15, s15, s2
	v_add_lshl_u32 v2, s15, v1, 1
	s_load_b128 s[12:15], s[0:1], 0x0
	v_mov_b32_e32 v0, 0
	v_mov_b32_e32 v1, 0
	v_cmp_gt_i32_e32 vcc_lo, s10, v4
	v_mad_u64_u32 v[34:35], null, v2, s9, v[4:5]
	v_sub_nc_u32_e32 v46, s8, v2
	s_delay_alu instid0(VALU_DEP_4) | instskip(SKIP_1) | instid1(VALU_DEP_3)
	v_dual_mov_b32 v7, v1 :: v_dual_mov_b32 v6, v0
	v_dual_mov_b32 v11, v1 :: v_dual_mov_b32 v10, v0
	v_cmp_lt_i32_e64 s5, 0, v46
	v_ashrrev_i32_e32 v35, 31, v34
	s_delay_alu instid0(VALU_DEP_2) | instskip(NEXT) | instid1(VALU_DEP_1)
	s_and_b32 s3, s5, vcc_lo
	v_lshlrev_b64 v[8:9], 3, v[34:35]
	s_waitcnt lgkmcnt(0)
	s_delay_alu instid0(VALU_DEP_1) | instskip(NEXT) | instid1(VALU_DEP_1)
	v_add_co_u32 v38, s2, s14, v8
	v_add_co_ci_u32_e64 v39, s2, s15, v9, s2
	v_add_co_u32 v36, s2, s6, v8
	s_delay_alu instid0(VALU_DEP_1)
	v_add_co_ci_u32_e64 v37, s2, s7, v9, s2
	s_and_saveexec_b32 s2, s3
	s_cbranch_execz .LBB783_2
; %bb.1:
	global_load_b64 v[6:7], v[38:39], off
	global_load_b64 v[10:11], v[36:37], off
.LBB783_2:
	s_or_b32 exec_lo, exec_lo, s2
	v_or_b32_e32 v2, 32, v4
	v_dual_mov_b32 v13, v1 :: v_dual_mov_b32 v12, v0
	s_delay_alu instid0(VALU_DEP_2) | instskip(NEXT) | instid1(VALU_DEP_1)
	v_cmp_gt_i32_e64 s2, s10, v2
	s_and_b32 s4, s5, s2
	s_delay_alu instid0(SALU_CYCLE_1)
	s_and_saveexec_b32 s3, s4
	s_cbranch_execz .LBB783_4
; %bb.3:
	global_load_b64 v[0:1], v[38:39], off offset:256
	global_load_b64 v[12:13], v[36:37], off offset:256
.LBB783_4:
	s_or_b32 exec_lo, exec_lo, s3
	v_or_b32_e32 v5, 64, v4
	v_mov_b32_e32 v2, 0
	v_mov_b32_e32 v3, 0
	s_delay_alu instid0(VALU_DEP_3) | instskip(NEXT) | instid1(VALU_DEP_2)
	v_cmp_gt_i32_e64 s3, s10, v5
	v_dual_mov_b32 v15, v3 :: v_dual_mov_b32 v14, v2
	v_dual_mov_b32 v19, v3 :: v_dual_mov_b32 v18, v2
	s_delay_alu instid0(VALU_DEP_3) | instskip(NEXT) | instid1(SALU_CYCLE_1)
	s_and_b32 s6, s5, s3
	s_and_saveexec_b32 s4, s6
	s_cbranch_execz .LBB783_6
; %bb.5:
	global_load_b64 v[14:15], v[38:39], off offset:512
	global_load_b64 v[18:19], v[36:37], off offset:512
.LBB783_6:
	s_or_b32 exec_lo, exec_lo, s4
	v_or_b32_e32 v4, 0x60, v4
	v_dual_mov_b32 v21, v3 :: v_dual_mov_b32 v20, v2
	s_delay_alu instid0(VALU_DEP_2) | instskip(NEXT) | instid1(VALU_DEP_1)
	v_cmp_gt_i32_e64 s4, s10, v4
	s_and_b32 s7, s5, s4
	s_delay_alu instid0(SALU_CYCLE_1)
	s_and_saveexec_b32 s6, s7
	s_cbranch_execz .LBB783_8
; %bb.7:
	global_load_b64 v[2:3], v[38:39], off offset:768
	global_load_b64 v[20:21], v[36:37], off offset:768
.LBB783_8:
	s_or_b32 exec_lo, exec_lo, s6
	v_mov_b32_e32 v4, 0
	v_mov_b32_e32 v5, 0
	v_cmp_lt_i32_e64 s6, 1, v46
	s_delay_alu instid0(VALU_DEP_2) | instskip(SKIP_1) | instid1(VALU_DEP_3)
	v_dual_mov_b32 v17, v5 :: v_dual_mov_b32 v16, v4
	v_dual_mov_b32 v23, v5 :: v_dual_mov_b32 v22, v4
	s_and_b32 s7, s6, vcc_lo
	s_delay_alu instid0(SALU_CYCLE_1)
	s_and_saveexec_b32 s8, s7
	s_cbranch_execz .LBB783_10
; %bb.9:
	s_mov_b32 s11, 0
	s_delay_alu instid0(SALU_CYCLE_1) | instskip(NEXT) | instid1(SALU_CYCLE_1)
	s_lshl_b64 s[14:15], s[10:11], 3
	v_add_co_u32 v16, s7, v38, s14
	s_delay_alu instid0(VALU_DEP_1) | instskip(SKIP_1) | instid1(VALU_DEP_1)
	v_add_co_ci_u32_e64 v17, s7, s15, v39, s7
	v_add_co_u32 v22, s7, v36, s14
	v_add_co_ci_u32_e64 v23, s7, s15, v37, s7
	global_load_b64 v[16:17], v[16:17], off
	global_load_b64 v[22:23], v[22:23], off
.LBB783_10:
	s_or_b32 exec_lo, exec_lo, s8
	v_dual_mov_b32 v27, v5 :: v_dual_mov_b32 v26, v4
	s_and_b32 s7, s6, s2
	s_delay_alu instid0(SALU_CYCLE_1)
	s_and_saveexec_b32 s8, s7
	s_cbranch_execz .LBB783_12
; %bb.11:
	s_mov_b32 s11, 0
	s_delay_alu instid0(SALU_CYCLE_1) | instskip(NEXT) | instid1(SALU_CYCLE_1)
	s_lshl_b64 s[14:15], s[10:11], 3
	v_add_co_u32 v4, s7, v38, s14
	s_delay_alu instid0(VALU_DEP_1) | instskip(SKIP_1) | instid1(VALU_DEP_1)
	v_add_co_ci_u32_e64 v5, s7, s15, v39, s7
	v_add_co_u32 v24, s7, v36, s14
	v_add_co_ci_u32_e64 v25, s7, s15, v37, s7
	global_load_b64 v[4:5], v[4:5], off offset:256
	global_load_b64 v[26:27], v[24:25], off offset:256
.LBB783_12:
	s_or_b32 exec_lo, exec_lo, s8
	v_mov_b32_e32 v24, 0
	v_mov_b32_e32 v25, 0
	s_and_b32 s7, s6, s3
	s_delay_alu instid0(VALU_DEP_1)
	v_dual_mov_b32 v29, v25 :: v_dual_mov_b32 v28, v24
	v_dual_mov_b32 v31, v25 :: v_dual_mov_b32 v30, v24
	s_and_saveexec_b32 s8, s7
	s_cbranch_execz .LBB783_14
; %bb.13:
	s_mov_b32 s11, 0
	s_delay_alu instid0(SALU_CYCLE_1) | instskip(NEXT) | instid1(SALU_CYCLE_1)
	s_lshl_b64 s[14:15], s[10:11], 3
	v_add_co_u32 v28, s7, v38, s14
	s_delay_alu instid0(VALU_DEP_1) | instskip(SKIP_1) | instid1(VALU_DEP_1)
	v_add_co_ci_u32_e64 v29, s7, s15, v39, s7
	v_add_co_u32 v30, s7, v36, s14
	v_add_co_ci_u32_e64 v31, s7, s15, v37, s7
	global_load_b64 v[28:29], v[28:29], off offset:512
	global_load_b64 v[30:31], v[30:31], off offset:512
.LBB783_14:
	s_or_b32 exec_lo, exec_lo, s8
	v_dual_mov_b32 v33, v25 :: v_dual_mov_b32 v32, v24
	s_and_b32 s6, s6, s4
	s_delay_alu instid0(SALU_CYCLE_1)
	s_and_saveexec_b32 s7, s6
	s_cbranch_execz .LBB783_16
; %bb.15:
	s_mov_b32 s11, 0
	s_delay_alu instid0(SALU_CYCLE_1) | instskip(NEXT) | instid1(SALU_CYCLE_1)
	s_lshl_b64 s[8:9], s[10:11], 3
	v_add_co_u32 v24, s6, v38, s8
	s_delay_alu instid0(VALU_DEP_1) | instskip(SKIP_1) | instid1(VALU_DEP_1)
	v_add_co_ci_u32_e64 v25, s6, s9, v39, s6
	v_add_co_u32 v32, s6, v36, s8
	v_add_co_ci_u32_e64 v33, s6, s9, v37, s6
	global_load_b64 v[24:25], v[24:25], off offset:768
	global_load_b64 v[32:33], v[32:33], off offset:768
.LBB783_16:
	s_or_b32 exec_lo, exec_lo, s7
	s_load_b64 s[0:1], s[0:1], 0x28
	s_ashr_i32 s11, s10, 31
	s_waitcnt vmcnt(1)
	v_add_f64 v[38:39], v[6:7], 0
	v_add_f64 v[40:41], v[16:17], 0
	s_waitcnt lgkmcnt(0)
	v_add_co_u32 v36, s0, s0, v34
	s_delay_alu instid0(VALU_DEP_1) | instskip(NEXT) | instid1(VALU_DEP_2)
	v_add_co_ci_u32_e64 v37, s0, s1, v35, s0
	v_add_co_u32 v34, s0, v36, s10
	s_delay_alu instid0(VALU_DEP_1)
	v_add_co_ci_u32_e64 v35, s0, s11, v37, s0
	s_clause 0x7
	global_load_u8 v42, v[36:37], off
	global_load_u8 v43, v[34:35], off
	global_load_u8 v47, v[36:37], off offset:32
	global_load_u8 v48, v[34:35], off offset:32
	;; [unrolled: 1-line block ×6, first 2 shown]
	s_waitcnt vmcnt(7)
	v_and_b32_e32 v42, 1, v42
	s_waitcnt vmcnt(6)
	v_and_b32_e32 v43, 1, v43
	;; [unrolled: 2-line block ×4, first 2 shown]
	v_cmp_eq_u32_e64 s0, 1, v42
	v_cmp_eq_u32_e64 s1, 1, v43
	s_delay_alu instid0(VALU_DEP_3)
	v_cmp_eq_u32_e64 s6, 1, v48
	s_waitcnt vmcnt(2)
	v_and_b32_e32 v48, 1, v50
	v_cndmask_b32_e64 v39, v39, 0, s0
	v_cndmask_b32_e64 v38, v38, 0, s0
	;; [unrolled: 1-line block ×4, first 2 shown]
	v_cmp_eq_u32_e64 s1, 1, v47
	v_and_b32_e32 v47, 1, v49
	v_add_f64 v[42:43], v[38:39], v[0:1]
	s_waitcnt vmcnt(1)
	v_and_b32_e32 v49, 1, v51
	v_add_f64 v[44:45], v[40:41], v[4:5]
	s_waitcnt vmcnt(0)
	v_and_b32_e32 v50, 1, v52
	s_delay_alu instid0(VALU_DEP_4) | instskip(SKIP_1) | instid1(VALU_DEP_4)
	v_cndmask_b32_e64 v39, v43, v39, s1
	v_cndmask_b32_e64 v38, v42, v38, s1
	;; [unrolled: 1-line block ×4, first 2 shown]
	v_cmp_eq_u32_e64 s1, 1, v47
	v_cmp_eq_u32_e64 s6, 1, v48
	v_add_f64 v[42:43], v[38:39], v[14:15]
	v_mbcnt_lo_u32_b32 v47, -1, 0
	v_add_f64 v[44:45], v[40:41], v[28:29]
	s_delay_alu instid0(VALU_DEP_2) | instskip(NEXT) | instid1(VALU_DEP_4)
	v_xor_b32_e32 v48, 16, v47
	v_cndmask_b32_e64 v39, v43, v39, s1
	v_cndmask_b32_e64 v38, v42, v38, s1
	s_delay_alu instid0(VALU_DEP_4) | instskip(SKIP_4) | instid1(VALU_DEP_4)
	v_cndmask_b32_e64 v41, v45, v41, s6
	v_cndmask_b32_e64 v40, v44, v40, s6
	v_cmp_gt_i32_e64 s1, 32, v48
	v_cmp_eq_u32_e64 s6, 1, v50
	v_add_f64 v[42:43], v[38:39], v[2:3]
	v_add_f64 v[44:45], v[40:41], v[24:25]
	s_delay_alu instid0(VALU_DEP_4) | instskip(SKIP_1) | instid1(VALU_DEP_2)
	v_cndmask_b32_e64 v48, v47, v48, s1
	v_cmp_eq_u32_e64 s1, 1, v49
	v_lshlrev_b32_e32 v48, 2, v48
	s_delay_alu instid0(VALU_DEP_2)
	v_cndmask_b32_e64 v39, v43, v39, s1
	v_cndmask_b32_e64 v38, v42, v38, s1
	;; [unrolled: 1-line block ×4, first 2 shown]
	ds_bpermute_b32 v43, v48, v39
	ds_bpermute_b32 v42, v48, v38
	ds_bpermute_b32 v45, v48, v41
	ds_bpermute_b32 v44, v48, v40
	s_waitcnt lgkmcnt(2)
	v_add_f64 v[38:39], v[38:39], v[42:43]
	v_xor_b32_e32 v42, 8, v47
	s_waitcnt lgkmcnt(0)
	v_add_f64 v[40:41], v[40:41], v[44:45]
	s_delay_alu instid0(VALU_DEP_2) | instskip(NEXT) | instid1(VALU_DEP_1)
	v_cmp_gt_i32_e64 s1, 32, v42
	v_cndmask_b32_e64 v42, v47, v42, s1
	s_delay_alu instid0(VALU_DEP_1)
	v_lshlrev_b32_e32 v45, 2, v42
	ds_bpermute_b32 v42, v45, v38
	ds_bpermute_b32 v43, v45, v39
	ds_bpermute_b32 v44, v45, v40
	ds_bpermute_b32 v45, v45, v41
	s_waitcnt lgkmcnt(2)
	v_add_f64 v[38:39], v[38:39], v[42:43]
	v_xor_b32_e32 v42, 4, v47
	s_waitcnt lgkmcnt(0)
	v_add_f64 v[40:41], v[40:41], v[44:45]
	s_delay_alu instid0(VALU_DEP_2) | instskip(NEXT) | instid1(VALU_DEP_1)
	v_cmp_gt_i32_e64 s1, 32, v42
	v_cndmask_b32_e64 v42, v47, v42, s1
	s_delay_alu instid0(VALU_DEP_1)
	v_lshlrev_b32_e32 v45, 2, v42
	ds_bpermute_b32 v42, v45, v38
	ds_bpermute_b32 v43, v45, v39
	ds_bpermute_b32 v44, v45, v40
	ds_bpermute_b32 v45, v45, v41
	s_waitcnt lgkmcnt(2)
	v_add_f64 v[38:39], v[38:39], v[42:43]
	v_xor_b32_e32 v42, 2, v47
	s_waitcnt lgkmcnt(0)
	v_add_f64 v[40:41], v[40:41], v[44:45]
	s_delay_alu instid0(VALU_DEP_2) | instskip(NEXT) | instid1(VALU_DEP_1)
	v_cmp_gt_i32_e64 s1, 32, v42
	v_cndmask_b32_e64 v42, v47, v42, s1
	s_delay_alu instid0(VALU_DEP_1)
	v_lshlrev_b32_e32 v45, 2, v42
	ds_bpermute_b32 v42, v45, v38
	ds_bpermute_b32 v43, v45, v39
	;; [unrolled: 1-line block ×4, first 2 shown]
	s_waitcnt lgkmcnt(2)
	v_add_f64 v[42:43], v[38:39], v[42:43]
	s_waitcnt lgkmcnt(0)
	v_add_f64 v[38:39], v[40:41], v[44:45]
	v_xor_b32_e32 v40, 1, v47
	s_delay_alu instid0(VALU_DEP_1) | instskip(NEXT) | instid1(VALU_DEP_1)
	v_cmp_gt_i32_e64 s1, 32, v40
	v_cndmask_b32_e64 v40, v47, v40, s1
	s_delay_alu instid0(VALU_DEP_1)
	v_lshlrev_b32_e32 v41, 2, v40
	ds_bpermute_b32 v44, v41, v42
	ds_bpermute_b32 v45, v41, v43
	;; [unrolled: 1-line block ×4, first 2 shown]
	s_and_saveexec_b32 s1, s5
	s_cbranch_execz .LBB783_22
; %bb.17:
	s_waitcnt lgkmcnt(2)
	v_add_f64 v[42:43], v[42:43], v[44:45]
	v_add_co_u32 v8, s1, s12, v8
	s_delay_alu instid0(VALU_DEP_1)
	v_add_co_ci_u32_e64 v9, s1, s13, v9, s1
	s_and_saveexec_b32 s1, vcc_lo
	s_cbranch_execnz .LBB783_23
; %bb.18:
	s_or_b32 exec_lo, exec_lo, s1
	s_and_saveexec_b32 s1, s2
	s_cbranch_execnz .LBB783_24
.LBB783_19:
	s_or_b32 exec_lo, exec_lo, s1
	s_and_saveexec_b32 s1, s3
	s_cbranch_execnz .LBB783_25
.LBB783_20:
	s_or_b32 exec_lo, exec_lo, s1
	s_and_saveexec_b32 s1, s4
	s_cbranch_execnz .LBB783_26
.LBB783_21:
	s_or_b32 exec_lo, exec_lo, s1
	v_cmp_ne_u32_e64 s0, 1, v46
	s_delay_alu instid0(VALU_DEP_1)
	s_and_b32 exec_lo, exec_lo, s0
	s_cbranch_execnz .LBB783_27
.LBB783_22:
	s_nop 0
	s_sendmsg sendmsg(MSG_DEALLOC_VGPRS)
	s_endpgm
.LBB783_23:
	s_delay_alu instid0(VALU_DEP_3) | instskip(NEXT) | instid1(VALU_DEP_1)
	v_fma_f64 v[6:7], -v[42:43], v[10:11], v[6:7]
	v_cndmask_b32_e64 v7, v7, 0, s0
	s_delay_alu instid0(VALU_DEP_2)
	v_cndmask_b32_e64 v6, v6, 0, s0
	global_store_b64 v[8:9], v[6:7], off
	s_or_b32 exec_lo, exec_lo, s1
	s_and_saveexec_b32 s1, s2
	s_cbranch_execz .LBB783_19
.LBB783_24:
	global_load_u8 v6, v[36:37], off offset:32
	v_fma_f64 v[0:1], -v[42:43], v[12:13], v[0:1]
	s_waitcnt vmcnt(0)
	v_and_b32_e32 v6, 1, v6
	s_delay_alu instid0(VALU_DEP_1) | instskip(NEXT) | instid1(VALU_DEP_1)
	v_cmp_eq_u32_e64 s0, 1, v6
	v_cndmask_b32_e64 v1, v1, 0, s0
	s_delay_alu instid0(VALU_DEP_4)
	v_cndmask_b32_e64 v0, v0, 0, s0
	global_store_b64 v[8:9], v[0:1], off offset:256
	s_or_b32 exec_lo, exec_lo, s1
	s_and_saveexec_b32 s1, s3
	s_cbranch_execz .LBB783_20
.LBB783_25:
	global_load_u8 v6, v[36:37], off offset:64
	v_fma_f64 v[0:1], -v[42:43], v[18:19], v[14:15]
	s_waitcnt vmcnt(0)
	v_and_b32_e32 v6, 1, v6
	s_delay_alu instid0(VALU_DEP_1) | instskip(NEXT) | instid1(VALU_DEP_1)
	v_cmp_eq_u32_e64 s0, 1, v6
	v_cndmask_b32_e64 v1, v1, 0, s0
	s_delay_alu instid0(VALU_DEP_4)
	v_cndmask_b32_e64 v0, v0, 0, s0
	global_store_b64 v[8:9], v[0:1], off offset:512
	s_or_b32 exec_lo, exec_lo, s1
	s_and_saveexec_b32 s1, s4
	s_cbranch_execz .LBB783_21
.LBB783_26:
	global_load_u8 v6, v[36:37], off offset:96
	v_fma_f64 v[0:1], -v[42:43], v[20:21], v[2:3]
	s_waitcnt vmcnt(0)
	v_and_b32_e32 v2, 1, v6
	s_delay_alu instid0(VALU_DEP_1) | instskip(NEXT) | instid1(VALU_DEP_1)
	v_cmp_eq_u32_e64 s0, 1, v2
	v_cndmask_b32_e64 v1, v1, 0, s0
	s_delay_alu instid0(VALU_DEP_4) | instskip(SKIP_3) | instid1(VALU_DEP_1)
	v_cndmask_b32_e64 v0, v0, 0, s0
	global_store_b64 v[8:9], v[0:1], off offset:768
	s_or_b32 exec_lo, exec_lo, s1
	v_cmp_ne_u32_e64 s0, 1, v46
	s_and_b32 exec_lo, exec_lo, s0
	s_cbranch_execz .LBB783_22
.LBB783_27:
	s_waitcnt lgkmcnt(0)
	v_add_f64 v[2:3], v[38:39], v[40:41]
	s_lshl_b64 s[0:1], s[10:11], 3
	s_delay_alu instid0(SALU_CYCLE_1) | instskip(NEXT) | instid1(VALU_DEP_1)
	v_add_co_u32 v0, s0, v8, s0
	v_add_co_ci_u32_e64 v1, s0, s1, v9, s0
	s_and_saveexec_b32 s0, vcc_lo
	s_cbranch_execnz .LBB783_31
; %bb.28:
	s_or_b32 exec_lo, exec_lo, s0
	s_and_saveexec_b32 s0, s2
	s_cbranch_execnz .LBB783_32
.LBB783_29:
	s_or_b32 exec_lo, exec_lo, s0
	s_and_saveexec_b32 s0, s3
	s_cbranch_execnz .LBB783_33
.LBB783_30:
	s_or_b32 exec_lo, exec_lo, s0
	s_delay_alu instid0(SALU_CYCLE_1)
	s_and_b32 exec_lo, exec_lo, s4
	s_cbranch_execz .LBB783_22
	s_branch .LBB783_34
.LBB783_31:
	global_load_u8 v8, v[34:35], off
	v_fma_f64 v[6:7], -v[2:3], v[22:23], v[16:17]
	s_waitcnt vmcnt(0)
	v_and_b32_e32 v8, 1, v8
	s_delay_alu instid0(VALU_DEP_1) | instskip(NEXT) | instid1(VALU_DEP_3)
	v_cmp_eq_u32_e32 vcc_lo, 1, v8
	v_cndmask_b32_e64 v7, v7, 0, vcc_lo
	s_delay_alu instid0(VALU_DEP_4)
	v_cndmask_b32_e64 v6, v6, 0, vcc_lo
	global_store_b64 v[0:1], v[6:7], off
	s_or_b32 exec_lo, exec_lo, s0
	s_and_saveexec_b32 s0, s2
	s_cbranch_execz .LBB783_29
.LBB783_32:
	global_load_u8 v6, v[34:35], off offset:32
	v_fma_f64 v[4:5], -v[2:3], v[26:27], v[4:5]
	s_waitcnt vmcnt(0)
	v_and_b32_e32 v6, 1, v6
	s_delay_alu instid0(VALU_DEP_1) | instskip(NEXT) | instid1(VALU_DEP_3)
	v_cmp_eq_u32_e32 vcc_lo, 1, v6
	v_cndmask_b32_e64 v5, v5, 0, vcc_lo
	s_delay_alu instid0(VALU_DEP_4)
	v_cndmask_b32_e64 v4, v4, 0, vcc_lo
	global_store_b64 v[0:1], v[4:5], off offset:256
	s_or_b32 exec_lo, exec_lo, s0
	s_and_saveexec_b32 s0, s3
	s_cbranch_execz .LBB783_30
.LBB783_33:
	global_load_u8 v6, v[34:35], off offset:64
	v_fma_f64 v[4:5], -v[2:3], v[30:31], v[28:29]
	s_waitcnt vmcnt(0)
	v_and_b32_e32 v6, 1, v6
	s_delay_alu instid0(VALU_DEP_1) | instskip(NEXT) | instid1(VALU_DEP_3)
	v_cmp_eq_u32_e32 vcc_lo, 1, v6
	v_cndmask_b32_e64 v5, v5, 0, vcc_lo
	s_delay_alu instid0(VALU_DEP_4) | instskip(SKIP_2) | instid1(SALU_CYCLE_1)
	v_cndmask_b32_e64 v4, v4, 0, vcc_lo
	global_store_b64 v[0:1], v[4:5], off offset:512
	s_or_b32 exec_lo, exec_lo, s0
	s_and_b32 exec_lo, exec_lo, s4
	s_cbranch_execz .LBB783_22
.LBB783_34:
	global_load_u8 v4, v[34:35], off offset:96
	v_fma_f64 v[2:3], -v[2:3], v[32:33], v[24:25]
	s_waitcnt vmcnt(0)
	v_and_b32_e32 v4, 1, v4
	s_delay_alu instid0(VALU_DEP_1) | instskip(NEXT) | instid1(VALU_DEP_3)
	v_cmp_eq_u32_e32 vcc_lo, 1, v4
	v_cndmask_b32_e64 v3, v3, 0, vcc_lo
	s_delay_alu instid0(VALU_DEP_4)
	v_cndmask_b32_e64 v2, v2, 0, vcc_lo
	global_store_b64 v[0:1], v[2:3], off offset:768
	s_nop 0
	s_sendmsg sendmsg(MSG_DEALLOC_VGPRS)
	s_endpgm
	.section	.rodata,"a",@progbits
	.p2align	6, 0x0
	.amdhsa_kernel _ZN12_GLOBAL__N_121softmax_warp_backwardIdddLi7ELb0ELb1ELi32EEEvPT0_PKT_S5_iiiPKb
		.amdhsa_group_segment_fixed_size 0
		.amdhsa_private_segment_fixed_size 0
		.amdhsa_kernarg_size 304
		.amdhsa_user_sgpr_count 15
		.amdhsa_user_sgpr_dispatch_ptr 0
		.amdhsa_user_sgpr_queue_ptr 0
		.amdhsa_user_sgpr_kernarg_segment_ptr 1
		.amdhsa_user_sgpr_dispatch_id 0
		.amdhsa_user_sgpr_private_segment_size 0
		.amdhsa_wavefront_size32 1
		.amdhsa_uses_dynamic_stack 0
		.amdhsa_enable_private_segment 0
		.amdhsa_system_sgpr_workgroup_id_x 1
		.amdhsa_system_sgpr_workgroup_id_y 0
		.amdhsa_system_sgpr_workgroup_id_z 0
		.amdhsa_system_sgpr_workgroup_info 0
		.amdhsa_system_vgpr_workitem_id 1
		.amdhsa_next_free_vgpr 53
		.amdhsa_next_free_sgpr 16
		.amdhsa_reserve_vcc 1
		.amdhsa_float_round_mode_32 0
		.amdhsa_float_round_mode_16_64 0
		.amdhsa_float_denorm_mode_32 3
		.amdhsa_float_denorm_mode_16_64 3
		.amdhsa_dx10_clamp 1
		.amdhsa_ieee_mode 1
		.amdhsa_fp16_overflow 0
		.amdhsa_workgroup_processor_mode 1
		.amdhsa_memory_ordered 1
		.amdhsa_forward_progress 0
		.amdhsa_shared_vgpr_count 0
		.amdhsa_exception_fp_ieee_invalid_op 0
		.amdhsa_exception_fp_denorm_src 0
		.amdhsa_exception_fp_ieee_div_zero 0
		.amdhsa_exception_fp_ieee_overflow 0
		.amdhsa_exception_fp_ieee_underflow 0
		.amdhsa_exception_fp_ieee_inexact 0
		.amdhsa_exception_int_div_zero 0
	.end_amdhsa_kernel
	.section	.text._ZN12_GLOBAL__N_121softmax_warp_backwardIdddLi7ELb0ELb1ELi32EEEvPT0_PKT_S5_iiiPKb,"axG",@progbits,_ZN12_GLOBAL__N_121softmax_warp_backwardIdddLi7ELb0ELb1ELi32EEEvPT0_PKT_S5_iiiPKb,comdat
.Lfunc_end783:
	.size	_ZN12_GLOBAL__N_121softmax_warp_backwardIdddLi7ELb0ELb1ELi32EEEvPT0_PKT_S5_iiiPKb, .Lfunc_end783-_ZN12_GLOBAL__N_121softmax_warp_backwardIdddLi7ELb0ELb1ELi32EEEvPT0_PKT_S5_iiiPKb
                                        ; -- End function
	.section	.AMDGPU.csdata,"",@progbits
; Kernel info:
; codeLenInByte = 2496
; NumSgprs: 18
; NumVgprs: 53
; ScratchSize: 0
; MemoryBound: 0
; FloatMode: 240
; IeeeMode: 1
; LDSByteSize: 0 bytes/workgroup (compile time only)
; SGPRBlocks: 2
; VGPRBlocks: 6
; NumSGPRsForWavesPerEU: 18
; NumVGPRsForWavesPerEU: 53
; Occupancy: 16
; WaveLimiterHint : 0
; COMPUTE_PGM_RSRC2:SCRATCH_EN: 0
; COMPUTE_PGM_RSRC2:USER_SGPR: 15
; COMPUTE_PGM_RSRC2:TRAP_HANDLER: 0
; COMPUTE_PGM_RSRC2:TGID_X_EN: 1
; COMPUTE_PGM_RSRC2:TGID_Y_EN: 0
; COMPUTE_PGM_RSRC2:TGID_Z_EN: 0
; COMPUTE_PGM_RSRC2:TIDIG_COMP_CNT: 1
	.section	.text._ZN12_GLOBAL__N_121softmax_warp_backwardIdddLi8ELb0ELb1ELi64EEEvPT0_PKT_S5_iiiPKb,"axG",@progbits,_ZN12_GLOBAL__N_121softmax_warp_backwardIdddLi8ELb0ELb1ELi64EEEvPT0_PKT_S5_iiiPKb,comdat
	.globl	_ZN12_GLOBAL__N_121softmax_warp_backwardIdddLi8ELb0ELb1ELi64EEEvPT0_PKT_S5_iiiPKb ; -- Begin function _ZN12_GLOBAL__N_121softmax_warp_backwardIdddLi8ELb0ELb1ELi64EEEvPT0_PKT_S5_iiiPKb
	.p2align	8
	.type	_ZN12_GLOBAL__N_121softmax_warp_backwardIdddLi8ELb0ELb1ELi64EEEvPT0_PKT_S5_iiiPKb,@function
_ZN12_GLOBAL__N_121softmax_warp_backwardIdddLi8ELb0ELb1ELi64EEEvPT0_PKT_S5_iiiPKb: ; @_ZN12_GLOBAL__N_121softmax_warp_backwardIdddLi8ELb0ELb1ELi64EEEvPT0_PKT_S5_iiiPKb
; %bb.0:
	s_clause 0x1
	s_load_b32 s2, s[0:1], 0x3c
	s_load_b128 s[4:7], s[0:1], 0x18
	v_bfe_u32 v1, v0, 10, 10
	v_and_b32_e32 v16, 63, v0
	s_clause 0x1
	s_load_b128 s[8:11], s[0:1], 0x0
	s_load_b64 s[12:13], s[0:1], 0x10
	s_waitcnt lgkmcnt(0)
	s_lshr_b32 s2, s2, 16
	s_delay_alu instid0(SALU_CYCLE_1) | instskip(SKIP_3) | instid1(VALU_DEP_2)
	v_mad_u64_u32 v[2:3], null, s15, s2, v[1:2]
	v_mov_b32_e32 v0, 0
	v_mov_b32_e32 v1, 0
	v_cmp_gt_i32_e32 vcc_lo, s6, v16
	v_dual_mov_b32 v5, v1 :: v_dual_mov_b32 v4, v0
	v_mad_u64_u32 v[18:19], null, v2, s5, v[16:17]
	v_sub_nc_u32_e32 v24, s4, v2
	v_dual_mov_b32 v9, v1 :: v_dual_mov_b32 v8, v0
	s_delay_alu instid0(VALU_DEP_2) | instskip(NEXT) | instid1(VALU_DEP_4)
	v_cmp_lt_i32_e64 s5, 0, v24
	v_ashrrev_i32_e32 v19, 31, v18
	s_delay_alu instid0(VALU_DEP_2) | instskip(NEXT) | instid1(VALU_DEP_1)
	s_and_b32 s3, s5, vcc_lo
	v_lshlrev_b64 v[6:7], 3, v[18:19]
	s_delay_alu instid0(VALU_DEP_1) | instskip(NEXT) | instid1(VALU_DEP_1)
	v_add_co_u32 v20, s2, s10, v6
	v_add_co_ci_u32_e64 v21, s2, s11, v7, s2
	v_add_co_u32 v22, s2, s12, v6
	s_delay_alu instid0(VALU_DEP_1)
	v_add_co_ci_u32_e64 v23, s2, s13, v7, s2
	s_and_saveexec_b32 s2, s3
	s_cbranch_execz .LBB784_2
; %bb.1:
	global_load_b64 v[4:5], v[20:21], off
	global_load_b64 v[8:9], v[22:23], off
.LBB784_2:
	s_or_b32 exec_lo, exec_lo, s2
	v_or_b32_e32 v2, 64, v16
	v_dual_mov_b32 v11, v1 :: v_dual_mov_b32 v10, v0
	s_delay_alu instid0(VALU_DEP_2) | instskip(NEXT) | instid1(VALU_DEP_1)
	v_cmp_gt_i32_e64 s2, s6, v2
	s_and_b32 s4, s5, s2
	s_delay_alu instid0(SALU_CYCLE_1)
	s_and_saveexec_b32 s3, s4
	s_cbranch_execz .LBB784_4
; %bb.3:
	global_load_b64 v[0:1], v[20:21], off offset:512
	global_load_b64 v[10:11], v[22:23], off offset:512
.LBB784_4:
	s_or_b32 exec_lo, exec_lo, s3
	v_or_b32_e32 v12, 0x80, v16
	v_mov_b32_e32 v2, 0
	v_mov_b32_e32 v3, 0
	s_delay_alu instid0(VALU_DEP_3) | instskip(NEXT) | instid1(VALU_DEP_2)
	v_cmp_gt_i32_e64 s3, s6, v12
	v_dual_mov_b32 v13, v3 :: v_dual_mov_b32 v12, v2
	v_dual_mov_b32 v15, v3 :: v_dual_mov_b32 v14, v2
	s_delay_alu instid0(VALU_DEP_3) | instskip(NEXT) | instid1(SALU_CYCLE_1)
	s_and_b32 s7, s5, s3
	s_and_saveexec_b32 s4, s7
	s_cbranch_execz .LBB784_6
; %bb.5:
	global_load_b64 v[12:13], v[20:21], off offset:1024
	global_load_b64 v[14:15], v[22:23], off offset:1024
.LBB784_6:
	s_or_b32 exec_lo, exec_lo, s4
	v_or_b32_e32 v16, 0xc0, v16
	s_delay_alu instid0(VALU_DEP_1) | instskip(SKIP_1) | instid1(VALU_DEP_2)
	v_cmp_gt_i32_e64 s4, s6, v16
	v_dual_mov_b32 v17, v3 :: v_dual_mov_b32 v16, v2
	s_and_b32 s6, s5, s4
	s_delay_alu instid0(SALU_CYCLE_1)
	s_and_saveexec_b32 s5, s6
	s_cbranch_execz .LBB784_8
; %bb.7:
	global_load_b64 v[2:3], v[20:21], off offset:1536
	global_load_b64 v[16:17], v[22:23], off offset:1536
.LBB784_8:
	s_or_b32 exec_lo, exec_lo, s5
	s_load_b64 s[0:1], s[0:1], 0x28
	s_waitcnt vmcnt(1)
	v_add_f64 v[20:21], v[4:5], 0
	s_mov_b32 s5, exec_lo
	s_waitcnt lgkmcnt(0)
	v_add_co_u32 v18, s0, s0, v18
	s_delay_alu instid0(VALU_DEP_1)
	v_add_co_ci_u32_e64 v19, s0, s1, v19, s0
	s_clause 0x3
	global_load_u8 v22, v[18:19], off
	global_load_u8 v25, v[18:19], off offset:64
	global_load_u8 v26, v[18:19], off offset:128
	;; [unrolled: 1-line block ×3, first 2 shown]
	s_waitcnt vmcnt(3)
	v_and_b32_e32 v22, 1, v22
	s_waitcnt vmcnt(2)
	v_and_b32_e32 v25, 1, v25
	;; [unrolled: 2-line block ×3, first 2 shown]
	v_cmp_eq_u32_e64 s0, 1, v22
	s_delay_alu instid0(VALU_DEP_3) | instskip(SKIP_1) | instid1(VALU_DEP_3)
	v_cmp_eq_u32_e64 s1, 1, v25
	v_and_b32_e32 v25, 1, v26
	v_cndmask_b32_e64 v21, v21, 0, s0
	v_cndmask_b32_e64 v20, v20, 0, s0
	s_delay_alu instid0(VALU_DEP_1) | instskip(NEXT) | instid1(VALU_DEP_1)
	v_add_f64 v[22:23], v[20:21], v[0:1]
	v_cndmask_b32_e64 v21, v23, v21, s1
	s_delay_alu instid0(VALU_DEP_2) | instskip(SKIP_2) | instid1(VALU_DEP_3)
	v_cndmask_b32_e64 v20, v22, v20, s1
	v_cmp_eq_u32_e64 s1, 1, v25
	v_mbcnt_lo_u32_b32 v25, -1, 0
	v_add_f64 v[22:23], v[20:21], v[12:13]
	s_delay_alu instid0(VALU_DEP_2) | instskip(NEXT) | instid1(VALU_DEP_2)
	v_or_b32_e32 v26, 32, v25
	v_cndmask_b32_e64 v21, v23, v21, s1
	s_delay_alu instid0(VALU_DEP_3) | instskip(NEXT) | instid1(VALU_DEP_3)
	v_cndmask_b32_e64 v20, v22, v20, s1
	v_cmp_gt_i32_e64 s1, 64, v26
	s_delay_alu instid0(VALU_DEP_2) | instskip(NEXT) | instid1(VALU_DEP_2)
	v_add_f64 v[22:23], v[20:21], v[2:3]
	v_cndmask_b32_e64 v26, v25, v26, s1
	v_cmp_eq_u32_e64 s1, 1, v27
	s_delay_alu instid0(VALU_DEP_2) | instskip(NEXT) | instid1(VALU_DEP_2)
	v_lshlrev_b32_e32 v26, 2, v26
	v_cndmask_b32_e64 v21, v23, v21, s1
	v_cndmask_b32_e64 v20, v22, v20, s1
	ds_bpermute_b32 v23, v26, v21
	ds_bpermute_b32 v22, v26, v20
	s_waitcnt lgkmcnt(0)
	v_add_f64 v[20:21], v[20:21], v[22:23]
	v_xor_b32_e32 v22, 16, v25
	s_delay_alu instid0(VALU_DEP_1) | instskip(NEXT) | instid1(VALU_DEP_1)
	v_cmp_gt_i32_e64 s1, 64, v22
	v_cndmask_b32_e64 v22, v25, v22, s1
	s_delay_alu instid0(VALU_DEP_1)
	v_lshlrev_b32_e32 v23, 2, v22
	ds_bpermute_b32 v22, v23, v20
	ds_bpermute_b32 v23, v23, v21
	s_waitcnt lgkmcnt(0)
	v_add_f64 v[20:21], v[20:21], v[22:23]
	v_xor_b32_e32 v22, 8, v25
	s_delay_alu instid0(VALU_DEP_1) | instskip(NEXT) | instid1(VALU_DEP_1)
	v_cmp_gt_i32_e64 s1, 64, v22
	v_cndmask_b32_e64 v22, v25, v22, s1
	s_delay_alu instid0(VALU_DEP_1)
	v_lshlrev_b32_e32 v23, 2, v22
	;; [unrolled: 10-line block ×5, first 2 shown]
	ds_bpermute_b32 v22, v23, v20
	ds_bpermute_b32 v23, v23, v21
	v_cmpx_lt_i32_e32 0, v24
	s_cbranch_execz .LBB784_14
; %bb.9:
	s_waitcnt lgkmcnt(0)
	v_add_f64 v[20:21], v[20:21], v[22:23]
	v_add_co_u32 v6, s1, s8, v6
	s_delay_alu instid0(VALU_DEP_1)
	v_add_co_ci_u32_e64 v7, s1, s9, v7, s1
	s_and_saveexec_b32 s1, vcc_lo
	s_cbranch_execnz .LBB784_15
; %bb.10:
	s_or_b32 exec_lo, exec_lo, s1
	s_and_saveexec_b32 s0, s2
	s_cbranch_execnz .LBB784_16
.LBB784_11:
	s_or_b32 exec_lo, exec_lo, s0
	s_and_saveexec_b32 s0, s3
	s_cbranch_execnz .LBB784_17
.LBB784_12:
	s_or_b32 exec_lo, exec_lo, s0
	s_delay_alu instid0(SALU_CYCLE_1)
	s_and_b32 exec_lo, exec_lo, s4
	s_cbranch_execz .LBB784_14
.LBB784_13:
	global_load_u8 v4, v[18:19], off offset:192
	v_fma_f64 v[0:1], -v[20:21], v[16:17], v[2:3]
	s_waitcnt vmcnt(0)
	v_and_b32_e32 v2, 1, v4
	s_delay_alu instid0(VALU_DEP_1) | instskip(NEXT) | instid1(VALU_DEP_3)
	v_cmp_eq_u32_e32 vcc_lo, 1, v2
	v_cndmask_b32_e64 v1, v1, 0, vcc_lo
	s_delay_alu instid0(VALU_DEP_4)
	v_cndmask_b32_e64 v0, v0, 0, vcc_lo
	global_store_b64 v[6:7], v[0:1], off offset:1536
.LBB784_14:
	s_nop 0
	s_sendmsg sendmsg(MSG_DEALLOC_VGPRS)
	s_endpgm
.LBB784_15:
	s_delay_alu instid0(VALU_DEP_3) | instskip(NEXT) | instid1(VALU_DEP_1)
	v_fma_f64 v[4:5], -v[20:21], v[8:9], v[4:5]
	v_cndmask_b32_e64 v5, v5, 0, s0
	s_delay_alu instid0(VALU_DEP_2)
	v_cndmask_b32_e64 v4, v4, 0, s0
	global_store_b64 v[6:7], v[4:5], off
	s_or_b32 exec_lo, exec_lo, s1
	s_and_saveexec_b32 s0, s2
	s_cbranch_execz .LBB784_11
.LBB784_16:
	global_load_u8 v4, v[18:19], off offset:64
	v_fma_f64 v[0:1], -v[20:21], v[10:11], v[0:1]
	s_waitcnt vmcnt(0)
	v_and_b32_e32 v4, 1, v4
	s_delay_alu instid0(VALU_DEP_1) | instskip(NEXT) | instid1(VALU_DEP_3)
	v_cmp_eq_u32_e32 vcc_lo, 1, v4
	v_cndmask_b32_e64 v1, v1, 0, vcc_lo
	s_delay_alu instid0(VALU_DEP_4)
	v_cndmask_b32_e64 v0, v0, 0, vcc_lo
	global_store_b64 v[6:7], v[0:1], off offset:512
	s_or_b32 exec_lo, exec_lo, s0
	s_and_saveexec_b32 s0, s3
	s_cbranch_execz .LBB784_12
.LBB784_17:
	global_load_u8 v4, v[18:19], off offset:128
	v_fma_f64 v[0:1], -v[20:21], v[14:15], v[12:13]
	s_waitcnt vmcnt(0)
	v_and_b32_e32 v4, 1, v4
	s_delay_alu instid0(VALU_DEP_1) | instskip(NEXT) | instid1(VALU_DEP_3)
	v_cmp_eq_u32_e32 vcc_lo, 1, v4
	v_cndmask_b32_e64 v1, v1, 0, vcc_lo
	s_delay_alu instid0(VALU_DEP_4) | instskip(SKIP_2) | instid1(SALU_CYCLE_1)
	v_cndmask_b32_e64 v0, v0, 0, vcc_lo
	global_store_b64 v[6:7], v[0:1], off offset:1024
	s_or_b32 exec_lo, exec_lo, s0
	s_and_b32 exec_lo, exec_lo, s4
	s_cbranch_execnz .LBB784_13
	s_branch .LBB784_14
	.section	.rodata,"a",@progbits
	.p2align	6, 0x0
	.amdhsa_kernel _ZN12_GLOBAL__N_121softmax_warp_backwardIdddLi8ELb0ELb1ELi64EEEvPT0_PKT_S5_iiiPKb
		.amdhsa_group_segment_fixed_size 0
		.amdhsa_private_segment_fixed_size 0
		.amdhsa_kernarg_size 304
		.amdhsa_user_sgpr_count 15
		.amdhsa_user_sgpr_dispatch_ptr 0
		.amdhsa_user_sgpr_queue_ptr 0
		.amdhsa_user_sgpr_kernarg_segment_ptr 1
		.amdhsa_user_sgpr_dispatch_id 0
		.amdhsa_user_sgpr_private_segment_size 0
		.amdhsa_wavefront_size32 1
		.amdhsa_uses_dynamic_stack 0
		.amdhsa_enable_private_segment 0
		.amdhsa_system_sgpr_workgroup_id_x 1
		.amdhsa_system_sgpr_workgroup_id_y 0
		.amdhsa_system_sgpr_workgroup_id_z 0
		.amdhsa_system_sgpr_workgroup_info 0
		.amdhsa_system_vgpr_workitem_id 1
		.amdhsa_next_free_vgpr 28
		.amdhsa_next_free_sgpr 16
		.amdhsa_reserve_vcc 1
		.amdhsa_float_round_mode_32 0
		.amdhsa_float_round_mode_16_64 0
		.amdhsa_float_denorm_mode_32 3
		.amdhsa_float_denorm_mode_16_64 3
		.amdhsa_dx10_clamp 1
		.amdhsa_ieee_mode 1
		.amdhsa_fp16_overflow 0
		.amdhsa_workgroup_processor_mode 1
		.amdhsa_memory_ordered 1
		.amdhsa_forward_progress 0
		.amdhsa_shared_vgpr_count 0
		.amdhsa_exception_fp_ieee_invalid_op 0
		.amdhsa_exception_fp_denorm_src 0
		.amdhsa_exception_fp_ieee_div_zero 0
		.amdhsa_exception_fp_ieee_overflow 0
		.amdhsa_exception_fp_ieee_underflow 0
		.amdhsa_exception_fp_ieee_inexact 0
		.amdhsa_exception_int_div_zero 0
	.end_amdhsa_kernel
	.section	.text._ZN12_GLOBAL__N_121softmax_warp_backwardIdddLi8ELb0ELb1ELi64EEEvPT0_PKT_S5_iiiPKb,"axG",@progbits,_ZN12_GLOBAL__N_121softmax_warp_backwardIdddLi8ELb0ELb1ELi64EEEvPT0_PKT_S5_iiiPKb,comdat
.Lfunc_end784:
	.size	_ZN12_GLOBAL__N_121softmax_warp_backwardIdddLi8ELb0ELb1ELi64EEEvPT0_PKT_S5_iiiPKb, .Lfunc_end784-_ZN12_GLOBAL__N_121softmax_warp_backwardIdddLi8ELb0ELb1ELi64EEEvPT0_PKT_S5_iiiPKb
                                        ; -- End function
	.section	.AMDGPU.csdata,"",@progbits
; Kernel info:
; codeLenInByte = 1384
; NumSgprs: 18
; NumVgprs: 28
; ScratchSize: 0
; MemoryBound: 0
; FloatMode: 240
; IeeeMode: 1
; LDSByteSize: 0 bytes/workgroup (compile time only)
; SGPRBlocks: 2
; VGPRBlocks: 3
; NumSGPRsForWavesPerEU: 18
; NumVGPRsForWavesPerEU: 28
; Occupancy: 16
; WaveLimiterHint : 0
; COMPUTE_PGM_RSRC2:SCRATCH_EN: 0
; COMPUTE_PGM_RSRC2:USER_SGPR: 15
; COMPUTE_PGM_RSRC2:TRAP_HANDLER: 0
; COMPUTE_PGM_RSRC2:TGID_X_EN: 1
; COMPUTE_PGM_RSRC2:TGID_Y_EN: 0
; COMPUTE_PGM_RSRC2:TGID_Z_EN: 0
; COMPUTE_PGM_RSRC2:TIDIG_COMP_CNT: 1
	.section	.text._ZN12_GLOBAL__N_121softmax_warp_backwardIdddLi8ELb0ELb1ELi32EEEvPT0_PKT_S5_iiiPKb,"axG",@progbits,_ZN12_GLOBAL__N_121softmax_warp_backwardIdddLi8ELb0ELb1ELi32EEEvPT0_PKT_S5_iiiPKb,comdat
	.globl	_ZN12_GLOBAL__N_121softmax_warp_backwardIdddLi8ELb0ELb1ELi32EEEvPT0_PKT_S5_iiiPKb ; -- Begin function _ZN12_GLOBAL__N_121softmax_warp_backwardIdddLi8ELb0ELb1ELi32EEEvPT0_PKT_S5_iiiPKb
	.p2align	8
	.type	_ZN12_GLOBAL__N_121softmax_warp_backwardIdddLi8ELb0ELb1ELi32EEEvPT0_PKT_S5_iiiPKb,@function
_ZN12_GLOBAL__N_121softmax_warp_backwardIdddLi8ELb0ELb1ELi32EEEvPT0_PKT_S5_iiiPKb: ; @_ZN12_GLOBAL__N_121softmax_warp_backwardIdddLi8ELb0ELb1ELi32EEEvPT0_PKT_S5_iiiPKb
; %bb.0:
	s_clause 0x1
	s_load_b32 s2, s[0:1], 0x3c
	s_load_b128 s[8:11], s[0:1], 0x18
	v_bfe_u32 v1, v0, 10, 10
	v_and_b32_e32 v32, 31, v0
	s_clause 0x1
	s_load_b128 s[16:19], s[0:1], 0x0
	s_load_b64 s[4:5], s[0:1], 0x10
	s_waitcnt lgkmcnt(0)
	s_lshr_b32 s2, s2, 16
	s_delay_alu instid0(SALU_CYCLE_1) | instskip(SKIP_3) | instid1(VALU_DEP_2)
	v_mad_u64_u32 v[2:3], null, s15, s2, v[1:2]
	v_mov_b32_e32 v0, 0
	v_mov_b32_e32 v1, 0
	v_cmp_gt_i32_e32 vcc_lo, s10, v32
	v_dual_mov_b32 v9, v1 :: v_dual_mov_b32 v8, v0
	v_mad_u64_u32 v[34:35], null, v2, s9, v[32:33]
	v_sub_nc_u32_e32 v40, s8, v2
	v_dual_mov_b32 v3, v1 :: v_dual_mov_b32 v2, v0
	s_delay_alu instid0(VALU_DEP_2) | instskip(NEXT) | instid1(VALU_DEP_4)
	v_cmp_lt_i32_e64 s9, 0, v40
	v_ashrrev_i32_e32 v35, 31, v34
	s_delay_alu instid0(VALU_DEP_2) | instskip(NEXT) | instid1(VALU_DEP_1)
	s_and_b32 s3, s9, vcc_lo
	v_lshlrev_b64 v[6:7], 3, v[34:35]
	s_delay_alu instid0(VALU_DEP_1) | instskip(NEXT) | instid1(VALU_DEP_1)
	v_add_co_u32 v36, s2, s18, v6
	v_add_co_ci_u32_e64 v37, s2, s19, v7, s2
	v_add_co_u32 v38, s2, s4, v6
	s_delay_alu instid0(VALU_DEP_1)
	v_add_co_ci_u32_e64 v39, s2, s5, v7, s2
	s_and_saveexec_b32 s2, s3
	s_cbranch_execz .LBB785_2
; %bb.1:
	global_load_b64 v[2:3], v[36:37], off
	global_load_b64 v[8:9], v[38:39], off
.LBB785_2:
	s_or_b32 exec_lo, exec_lo, s2
	v_or_b32_e32 v4, 32, v32
	v_dual_mov_b32 v11, v1 :: v_dual_mov_b32 v10, v0
	s_delay_alu instid0(VALU_DEP_2) | instskip(NEXT) | instid1(VALU_DEP_1)
	v_cmp_gt_i32_e64 s2, s10, v4
	s_and_b32 s4, s9, s2
	s_delay_alu instid0(SALU_CYCLE_1)
	s_and_saveexec_b32 s3, s4
	s_cbranch_execz .LBB785_4
; %bb.3:
	global_load_b64 v[0:1], v[36:37], off offset:256
	global_load_b64 v[10:11], v[38:39], off offset:256
.LBB785_4:
	s_or_b32 exec_lo, exec_lo, s3
	v_or_b32_e32 v12, 64, v32
	v_mov_b32_e32 v4, 0
	v_mov_b32_e32 v5, 0
	s_delay_alu instid0(VALU_DEP_3) | instskip(NEXT) | instid1(VALU_DEP_2)
	v_cmp_gt_i32_e64 s3, s10, v12
	v_dual_mov_b32 v15, v5 :: v_dual_mov_b32 v14, v4
	v_dual_mov_b32 v17, v5 :: v_dual_mov_b32 v16, v4
	s_delay_alu instid0(VALU_DEP_3) | instskip(NEXT) | instid1(SALU_CYCLE_1)
	s_and_b32 s5, s9, s3
	s_and_saveexec_b32 s4, s5
	s_cbranch_execz .LBB785_6
; %bb.5:
	global_load_b64 v[14:15], v[36:37], off offset:512
	global_load_b64 v[16:17], v[38:39], off offset:512
.LBB785_6:
	s_or_b32 exec_lo, exec_lo, s4
	v_or_b32_e32 v12, 0x60, v32
	v_dual_mov_b32 v19, v5 :: v_dual_mov_b32 v18, v4
	s_delay_alu instid0(VALU_DEP_2) | instskip(NEXT) | instid1(VALU_DEP_1)
	v_cmp_gt_i32_e64 s4, s10, v12
	s_and_b32 s6, s9, s4
	s_delay_alu instid0(SALU_CYCLE_1)
	s_and_saveexec_b32 s5, s6
	s_cbranch_execz .LBB785_8
; %bb.7:
	global_load_b64 v[4:5], v[36:37], off offset:768
	global_load_b64 v[18:19], v[38:39], off offset:768
.LBB785_8:
	s_or_b32 exec_lo, exec_lo, s5
	v_or_b32_e32 v20, 0x80, v32
	v_mov_b32_e32 v12, 0
	v_mov_b32_e32 v13, 0
	s_delay_alu instid0(VALU_DEP_3) | instskip(NEXT) | instid1(VALU_DEP_2)
	v_cmp_gt_i32_e64 s5, s10, v20
	v_dual_mov_b32 v23, v13 :: v_dual_mov_b32 v22, v12
	v_dual_mov_b32 v25, v13 :: v_dual_mov_b32 v24, v12
	s_delay_alu instid0(VALU_DEP_3) | instskip(NEXT) | instid1(SALU_CYCLE_1)
	s_and_b32 s7, s9, s5
	s_and_saveexec_b32 s6, s7
	s_cbranch_execz .LBB785_10
; %bb.9:
	global_load_b64 v[22:23], v[36:37], off offset:1024
	global_load_b64 v[24:25], v[38:39], off offset:1024
.LBB785_10:
	;; [unrolled: 29-line block ×3, first 2 shown]
	s_or_b32 exec_lo, exec_lo, s8
	v_or_b32_e32 v32, 0xe0, v32
	s_delay_alu instid0(VALU_DEP_1) | instskip(SKIP_1) | instid1(VALU_DEP_2)
	v_cmp_gt_i32_e64 s8, s10, v32
	v_dual_mov_b32 v33, v21 :: v_dual_mov_b32 v32, v20
	s_and_b32 s10, s9, s8
	s_delay_alu instid0(SALU_CYCLE_1)
	s_and_saveexec_b32 s9, s10
	s_cbranch_execz .LBB785_16
; %bb.15:
	global_load_b64 v[20:21], v[36:37], off offset:1792
	global_load_b64 v[32:33], v[38:39], off offset:1792
.LBB785_16:
	s_or_b32 exec_lo, exec_lo, s9
	s_load_b64 s[0:1], s[0:1], 0x28
	s_waitcnt vmcnt(1)
	v_add_f64 v[36:37], v[2:3], 0
	s_mov_b32 s18, exec_lo
	s_waitcnt lgkmcnt(0)
	v_add_co_u32 v34, s0, s0, v34
	s_delay_alu instid0(VALU_DEP_1)
	v_add_co_ci_u32_e64 v35, s0, s1, v35, s0
	s_clause 0x7
	global_load_u8 v38, v[34:35], off
	global_load_u8 v39, v[34:35], off offset:32
	global_load_u8 v41, v[34:35], off offset:64
	;; [unrolled: 1-line block ×7, first 2 shown]
	s_waitcnt vmcnt(7)
	v_and_b32_e32 v34, 1, v38
	s_waitcnt vmcnt(6)
	v_and_b32_e32 v38, 1, v39
	s_delay_alu instid0(VALU_DEP_2) | instskip(NEXT) | instid1(VALU_DEP_2)
	v_cmp_eq_u32_e64 s14, 1, v34
	v_cmp_eq_u32_e64 s13, 1, v38
	s_waitcnt vmcnt(5)
	v_and_b32_e32 v38, 1, v41
	s_waitcnt vmcnt(0)
	v_and_b32_e32 v41, 1, v46
	v_cndmask_b32_e64 v35, v37, 0, s14
	v_cndmask_b32_e64 v34, v36, 0, s14
	v_cmp_eq_u32_e64 s12, 1, v38
	v_and_b32_e32 v38, 1, v42
	s_delay_alu instid0(VALU_DEP_3) | instskip(NEXT) | instid1(VALU_DEP_2)
	v_add_f64 v[36:37], v[34:35], v[0:1]
	v_cmp_eq_u32_e64 s11, 1, v38
	v_and_b32_e32 v38, 1, v43
	s_delay_alu instid0(VALU_DEP_1) | instskip(SKIP_1) | instid1(VALU_DEP_1)
	v_cmp_eq_u32_e64 s10, 1, v38
	v_and_b32_e32 v38, 1, v44
	v_cmp_eq_u32_e64 s9, 1, v38
	v_and_b32_e32 v38, 1, v45
	s_delay_alu instid0(VALU_DEP_1) | instskip(SKIP_1) | instid1(VALU_DEP_1)
	v_cmp_eq_u32_e64 s0, 1, v38
	v_mbcnt_lo_u32_b32 v38, -1, 0
	v_xor_b32_e32 v39, 16, v38
	s_delay_alu instid0(VALU_DEP_1) | instskip(NEXT) | instid1(VALU_DEP_1)
	v_cmp_gt_i32_e64 s1, 32, v39
	v_cndmask_b32_e64 v39, v38, v39, s1
	v_cmp_eq_u32_e64 s1, 1, v41
	v_cndmask_b32_e64 v35, v37, v35, s13
	v_cndmask_b32_e64 v34, v36, v34, s13
	s_delay_alu instid0(VALU_DEP_4) | instskip(NEXT) | instid1(VALU_DEP_2)
	v_lshlrev_b32_e32 v39, 2, v39
	v_add_f64 v[36:37], v[34:35], v[14:15]
	s_delay_alu instid0(VALU_DEP_1) | instskip(NEXT) | instid1(VALU_DEP_2)
	v_cndmask_b32_e64 v35, v37, v35, s12
	v_cndmask_b32_e64 v34, v36, v34, s12
	s_delay_alu instid0(VALU_DEP_1) | instskip(NEXT) | instid1(VALU_DEP_1)
	v_add_f64 v[36:37], v[34:35], v[4:5]
	v_cndmask_b32_e64 v35, v37, v35, s11
	s_delay_alu instid0(VALU_DEP_2) | instskip(NEXT) | instid1(VALU_DEP_1)
	v_cndmask_b32_e64 v34, v36, v34, s11
	v_add_f64 v[36:37], v[34:35], v[22:23]
	s_delay_alu instid0(VALU_DEP_1) | instskip(NEXT) | instid1(VALU_DEP_2)
	v_cndmask_b32_e64 v35, v37, v35, s10
	v_cndmask_b32_e64 v34, v36, v34, s10
	s_delay_alu instid0(VALU_DEP_1) | instskip(NEXT) | instid1(VALU_DEP_1)
	v_add_f64 v[36:37], v[34:35], v[12:13]
	v_cndmask_b32_e64 v35, v37, v35, s9
	s_delay_alu instid0(VALU_DEP_2) | instskip(NEXT) | instid1(VALU_DEP_1)
	v_cndmask_b32_e64 v34, v36, v34, s9
	v_add_f64 v[36:37], v[34:35], v[28:29]
	s_delay_alu instid0(VALU_DEP_1) | instskip(NEXT) | instid1(VALU_DEP_2)
	v_cndmask_b32_e64 v35, v37, v35, s0
	v_cndmask_b32_e64 v34, v36, v34, s0
	s_delay_alu instid0(VALU_DEP_1) | instskip(NEXT) | instid1(VALU_DEP_1)
	v_add_f64 v[36:37], v[34:35], v[20:21]
	v_cndmask_b32_e64 v35, v37, v35, s1
	s_delay_alu instid0(VALU_DEP_2)
	v_cndmask_b32_e64 v34, v36, v34, s1
	ds_bpermute_b32 v37, v39, v35
	ds_bpermute_b32 v36, v39, v34
	s_waitcnt lgkmcnt(0)
	v_add_f64 v[34:35], v[34:35], v[36:37]
	v_xor_b32_e32 v36, 8, v38
	s_delay_alu instid0(VALU_DEP_1) | instskip(NEXT) | instid1(VALU_DEP_1)
	v_cmp_gt_i32_e64 s15, 32, v36
	v_cndmask_b32_e64 v36, v38, v36, s15
	s_delay_alu instid0(VALU_DEP_1)
	v_lshlrev_b32_e32 v37, 2, v36
	ds_bpermute_b32 v36, v37, v34
	ds_bpermute_b32 v37, v37, v35
	s_waitcnt lgkmcnt(0)
	v_add_f64 v[34:35], v[34:35], v[36:37]
	v_xor_b32_e32 v36, 4, v38
	s_delay_alu instid0(VALU_DEP_1) | instskip(NEXT) | instid1(VALU_DEP_1)
	v_cmp_gt_i32_e64 s15, 32, v36
	v_cndmask_b32_e64 v36, v38, v36, s15
	s_delay_alu instid0(VALU_DEP_1)
	v_lshlrev_b32_e32 v37, 2, v36
	;; [unrolled: 10-line block ×4, first 2 shown]
	ds_bpermute_b32 v36, v37, v34
	ds_bpermute_b32 v37, v37, v35
	v_cmpx_lt_i32_e32 0, v40
	s_cbranch_execz .LBB785_26
; %bb.17:
	s_waitcnt lgkmcnt(0)
	v_add_f64 v[34:35], v[34:35], v[36:37]
	v_add_co_u32 v6, s15, s16, v6
	s_delay_alu instid0(VALU_DEP_1)
	v_add_co_ci_u32_e64 v7, s15, s17, v7, s15
	s_and_saveexec_b32 s15, vcc_lo
	s_cbranch_execnz .LBB785_27
; %bb.18:
	s_or_b32 exec_lo, exec_lo, s15
	s_and_saveexec_b32 s14, s2
	s_cbranch_execnz .LBB785_28
.LBB785_19:
	s_or_b32 exec_lo, exec_lo, s14
	s_and_saveexec_b32 s2, s3
	s_cbranch_execnz .LBB785_29
.LBB785_20:
	s_or_b32 exec_lo, exec_lo, s2
	s_and_saveexec_b32 s2, s4
	s_cbranch_execnz .LBB785_30
.LBB785_21:
	s_or_b32 exec_lo, exec_lo, s2
	s_and_saveexec_b32 s2, s5
	s_cbranch_execnz .LBB785_31
.LBB785_22:
	s_or_b32 exec_lo, exec_lo, s2
	s_and_saveexec_b32 s2, s6
	s_cbranch_execnz .LBB785_32
.LBB785_23:
	s_or_b32 exec_lo, exec_lo, s2
	s_and_saveexec_b32 s2, s7
	s_cbranch_execnz .LBB785_33
.LBB785_24:
	s_or_b32 exec_lo, exec_lo, s2
	s_delay_alu instid0(SALU_CYCLE_1)
	s_and_b32 exec_lo, exec_lo, s8
	s_cbranch_execz .LBB785_26
.LBB785_25:
	s_delay_alu instid0(VALU_DEP_3) | instskip(NEXT) | instid1(VALU_DEP_1)
	v_fma_f64 v[0:1], -v[34:35], v[32:33], v[20:21]
	v_cndmask_b32_e64 v1, v1, 0, s1
	s_delay_alu instid0(VALU_DEP_2)
	v_cndmask_b32_e64 v0, v0, 0, s1
	global_store_b64 v[6:7], v[0:1], off offset:1792
.LBB785_26:
	s_nop 0
	s_sendmsg sendmsg(MSG_DEALLOC_VGPRS)
	s_endpgm
.LBB785_27:
	s_delay_alu instid0(VALU_DEP_3) | instskip(NEXT) | instid1(VALU_DEP_1)
	v_fma_f64 v[2:3], -v[34:35], v[8:9], v[2:3]
	v_cndmask_b32_e64 v3, v3, 0, s14
	s_delay_alu instid0(VALU_DEP_2)
	v_cndmask_b32_e64 v2, v2, 0, s14
	global_store_b64 v[6:7], v[2:3], off
	s_or_b32 exec_lo, exec_lo, s15
	s_and_saveexec_b32 s14, s2
	s_cbranch_execz .LBB785_19
.LBB785_28:
	s_delay_alu instid0(VALU_DEP_3) | instskip(NEXT) | instid1(VALU_DEP_1)
	v_fma_f64 v[0:1], -v[34:35], v[10:11], v[0:1]
	v_cndmask_b32_e64 v1, v1, 0, s13
	s_delay_alu instid0(VALU_DEP_2)
	v_cndmask_b32_e64 v0, v0, 0, s13
	global_store_b64 v[6:7], v[0:1], off offset:256
	s_or_b32 exec_lo, exec_lo, s14
	s_and_saveexec_b32 s2, s3
	s_cbranch_execz .LBB785_20
.LBB785_29:
	s_delay_alu instid0(VALU_DEP_3) | instskip(NEXT) | instid1(VALU_DEP_1)
	v_fma_f64 v[0:1], -v[34:35], v[16:17], v[14:15]
	v_cndmask_b32_e64 v1, v1, 0, s12
	s_delay_alu instid0(VALU_DEP_2)
	v_cndmask_b32_e64 v0, v0, 0, s12
	global_store_b64 v[6:7], v[0:1], off offset:512
	s_or_b32 exec_lo, exec_lo, s2
	s_and_saveexec_b32 s2, s4
	s_cbranch_execz .LBB785_21
.LBB785_30:
	s_delay_alu instid0(VALU_DEP_3) | instskip(NEXT) | instid1(VALU_DEP_1)
	v_fma_f64 v[0:1], -v[34:35], v[18:19], v[4:5]
	v_cndmask_b32_e64 v1, v1, 0, s11
	s_delay_alu instid0(VALU_DEP_2)
	v_cndmask_b32_e64 v0, v0, 0, s11
	global_store_b64 v[6:7], v[0:1], off offset:768
	s_or_b32 exec_lo, exec_lo, s2
	s_and_saveexec_b32 s2, s5
	s_cbranch_execz .LBB785_22
.LBB785_31:
	s_delay_alu instid0(VALU_DEP_3) | instskip(NEXT) | instid1(VALU_DEP_1)
	v_fma_f64 v[0:1], -v[34:35], v[24:25], v[22:23]
	v_cndmask_b32_e64 v1, v1, 0, s10
	s_delay_alu instid0(VALU_DEP_2)
	v_cndmask_b32_e64 v0, v0, 0, s10
	global_store_b64 v[6:7], v[0:1], off offset:1024
	s_or_b32 exec_lo, exec_lo, s2
	s_and_saveexec_b32 s2, s6
	s_cbranch_execz .LBB785_23
.LBB785_32:
	s_delay_alu instid0(VALU_DEP_3) | instskip(NEXT) | instid1(VALU_DEP_1)
	v_fma_f64 v[0:1], -v[34:35], v[26:27], v[12:13]
	v_cndmask_b32_e64 v1, v1, 0, s9
	s_delay_alu instid0(VALU_DEP_2)
	v_cndmask_b32_e64 v0, v0, 0, s9
	global_store_b64 v[6:7], v[0:1], off offset:1280
	s_or_b32 exec_lo, exec_lo, s2
	s_and_saveexec_b32 s2, s7
	s_cbranch_execz .LBB785_24
.LBB785_33:
	s_delay_alu instid0(VALU_DEP_3) | instskip(NEXT) | instid1(VALU_DEP_1)
	v_fma_f64 v[0:1], -v[34:35], v[30:31], v[28:29]
	v_cndmask_b32_e64 v1, v1, 0, s0
	s_delay_alu instid0(VALU_DEP_2) | instskip(SKIP_2) | instid1(SALU_CYCLE_1)
	v_cndmask_b32_e64 v0, v0, 0, s0
	global_store_b64 v[6:7], v[0:1], off offset:1536
	s_or_b32 exec_lo, exec_lo, s2
	s_and_b32 exec_lo, exec_lo, s8
	s_cbranch_execnz .LBB785_25
	s_branch .LBB785_26
	.section	.rodata,"a",@progbits
	.p2align	6, 0x0
	.amdhsa_kernel _ZN12_GLOBAL__N_121softmax_warp_backwardIdddLi8ELb0ELb1ELi32EEEvPT0_PKT_S5_iiiPKb
		.amdhsa_group_segment_fixed_size 0
		.amdhsa_private_segment_fixed_size 0
		.amdhsa_kernarg_size 304
		.amdhsa_user_sgpr_count 15
		.amdhsa_user_sgpr_dispatch_ptr 0
		.amdhsa_user_sgpr_queue_ptr 0
		.amdhsa_user_sgpr_kernarg_segment_ptr 1
		.amdhsa_user_sgpr_dispatch_id 0
		.amdhsa_user_sgpr_private_segment_size 0
		.amdhsa_wavefront_size32 1
		.amdhsa_uses_dynamic_stack 0
		.amdhsa_enable_private_segment 0
		.amdhsa_system_sgpr_workgroup_id_x 1
		.amdhsa_system_sgpr_workgroup_id_y 0
		.amdhsa_system_sgpr_workgroup_id_z 0
		.amdhsa_system_sgpr_workgroup_info 0
		.amdhsa_system_vgpr_workitem_id 1
		.amdhsa_next_free_vgpr 47
		.amdhsa_next_free_sgpr 20
		.amdhsa_reserve_vcc 1
		.amdhsa_float_round_mode_32 0
		.amdhsa_float_round_mode_16_64 0
		.amdhsa_float_denorm_mode_32 3
		.amdhsa_float_denorm_mode_16_64 3
		.amdhsa_dx10_clamp 1
		.amdhsa_ieee_mode 1
		.amdhsa_fp16_overflow 0
		.amdhsa_workgroup_processor_mode 1
		.amdhsa_memory_ordered 1
		.amdhsa_forward_progress 0
		.amdhsa_shared_vgpr_count 0
		.amdhsa_exception_fp_ieee_invalid_op 0
		.amdhsa_exception_fp_denorm_src 0
		.amdhsa_exception_fp_ieee_div_zero 0
		.amdhsa_exception_fp_ieee_overflow 0
		.amdhsa_exception_fp_ieee_underflow 0
		.amdhsa_exception_fp_ieee_inexact 0
		.amdhsa_exception_int_div_zero 0
	.end_amdhsa_kernel
	.section	.text._ZN12_GLOBAL__N_121softmax_warp_backwardIdddLi8ELb0ELb1ELi32EEEvPT0_PKT_S5_iiiPKb,"axG",@progbits,_ZN12_GLOBAL__N_121softmax_warp_backwardIdddLi8ELb0ELb1ELi32EEEvPT0_PKT_S5_iiiPKb,comdat
.Lfunc_end785:
	.size	_ZN12_GLOBAL__N_121softmax_warp_backwardIdddLi8ELb0ELb1ELi32EEEvPT0_PKT_S5_iiiPKb, .Lfunc_end785-_ZN12_GLOBAL__N_121softmax_warp_backwardIdddLi8ELb0ELb1ELi32EEEvPT0_PKT_S5_iiiPKb
                                        ; -- End function
	.section	.AMDGPU.csdata,"",@progbits
; Kernel info:
; codeLenInByte = 2016
; NumSgprs: 22
; NumVgprs: 47
; ScratchSize: 0
; MemoryBound: 0
; FloatMode: 240
; IeeeMode: 1
; LDSByteSize: 0 bytes/workgroup (compile time only)
; SGPRBlocks: 2
; VGPRBlocks: 5
; NumSGPRsForWavesPerEU: 22
; NumVGPRsForWavesPerEU: 47
; Occupancy: 16
; WaveLimiterHint : 0
; COMPUTE_PGM_RSRC2:SCRATCH_EN: 0
; COMPUTE_PGM_RSRC2:USER_SGPR: 15
; COMPUTE_PGM_RSRC2:TRAP_HANDLER: 0
; COMPUTE_PGM_RSRC2:TGID_X_EN: 1
; COMPUTE_PGM_RSRC2:TGID_Y_EN: 0
; COMPUTE_PGM_RSRC2:TGID_Z_EN: 0
; COMPUTE_PGM_RSRC2:TIDIG_COMP_CNT: 1
	.section	.text._ZN12_GLOBAL__N_121softmax_warp_backwardIdddLi9ELb0ELb1ELi64EEEvPT0_PKT_S5_iiiPKb,"axG",@progbits,_ZN12_GLOBAL__N_121softmax_warp_backwardIdddLi9ELb0ELb1ELi64EEEvPT0_PKT_S5_iiiPKb,comdat
	.globl	_ZN12_GLOBAL__N_121softmax_warp_backwardIdddLi9ELb0ELb1ELi64EEEvPT0_PKT_S5_iiiPKb ; -- Begin function _ZN12_GLOBAL__N_121softmax_warp_backwardIdddLi9ELb0ELb1ELi64EEEvPT0_PKT_S5_iiiPKb
	.p2align	8
	.type	_ZN12_GLOBAL__N_121softmax_warp_backwardIdddLi9ELb0ELb1ELi64EEEvPT0_PKT_S5_iiiPKb,@function
_ZN12_GLOBAL__N_121softmax_warp_backwardIdddLi9ELb0ELb1ELi64EEEvPT0_PKT_S5_iiiPKb: ; @_ZN12_GLOBAL__N_121softmax_warp_backwardIdddLi9ELb0ELb1ELi64EEEvPT0_PKT_S5_iiiPKb
; %bb.0:
	s_clause 0x1
	s_load_b32 s2, s[0:1], 0x3c
	s_load_b128 s[8:11], s[0:1], 0x18
	v_bfe_u32 v1, v0, 10, 10
	v_and_b32_e32 v32, 63, v0
	s_load_b64 s[4:5], s[0:1], 0x10
	s_waitcnt lgkmcnt(0)
	s_lshr_b32 s2, s2, 16
	s_delay_alu instid0(SALU_CYCLE_1) | instskip(SKIP_4) | instid1(VALU_DEP_4)
	v_mad_u64_u32 v[2:3], null, s15, s2, v[1:2]
	s_load_b128 s[12:15], s[0:1], 0x0
	v_mov_b32_e32 v0, 0
	v_mov_b32_e32 v1, 0
	v_cmp_gt_i32_e32 vcc_lo, s10, v32
	v_mad_u64_u32 v[34:35], null, v2, s9, v[32:33]
	v_sub_nc_u32_e32 v40, s8, v2
	s_delay_alu instid0(VALU_DEP_4) | instskip(SKIP_1) | instid1(VALU_DEP_3)
	v_dual_mov_b32 v9, v1 :: v_dual_mov_b32 v8, v0
	v_dual_mov_b32 v13, v1 :: v_dual_mov_b32 v12, v0
	v_cmp_lt_i32_e64 s9, 0, v40
	v_ashrrev_i32_e32 v35, 31, v34
	s_delay_alu instid0(VALU_DEP_2) | instskip(NEXT) | instid1(VALU_DEP_1)
	s_and_b32 s3, s9, vcc_lo
	v_lshlrev_b64 v[10:11], 3, v[34:35]
	s_waitcnt lgkmcnt(0)
	s_delay_alu instid0(VALU_DEP_1) | instskip(NEXT) | instid1(VALU_DEP_1)
	v_add_co_u32 v36, s2, s14, v10
	v_add_co_ci_u32_e64 v37, s2, s15, v11, s2
	v_add_co_u32 v38, s2, s4, v10
	s_delay_alu instid0(VALU_DEP_1)
	v_add_co_ci_u32_e64 v39, s2, s5, v11, s2
	s_and_saveexec_b32 s2, s3
	s_cbranch_execz .LBB786_2
; %bb.1:
	global_load_b64 v[8:9], v[36:37], off
	global_load_b64 v[12:13], v[38:39], off
.LBB786_2:
	s_or_b32 exec_lo, exec_lo, s2
	v_or_b32_e32 v2, 64, v32
	v_dual_mov_b32 v15, v1 :: v_dual_mov_b32 v14, v0
	s_delay_alu instid0(VALU_DEP_2) | instskip(NEXT) | instid1(VALU_DEP_1)
	v_cmp_gt_i32_e64 s2, s10, v2
	s_and_b32 s4, s9, s2
	s_delay_alu instid0(SALU_CYCLE_1)
	s_and_saveexec_b32 s3, s4
	s_cbranch_execz .LBB786_4
; %bb.3:
	global_load_b64 v[0:1], v[36:37], off offset:512
	global_load_b64 v[14:15], v[38:39], off offset:512
.LBB786_4:
	s_or_b32 exec_lo, exec_lo, s3
	v_or_b32_e32 v4, 0x80, v32
	v_mov_b32_e32 v2, 0
	v_mov_b32_e32 v3, 0
	s_delay_alu instid0(VALU_DEP_3) | instskip(NEXT) | instid1(VALU_DEP_2)
	v_cmp_gt_i32_e64 s3, s10, v4
	v_dual_mov_b32 v17, v3 :: v_dual_mov_b32 v16, v2
	v_dual_mov_b32 v19, v3 :: v_dual_mov_b32 v18, v2
	s_delay_alu instid0(VALU_DEP_3) | instskip(NEXT) | instid1(SALU_CYCLE_1)
	s_and_b32 s5, s9, s3
	s_and_saveexec_b32 s4, s5
	s_cbranch_execz .LBB786_6
; %bb.5:
	global_load_b64 v[16:17], v[36:37], off offset:1024
	global_load_b64 v[18:19], v[38:39], off offset:1024
.LBB786_6:
	s_or_b32 exec_lo, exec_lo, s4
	v_or_b32_e32 v4, 0xc0, v32
	v_dual_mov_b32 v21, v3 :: v_dual_mov_b32 v20, v2
	s_delay_alu instid0(VALU_DEP_2) | instskip(NEXT) | instid1(VALU_DEP_1)
	v_cmp_gt_i32_e64 s4, s10, v4
	s_and_b32 s6, s9, s4
	s_delay_alu instid0(SALU_CYCLE_1)
	s_and_saveexec_b32 s5, s6
	s_cbranch_execz .LBB786_8
; %bb.7:
	global_load_b64 v[2:3], v[36:37], off offset:1536
	global_load_b64 v[20:21], v[38:39], off offset:1536
.LBB786_8:
	s_or_b32 exec_lo, exec_lo, s5
	v_or_b32_e32 v6, 0x100, v32
	v_mov_b32_e32 v4, 0
	v_mov_b32_e32 v5, 0
	s_delay_alu instid0(VALU_DEP_3) | instskip(NEXT) | instid1(VALU_DEP_2)
	v_cmp_gt_i32_e64 s5, s10, v6
	v_dual_mov_b32 v23, v5 :: v_dual_mov_b32 v22, v4
	v_dual_mov_b32 v25, v5 :: v_dual_mov_b32 v24, v4
	s_delay_alu instid0(VALU_DEP_3) | instskip(NEXT) | instid1(SALU_CYCLE_1)
	s_and_b32 s7, s9, s5
	s_and_saveexec_b32 s6, s7
	s_cbranch_execz .LBB786_10
; %bb.9:
	global_load_b64 v[22:23], v[36:37], off offset:2048
	global_load_b64 v[24:25], v[38:39], off offset:2048
.LBB786_10:
	;; [unrolled: 29-line block ×3, first 2 shown]
	s_or_b32 exec_lo, exec_lo, s8
	v_or_b32_e32 v32, 0x1c0, v32
	s_delay_alu instid0(VALU_DEP_1) | instskip(SKIP_1) | instid1(VALU_DEP_2)
	v_cmp_gt_i32_e64 s8, s10, v32
	v_dual_mov_b32 v33, v7 :: v_dual_mov_b32 v32, v6
	s_and_b32 s10, s9, s8
	s_delay_alu instid0(SALU_CYCLE_1)
	s_and_saveexec_b32 s9, s10
	s_cbranch_execz .LBB786_16
; %bb.15:
	global_load_b64 v[6:7], v[36:37], off offset:3584
	global_load_b64 v[32:33], v[38:39], off offset:3584
.LBB786_16:
	s_or_b32 exec_lo, exec_lo, s9
	s_load_b64 s[0:1], s[0:1], 0x28
	s_waitcnt vmcnt(1)
	v_add_f64 v[36:37], v[8:9], 0
	s_mov_b32 s9, exec_lo
	s_waitcnt lgkmcnt(0)
	v_add_co_u32 v34, s0, s0, v34
	s_delay_alu instid0(VALU_DEP_1)
	v_add_co_ci_u32_e64 v35, s0, s1, v35, s0
	s_clause 0x7
	global_load_u8 v38, v[34:35], off
	global_load_u8 v41, v[34:35], off offset:64
	global_load_u8 v42, v[34:35], off offset:128
	;; [unrolled: 1-line block ×7, first 2 shown]
	s_waitcnt vmcnt(7)
	v_and_b32_e32 v38, 1, v38
	s_waitcnt vmcnt(6)
	v_and_b32_e32 v41, 1, v41
	s_delay_alu instid0(VALU_DEP_2) | instskip(NEXT) | instid1(VALU_DEP_2)
	v_cmp_eq_u32_e64 s0, 1, v38
	v_cmp_eq_u32_e64 s1, 1, v41
	s_waitcnt vmcnt(5)
	v_and_b32_e32 v41, 1, v42
	s_delay_alu instid0(VALU_DEP_3) | instskip(SKIP_1) | instid1(VALU_DEP_1)
	v_cndmask_b32_e64 v37, v37, 0, s0
	v_cndmask_b32_e64 v36, v36, 0, s0
	v_add_f64 v[38:39], v[36:37], v[0:1]
	s_delay_alu instid0(VALU_DEP_1) | instskip(NEXT) | instid1(VALU_DEP_2)
	v_cndmask_b32_e64 v37, v39, v37, s1
	v_cndmask_b32_e64 v36, v38, v36, s1
	v_cmp_eq_u32_e64 s1, 1, v41
	s_waitcnt vmcnt(4)
	v_and_b32_e32 v41, 1, v43
	s_waitcnt vmcnt(0)
	v_and_b32_e32 v43, 1, v47
	v_add_f64 v[38:39], v[36:37], v[16:17]
	s_delay_alu instid0(VALU_DEP_1) | instskip(NEXT) | instid1(VALU_DEP_2)
	v_cndmask_b32_e64 v37, v39, v37, s1
	v_cndmask_b32_e64 v36, v38, v36, s1
	v_cmp_eq_u32_e64 s1, 1, v41
	v_and_b32_e32 v41, 1, v44
	s_delay_alu instid0(VALU_DEP_3) | instskip(NEXT) | instid1(VALU_DEP_1)
	v_add_f64 v[38:39], v[36:37], v[2:3]
	v_cndmask_b32_e64 v37, v39, v37, s1
	s_delay_alu instid0(VALU_DEP_2) | instskip(NEXT) | instid1(VALU_DEP_4)
	v_cndmask_b32_e64 v36, v38, v36, s1
	v_cmp_eq_u32_e64 s1, 1, v41
	v_and_b32_e32 v41, 1, v45
	s_delay_alu instid0(VALU_DEP_3) | instskip(NEXT) | instid1(VALU_DEP_1)
	v_add_f64 v[38:39], v[36:37], v[22:23]
	v_cndmask_b32_e64 v37, v39, v37, s1
	s_delay_alu instid0(VALU_DEP_2) | instskip(NEXT) | instid1(VALU_DEP_4)
	;; [unrolled: 7-line block ×3, first 2 shown]
	v_cndmask_b32_e64 v36, v38, v36, s1
	v_cmp_eq_u32_e64 s1, 1, v41
	v_mbcnt_lo_u32_b32 v41, -1, 0
	s_delay_alu instid0(VALU_DEP_3) | instskip(NEXT) | instid1(VALU_DEP_2)
	v_add_f64 v[38:39], v[36:37], v[28:29]
	v_or_b32_e32 v42, 32, v41
	s_delay_alu instid0(VALU_DEP_2) | instskip(NEXT) | instid1(VALU_DEP_3)
	v_cndmask_b32_e64 v37, v39, v37, s1
	v_cndmask_b32_e64 v36, v38, v36, s1
	s_delay_alu instid0(VALU_DEP_3) | instskip(NEXT) | instid1(VALU_DEP_2)
	v_cmp_gt_i32_e64 s1, 64, v42
	v_add_f64 v[38:39], v[36:37], v[6:7]
	s_delay_alu instid0(VALU_DEP_2) | instskip(SKIP_1) | instid1(VALU_DEP_2)
	v_cndmask_b32_e64 v42, v41, v42, s1
	v_cmp_eq_u32_e64 s1, 1, v43
	v_lshlrev_b32_e32 v42, 2, v42
	s_delay_alu instid0(VALU_DEP_2)
	v_cndmask_b32_e64 v37, v39, v37, s1
	v_cndmask_b32_e64 v36, v38, v36, s1
	ds_bpermute_b32 v39, v42, v37
	ds_bpermute_b32 v38, v42, v36
	s_waitcnt lgkmcnt(0)
	v_add_f64 v[36:37], v[36:37], v[38:39]
	v_xor_b32_e32 v38, 16, v41
	s_delay_alu instid0(VALU_DEP_1) | instskip(NEXT) | instid1(VALU_DEP_1)
	v_cmp_gt_i32_e64 s1, 64, v38
	v_cndmask_b32_e64 v38, v41, v38, s1
	s_delay_alu instid0(VALU_DEP_1)
	v_lshlrev_b32_e32 v39, 2, v38
	ds_bpermute_b32 v38, v39, v36
	ds_bpermute_b32 v39, v39, v37
	s_waitcnt lgkmcnt(0)
	v_add_f64 v[36:37], v[36:37], v[38:39]
	v_xor_b32_e32 v38, 8, v41
	s_delay_alu instid0(VALU_DEP_1) | instskip(NEXT) | instid1(VALU_DEP_1)
	v_cmp_gt_i32_e64 s1, 64, v38
	v_cndmask_b32_e64 v38, v41, v38, s1
	s_delay_alu instid0(VALU_DEP_1)
	v_lshlrev_b32_e32 v39, 2, v38
	;; [unrolled: 10-line block ×5, first 2 shown]
	ds_bpermute_b32 v38, v39, v36
	ds_bpermute_b32 v39, v39, v37
	v_cmpx_lt_i32_e32 0, v40
	s_cbranch_execz .LBB786_26
; %bb.17:
	s_waitcnt lgkmcnt(0)
	v_add_f64 v[36:37], v[36:37], v[38:39]
	v_add_co_u32 v10, s1, s12, v10
	s_delay_alu instid0(VALU_DEP_1)
	v_add_co_ci_u32_e64 v11, s1, s13, v11, s1
	s_and_saveexec_b32 s1, vcc_lo
	s_cbranch_execnz .LBB786_27
; %bb.18:
	s_or_b32 exec_lo, exec_lo, s1
	s_and_saveexec_b32 s0, s2
	s_cbranch_execnz .LBB786_28
.LBB786_19:
	s_or_b32 exec_lo, exec_lo, s0
	s_and_saveexec_b32 s0, s3
	s_cbranch_execnz .LBB786_29
.LBB786_20:
	s_or_b32 exec_lo, exec_lo, s0
	s_and_saveexec_b32 s0, s4
	s_cbranch_execnz .LBB786_30
.LBB786_21:
	s_or_b32 exec_lo, exec_lo, s0
	s_and_saveexec_b32 s0, s5
	s_cbranch_execnz .LBB786_31
.LBB786_22:
	s_or_b32 exec_lo, exec_lo, s0
	s_and_saveexec_b32 s0, s6
	s_cbranch_execnz .LBB786_32
.LBB786_23:
	s_or_b32 exec_lo, exec_lo, s0
	s_and_saveexec_b32 s0, s7
	s_cbranch_execnz .LBB786_33
.LBB786_24:
	s_or_b32 exec_lo, exec_lo, s0
	s_delay_alu instid0(SALU_CYCLE_1)
	s_and_b32 exec_lo, exec_lo, s8
	s_cbranch_execz .LBB786_26
.LBB786_25:
	global_load_u8 v2, v[34:35], off offset:448
	v_fma_f64 v[0:1], -v[36:37], v[32:33], v[6:7]
	s_waitcnt vmcnt(0)
	v_and_b32_e32 v2, 1, v2
	s_delay_alu instid0(VALU_DEP_1) | instskip(NEXT) | instid1(VALU_DEP_3)
	v_cmp_eq_u32_e32 vcc_lo, 1, v2
	v_cndmask_b32_e64 v1, v1, 0, vcc_lo
	s_delay_alu instid0(VALU_DEP_4)
	v_cndmask_b32_e64 v0, v0, 0, vcc_lo
	global_store_b64 v[10:11], v[0:1], off offset:3584
.LBB786_26:
	s_nop 0
	s_sendmsg sendmsg(MSG_DEALLOC_VGPRS)
	s_endpgm
.LBB786_27:
	s_delay_alu instid0(VALU_DEP_3) | instskip(NEXT) | instid1(VALU_DEP_1)
	v_fma_f64 v[8:9], -v[36:37], v[12:13], v[8:9]
	v_cndmask_b32_e64 v9, v9, 0, s0
	s_delay_alu instid0(VALU_DEP_2)
	v_cndmask_b32_e64 v8, v8, 0, s0
	global_store_b64 v[10:11], v[8:9], off
	s_or_b32 exec_lo, exec_lo, s1
	s_and_saveexec_b32 s0, s2
	s_cbranch_execz .LBB786_19
.LBB786_28:
	global_load_u8 v8, v[34:35], off offset:64
	v_fma_f64 v[0:1], -v[36:37], v[14:15], v[0:1]
	s_waitcnt vmcnt(0)
	v_and_b32_e32 v8, 1, v8
	s_delay_alu instid0(VALU_DEP_1) | instskip(NEXT) | instid1(VALU_DEP_3)
	v_cmp_eq_u32_e32 vcc_lo, 1, v8
	v_cndmask_b32_e64 v1, v1, 0, vcc_lo
	s_delay_alu instid0(VALU_DEP_4)
	v_cndmask_b32_e64 v0, v0, 0, vcc_lo
	global_store_b64 v[10:11], v[0:1], off offset:512
	s_or_b32 exec_lo, exec_lo, s0
	s_and_saveexec_b32 s0, s3
	s_cbranch_execz .LBB786_20
.LBB786_29:
	global_load_u8 v8, v[34:35], off offset:128
	v_fma_f64 v[0:1], -v[36:37], v[18:19], v[16:17]
	s_waitcnt vmcnt(0)
	v_and_b32_e32 v8, 1, v8
	s_delay_alu instid0(VALU_DEP_1) | instskip(NEXT) | instid1(VALU_DEP_3)
	v_cmp_eq_u32_e32 vcc_lo, 1, v8
	v_cndmask_b32_e64 v1, v1, 0, vcc_lo
	s_delay_alu instid0(VALU_DEP_4)
	v_cndmask_b32_e64 v0, v0, 0, vcc_lo
	global_store_b64 v[10:11], v[0:1], off offset:1024
	s_or_b32 exec_lo, exec_lo, s0
	s_and_saveexec_b32 s0, s4
	s_cbranch_execz .LBB786_21
.LBB786_30:
	global_load_u8 v8, v[34:35], off offset:192
	v_fma_f64 v[0:1], -v[36:37], v[20:21], v[2:3]
	s_waitcnt vmcnt(0)
	v_and_b32_e32 v2, 1, v8
	s_delay_alu instid0(VALU_DEP_1) | instskip(NEXT) | instid1(VALU_DEP_3)
	v_cmp_eq_u32_e32 vcc_lo, 1, v2
	v_cndmask_b32_e64 v1, v1, 0, vcc_lo
	s_delay_alu instid0(VALU_DEP_4)
	v_cndmask_b32_e64 v0, v0, 0, vcc_lo
	global_store_b64 v[10:11], v[0:1], off offset:1536
	s_or_b32 exec_lo, exec_lo, s0
	s_and_saveexec_b32 s0, s5
	s_cbranch_execz .LBB786_22
.LBB786_31:
	global_load_u8 v2, v[34:35], off offset:256
	v_fma_f64 v[0:1], -v[36:37], v[24:25], v[22:23]
	s_waitcnt vmcnt(0)
	v_and_b32_e32 v2, 1, v2
	s_delay_alu instid0(VALU_DEP_1) | instskip(NEXT) | instid1(VALU_DEP_3)
	v_cmp_eq_u32_e32 vcc_lo, 1, v2
	v_cndmask_b32_e64 v1, v1, 0, vcc_lo
	s_delay_alu instid0(VALU_DEP_4)
	v_cndmask_b32_e64 v0, v0, 0, vcc_lo
	global_store_b64 v[10:11], v[0:1], off offset:2048
	s_or_b32 exec_lo, exec_lo, s0
	s_and_saveexec_b32 s0, s6
	s_cbranch_execz .LBB786_23
.LBB786_32:
	global_load_u8 v2, v[34:35], off offset:320
	v_fma_f64 v[0:1], -v[36:37], v[26:27], v[4:5]
	s_waitcnt vmcnt(0)
	v_and_b32_e32 v2, 1, v2
	s_delay_alu instid0(VALU_DEP_1) | instskip(NEXT) | instid1(VALU_DEP_3)
	v_cmp_eq_u32_e32 vcc_lo, 1, v2
	v_cndmask_b32_e64 v1, v1, 0, vcc_lo
	s_delay_alu instid0(VALU_DEP_4)
	v_cndmask_b32_e64 v0, v0, 0, vcc_lo
	global_store_b64 v[10:11], v[0:1], off offset:2560
	s_or_b32 exec_lo, exec_lo, s0
	s_and_saveexec_b32 s0, s7
	s_cbranch_execz .LBB786_24
.LBB786_33:
	global_load_u8 v2, v[34:35], off offset:384
	v_fma_f64 v[0:1], -v[36:37], v[30:31], v[28:29]
	s_waitcnt vmcnt(0)
	v_and_b32_e32 v2, 1, v2
	s_delay_alu instid0(VALU_DEP_1) | instskip(NEXT) | instid1(VALU_DEP_3)
	v_cmp_eq_u32_e32 vcc_lo, 1, v2
	v_cndmask_b32_e64 v1, v1, 0, vcc_lo
	s_delay_alu instid0(VALU_DEP_4) | instskip(SKIP_2) | instid1(SALU_CYCLE_1)
	v_cndmask_b32_e64 v0, v0, 0, vcc_lo
	global_store_b64 v[10:11], v[0:1], off offset:3072
	s_or_b32 exec_lo, exec_lo, s0
	s_and_b32 exec_lo, exec_lo, s8
	s_cbranch_execnz .LBB786_25
	s_branch .LBB786_26
	.section	.rodata,"a",@progbits
	.p2align	6, 0x0
	.amdhsa_kernel _ZN12_GLOBAL__N_121softmax_warp_backwardIdddLi9ELb0ELb1ELi64EEEvPT0_PKT_S5_iiiPKb
		.amdhsa_group_segment_fixed_size 0
		.amdhsa_private_segment_fixed_size 0
		.amdhsa_kernarg_size 304
		.amdhsa_user_sgpr_count 15
		.amdhsa_user_sgpr_dispatch_ptr 0
		.amdhsa_user_sgpr_queue_ptr 0
		.amdhsa_user_sgpr_kernarg_segment_ptr 1
		.amdhsa_user_sgpr_dispatch_id 0
		.amdhsa_user_sgpr_private_segment_size 0
		.amdhsa_wavefront_size32 1
		.amdhsa_uses_dynamic_stack 0
		.amdhsa_enable_private_segment 0
		.amdhsa_system_sgpr_workgroup_id_x 1
		.amdhsa_system_sgpr_workgroup_id_y 0
		.amdhsa_system_sgpr_workgroup_id_z 0
		.amdhsa_system_sgpr_workgroup_info 0
		.amdhsa_system_vgpr_workitem_id 1
		.amdhsa_next_free_vgpr 48
		.amdhsa_next_free_sgpr 16
		.amdhsa_reserve_vcc 1
		.amdhsa_float_round_mode_32 0
		.amdhsa_float_round_mode_16_64 0
		.amdhsa_float_denorm_mode_32 3
		.amdhsa_float_denorm_mode_16_64 3
		.amdhsa_dx10_clamp 1
		.amdhsa_ieee_mode 1
		.amdhsa_fp16_overflow 0
		.amdhsa_workgroup_processor_mode 1
		.amdhsa_memory_ordered 1
		.amdhsa_forward_progress 0
		.amdhsa_shared_vgpr_count 0
		.amdhsa_exception_fp_ieee_invalid_op 0
		.amdhsa_exception_fp_denorm_src 0
		.amdhsa_exception_fp_ieee_div_zero 0
		.amdhsa_exception_fp_ieee_overflow 0
		.amdhsa_exception_fp_ieee_underflow 0
		.amdhsa_exception_fp_ieee_inexact 0
		.amdhsa_exception_int_div_zero 0
	.end_amdhsa_kernel
	.section	.text._ZN12_GLOBAL__N_121softmax_warp_backwardIdddLi9ELb0ELb1ELi64EEEvPT0_PKT_S5_iiiPKb,"axG",@progbits,_ZN12_GLOBAL__N_121softmax_warp_backwardIdddLi9ELb0ELb1ELi64EEEvPT0_PKT_S5_iiiPKb,comdat
.Lfunc_end786:
	.size	_ZN12_GLOBAL__N_121softmax_warp_backwardIdddLi9ELb0ELb1ELi64EEEvPT0_PKT_S5_iiiPKb, .Lfunc_end786-_ZN12_GLOBAL__N_121softmax_warp_backwardIdddLi9ELb0ELb1ELi64EEEvPT0_PKT_S5_iiiPKb
                                        ; -- End function
	.section	.AMDGPU.csdata,"",@progbits
; Kernel info:
; codeLenInByte = 2224
; NumSgprs: 18
; NumVgprs: 48
; ScratchSize: 0
; MemoryBound: 0
; FloatMode: 240
; IeeeMode: 1
; LDSByteSize: 0 bytes/workgroup (compile time only)
; SGPRBlocks: 2
; VGPRBlocks: 5
; NumSGPRsForWavesPerEU: 18
; NumVGPRsForWavesPerEU: 48
; Occupancy: 16
; WaveLimiterHint : 0
; COMPUTE_PGM_RSRC2:SCRATCH_EN: 0
; COMPUTE_PGM_RSRC2:USER_SGPR: 15
; COMPUTE_PGM_RSRC2:TRAP_HANDLER: 0
; COMPUTE_PGM_RSRC2:TGID_X_EN: 1
; COMPUTE_PGM_RSRC2:TGID_Y_EN: 0
; COMPUTE_PGM_RSRC2:TGID_Z_EN: 0
; COMPUTE_PGM_RSRC2:TIDIG_COMP_CNT: 1
	.section	.text._ZN12_GLOBAL__N_121softmax_warp_backwardIdddLi9ELb0ELb1ELi32EEEvPT0_PKT_S5_iiiPKb,"axG",@progbits,_ZN12_GLOBAL__N_121softmax_warp_backwardIdddLi9ELb0ELb1ELi32EEEvPT0_PKT_S5_iiiPKb,comdat
	.globl	_ZN12_GLOBAL__N_121softmax_warp_backwardIdddLi9ELb0ELb1ELi32EEEvPT0_PKT_S5_iiiPKb ; -- Begin function _ZN12_GLOBAL__N_121softmax_warp_backwardIdddLi9ELb0ELb1ELi32EEEvPT0_PKT_S5_iiiPKb
	.p2align	8
	.type	_ZN12_GLOBAL__N_121softmax_warp_backwardIdddLi9ELb0ELb1ELi32EEEvPT0_PKT_S5_iiiPKb,@function
_ZN12_GLOBAL__N_121softmax_warp_backwardIdddLi9ELb0ELb1ELi32EEEvPT0_PKT_S5_iiiPKb: ; @_ZN12_GLOBAL__N_121softmax_warp_backwardIdddLi9ELb0ELb1ELi32EEEvPT0_PKT_S5_iiiPKb
; %bb.0:
	s_clause 0x1
	s_load_b32 s2, s[0:1], 0x3c
	s_load_b128 s[16:19], s[0:1], 0x18
	v_bfe_u32 v1, v0, 10, 10
	v_and_b32_e32 v64, 31, v0
	s_clause 0x1
	s_load_b128 s[36:39], s[0:1], 0x0
	s_load_b64 s[4:5], s[0:1], 0x10
	s_waitcnt lgkmcnt(0)
	s_lshr_b32 s2, s2, 16
	s_delay_alu instid0(SALU_CYCLE_1) | instskip(SKIP_3) | instid1(VALU_DEP_2)
	v_mad_u64_u32 v[2:3], null, s15, s2, v[1:2]
	v_mov_b32_e32 v0, 0
	v_mov_b32_e32 v1, 0
	v_cmp_gt_i32_e32 vcc_lo, s18, v64
	v_dual_mov_b32 v9, v1 :: v_dual_mov_b32 v8, v0
	v_mad_u64_u32 v[66:67], null, v2, s17, v[64:65]
	v_sub_nc_u32_e32 v72, s16, v2
	v_dual_mov_b32 v3, v1 :: v_dual_mov_b32 v2, v0
	s_delay_alu instid0(VALU_DEP_2) | instskip(NEXT) | instid1(VALU_DEP_4)
	v_cmp_lt_i32_e64 s17, 0, v72
	v_ashrrev_i32_e32 v67, 31, v66
	s_delay_alu instid0(VALU_DEP_2) | instskip(NEXT) | instid1(VALU_DEP_1)
	s_and_b32 s3, s17, vcc_lo
	v_lshlrev_b64 v[6:7], 3, v[66:67]
	s_delay_alu instid0(VALU_DEP_1) | instskip(NEXT) | instid1(VALU_DEP_1)
	v_add_co_u32 v68, s2, s38, v6
	v_add_co_ci_u32_e64 v69, s2, s39, v7, s2
	v_add_co_u32 v70, s2, s4, v6
	s_delay_alu instid0(VALU_DEP_1)
	v_add_co_ci_u32_e64 v71, s2, s5, v7, s2
	s_and_saveexec_b32 s2, s3
	s_cbranch_execz .LBB787_2
; %bb.1:
	global_load_b64 v[2:3], v[68:69], off
	global_load_b64 v[8:9], v[70:71], off
.LBB787_2:
	s_or_b32 exec_lo, exec_lo, s2
	v_or_b32_e32 v4, 32, v64
	v_dual_mov_b32 v11, v1 :: v_dual_mov_b32 v10, v0
	s_delay_alu instid0(VALU_DEP_2) | instskip(NEXT) | instid1(VALU_DEP_1)
	v_cmp_gt_i32_e64 s2, s18, v4
	s_and_b32 s4, s17, s2
	s_delay_alu instid0(SALU_CYCLE_1)
	s_and_saveexec_b32 s3, s4
	s_cbranch_execz .LBB787_4
; %bb.3:
	global_load_b64 v[0:1], v[68:69], off offset:256
	global_load_b64 v[10:11], v[70:71], off offset:256
.LBB787_4:
	s_or_b32 exec_lo, exec_lo, s3
	v_or_b32_e32 v12, 64, v64
	v_mov_b32_e32 v4, 0
	v_mov_b32_e32 v5, 0
	s_delay_alu instid0(VALU_DEP_3) | instskip(NEXT) | instid1(VALU_DEP_2)
	v_cmp_gt_i32_e64 s3, s18, v12
	v_dual_mov_b32 v15, v5 :: v_dual_mov_b32 v14, v4
	v_dual_mov_b32 v17, v5 :: v_dual_mov_b32 v16, v4
	s_delay_alu instid0(VALU_DEP_3) | instskip(NEXT) | instid1(SALU_CYCLE_1)
	s_and_b32 s5, s17, s3
	s_and_saveexec_b32 s4, s5
	s_cbranch_execz .LBB787_6
; %bb.5:
	global_load_b64 v[14:15], v[68:69], off offset:512
	global_load_b64 v[16:17], v[70:71], off offset:512
.LBB787_6:
	s_or_b32 exec_lo, exec_lo, s4
	v_or_b32_e32 v12, 0x60, v64
	v_dual_mov_b32 v19, v5 :: v_dual_mov_b32 v18, v4
	s_delay_alu instid0(VALU_DEP_2) | instskip(NEXT) | instid1(VALU_DEP_1)
	v_cmp_gt_i32_e64 s4, s18, v12
	s_and_b32 s6, s17, s4
	s_delay_alu instid0(SALU_CYCLE_1)
	s_and_saveexec_b32 s5, s6
	s_cbranch_execz .LBB787_8
; %bb.7:
	global_load_b64 v[4:5], v[68:69], off offset:768
	global_load_b64 v[18:19], v[70:71], off offset:768
.LBB787_8:
	s_or_b32 exec_lo, exec_lo, s5
	v_or_b32_e32 v20, 0x80, v64
	v_mov_b32_e32 v12, 0
	v_mov_b32_e32 v13, 0
	s_delay_alu instid0(VALU_DEP_3) | instskip(NEXT) | instid1(VALU_DEP_2)
	v_cmp_gt_i32_e64 s5, s18, v20
	v_dual_mov_b32 v23, v13 :: v_dual_mov_b32 v22, v12
	v_dual_mov_b32 v25, v13 :: v_dual_mov_b32 v24, v12
	s_delay_alu instid0(VALU_DEP_3) | instskip(NEXT) | instid1(SALU_CYCLE_1)
	s_and_b32 s7, s17, s5
	s_and_saveexec_b32 s6, s7
	s_cbranch_execz .LBB787_10
; %bb.9:
	global_load_b64 v[22:23], v[68:69], off offset:1024
	global_load_b64 v[24:25], v[70:71], off offset:1024
.LBB787_10:
	;; [unrolled: 29-line block ×7, first 2 shown]
	s_or_b32 exec_lo, exec_lo, s16
	v_or_b32_e32 v64, 0x1e0, v64
	s_delay_alu instid0(VALU_DEP_1) | instskip(SKIP_1) | instid1(VALU_DEP_2)
	v_cmp_gt_i32_e64 s16, s18, v64
	v_dual_mov_b32 v65, v53 :: v_dual_mov_b32 v64, v52
	s_and_b32 s18, s17, s16
	s_delay_alu instid0(SALU_CYCLE_1)
	s_and_saveexec_b32 s17, s18
	s_cbranch_execz .LBB787_32
; %bb.31:
	global_load_b64 v[52:53], v[68:69], off offset:3840
	global_load_b64 v[64:65], v[70:71], off offset:3840
.LBB787_32:
	s_or_b32 exec_lo, exec_lo, s17
	s_load_b64 s[0:1], s[0:1], 0x28
	s_waitcnt vmcnt(1)
	v_add_f64 v[68:69], v[2:3], 0
	s_mov_b32 s33, exec_lo
	s_waitcnt lgkmcnt(0)
	v_add_co_u32 v66, s0, s0, v66
	s_delay_alu instid0(VALU_DEP_1)
	v_add_co_ci_u32_e64 v67, s0, s1, v67, s0
	s_clause 0x8
	global_load_u8 v70, v[66:67], off
	global_load_u8 v73, v[66:67], off offset:32
	global_load_u8 v74, v[66:67], off offset:64
	;; [unrolled: 1-line block ×8, first 2 shown]
	s_waitcnt vmcnt(8)
	v_and_b32_e32 v70, 1, v70
	s_waitcnt vmcnt(7)
	v_and_b32_e32 v73, 1, v73
	s_waitcnt vmcnt(6)
	v_and_b32_e32 v74, 1, v74
	s_waitcnt vmcnt(5)
	v_and_b32_e32 v75, 1, v75
	s_waitcnt vmcnt(4)
	v_and_b32_e32 v76, 1, v76
	v_cmp_eq_u32_e64 s30, 1, v70
	v_cmp_eq_u32_e64 s29, 1, v73
	global_load_u8 v73, v[66:67], off offset:288
	v_cmp_eq_u32_e64 s28, 1, v74
	global_load_u8 v74, v[66:67], off offset:320
	v_cndmask_b32_e64 v69, v69, 0, s30
	v_cndmask_b32_e64 v68, v68, 0, s30
	v_cmp_eq_u32_e64 s27, 1, v75
	global_load_u8 v75, v[66:67], off offset:352
	v_cmp_eq_u32_e64 s26, 1, v76
	global_load_u8 v76, v[66:67], off offset:384
	v_add_f64 v[70:71], v[68:69], v[0:1]
	s_waitcnt vmcnt(7)
	v_and_b32_e32 v77, 1, v77
	s_waitcnt vmcnt(6)
	v_and_b32_e32 v78, 1, v78
	s_delay_alu instid0(VALU_DEP_2)
	v_cmp_eq_u32_e64 s25, 1, v77
	global_load_u8 v77, v[66:67], off offset:416
	v_cmp_eq_u32_e64 s24, 1, v78
	global_load_u8 v78, v[66:67], off offset:448
	s_waitcnt vmcnt(7)
	v_and_b32_e32 v79, 1, v79
	s_delay_alu instid0(VALU_DEP_1) | instskip(SKIP_3) | instid1(VALU_DEP_1)
	v_cmp_eq_u32_e64 s23, 1, v79
	global_load_u8 v79, v[66:67], off offset:480
	s_waitcnt vmcnt(7)
	v_and_b32_e32 v66, 1, v80
	v_cmp_eq_u32_e64 s22, 1, v66
	v_cndmask_b32_e64 v69, v71, v69, s29
	v_cndmask_b32_e64 v68, v70, v68, s29
	s_delay_alu instid0(VALU_DEP_1) | instskip(NEXT) | instid1(VALU_DEP_1)
	v_add_f64 v[70:71], v[68:69], v[14:15]
	v_cndmask_b32_e64 v69, v71, v69, s28
	s_delay_alu instid0(VALU_DEP_2) | instskip(NEXT) | instid1(VALU_DEP_1)
	v_cndmask_b32_e64 v68, v70, v68, s28
	v_add_f64 v[70:71], v[68:69], v[4:5]
	s_delay_alu instid0(VALU_DEP_1) | instskip(NEXT) | instid1(VALU_DEP_2)
	v_cndmask_b32_e64 v69, v71, v69, s27
	v_cndmask_b32_e64 v68, v70, v68, s27
	s_delay_alu instid0(VALU_DEP_1) | instskip(NEXT) | instid1(VALU_DEP_1)
	v_add_f64 v[70:71], v[68:69], v[22:23]
	v_cndmask_b32_e64 v69, v71, v69, s26
	s_delay_alu instid0(VALU_DEP_2) | instskip(NEXT) | instid1(VALU_DEP_1)
	v_cndmask_b32_e64 v68, v70, v68, s26
	v_add_f64 v[70:71], v[68:69], v[12:13]
	s_delay_alu instid0(VALU_DEP_1) | instskip(NEXT) | instid1(VALU_DEP_2)
	v_cndmask_b32_e64 v69, v71, v69, s25
	v_cndmask_b32_e64 v68, v70, v68, s25
	s_delay_alu instid0(VALU_DEP_1) | instskip(NEXT) | instid1(VALU_DEP_1)
	v_add_f64 v[70:71], v[68:69], v[30:31]
	v_cndmask_b32_e64 v69, v71, v69, s24
	s_delay_alu instid0(VALU_DEP_2) | instskip(NEXT) | instid1(VALU_DEP_1)
	v_cndmask_b32_e64 v68, v70, v68, s24
	v_add_f64 v[70:71], v[68:69], v[20:21]
	s_delay_alu instid0(VALU_DEP_1) | instskip(NEXT) | instid1(VALU_DEP_2)
	v_cndmask_b32_e64 v69, v71, v69, s23
	v_cndmask_b32_e64 v68, v70, v68, s23
	s_delay_alu instid0(VALU_DEP_1) | instskip(NEXT) | instid1(VALU_DEP_1)
	v_add_f64 v[70:71], v[68:69], v[38:39]
	v_cndmask_b32_e64 v67, v71, v69, s22
	s_delay_alu instid0(VALU_DEP_2)
	v_cndmask_b32_e64 v66, v70, v68, s22
	s_waitcnt vmcnt(6)
	v_and_b32_e32 v70, 1, v73
	s_waitcnt vmcnt(0)
	v_and_b32_e32 v73, 1, v79
	v_add_f64 v[68:69], v[66:67], v[28:29]
	s_delay_alu instid0(VALU_DEP_3) | instskip(SKIP_1) | instid1(VALU_DEP_1)
	v_cmp_eq_u32_e64 s21, 1, v70
	v_and_b32_e32 v70, 1, v74
	v_cmp_eq_u32_e64 s20, 1, v70
	v_and_b32_e32 v70, 1, v75
	s_delay_alu instid0(VALU_DEP_1) | instskip(SKIP_1) | instid1(VALU_DEP_1)
	v_cmp_eq_u32_e64 s19, 1, v70
	v_and_b32_e32 v70, 1, v76
	v_cmp_eq_u32_e64 s18, 1, v70
	v_and_b32_e32 v70, 1, v77
	s_delay_alu instid0(VALU_DEP_1) | instskip(SKIP_1) | instid1(VALU_DEP_1)
	v_cmp_eq_u32_e64 s17, 1, v70
	v_and_b32_e32 v70, 1, v78
	v_cmp_eq_u32_e64 s0, 1, v70
	v_mbcnt_lo_u32_b32 v70, -1, 0
	s_delay_alu instid0(VALU_DEP_1) | instskip(SKIP_2) | instid1(VALU_DEP_3)
	v_xor_b32_e32 v71, 16, v70
	v_cndmask_b32_e64 v67, v69, v67, s21
	v_cndmask_b32_e64 v66, v68, v66, s21
	v_cmp_gt_i32_e64 s1, 32, v71
	s_delay_alu instid0(VALU_DEP_2) | instskip(NEXT) | instid1(VALU_DEP_2)
	v_add_f64 v[68:69], v[66:67], v[46:47]
	v_cndmask_b32_e64 v71, v70, v71, s1
	v_cmp_eq_u32_e64 s1, 1, v73
	s_delay_alu instid0(VALU_DEP_2) | instskip(NEXT) | instid1(VALU_DEP_4)
	v_lshlrev_b32_e32 v71, 2, v71
	v_cndmask_b32_e64 v67, v69, v67, s20
	v_cndmask_b32_e64 v66, v68, v66, s20
	s_delay_alu instid0(VALU_DEP_1) | instskip(NEXT) | instid1(VALU_DEP_1)
	v_add_f64 v[68:69], v[66:67], v[36:37]
	v_cndmask_b32_e64 v67, v69, v67, s19
	s_delay_alu instid0(VALU_DEP_2) | instskip(NEXT) | instid1(VALU_DEP_1)
	v_cndmask_b32_e64 v66, v68, v66, s19
	v_add_f64 v[68:69], v[66:67], v[54:55]
	s_delay_alu instid0(VALU_DEP_1) | instskip(NEXT) | instid1(VALU_DEP_2)
	v_cndmask_b32_e64 v67, v69, v67, s18
	v_cndmask_b32_e64 v66, v68, v66, s18
	s_delay_alu instid0(VALU_DEP_1) | instskip(NEXT) | instid1(VALU_DEP_1)
	v_add_f64 v[68:69], v[66:67], v[44:45]
	v_cndmask_b32_e64 v67, v69, v67, s17
	s_delay_alu instid0(VALU_DEP_2) | instskip(NEXT) | instid1(VALU_DEP_1)
	v_cndmask_b32_e64 v66, v68, v66, s17
	v_add_f64 v[68:69], v[66:67], v[60:61]
	s_delay_alu instid0(VALU_DEP_1) | instskip(NEXT) | instid1(VALU_DEP_2)
	v_cndmask_b32_e64 v67, v69, v67, s0
	v_cndmask_b32_e64 v66, v68, v66, s0
	s_delay_alu instid0(VALU_DEP_1) | instskip(NEXT) | instid1(VALU_DEP_1)
	v_add_f64 v[68:69], v[66:67], v[52:53]
	v_cndmask_b32_e64 v67, v69, v67, s1
	s_delay_alu instid0(VALU_DEP_2)
	v_cndmask_b32_e64 v66, v68, v66, s1
	ds_bpermute_b32 v69, v71, v67
	ds_bpermute_b32 v68, v71, v66
	s_waitcnt lgkmcnt(0)
	v_add_f64 v[66:67], v[66:67], v[68:69]
	v_xor_b32_e32 v68, 8, v70
	s_delay_alu instid0(VALU_DEP_1) | instskip(NEXT) | instid1(VALU_DEP_1)
	v_cmp_gt_i32_e64 s31, 32, v68
	v_cndmask_b32_e64 v68, v70, v68, s31
	s_delay_alu instid0(VALU_DEP_1)
	v_lshlrev_b32_e32 v69, 2, v68
	ds_bpermute_b32 v68, v69, v66
	ds_bpermute_b32 v69, v69, v67
	s_waitcnt lgkmcnt(0)
	v_add_f64 v[66:67], v[66:67], v[68:69]
	v_xor_b32_e32 v68, 4, v70
	s_delay_alu instid0(VALU_DEP_1) | instskip(NEXT) | instid1(VALU_DEP_1)
	v_cmp_gt_i32_e64 s31, 32, v68
	v_cndmask_b32_e64 v68, v70, v68, s31
	s_delay_alu instid0(VALU_DEP_1)
	v_lshlrev_b32_e32 v69, 2, v68
	;; [unrolled: 10-line block ×4, first 2 shown]
	ds_bpermute_b32 v68, v69, v66
	ds_bpermute_b32 v69, v69, v67
	v_cmpx_lt_i32_e32 0, v72
	s_cbranch_execz .LBB787_50
; %bb.33:
	s_waitcnt lgkmcnt(0)
	v_add_f64 v[66:67], v[66:67], v[68:69]
	v_add_co_u32 v6, s31, s36, v6
	s_delay_alu instid0(VALU_DEP_1)
	v_add_co_ci_u32_e64 v7, s31, s37, v7, s31
	s_and_saveexec_b32 s31, vcc_lo
	s_cbranch_execnz .LBB787_51
; %bb.34:
	s_or_b32 exec_lo, exec_lo, s31
	s_and_saveexec_b32 s30, s2
	s_cbranch_execnz .LBB787_52
.LBB787_35:
	s_or_b32 exec_lo, exec_lo, s30
	s_and_saveexec_b32 s2, s3
	s_cbranch_execnz .LBB787_53
.LBB787_36:
	s_or_b32 exec_lo, exec_lo, s2
	s_and_saveexec_b32 s2, s4
	s_cbranch_execnz .LBB787_54
.LBB787_37:
	s_or_b32 exec_lo, exec_lo, s2
	s_and_saveexec_b32 s2, s5
	s_cbranch_execnz .LBB787_55
.LBB787_38:
	s_or_b32 exec_lo, exec_lo, s2
	s_and_saveexec_b32 s2, s6
	s_cbranch_execnz .LBB787_56
.LBB787_39:
	s_or_b32 exec_lo, exec_lo, s2
	s_and_saveexec_b32 s2, s7
	s_cbranch_execnz .LBB787_57
.LBB787_40:
	s_or_b32 exec_lo, exec_lo, s2
	s_and_saveexec_b32 s2, s8
	s_cbranch_execnz .LBB787_58
.LBB787_41:
	s_or_b32 exec_lo, exec_lo, s2
	s_and_saveexec_b32 s2, s9
	s_cbranch_execnz .LBB787_59
.LBB787_42:
	s_or_b32 exec_lo, exec_lo, s2
	s_and_saveexec_b32 s2, s10
	s_cbranch_execnz .LBB787_60
.LBB787_43:
	s_or_b32 exec_lo, exec_lo, s2
	s_and_saveexec_b32 s2, s11
	s_cbranch_execnz .LBB787_61
.LBB787_44:
	s_or_b32 exec_lo, exec_lo, s2
	s_and_saveexec_b32 s2, s12
	s_cbranch_execnz .LBB787_62
.LBB787_45:
	s_or_b32 exec_lo, exec_lo, s2
	s_and_saveexec_b32 s2, s13
	s_cbranch_execnz .LBB787_63
.LBB787_46:
	s_or_b32 exec_lo, exec_lo, s2
	s_and_saveexec_b32 s2, s14
	s_cbranch_execnz .LBB787_64
.LBB787_47:
	s_or_b32 exec_lo, exec_lo, s2
	s_and_saveexec_b32 s2, s15
	s_cbranch_execnz .LBB787_65
.LBB787_48:
	s_or_b32 exec_lo, exec_lo, s2
	s_delay_alu instid0(SALU_CYCLE_1)
	s_and_b32 exec_lo, exec_lo, s16
	s_cbranch_execz .LBB787_50
.LBB787_49:
	v_fma_f64 v[0:1], -v[66:67], v[64:65], v[52:53]
	s_delay_alu instid0(VALU_DEP_1) | instskip(NEXT) | instid1(VALU_DEP_2)
	v_cndmask_b32_e64 v1, v1, 0, s1
	v_cndmask_b32_e64 v0, v0, 0, s1
	global_store_b64 v[6:7], v[0:1], off offset:3840
.LBB787_50:
	s_nop 0
	s_sendmsg sendmsg(MSG_DEALLOC_VGPRS)
	s_endpgm
.LBB787_51:
	s_delay_alu instid0(VALU_DEP_3) | instskip(NEXT) | instid1(VALU_DEP_1)
	v_fma_f64 v[2:3], -v[66:67], v[8:9], v[2:3]
	v_cndmask_b32_e64 v3, v3, 0, s30
	s_delay_alu instid0(VALU_DEP_2)
	v_cndmask_b32_e64 v2, v2, 0, s30
	global_store_b64 v[6:7], v[2:3], off
	s_or_b32 exec_lo, exec_lo, s31
	s_and_saveexec_b32 s30, s2
	s_cbranch_execz .LBB787_35
.LBB787_52:
	s_delay_alu instid0(VALU_DEP_3) | instskip(NEXT) | instid1(VALU_DEP_1)
	v_fma_f64 v[0:1], -v[66:67], v[10:11], v[0:1]
	v_cndmask_b32_e64 v1, v1, 0, s29
	s_delay_alu instid0(VALU_DEP_2)
	v_cndmask_b32_e64 v0, v0, 0, s29
	global_store_b64 v[6:7], v[0:1], off offset:256
	s_or_b32 exec_lo, exec_lo, s30
	s_and_saveexec_b32 s2, s3
	s_cbranch_execz .LBB787_36
.LBB787_53:
	s_delay_alu instid0(VALU_DEP_3) | instskip(NEXT) | instid1(VALU_DEP_1)
	v_fma_f64 v[0:1], -v[66:67], v[16:17], v[14:15]
	v_cndmask_b32_e64 v1, v1, 0, s28
	s_delay_alu instid0(VALU_DEP_2)
	v_cndmask_b32_e64 v0, v0, 0, s28
	global_store_b64 v[6:7], v[0:1], off offset:512
	s_or_b32 exec_lo, exec_lo, s2
	s_and_saveexec_b32 s2, s4
	s_cbranch_execz .LBB787_37
.LBB787_54:
	s_delay_alu instid0(VALU_DEP_3) | instskip(NEXT) | instid1(VALU_DEP_1)
	v_fma_f64 v[0:1], -v[66:67], v[18:19], v[4:5]
	v_cndmask_b32_e64 v1, v1, 0, s27
	s_delay_alu instid0(VALU_DEP_2)
	v_cndmask_b32_e64 v0, v0, 0, s27
	global_store_b64 v[6:7], v[0:1], off offset:768
	s_or_b32 exec_lo, exec_lo, s2
	s_and_saveexec_b32 s2, s5
	s_cbranch_execz .LBB787_38
.LBB787_55:
	s_delay_alu instid0(VALU_DEP_3) | instskip(NEXT) | instid1(VALU_DEP_1)
	v_fma_f64 v[0:1], -v[66:67], v[24:25], v[22:23]
	v_cndmask_b32_e64 v1, v1, 0, s26
	s_delay_alu instid0(VALU_DEP_2)
	v_cndmask_b32_e64 v0, v0, 0, s26
	global_store_b64 v[6:7], v[0:1], off offset:1024
	s_or_b32 exec_lo, exec_lo, s2
	s_and_saveexec_b32 s2, s6
	s_cbranch_execz .LBB787_39
.LBB787_56:
	s_delay_alu instid0(VALU_DEP_3) | instskip(NEXT) | instid1(VALU_DEP_1)
	v_fma_f64 v[0:1], -v[66:67], v[26:27], v[12:13]
	v_cndmask_b32_e64 v1, v1, 0, s25
	s_delay_alu instid0(VALU_DEP_2)
	v_cndmask_b32_e64 v0, v0, 0, s25
	global_store_b64 v[6:7], v[0:1], off offset:1280
	s_or_b32 exec_lo, exec_lo, s2
	s_and_saveexec_b32 s2, s7
	s_cbranch_execz .LBB787_40
.LBB787_57:
	s_delay_alu instid0(VALU_DEP_3) | instskip(NEXT) | instid1(VALU_DEP_1)
	v_fma_f64 v[0:1], -v[66:67], v[32:33], v[30:31]
	v_cndmask_b32_e64 v1, v1, 0, s24
	s_delay_alu instid0(VALU_DEP_2)
	v_cndmask_b32_e64 v0, v0, 0, s24
	global_store_b64 v[6:7], v[0:1], off offset:1536
	s_or_b32 exec_lo, exec_lo, s2
	s_and_saveexec_b32 s2, s8
	s_cbranch_execz .LBB787_41
.LBB787_58:
	s_delay_alu instid0(VALU_DEP_3) | instskip(NEXT) | instid1(VALU_DEP_1)
	v_fma_f64 v[0:1], -v[66:67], v[34:35], v[20:21]
	v_cndmask_b32_e64 v1, v1, 0, s23
	s_delay_alu instid0(VALU_DEP_2)
	v_cndmask_b32_e64 v0, v0, 0, s23
	global_store_b64 v[6:7], v[0:1], off offset:1792
	s_or_b32 exec_lo, exec_lo, s2
	s_and_saveexec_b32 s2, s9
	s_cbranch_execz .LBB787_42
.LBB787_59:
	s_delay_alu instid0(VALU_DEP_3) | instskip(NEXT) | instid1(VALU_DEP_1)
	v_fma_f64 v[0:1], -v[66:67], v[40:41], v[38:39]
	v_cndmask_b32_e64 v1, v1, 0, s22
	s_delay_alu instid0(VALU_DEP_2)
	v_cndmask_b32_e64 v0, v0, 0, s22
	global_store_b64 v[6:7], v[0:1], off offset:2048
	s_or_b32 exec_lo, exec_lo, s2
	s_and_saveexec_b32 s2, s10
	s_cbranch_execz .LBB787_43
.LBB787_60:
	s_delay_alu instid0(VALU_DEP_3) | instskip(NEXT) | instid1(VALU_DEP_1)
	v_fma_f64 v[0:1], -v[66:67], v[42:43], v[28:29]
	v_cndmask_b32_e64 v1, v1, 0, s21
	s_delay_alu instid0(VALU_DEP_2)
	v_cndmask_b32_e64 v0, v0, 0, s21
	global_store_b64 v[6:7], v[0:1], off offset:2304
	s_or_b32 exec_lo, exec_lo, s2
	s_and_saveexec_b32 s2, s11
	s_cbranch_execz .LBB787_44
.LBB787_61:
	s_delay_alu instid0(VALU_DEP_3) | instskip(NEXT) | instid1(VALU_DEP_1)
	v_fma_f64 v[0:1], -v[66:67], v[48:49], v[46:47]
	v_cndmask_b32_e64 v1, v1, 0, s20
	s_delay_alu instid0(VALU_DEP_2)
	v_cndmask_b32_e64 v0, v0, 0, s20
	global_store_b64 v[6:7], v[0:1], off offset:2560
	s_or_b32 exec_lo, exec_lo, s2
	s_and_saveexec_b32 s2, s12
	s_cbranch_execz .LBB787_45
.LBB787_62:
	v_fma_f64 v[0:1], -v[66:67], v[50:51], v[36:37]
	s_delay_alu instid0(VALU_DEP_1) | instskip(NEXT) | instid1(VALU_DEP_2)
	v_cndmask_b32_e64 v1, v1, 0, s19
	v_cndmask_b32_e64 v0, v0, 0, s19
	global_store_b64 v[6:7], v[0:1], off offset:2816
	s_or_b32 exec_lo, exec_lo, s2
	s_and_saveexec_b32 s2, s13
	s_cbranch_execz .LBB787_46
.LBB787_63:
	v_fma_f64 v[0:1], -v[66:67], v[56:57], v[54:55]
	s_delay_alu instid0(VALU_DEP_1) | instskip(NEXT) | instid1(VALU_DEP_2)
	v_cndmask_b32_e64 v1, v1, 0, s18
	v_cndmask_b32_e64 v0, v0, 0, s18
	global_store_b64 v[6:7], v[0:1], off offset:3072
	s_or_b32 exec_lo, exec_lo, s2
	s_and_saveexec_b32 s2, s14
	s_cbranch_execz .LBB787_47
.LBB787_64:
	v_fma_f64 v[0:1], -v[66:67], v[58:59], v[44:45]
	s_delay_alu instid0(VALU_DEP_1) | instskip(NEXT) | instid1(VALU_DEP_2)
	v_cndmask_b32_e64 v1, v1, 0, s17
	v_cndmask_b32_e64 v0, v0, 0, s17
	global_store_b64 v[6:7], v[0:1], off offset:3328
	s_or_b32 exec_lo, exec_lo, s2
	s_and_saveexec_b32 s2, s15
	s_cbranch_execz .LBB787_48
.LBB787_65:
	v_fma_f64 v[0:1], -v[66:67], v[62:63], v[60:61]
	s_delay_alu instid0(VALU_DEP_1) | instskip(NEXT) | instid1(VALU_DEP_2)
	v_cndmask_b32_e64 v1, v1, 0, s0
	v_cndmask_b32_e64 v0, v0, 0, s0
	global_store_b64 v[6:7], v[0:1], off offset:3584
	s_or_b32 exec_lo, exec_lo, s2
	s_delay_alu instid0(SALU_CYCLE_1)
	s_and_b32 exec_lo, exec_lo, s16
	s_cbranch_execnz .LBB787_49
	s_branch .LBB787_50
	.section	.rodata,"a",@progbits
	.p2align	6, 0x0
	.amdhsa_kernel _ZN12_GLOBAL__N_121softmax_warp_backwardIdddLi9ELb0ELb1ELi32EEEvPT0_PKT_S5_iiiPKb
		.amdhsa_group_segment_fixed_size 0
		.amdhsa_private_segment_fixed_size 0
		.amdhsa_kernarg_size 304
		.amdhsa_user_sgpr_count 15
		.amdhsa_user_sgpr_dispatch_ptr 0
		.amdhsa_user_sgpr_queue_ptr 0
		.amdhsa_user_sgpr_kernarg_segment_ptr 1
		.amdhsa_user_sgpr_dispatch_id 0
		.amdhsa_user_sgpr_private_segment_size 0
		.amdhsa_wavefront_size32 1
		.amdhsa_uses_dynamic_stack 0
		.amdhsa_enable_private_segment 0
		.amdhsa_system_sgpr_workgroup_id_x 1
		.amdhsa_system_sgpr_workgroup_id_y 0
		.amdhsa_system_sgpr_workgroup_id_z 0
		.amdhsa_system_sgpr_workgroup_info 0
		.amdhsa_system_vgpr_workitem_id 1
		.amdhsa_next_free_vgpr 81
		.amdhsa_next_free_sgpr 40
		.amdhsa_reserve_vcc 1
		.amdhsa_float_round_mode_32 0
		.amdhsa_float_round_mode_16_64 0
		.amdhsa_float_denorm_mode_32 3
		.amdhsa_float_denorm_mode_16_64 3
		.amdhsa_dx10_clamp 1
		.amdhsa_ieee_mode 1
		.amdhsa_fp16_overflow 0
		.amdhsa_workgroup_processor_mode 1
		.amdhsa_memory_ordered 1
		.amdhsa_forward_progress 0
		.amdhsa_shared_vgpr_count 0
		.amdhsa_exception_fp_ieee_invalid_op 0
		.amdhsa_exception_fp_denorm_src 0
		.amdhsa_exception_fp_ieee_div_zero 0
		.amdhsa_exception_fp_ieee_overflow 0
		.amdhsa_exception_fp_ieee_underflow 0
		.amdhsa_exception_fp_ieee_inexact 0
		.amdhsa_exception_int_div_zero 0
	.end_amdhsa_kernel
	.section	.text._ZN12_GLOBAL__N_121softmax_warp_backwardIdddLi9ELb0ELb1ELi32EEEvPT0_PKT_S5_iiiPKb,"axG",@progbits,_ZN12_GLOBAL__N_121softmax_warp_backwardIdddLi9ELb0ELb1ELi32EEEvPT0_PKT_S5_iiiPKb,comdat
.Lfunc_end787:
	.size	_ZN12_GLOBAL__N_121softmax_warp_backwardIdddLi9ELb0ELb1ELi32EEEvPT0_PKT_S5_iiiPKb, .Lfunc_end787-_ZN12_GLOBAL__N_121softmax_warp_backwardIdddLi9ELb0ELb1ELi32EEEvPT0_PKT_S5_iiiPKb
                                        ; -- End function
	.section	.AMDGPU.csdata,"",@progbits
; Kernel info:
; codeLenInByte = 3516
; NumSgprs: 42
; NumVgprs: 81
; ScratchSize: 0
; MemoryBound: 0
; FloatMode: 240
; IeeeMode: 1
; LDSByteSize: 0 bytes/workgroup (compile time only)
; SGPRBlocks: 5
; VGPRBlocks: 10
; NumSGPRsForWavesPerEU: 42
; NumVGPRsForWavesPerEU: 81
; Occupancy: 16
; WaveLimiterHint : 0
; COMPUTE_PGM_RSRC2:SCRATCH_EN: 0
; COMPUTE_PGM_RSRC2:USER_SGPR: 15
; COMPUTE_PGM_RSRC2:TRAP_HANDLER: 0
; COMPUTE_PGM_RSRC2:TGID_X_EN: 1
; COMPUTE_PGM_RSRC2:TGID_Y_EN: 0
; COMPUTE_PGM_RSRC2:TGID_Z_EN: 0
; COMPUTE_PGM_RSRC2:TIDIG_COMP_CNT: 1
	.section	.text._ZN12_GLOBAL__N_121softmax_warp_backwardIdddLi10ELb0ELb1ELi64EEEvPT0_PKT_S5_iiiPKb,"axG",@progbits,_ZN12_GLOBAL__N_121softmax_warp_backwardIdddLi10ELb0ELb1ELi64EEEvPT0_PKT_S5_iiiPKb,comdat
	.globl	_ZN12_GLOBAL__N_121softmax_warp_backwardIdddLi10ELb0ELb1ELi64EEEvPT0_PKT_S5_iiiPKb ; -- Begin function _ZN12_GLOBAL__N_121softmax_warp_backwardIdddLi10ELb0ELb1ELi64EEEvPT0_PKT_S5_iiiPKb
	.p2align	8
	.type	_ZN12_GLOBAL__N_121softmax_warp_backwardIdddLi10ELb0ELb1ELi64EEEvPT0_PKT_S5_iiiPKb,@function
_ZN12_GLOBAL__N_121softmax_warp_backwardIdddLi10ELb0ELb1ELi64EEEvPT0_PKT_S5_iiiPKb: ; @_ZN12_GLOBAL__N_121softmax_warp_backwardIdddLi10ELb0ELb1ELi64EEEvPT0_PKT_S5_iiiPKb
; %bb.0:
	s_clause 0x1
	s_load_b32 s2, s[0:1], 0x3c
	s_load_b128 s[16:19], s[0:1], 0x18
	v_bfe_u32 v1, v0, 10, 10
	v_and_b32_e32 v64, 0x3ff, v0
	s_clause 0x1
	s_load_b128 s[20:23], s[0:1], 0x0
	s_load_b64 s[4:5], s[0:1], 0x10
	s_waitcnt lgkmcnt(0)
	s_lshr_b32 s2, s2, 16
	s_delay_alu instid0(SALU_CYCLE_1) | instskip(SKIP_2) | instid1(VALU_DEP_1)
	v_mad_u64_u32 v[2:3], null, s15, s2, v[1:2]
	v_mov_b32_e32 v0, 0
	v_dual_mov_b32 v1, 0 :: v_dual_and_b32 v48, 63, v64
	v_mov_b32_e32 v9, v1
	s_delay_alu instid0(VALU_DEP_2) | instskip(SKIP_4) | instid1(VALU_DEP_4)
	v_mad_u64_u32 v[66:67], null, v2, s17, v[48:49]
	v_sub_nc_u32_e32 v72, s16, v2
	v_cmp_gt_i32_e32 vcc_lo, s18, v48
	v_dual_mov_b32 v8, v0 :: v_dual_mov_b32 v15, v1
	v_mov_b32_e32 v14, v0
	v_cmp_lt_i32_e64 s17, 0, v72
	v_ashrrev_i32_e32 v67, 31, v66
	s_delay_alu instid0(VALU_DEP_2) | instskip(NEXT) | instid1(VALU_DEP_1)
	s_and_b32 s3, s17, vcc_lo
	v_lshlrev_b64 v[12:13], 3, v[66:67]
	s_delay_alu instid0(VALU_DEP_1) | instskip(NEXT) | instid1(VALU_DEP_1)
	v_add_co_u32 v70, s2, s22, v12
	v_add_co_ci_u32_e64 v71, s2, s23, v13, s2
	v_add_co_u32 v68, s2, s4, v12
	s_delay_alu instid0(VALU_DEP_1)
	v_add_co_ci_u32_e64 v69, s2, s5, v13, s2
	s_and_saveexec_b32 s2, s3
	s_cbranch_execz .LBB788_2
; %bb.1:
	global_load_b64 v[8:9], v[70:71], off
	global_load_b64 v[14:15], v[68:69], off
.LBB788_2:
	s_or_b32 exec_lo, exec_lo, s2
	v_or_b32_e32 v2, 64, v48
	v_dual_mov_b32 v17, v1 :: v_dual_mov_b32 v16, v0
	s_delay_alu instid0(VALU_DEP_2) | instskip(NEXT) | instid1(VALU_DEP_1)
	v_cmp_gt_i32_e64 s2, s18, v2
	s_and_b32 s4, s17, s2
	s_delay_alu instid0(SALU_CYCLE_1)
	s_and_saveexec_b32 s3, s4
	s_cbranch_execz .LBB788_4
; %bb.3:
	global_load_b64 v[0:1], v[70:71], off offset:512
	global_load_b64 v[16:17], v[68:69], off offset:512
.LBB788_4:
	s_or_b32 exec_lo, exec_lo, s3
	v_or_b32_e32 v4, 0x80, v48
	v_mov_b32_e32 v2, 0
	v_mov_b32_e32 v3, 0
	s_delay_alu instid0(VALU_DEP_3) | instskip(NEXT) | instid1(VALU_DEP_2)
	v_cmp_gt_i32_e64 s3, s18, v4
	v_dual_mov_b32 v19, v3 :: v_dual_mov_b32 v18, v2
	v_dual_mov_b32 v21, v3 :: v_dual_mov_b32 v20, v2
	s_delay_alu instid0(VALU_DEP_3) | instskip(NEXT) | instid1(SALU_CYCLE_1)
	s_and_b32 s5, s17, s3
	s_and_saveexec_b32 s4, s5
	s_cbranch_execz .LBB788_6
; %bb.5:
	global_load_b64 v[18:19], v[70:71], off offset:1024
	global_load_b64 v[20:21], v[68:69], off offset:1024
.LBB788_6:
	s_or_b32 exec_lo, exec_lo, s4
	v_or_b32_e32 v4, 0xc0, v48
	v_dual_mov_b32 v23, v3 :: v_dual_mov_b32 v22, v2
	s_delay_alu instid0(VALU_DEP_2) | instskip(NEXT) | instid1(VALU_DEP_1)
	v_cmp_gt_i32_e64 s4, s18, v4
	s_and_b32 s6, s17, s4
	s_delay_alu instid0(SALU_CYCLE_1)
	s_and_saveexec_b32 s5, s6
	s_cbranch_execz .LBB788_8
; %bb.7:
	global_load_b64 v[2:3], v[70:71], off offset:1536
	global_load_b64 v[22:23], v[68:69], off offset:1536
.LBB788_8:
	s_or_b32 exec_lo, exec_lo, s5
	v_or_b32_e32 v6, 0x100, v48
	v_mov_b32_e32 v4, 0
	v_mov_b32_e32 v5, 0
	s_delay_alu instid0(VALU_DEP_3) | instskip(NEXT) | instid1(VALU_DEP_2)
	v_cmp_gt_i32_e64 s5, s18, v6
	v_dual_mov_b32 v25, v5 :: v_dual_mov_b32 v24, v4
	v_dual_mov_b32 v27, v5 :: v_dual_mov_b32 v26, v4
	s_delay_alu instid0(VALU_DEP_3) | instskip(NEXT) | instid1(SALU_CYCLE_1)
	s_and_b32 s7, s17, s5
	s_and_saveexec_b32 s6, s7
	s_cbranch_execz .LBB788_10
; %bb.9:
	global_load_b64 v[24:25], v[70:71], off offset:2048
	global_load_b64 v[26:27], v[68:69], off offset:2048
.LBB788_10:
	;; [unrolled: 29-line block ×3, first 2 shown]
	s_or_b32 exec_lo, exec_lo, s8
	v_or_b32_e32 v10, 0x1c0, v48
	v_dual_mov_b32 v37, v7 :: v_dual_mov_b32 v36, v6
	s_delay_alu instid0(VALU_DEP_2) | instskip(NEXT) | instid1(VALU_DEP_1)
	v_cmp_gt_i32_e64 s8, s18, v10
	s_and_b32 s10, s17, s8
	s_delay_alu instid0(SALU_CYCLE_1)
	s_and_saveexec_b32 s9, s10
	s_cbranch_execz .LBB788_16
; %bb.15:
	global_load_b64 v[6:7], v[70:71], off offset:3584
	global_load_b64 v[36:37], v[68:69], off offset:3584
.LBB788_16:
	s_or_b32 exec_lo, exec_lo, s9
	v_or_b32_e32 v32, 0x200, v48
	v_mov_b32_e32 v10, 0
	v_mov_b32_e32 v11, 0
	s_delay_alu instid0(VALU_DEP_3) | instskip(NEXT) | instid1(VALU_DEP_2)
	v_cmp_gt_i32_e64 s9, s18, v32
	v_dual_mov_b32 v39, v11 :: v_dual_mov_b32 v38, v10
	v_dual_mov_b32 v43, v11 :: v_dual_mov_b32 v42, v10
	s_delay_alu instid0(VALU_DEP_3) | instskip(NEXT) | instid1(SALU_CYCLE_1)
	s_and_b32 s10, s17, s9
	s_and_saveexec_b32 s11, s10
	s_cbranch_execz .LBB788_18
; %bb.17:
	v_add_co_u32 v32, s10, 0x1000, v70
	s_delay_alu instid0(VALU_DEP_1) | instskip(SKIP_1) | instid1(VALU_DEP_1)
	v_add_co_ci_u32_e64 v33, s10, 0, v71, s10
	v_add_co_u32 v40, s10, 0x1000, v68
	v_add_co_ci_u32_e64 v41, s10, 0, v69, s10
	global_load_b64 v[38:39], v[32:33], off
	global_load_b64 v[42:43], v[40:41], off
.LBB788_18:
	s_or_b32 exec_lo, exec_lo, s11
	v_or_b32_e32 v32, 0x240, v48
	v_dual_mov_b32 v45, v11 :: v_dual_mov_b32 v44, v10
	s_delay_alu instid0(VALU_DEP_2) | instskip(NEXT) | instid1(VALU_DEP_1)
	v_cmp_gt_i32_e64 s10, s18, v32
	s_and_b32 s11, s17, s10
	s_delay_alu instid0(SALU_CYCLE_1)
	s_and_saveexec_b32 s12, s11
	s_cbranch_execz .LBB788_20
; %bb.19:
	v_add_co_u32 v10, s11, 0x1000, v70
	s_delay_alu instid0(VALU_DEP_1) | instskip(SKIP_1) | instid1(VALU_DEP_1)
	v_add_co_ci_u32_e64 v11, s11, 0, v71, s11
	v_add_co_u32 v32, s11, 0x1000, v68
	v_add_co_ci_u32_e64 v33, s11, 0, v69, s11
	global_load_b64 v[10:11], v[10:11], off offset:512
	global_load_b64 v[44:45], v[32:33], off offset:512
.LBB788_20:
	s_or_b32 exec_lo, exec_lo, s12
	v_or_b32_e32 v40, 0x280, v48
	v_mov_b32_e32 v32, 0
	v_mov_b32_e32 v33, 0
	s_delay_alu instid0(VALU_DEP_3) | instskip(NEXT) | instid1(VALU_DEP_2)
	v_cmp_gt_i32_e64 s11, s18, v40
	v_dual_mov_b32 v47, v33 :: v_dual_mov_b32 v46, v32
	v_dual_mov_b32 v51, v33 :: v_dual_mov_b32 v50, v32
	s_delay_alu instid0(VALU_DEP_3) | instskip(NEXT) | instid1(SALU_CYCLE_1)
	s_and_b32 s12, s17, s11
	s_and_saveexec_b32 s13, s12
	s_cbranch_execz .LBB788_22
; %bb.21:
	v_add_co_u32 v40, s12, 0x1000, v70
	s_delay_alu instid0(VALU_DEP_1) | instskip(SKIP_1) | instid1(VALU_DEP_1)
	v_add_co_ci_u32_e64 v41, s12, 0, v71, s12
	v_add_co_u32 v49, s12, 0x1000, v68
	v_add_co_ci_u32_e64 v50, s12, 0, v69, s12
	global_load_b64 v[46:47], v[40:41], off offset:1024
	global_load_b64 v[50:51], v[49:50], off offset:1024
.LBB788_22:
	s_or_b32 exec_lo, exec_lo, s13
	v_or_b32_e32 v40, 0x2c0, v48
	v_dual_mov_b32 v53, v33 :: v_dual_mov_b32 v52, v32
	s_delay_alu instid0(VALU_DEP_2) | instskip(NEXT) | instid1(VALU_DEP_1)
	v_cmp_gt_i32_e64 s12, s18, v40
	s_and_b32 s13, s17, s12
	s_delay_alu instid0(SALU_CYCLE_1)
	s_and_saveexec_b32 s14, s13
	s_cbranch_execz .LBB788_24
; %bb.23:
	v_add_co_u32 v32, s13, 0x1000, v70
	s_delay_alu instid0(VALU_DEP_1) | instskip(SKIP_1) | instid1(VALU_DEP_1)
	v_add_co_ci_u32_e64 v33, s13, 0, v71, s13
	v_add_co_u32 v40, s13, 0x1000, v68
	v_add_co_ci_u32_e64 v41, s13, 0, v69, s13
	global_load_b64 v[32:33], v[32:33], off offset:1536
	global_load_b64 v[52:53], v[40:41], off offset:1536
.LBB788_24:
	s_or_b32 exec_lo, exec_lo, s14
	v_or_b32_e32 v49, 0x300, v48
	v_mov_b32_e32 v40, 0
	v_mov_b32_e32 v41, 0
	s_delay_alu instid0(VALU_DEP_3) | instskip(NEXT) | instid1(VALU_DEP_2)
	v_cmp_gt_i32_e64 s13, s18, v49
	v_dual_mov_b32 v55, v41 :: v_dual_mov_b32 v54, v40
	v_dual_mov_b32 v57, v41 :: v_dual_mov_b32 v56, v40
	s_delay_alu instid0(VALU_DEP_3) | instskip(NEXT) | instid1(SALU_CYCLE_1)
	s_and_b32 s14, s17, s13
	s_and_saveexec_b32 s15, s14
	s_cbranch_execz .LBB788_26
; %bb.25:
	v_add_co_u32 v54, s14, 0x1000, v70
	s_delay_alu instid0(VALU_DEP_1) | instskip(SKIP_1) | instid1(VALU_DEP_1)
	v_add_co_ci_u32_e64 v55, s14, 0, v71, s14
	v_add_co_u32 v56, s14, 0x1000, v68
	v_add_co_ci_u32_e64 v57, s14, 0, v69, s14
	global_load_b64 v[54:55], v[54:55], off offset:2048
	global_load_b64 v[56:57], v[56:57], off offset:2048
.LBB788_26:
	;; [unrolled: 39-line block ×3, first 2 shown]
	s_or_b32 exec_lo, exec_lo, s19
	v_or_b32_e32 v64, 0x3c0, v64
	s_delay_alu instid0(VALU_DEP_1) | instskip(SKIP_1) | instid1(VALU_DEP_2)
	v_cmp_gt_i32_e64 s16, s18, v64
	v_dual_mov_b32 v65, v49 :: v_dual_mov_b32 v64, v48
	s_and_b32 s17, s17, s16
	s_delay_alu instid0(SALU_CYCLE_1)
	s_and_saveexec_b32 s18, s17
	s_cbranch_execz .LBB788_32
; %bb.31:
	v_add_co_u32 v48, s17, 0x1000, v70
	s_delay_alu instid0(VALU_DEP_1) | instskip(SKIP_1) | instid1(VALU_DEP_1)
	v_add_co_ci_u32_e64 v49, s17, 0, v71, s17
	v_add_co_u32 v64, s17, 0x1000, v68
	v_add_co_ci_u32_e64 v65, s17, 0, v69, s17
	global_load_b64 v[48:49], v[48:49], off offset:3584
	global_load_b64 v[64:65], v[64:65], off offset:3584
.LBB788_32:
	s_or_b32 exec_lo, exec_lo, s18
	s_load_b64 s[0:1], s[0:1], 0x28
	s_waitcnt vmcnt(1)
	v_add_f64 v[68:69], v[8:9], 0
	s_mov_b32 s17, exec_lo
	s_waitcnt lgkmcnt(0)
	v_add_co_u32 v66, s0, s0, v66
	s_delay_alu instid0(VALU_DEP_1)
	v_add_co_ci_u32_e64 v67, s0, s1, v67, s0
	s_clause 0x8
	global_load_u8 v70, v[66:67], off
	global_load_u8 v73, v[66:67], off offset:64
	global_load_u8 v74, v[66:67], off offset:128
	;; [unrolled: 1-line block ×8, first 2 shown]
	s_waitcnt vmcnt(8)
	v_and_b32_e32 v70, 1, v70
	s_waitcnt vmcnt(7)
	v_and_b32_e32 v73, 1, v73
	s_waitcnt vmcnt(6)
	v_and_b32_e32 v74, 1, v74
	s_waitcnt vmcnt(5)
	v_and_b32_e32 v75, 1, v75
	s_waitcnt vmcnt(4)
	v_and_b32_e32 v76, 1, v76
	v_cmp_eq_u32_e64 s0, 1, v70
	v_cmp_eq_u32_e64 s1, 1, v73
	global_load_u8 v73, v[66:67], off offset:576
	s_waitcnt vmcnt(4)
	v_and_b32_e32 v77, 1, v77
	s_waitcnt vmcnt(3)
	v_and_b32_e32 v78, 1, v78
	v_cndmask_b32_e64 v69, v69, 0, s0
	v_cndmask_b32_e64 v68, v68, 0, s0
	s_delay_alu instid0(VALU_DEP_1) | instskip(NEXT) | instid1(VALU_DEP_1)
	v_add_f64 v[70:71], v[68:69], v[0:1]
	v_cndmask_b32_e64 v69, v71, v69, s1
	s_delay_alu instid0(VALU_DEP_2) | instskip(SKIP_3) | instid1(VALU_DEP_1)
	v_cndmask_b32_e64 v68, v70, v68, s1
	v_cmp_eq_u32_e64 s1, 1, v74
	global_load_u8 v74, v[66:67], off offset:640
	v_add_f64 v[70:71], v[68:69], v[18:19]
	v_cndmask_b32_e64 v69, v71, v69, s1
	s_delay_alu instid0(VALU_DEP_2) | instskip(SKIP_3) | instid1(VALU_DEP_1)
	v_cndmask_b32_e64 v68, v70, v68, s1
	v_cmp_eq_u32_e64 s1, 1, v75
	global_load_u8 v75, v[66:67], off offset:704
	;; [unrolled: 6-line block ×4, first 2 shown]
	v_add_f64 v[70:71], v[68:69], v[4:5]
	v_cndmask_b32_e64 v69, v71, v69, s1
	s_delay_alu instid0(VALU_DEP_2)
	v_cndmask_b32_e64 v68, v70, v68, s1
	v_cmp_eq_u32_e64 s1, 1, v78
	global_load_u8 v78, v[66:67], off offset:896
	s_waitcnt vmcnt(7)
	v_and_b32_e32 v79, 1, v79
	s_waitcnt vmcnt(6)
	v_and_b32_e32 v80, 1, v80
	v_add_f64 v[70:71], v[68:69], v[30:31]
	s_delay_alu instid0(VALU_DEP_1) | instskip(NEXT) | instid1(VALU_DEP_2)
	v_cndmask_b32_e64 v69, v71, v69, s1
	v_cndmask_b32_e64 v68, v70, v68, s1
	v_cmp_eq_u32_e64 s1, 1, v79
	global_load_u8 v79, v[66:67], off offset:960
	v_add_f64 v[70:71], v[68:69], v[6:7]
	s_delay_alu instid0(VALU_DEP_1) | instskip(NEXT) | instid1(VALU_DEP_2)
	v_cndmask_b32_e64 v69, v71, v69, s1
	v_cndmask_b32_e64 v68, v70, v68, s1
	v_cmp_eq_u32_e64 s1, 1, v80
	s_delay_alu instid0(VALU_DEP_2) | instskip(SKIP_2) | instid1(VALU_DEP_2)
	v_add_f64 v[70:71], v[68:69], v[38:39]
	s_waitcnt vmcnt(6)
	v_and_b32_e32 v73, 1, v73
	v_cndmask_b32_e64 v69, v71, v69, s1
	s_delay_alu instid0(VALU_DEP_3) | instskip(NEXT) | instid1(VALU_DEP_3)
	v_cndmask_b32_e64 v68, v70, v68, s1
	v_cmp_eq_u32_e64 s1, 1, v73
	s_delay_alu instid0(VALU_DEP_2) | instskip(SKIP_2) | instid1(VALU_DEP_2)
	v_add_f64 v[70:71], v[68:69], v[10:11]
	s_waitcnt vmcnt(5)
	v_and_b32_e32 v73, 1, v74
	v_cndmask_b32_e64 v69, v71, v69, s1
	s_delay_alu instid0(VALU_DEP_3) | instskip(NEXT) | instid1(VALU_DEP_3)
	v_cndmask_b32_e64 v68, v70, v68, s1
	v_cmp_eq_u32_e64 s1, 1, v73
	s_delay_alu instid0(VALU_DEP_2) | instskip(SKIP_2) | instid1(VALU_DEP_2)
	v_add_f64 v[70:71], v[68:69], v[46:47]
	s_waitcnt vmcnt(4)
	v_and_b32_e32 v73, 1, v75
	v_cndmask_b32_e64 v69, v71, v69, s1
	s_delay_alu instid0(VALU_DEP_3) | instskip(NEXT) | instid1(VALU_DEP_3)
	v_cndmask_b32_e64 v68, v70, v68, s1
	v_cmp_eq_u32_e64 s1, 1, v73
	s_delay_alu instid0(VALU_DEP_2) | instskip(SKIP_2) | instid1(VALU_DEP_2)
	v_add_f64 v[70:71], v[68:69], v[32:33]
	s_waitcnt vmcnt(3)
	v_and_b32_e32 v73, 1, v76
	v_cndmask_b32_e64 v69, v71, v69, s1
	s_delay_alu instid0(VALU_DEP_3) | instskip(NEXT) | instid1(VALU_DEP_3)
	v_cndmask_b32_e64 v68, v70, v68, s1
	v_cmp_eq_u32_e64 s1, 1, v73
	s_delay_alu instid0(VALU_DEP_2) | instskip(SKIP_2) | instid1(VALU_DEP_2)
	v_add_f64 v[70:71], v[68:69], v[54:55]
	s_waitcnt vmcnt(2)
	v_and_b32_e32 v73, 1, v77
	v_cndmask_b32_e64 v69, v71, v69, s1
	s_delay_alu instid0(VALU_DEP_3) | instskip(NEXT) | instid1(VALU_DEP_3)
	v_cndmask_b32_e64 v68, v70, v68, s1
	v_cmp_eq_u32_e64 s1, 1, v73
	s_delay_alu instid0(VALU_DEP_2) | instskip(SKIP_2) | instid1(VALU_DEP_2)
	v_add_f64 v[70:71], v[68:69], v[40:41]
	s_waitcnt vmcnt(1)
	v_and_b32_e32 v73, 1, v78
	v_cndmask_b32_e64 v69, v71, v69, s1
	s_delay_alu instid0(VALU_DEP_3) | instskip(NEXT) | instid1(VALU_DEP_3)
	v_cndmask_b32_e64 v68, v70, v68, s1
	v_cmp_eq_u32_e64 s1, 1, v73
	v_mbcnt_lo_u32_b32 v73, -1, 0
	s_delay_alu instid0(VALU_DEP_3) | instskip(NEXT) | instid1(VALU_DEP_2)
	v_add_f64 v[70:71], v[68:69], v[60:61]
	v_or_b32_e32 v74, 32, v73
	s_waitcnt vmcnt(0)
	v_and_b32_e32 v75, 1, v79
	s_delay_alu instid0(VALU_DEP_3) | instskip(NEXT) | instid1(VALU_DEP_4)
	v_cndmask_b32_e64 v69, v71, v69, s1
	v_cndmask_b32_e64 v68, v70, v68, s1
	v_cmp_gt_i32_e64 s1, 64, v74
	s_delay_alu instid0(VALU_DEP_2) | instskip(NEXT) | instid1(VALU_DEP_2)
	v_add_f64 v[70:71], v[68:69], v[48:49]
	v_cndmask_b32_e64 v74, v73, v74, s1
	v_cmp_eq_u32_e64 s1, 1, v75
	s_delay_alu instid0(VALU_DEP_2) | instskip(NEXT) | instid1(VALU_DEP_2)
	v_lshlrev_b32_e32 v74, 2, v74
	v_cndmask_b32_e64 v69, v71, v69, s1
	v_cndmask_b32_e64 v68, v70, v68, s1
	ds_bpermute_b32 v71, v74, v69
	ds_bpermute_b32 v70, v74, v68
	s_waitcnt lgkmcnt(0)
	v_add_f64 v[68:69], v[68:69], v[70:71]
	v_xor_b32_e32 v70, 16, v73
	s_delay_alu instid0(VALU_DEP_1) | instskip(NEXT) | instid1(VALU_DEP_1)
	v_cmp_gt_i32_e64 s1, 64, v70
	v_cndmask_b32_e64 v70, v73, v70, s1
	s_delay_alu instid0(VALU_DEP_1)
	v_lshlrev_b32_e32 v71, 2, v70
	ds_bpermute_b32 v70, v71, v68
	ds_bpermute_b32 v71, v71, v69
	s_waitcnt lgkmcnt(0)
	v_add_f64 v[68:69], v[68:69], v[70:71]
	v_xor_b32_e32 v70, 8, v73
	s_delay_alu instid0(VALU_DEP_1) | instskip(NEXT) | instid1(VALU_DEP_1)
	v_cmp_gt_i32_e64 s1, 64, v70
	v_cndmask_b32_e64 v70, v73, v70, s1
	s_delay_alu instid0(VALU_DEP_1)
	v_lshlrev_b32_e32 v71, 2, v70
	;; [unrolled: 10-line block ×5, first 2 shown]
	ds_bpermute_b32 v70, v71, v68
	ds_bpermute_b32 v71, v71, v69
	v_cmpx_lt_i32_e32 0, v72
	s_cbranch_execz .LBB788_50
; %bb.33:
	s_waitcnt lgkmcnt(0)
	v_add_f64 v[68:69], v[68:69], v[70:71]
	v_add_co_u32 v12, s1, s20, v12
	s_delay_alu instid0(VALU_DEP_1)
	v_add_co_ci_u32_e64 v13, s1, s21, v13, s1
	s_and_saveexec_b32 s1, vcc_lo
	s_cbranch_execnz .LBB788_51
; %bb.34:
	s_or_b32 exec_lo, exec_lo, s1
	s_and_saveexec_b32 s0, s2
	s_cbranch_execnz .LBB788_52
.LBB788_35:
	s_or_b32 exec_lo, exec_lo, s0
	s_and_saveexec_b32 s0, s3
	s_cbranch_execnz .LBB788_53
.LBB788_36:
	s_or_b32 exec_lo, exec_lo, s0
	s_and_saveexec_b32 s0, s4
	s_cbranch_execnz .LBB788_54
.LBB788_37:
	s_or_b32 exec_lo, exec_lo, s0
	s_and_saveexec_b32 s0, s5
	s_cbranch_execnz .LBB788_55
.LBB788_38:
	s_or_b32 exec_lo, exec_lo, s0
	s_and_saveexec_b32 s0, s6
	s_cbranch_execnz .LBB788_56
.LBB788_39:
	s_or_b32 exec_lo, exec_lo, s0
	s_and_saveexec_b32 s0, s7
	s_cbranch_execnz .LBB788_57
.LBB788_40:
	s_or_b32 exec_lo, exec_lo, s0
	s_and_saveexec_b32 s0, s8
	s_cbranch_execnz .LBB788_58
.LBB788_41:
	s_or_b32 exec_lo, exec_lo, s0
	s_and_saveexec_b32 s0, s9
	s_cbranch_execnz .LBB788_59
.LBB788_42:
	s_or_b32 exec_lo, exec_lo, s0
	s_and_saveexec_b32 s0, s10
	s_cbranch_execnz .LBB788_60
.LBB788_43:
	s_or_b32 exec_lo, exec_lo, s0
	s_and_saveexec_b32 s0, s11
	s_cbranch_execnz .LBB788_61
.LBB788_44:
	s_or_b32 exec_lo, exec_lo, s0
	s_and_saveexec_b32 s0, s12
	s_cbranch_execnz .LBB788_62
.LBB788_45:
	s_or_b32 exec_lo, exec_lo, s0
	s_and_saveexec_b32 s0, s13
	s_cbranch_execnz .LBB788_63
.LBB788_46:
	s_or_b32 exec_lo, exec_lo, s0
	s_and_saveexec_b32 s0, s14
	s_cbranch_execnz .LBB788_64
.LBB788_47:
	s_or_b32 exec_lo, exec_lo, s0
	s_and_saveexec_b32 s0, s15
	s_cbranch_execnz .LBB788_65
.LBB788_48:
	s_or_b32 exec_lo, exec_lo, s0
	s_delay_alu instid0(SALU_CYCLE_1)
	s_and_b32 exec_lo, exec_lo, s16
	s_cbranch_execz .LBB788_50
.LBB788_49:
	global_load_u8 v2, v[66:67], off offset:960
	v_fma_f64 v[0:1], -v[68:69], v[64:65], v[48:49]
	s_waitcnt vmcnt(0)
	v_and_b32_e32 v2, 1, v2
	s_delay_alu instid0(VALU_DEP_1) | instskip(NEXT) | instid1(VALU_DEP_3)
	v_cmp_eq_u32_e32 vcc_lo, 1, v2
	v_cndmask_b32_e64 v1, v1, 0, vcc_lo
	s_delay_alu instid0(VALU_DEP_4)
	v_cndmask_b32_e64 v0, v0, 0, vcc_lo
	v_add_co_u32 v2, vcc_lo, 0x1000, v12
	v_add_co_ci_u32_e32 v3, vcc_lo, 0, v13, vcc_lo
	global_store_b64 v[2:3], v[0:1], off offset:3584
.LBB788_50:
	s_nop 0
	s_sendmsg sendmsg(MSG_DEALLOC_VGPRS)
	s_endpgm
.LBB788_51:
	s_delay_alu instid0(VALU_DEP_3) | instskip(NEXT) | instid1(VALU_DEP_1)
	v_fma_f64 v[8:9], -v[68:69], v[14:15], v[8:9]
	v_cndmask_b32_e64 v9, v9, 0, s0
	s_delay_alu instid0(VALU_DEP_2)
	v_cndmask_b32_e64 v8, v8, 0, s0
	global_store_b64 v[12:13], v[8:9], off
	s_or_b32 exec_lo, exec_lo, s1
	s_and_saveexec_b32 s0, s2
	s_cbranch_execz .LBB788_35
.LBB788_52:
	global_load_u8 v8, v[66:67], off offset:64
	v_fma_f64 v[0:1], -v[68:69], v[16:17], v[0:1]
	s_waitcnt vmcnt(0)
	v_and_b32_e32 v8, 1, v8
	s_delay_alu instid0(VALU_DEP_1) | instskip(NEXT) | instid1(VALU_DEP_3)
	v_cmp_eq_u32_e32 vcc_lo, 1, v8
	v_cndmask_b32_e64 v1, v1, 0, vcc_lo
	s_delay_alu instid0(VALU_DEP_4)
	v_cndmask_b32_e64 v0, v0, 0, vcc_lo
	global_store_b64 v[12:13], v[0:1], off offset:512
	s_or_b32 exec_lo, exec_lo, s0
	s_and_saveexec_b32 s0, s3
	s_cbranch_execz .LBB788_36
.LBB788_53:
	global_load_u8 v8, v[66:67], off offset:128
	v_fma_f64 v[0:1], -v[68:69], v[20:21], v[18:19]
	s_waitcnt vmcnt(0)
	v_and_b32_e32 v8, 1, v8
	s_delay_alu instid0(VALU_DEP_1) | instskip(NEXT) | instid1(VALU_DEP_3)
	v_cmp_eq_u32_e32 vcc_lo, 1, v8
	v_cndmask_b32_e64 v1, v1, 0, vcc_lo
	s_delay_alu instid0(VALU_DEP_4)
	v_cndmask_b32_e64 v0, v0, 0, vcc_lo
	global_store_b64 v[12:13], v[0:1], off offset:1024
	s_or_b32 exec_lo, exec_lo, s0
	s_and_saveexec_b32 s0, s4
	s_cbranch_execz .LBB788_37
.LBB788_54:
	global_load_u8 v8, v[66:67], off offset:192
	v_fma_f64 v[0:1], -v[68:69], v[22:23], v[2:3]
	s_waitcnt vmcnt(0)
	v_and_b32_e32 v2, 1, v8
	s_delay_alu instid0(VALU_DEP_1) | instskip(NEXT) | instid1(VALU_DEP_3)
	v_cmp_eq_u32_e32 vcc_lo, 1, v2
	v_cndmask_b32_e64 v1, v1, 0, vcc_lo
	s_delay_alu instid0(VALU_DEP_4)
	v_cndmask_b32_e64 v0, v0, 0, vcc_lo
	global_store_b64 v[12:13], v[0:1], off offset:1536
	s_or_b32 exec_lo, exec_lo, s0
	s_and_saveexec_b32 s0, s5
	s_cbranch_execz .LBB788_38
.LBB788_55:
	global_load_u8 v2, v[66:67], off offset:256
	v_fma_f64 v[0:1], -v[68:69], v[26:27], v[24:25]
	s_waitcnt vmcnt(0)
	v_and_b32_e32 v2, 1, v2
	s_delay_alu instid0(VALU_DEP_1) | instskip(NEXT) | instid1(VALU_DEP_3)
	v_cmp_eq_u32_e32 vcc_lo, 1, v2
	v_cndmask_b32_e64 v1, v1, 0, vcc_lo
	s_delay_alu instid0(VALU_DEP_4)
	v_cndmask_b32_e64 v0, v0, 0, vcc_lo
	global_store_b64 v[12:13], v[0:1], off offset:2048
	s_or_b32 exec_lo, exec_lo, s0
	s_and_saveexec_b32 s0, s6
	s_cbranch_execz .LBB788_39
.LBB788_56:
	global_load_u8 v2, v[66:67], off offset:320
	v_fma_f64 v[0:1], -v[68:69], v[28:29], v[4:5]
	s_waitcnt vmcnt(0)
	v_and_b32_e32 v2, 1, v2
	s_delay_alu instid0(VALU_DEP_1) | instskip(NEXT) | instid1(VALU_DEP_3)
	v_cmp_eq_u32_e32 vcc_lo, 1, v2
	v_cndmask_b32_e64 v1, v1, 0, vcc_lo
	s_delay_alu instid0(VALU_DEP_4)
	v_cndmask_b32_e64 v0, v0, 0, vcc_lo
	global_store_b64 v[12:13], v[0:1], off offset:2560
	s_or_b32 exec_lo, exec_lo, s0
	s_and_saveexec_b32 s0, s7
	s_cbranch_execz .LBB788_40
.LBB788_57:
	global_load_u8 v2, v[66:67], off offset:384
	v_fma_f64 v[0:1], -v[68:69], v[34:35], v[30:31]
	s_waitcnt vmcnt(0)
	v_and_b32_e32 v2, 1, v2
	s_delay_alu instid0(VALU_DEP_1) | instskip(NEXT) | instid1(VALU_DEP_3)
	v_cmp_eq_u32_e32 vcc_lo, 1, v2
	v_cndmask_b32_e64 v1, v1, 0, vcc_lo
	s_delay_alu instid0(VALU_DEP_4)
	v_cndmask_b32_e64 v0, v0, 0, vcc_lo
	global_store_b64 v[12:13], v[0:1], off offset:3072
	s_or_b32 exec_lo, exec_lo, s0
	s_and_saveexec_b32 s0, s8
	s_cbranch_execz .LBB788_41
.LBB788_58:
	global_load_u8 v2, v[66:67], off offset:448
	v_fma_f64 v[0:1], -v[68:69], v[36:37], v[6:7]
	s_waitcnt vmcnt(0)
	v_and_b32_e32 v2, 1, v2
	s_delay_alu instid0(VALU_DEP_1) | instskip(NEXT) | instid1(VALU_DEP_3)
	v_cmp_eq_u32_e32 vcc_lo, 1, v2
	v_cndmask_b32_e64 v1, v1, 0, vcc_lo
	s_delay_alu instid0(VALU_DEP_4)
	v_cndmask_b32_e64 v0, v0, 0, vcc_lo
	global_store_b64 v[12:13], v[0:1], off offset:3584
	s_or_b32 exec_lo, exec_lo, s0
	s_and_saveexec_b32 s0, s9
	s_cbranch_execz .LBB788_42
.LBB788_59:
	global_load_u8 v2, v[66:67], off offset:512
	v_fma_f64 v[0:1], -v[68:69], v[42:43], v[38:39]
	s_waitcnt vmcnt(0)
	v_and_b32_e32 v2, 1, v2
	s_delay_alu instid0(VALU_DEP_1) | instskip(NEXT) | instid1(VALU_DEP_3)
	v_cmp_eq_u32_e32 vcc_lo, 1, v2
	v_cndmask_b32_e64 v1, v1, 0, vcc_lo
	s_delay_alu instid0(VALU_DEP_4)
	v_cndmask_b32_e64 v0, v0, 0, vcc_lo
	v_add_co_u32 v2, vcc_lo, 0x1000, v12
	v_add_co_ci_u32_e32 v3, vcc_lo, 0, v13, vcc_lo
	global_store_b64 v[2:3], v[0:1], off
	s_or_b32 exec_lo, exec_lo, s0
	s_and_saveexec_b32 s0, s10
	s_cbranch_execz .LBB788_43
.LBB788_60:
	global_load_u8 v2, v[66:67], off offset:576
	v_fma_f64 v[0:1], -v[68:69], v[44:45], v[10:11]
	s_waitcnt vmcnt(0)
	v_and_b32_e32 v2, 1, v2
	s_delay_alu instid0(VALU_DEP_1) | instskip(NEXT) | instid1(VALU_DEP_3)
	v_cmp_eq_u32_e32 vcc_lo, 1, v2
	v_cndmask_b32_e64 v1, v1, 0, vcc_lo
	s_delay_alu instid0(VALU_DEP_4)
	v_cndmask_b32_e64 v0, v0, 0, vcc_lo
	v_add_co_u32 v2, vcc_lo, 0x1000, v12
	v_add_co_ci_u32_e32 v3, vcc_lo, 0, v13, vcc_lo
	global_store_b64 v[2:3], v[0:1], off offset:512
	s_or_b32 exec_lo, exec_lo, s0
	s_and_saveexec_b32 s0, s11
	s_cbranch_execz .LBB788_44
.LBB788_61:
	global_load_u8 v2, v[66:67], off offset:640
	v_fma_f64 v[0:1], -v[68:69], v[50:51], v[46:47]
	s_waitcnt vmcnt(0)
	v_and_b32_e32 v2, 1, v2
	s_delay_alu instid0(VALU_DEP_1) | instskip(NEXT) | instid1(VALU_DEP_3)
	v_cmp_eq_u32_e32 vcc_lo, 1, v2
	v_cndmask_b32_e64 v1, v1, 0, vcc_lo
	s_delay_alu instid0(VALU_DEP_4)
	v_cndmask_b32_e64 v0, v0, 0, vcc_lo
	v_add_co_u32 v2, vcc_lo, 0x1000, v12
	v_add_co_ci_u32_e32 v3, vcc_lo, 0, v13, vcc_lo
	global_store_b64 v[2:3], v[0:1], off offset:1024
	s_or_b32 exec_lo, exec_lo, s0
	s_and_saveexec_b32 s0, s12
	s_cbranch_execz .LBB788_45
.LBB788_62:
	global_load_u8 v2, v[66:67], off offset:704
	v_fma_f64 v[0:1], -v[68:69], v[52:53], v[32:33]
	s_waitcnt vmcnt(0)
	v_and_b32_e32 v2, 1, v2
	s_delay_alu instid0(VALU_DEP_1) | instskip(NEXT) | instid1(VALU_DEP_3)
	v_cmp_eq_u32_e32 vcc_lo, 1, v2
	v_cndmask_b32_e64 v1, v1, 0, vcc_lo
	s_delay_alu instid0(VALU_DEP_4)
	v_cndmask_b32_e64 v0, v0, 0, vcc_lo
	v_add_co_u32 v2, vcc_lo, 0x1000, v12
	v_add_co_ci_u32_e32 v3, vcc_lo, 0, v13, vcc_lo
	global_store_b64 v[2:3], v[0:1], off offset:1536
	s_or_b32 exec_lo, exec_lo, s0
	s_and_saveexec_b32 s0, s13
	s_cbranch_execz .LBB788_46
.LBB788_63:
	global_load_u8 v2, v[66:67], off offset:768
	v_fma_f64 v[0:1], -v[68:69], v[56:57], v[54:55]
	s_waitcnt vmcnt(0)
	v_and_b32_e32 v2, 1, v2
	s_delay_alu instid0(VALU_DEP_1) | instskip(NEXT) | instid1(VALU_DEP_3)
	v_cmp_eq_u32_e32 vcc_lo, 1, v2
	v_cndmask_b32_e64 v1, v1, 0, vcc_lo
	s_delay_alu instid0(VALU_DEP_4)
	v_cndmask_b32_e64 v0, v0, 0, vcc_lo
	v_add_co_u32 v2, vcc_lo, 0x1000, v12
	v_add_co_ci_u32_e32 v3, vcc_lo, 0, v13, vcc_lo
	global_store_b64 v[2:3], v[0:1], off offset:2048
	s_or_b32 exec_lo, exec_lo, s0
	s_and_saveexec_b32 s0, s14
	s_cbranch_execz .LBB788_47
.LBB788_64:
	global_load_u8 v2, v[66:67], off offset:832
	v_fma_f64 v[0:1], -v[68:69], v[58:59], v[40:41]
	s_waitcnt vmcnt(0)
	v_and_b32_e32 v2, 1, v2
	s_delay_alu instid0(VALU_DEP_1) | instskip(NEXT) | instid1(VALU_DEP_3)
	v_cmp_eq_u32_e32 vcc_lo, 1, v2
	v_cndmask_b32_e64 v1, v1, 0, vcc_lo
	s_delay_alu instid0(VALU_DEP_4)
	v_cndmask_b32_e64 v0, v0, 0, vcc_lo
	v_add_co_u32 v2, vcc_lo, 0x1000, v12
	v_add_co_ci_u32_e32 v3, vcc_lo, 0, v13, vcc_lo
	global_store_b64 v[2:3], v[0:1], off offset:2560
	s_or_b32 exec_lo, exec_lo, s0
	s_and_saveexec_b32 s0, s15
	s_cbranch_execz .LBB788_48
.LBB788_65:
	global_load_u8 v2, v[66:67], off offset:896
	v_fma_f64 v[0:1], -v[68:69], v[62:63], v[60:61]
	s_waitcnt vmcnt(0)
	v_and_b32_e32 v2, 1, v2
	s_delay_alu instid0(VALU_DEP_1) | instskip(NEXT) | instid1(VALU_DEP_3)
	v_cmp_eq_u32_e32 vcc_lo, 1, v2
	v_cndmask_b32_e64 v1, v1, 0, vcc_lo
	s_delay_alu instid0(VALU_DEP_4) | instskip(SKIP_4) | instid1(SALU_CYCLE_1)
	v_cndmask_b32_e64 v0, v0, 0, vcc_lo
	v_add_co_u32 v2, vcc_lo, 0x1000, v12
	v_add_co_ci_u32_e32 v3, vcc_lo, 0, v13, vcc_lo
	global_store_b64 v[2:3], v[0:1], off offset:3072
	s_or_b32 exec_lo, exec_lo, s0
	s_and_b32 exec_lo, exec_lo, s16
	s_cbranch_execnz .LBB788_49
	s_branch .LBB788_50
	.section	.rodata,"a",@progbits
	.p2align	6, 0x0
	.amdhsa_kernel _ZN12_GLOBAL__N_121softmax_warp_backwardIdddLi10ELb0ELb1ELi64EEEvPT0_PKT_S5_iiiPKb
		.amdhsa_group_segment_fixed_size 0
		.amdhsa_private_segment_fixed_size 0
		.amdhsa_kernarg_size 304
		.amdhsa_user_sgpr_count 15
		.amdhsa_user_sgpr_dispatch_ptr 0
		.amdhsa_user_sgpr_queue_ptr 0
		.amdhsa_user_sgpr_kernarg_segment_ptr 1
		.amdhsa_user_sgpr_dispatch_id 0
		.amdhsa_user_sgpr_private_segment_size 0
		.amdhsa_wavefront_size32 1
		.amdhsa_uses_dynamic_stack 0
		.amdhsa_enable_private_segment 0
		.amdhsa_system_sgpr_workgroup_id_x 1
		.amdhsa_system_sgpr_workgroup_id_y 0
		.amdhsa_system_sgpr_workgroup_id_z 0
		.amdhsa_system_sgpr_workgroup_info 0
		.amdhsa_system_vgpr_workitem_id 1
		.amdhsa_next_free_vgpr 81
		.amdhsa_next_free_sgpr 24
		.amdhsa_reserve_vcc 1
		.amdhsa_float_round_mode_32 0
		.amdhsa_float_round_mode_16_64 0
		.amdhsa_float_denorm_mode_32 3
		.amdhsa_float_denorm_mode_16_64 3
		.amdhsa_dx10_clamp 1
		.amdhsa_ieee_mode 1
		.amdhsa_fp16_overflow 0
		.amdhsa_workgroup_processor_mode 1
		.amdhsa_memory_ordered 1
		.amdhsa_forward_progress 0
		.amdhsa_shared_vgpr_count 0
		.amdhsa_exception_fp_ieee_invalid_op 0
		.amdhsa_exception_fp_denorm_src 0
		.amdhsa_exception_fp_ieee_div_zero 0
		.amdhsa_exception_fp_ieee_overflow 0
		.amdhsa_exception_fp_ieee_underflow 0
		.amdhsa_exception_fp_ieee_inexact 0
		.amdhsa_exception_int_div_zero 0
	.end_amdhsa_kernel
	.section	.text._ZN12_GLOBAL__N_121softmax_warp_backwardIdddLi10ELb0ELb1ELi64EEEvPT0_PKT_S5_iiiPKb,"axG",@progbits,_ZN12_GLOBAL__N_121softmax_warp_backwardIdddLi10ELb0ELb1ELi64EEEvPT0_PKT_S5_iiiPKb,comdat
.Lfunc_end788:
	.size	_ZN12_GLOBAL__N_121softmax_warp_backwardIdddLi10ELb0ELb1ELi64EEEvPT0_PKT_S5_iiiPKb, .Lfunc_end788-_ZN12_GLOBAL__N_121softmax_warp_backwardIdddLi10ELb0ELb1ELi64EEEvPT0_PKT_S5_iiiPKb
                                        ; -- End function
	.section	.AMDGPU.csdata,"",@progbits
; Kernel info:
; codeLenInByte = 4392
; NumSgprs: 26
; NumVgprs: 81
; ScratchSize: 0
; MemoryBound: 0
; FloatMode: 240
; IeeeMode: 1
; LDSByteSize: 0 bytes/workgroup (compile time only)
; SGPRBlocks: 3
; VGPRBlocks: 10
; NumSGPRsForWavesPerEU: 26
; NumVGPRsForWavesPerEU: 81
; Occupancy: 16
; WaveLimiterHint : 0
; COMPUTE_PGM_RSRC2:SCRATCH_EN: 0
; COMPUTE_PGM_RSRC2:USER_SGPR: 15
; COMPUTE_PGM_RSRC2:TRAP_HANDLER: 0
; COMPUTE_PGM_RSRC2:TGID_X_EN: 1
; COMPUTE_PGM_RSRC2:TGID_Y_EN: 0
; COMPUTE_PGM_RSRC2:TGID_Z_EN: 0
; COMPUTE_PGM_RSRC2:TIDIG_COMP_CNT: 1
	.section	.text._ZN12_GLOBAL__N_121softmax_warp_backwardIdddLi10ELb0ELb1ELi32EEEvPT0_PKT_S5_iiiPKb,"axG",@progbits,_ZN12_GLOBAL__N_121softmax_warp_backwardIdddLi10ELb0ELb1ELi32EEEvPT0_PKT_S5_iiiPKb,comdat
	.globl	_ZN12_GLOBAL__N_121softmax_warp_backwardIdddLi10ELb0ELb1ELi32EEEvPT0_PKT_S5_iiiPKb ; -- Begin function _ZN12_GLOBAL__N_121softmax_warp_backwardIdddLi10ELb0ELb1ELi32EEEvPT0_PKT_S5_iiiPKb
	.p2align	8
	.type	_ZN12_GLOBAL__N_121softmax_warp_backwardIdddLi10ELb0ELb1ELi32EEEvPT0_PKT_S5_iiiPKb,@function
_ZN12_GLOBAL__N_121softmax_warp_backwardIdddLi10ELb0ELb1ELi32EEEvPT0_PKT_S5_iiiPKb: ; @_ZN12_GLOBAL__N_121softmax_warp_backwardIdddLi10ELb0ELb1ELi32EEEvPT0_PKT_S5_iiiPKb
; %bb.0:
	s_clause 0x1
	s_load_b32 s2, s[0:1], 0x3c
	s_load_b128 s[36:39], s[0:1], 0x18
	v_bfe_u32 v1, v0, 10, 10
	v_and_b32_e32 v128, 0x3ff, v0
	s_clause 0x1
	s_load_b128 s[68:71], s[0:1], 0x0
	s_load_b64 s[4:5], s[0:1], 0x10
	s_waitcnt lgkmcnt(0)
	s_lshr_b32 s2, s2, 16
	s_delay_alu instid0(SALU_CYCLE_1) | instskip(SKIP_2) | instid1(VALU_DEP_3)
	v_mad_u64_u32 v[2:3], null, s15, s2, v[1:2]
	v_mov_b32_e32 v0, 0
	v_dual_mov_b32 v1, 0 :: v_dual_and_b32 v120, 31, v128
	v_sub_nc_u32_e32 v136, s36, v2
	s_delay_alu instid0(VALU_DEP_2) | instskip(NEXT) | instid1(VALU_DEP_3)
	v_mad_u64_u32 v[130:131], null, v2, s37, v[120:121]
	v_mov_b32_e32 v3, v1
	v_cmp_gt_i32_e32 vcc_lo, s38, v120
	s_delay_alu instid0(VALU_DEP_4) | instskip(SKIP_3) | instid1(VALU_DEP_4)
	v_cmp_lt_i32_e64 s34, 0, v136
	v_dual_mov_b32 v2, v0 :: v_dual_mov_b32 v9, v1
	v_mov_b32_e32 v8, v0
	v_ashrrev_i32_e32 v131, 31, v130
	s_and_b32 s3, s34, vcc_lo
	s_delay_alu instid0(VALU_DEP_1) | instskip(NEXT) | instid1(VALU_DEP_1)
	v_lshlrev_b64 v[6:7], 3, v[130:131]
	v_add_co_u32 v134, s2, s70, v6
	s_delay_alu instid0(VALU_DEP_1) | instskip(SKIP_1) | instid1(VALU_DEP_1)
	v_add_co_ci_u32_e64 v135, s2, s71, v7, s2
	v_add_co_u32 v132, s2, s4, v6
	v_add_co_ci_u32_e64 v133, s2, s5, v7, s2
	s_and_saveexec_b32 s2, s3
	s_cbranch_execz .LBB789_2
; %bb.1:
	global_load_b64 v[2:3], v[134:135], off
	global_load_b64 v[8:9], v[132:133], off
.LBB789_2:
	s_or_b32 exec_lo, exec_lo, s2
	v_or_b32_e32 v4, 32, v120
	v_dual_mov_b32 v11, v1 :: v_dual_mov_b32 v10, v0
	s_delay_alu instid0(VALU_DEP_2) | instskip(NEXT) | instid1(VALU_DEP_1)
	v_cmp_gt_i32_e64 s2, s38, v4
	s_and_b32 s4, s34, s2
	s_delay_alu instid0(SALU_CYCLE_1)
	s_and_saveexec_b32 s3, s4
	s_cbranch_execz .LBB789_4
; %bb.3:
	global_load_b64 v[0:1], v[134:135], off offset:256
	global_load_b64 v[10:11], v[132:133], off offset:256
.LBB789_4:
	s_or_b32 exec_lo, exec_lo, s3
	v_or_b32_e32 v12, 64, v120
	v_mov_b32_e32 v4, 0
	v_mov_b32_e32 v5, 0
	s_delay_alu instid0(VALU_DEP_3) | instskip(NEXT) | instid1(VALU_DEP_2)
	v_cmp_gt_i32_e64 s3, s38, v12
	v_dual_mov_b32 v15, v5 :: v_dual_mov_b32 v14, v4
	v_dual_mov_b32 v17, v5 :: v_dual_mov_b32 v16, v4
	s_delay_alu instid0(VALU_DEP_3) | instskip(NEXT) | instid1(SALU_CYCLE_1)
	s_and_b32 s5, s34, s3
	s_and_saveexec_b32 s4, s5
	s_cbranch_execz .LBB789_6
; %bb.5:
	global_load_b64 v[14:15], v[134:135], off offset:512
	global_load_b64 v[16:17], v[132:133], off offset:512
.LBB789_6:
	s_or_b32 exec_lo, exec_lo, s4
	v_or_b32_e32 v12, 0x60, v120
	v_dual_mov_b32 v19, v5 :: v_dual_mov_b32 v18, v4
	s_delay_alu instid0(VALU_DEP_2) | instskip(NEXT) | instid1(VALU_DEP_1)
	v_cmp_gt_i32_e64 s4, s38, v12
	s_and_b32 s6, s34, s4
	s_delay_alu instid0(SALU_CYCLE_1)
	s_and_saveexec_b32 s5, s6
	s_cbranch_execz .LBB789_8
; %bb.7:
	global_load_b64 v[4:5], v[134:135], off offset:768
	global_load_b64 v[18:19], v[132:133], off offset:768
.LBB789_8:
	s_or_b32 exec_lo, exec_lo, s5
	v_or_b32_e32 v20, 0x80, v120
	v_mov_b32_e32 v12, 0
	v_mov_b32_e32 v13, 0
	s_delay_alu instid0(VALU_DEP_3) | instskip(NEXT) | instid1(VALU_DEP_2)
	v_cmp_gt_i32_e64 s5, s38, v20
	v_dual_mov_b32 v23, v13 :: v_dual_mov_b32 v22, v12
	v_dual_mov_b32 v25, v13 :: v_dual_mov_b32 v24, v12
	s_delay_alu instid0(VALU_DEP_3) | instskip(NEXT) | instid1(SALU_CYCLE_1)
	s_and_b32 s7, s34, s5
	s_and_saveexec_b32 s6, s7
	s_cbranch_execz .LBB789_10
; %bb.9:
	global_load_b64 v[22:23], v[134:135], off offset:1024
	global_load_b64 v[24:25], v[132:133], off offset:1024
.LBB789_10:
	s_or_b32 exec_lo, exec_lo, s6
	v_or_b32_e32 v20, 0xa0, v120
	v_dual_mov_b32 v27, v13 :: v_dual_mov_b32 v26, v12
	s_delay_alu instid0(VALU_DEP_2) | instskip(NEXT) | instid1(VALU_DEP_1)
	v_cmp_gt_i32_e64 s6, s38, v20
	s_and_b32 s8, s34, s6
	s_delay_alu instid0(SALU_CYCLE_1)
	s_and_saveexec_b32 s7, s8
	s_cbranch_execz .LBB789_12
; %bb.11:
	global_load_b64 v[12:13], v[134:135], off offset:1280
	global_load_b64 v[26:27], v[132:133], off offset:1280
.LBB789_12:
	s_or_b32 exec_lo, exec_lo, s7
	v_or_b32_e32 v28, 0xc0, v120
	v_mov_b32_e32 v20, 0
	v_mov_b32_e32 v21, 0
	s_delay_alu instid0(VALU_DEP_3) | instskip(NEXT) | instid1(VALU_DEP_2)
	v_cmp_gt_i32_e64 s7, s38, v28
	v_dual_mov_b32 v31, v21 :: v_dual_mov_b32 v30, v20
	v_dual_mov_b32 v33, v21 :: v_dual_mov_b32 v32, v20
	s_delay_alu instid0(VALU_DEP_3) | instskip(NEXT) | instid1(SALU_CYCLE_1)
	s_and_b32 s9, s34, s7
	s_and_saveexec_b32 s8, s9
	s_cbranch_execz .LBB789_14
; %bb.13:
	global_load_b64 v[30:31], v[134:135], off offset:1536
	global_load_b64 v[32:33], v[132:133], off offset:1536
.LBB789_14:
	s_or_b32 exec_lo, exec_lo, s8
	v_or_b32_e32 v28, 0xe0, v120
	v_dual_mov_b32 v35, v21 :: v_dual_mov_b32 v34, v20
	s_delay_alu instid0(VALU_DEP_2) | instskip(NEXT) | instid1(VALU_DEP_1)
	v_cmp_gt_i32_e64 s8, s38, v28
	s_and_b32 s10, s34, s8
	s_delay_alu instid0(SALU_CYCLE_1)
	s_and_saveexec_b32 s9, s10
	s_cbranch_execz .LBB789_16
; %bb.15:
	global_load_b64 v[20:21], v[134:135], off offset:1792
	global_load_b64 v[34:35], v[132:133], off offset:1792
.LBB789_16:
	s_or_b32 exec_lo, exec_lo, s9
	v_or_b32_e32 v36, 0x100, v120
	v_mov_b32_e32 v28, 0
	v_mov_b32_e32 v29, 0
	s_delay_alu instid0(VALU_DEP_3) | instskip(NEXT) | instid1(VALU_DEP_2)
	v_cmp_gt_i32_e64 s9, s38, v36
	v_dual_mov_b32 v39, v29 :: v_dual_mov_b32 v38, v28
	v_dual_mov_b32 v41, v29 :: v_dual_mov_b32 v40, v28
	s_delay_alu instid0(VALU_DEP_3) | instskip(NEXT) | instid1(SALU_CYCLE_1)
	s_and_b32 s11, s34, s9
	s_and_saveexec_b32 s10, s11
	s_cbranch_execz .LBB789_18
; %bb.17:
	global_load_b64 v[38:39], v[134:135], off offset:2048
	global_load_b64 v[40:41], v[132:133], off offset:2048
.LBB789_18:
	s_or_b32 exec_lo, exec_lo, s10
	v_or_b32_e32 v36, 0x120, v120
	v_dual_mov_b32 v43, v29 :: v_dual_mov_b32 v42, v28
	s_delay_alu instid0(VALU_DEP_2) | instskip(NEXT) | instid1(VALU_DEP_1)
	v_cmp_gt_i32_e64 s10, s38, v36
	s_and_b32 s12, s34, s10
	s_delay_alu instid0(SALU_CYCLE_1)
	s_and_saveexec_b32 s11, s12
	s_cbranch_execz .LBB789_20
; %bb.19:
	global_load_b64 v[28:29], v[134:135], off offset:2304
	global_load_b64 v[42:43], v[132:133], off offset:2304
.LBB789_20:
	s_or_b32 exec_lo, exec_lo, s11
	v_or_b32_e32 v44, 0x140, v120
	v_mov_b32_e32 v36, 0
	v_mov_b32_e32 v37, 0
	s_delay_alu instid0(VALU_DEP_3) | instskip(NEXT) | instid1(VALU_DEP_2)
	v_cmp_gt_i32_e64 s11, s38, v44
	v_dual_mov_b32 v47, v37 :: v_dual_mov_b32 v46, v36
	v_dual_mov_b32 v49, v37 :: v_dual_mov_b32 v48, v36
	s_delay_alu instid0(VALU_DEP_3) | instskip(NEXT) | instid1(SALU_CYCLE_1)
	s_and_b32 s13, s34, s11
	s_and_saveexec_b32 s12, s13
	s_cbranch_execz .LBB789_22
; %bb.21:
	global_load_b64 v[46:47], v[134:135], off offset:2560
	global_load_b64 v[48:49], v[132:133], off offset:2560
.LBB789_22:
	s_or_b32 exec_lo, exec_lo, s12
	v_or_b32_e32 v44, 0x160, v120
	v_dual_mov_b32 v51, v37 :: v_dual_mov_b32 v50, v36
	s_delay_alu instid0(VALU_DEP_2) | instskip(NEXT) | instid1(VALU_DEP_1)
	v_cmp_gt_i32_e64 s12, s38, v44
	s_and_b32 s14, s34, s12
	s_delay_alu instid0(SALU_CYCLE_1)
	s_and_saveexec_b32 s13, s14
	s_cbranch_execz .LBB789_24
; %bb.23:
	global_load_b64 v[36:37], v[134:135], off offset:2816
	global_load_b64 v[50:51], v[132:133], off offset:2816
.LBB789_24:
	s_or_b32 exec_lo, exec_lo, s13
	v_or_b32_e32 v52, 0x180, v120
	v_mov_b32_e32 v44, 0
	v_mov_b32_e32 v45, 0
	s_delay_alu instid0(VALU_DEP_3) | instskip(NEXT) | instid1(VALU_DEP_2)
	v_cmp_gt_i32_e64 s13, s38, v52
	v_dual_mov_b32 v55, v45 :: v_dual_mov_b32 v54, v44
	v_dual_mov_b32 v57, v45 :: v_dual_mov_b32 v56, v44
	s_delay_alu instid0(VALU_DEP_3) | instskip(NEXT) | instid1(SALU_CYCLE_1)
	s_and_b32 s15, s34, s13
	s_and_saveexec_b32 s14, s15
	s_cbranch_execz .LBB789_26
; %bb.25:
	global_load_b64 v[54:55], v[134:135], off offset:3072
	global_load_b64 v[56:57], v[132:133], off offset:3072
.LBB789_26:
	s_or_b32 exec_lo, exec_lo, s14
	v_or_b32_e32 v52, 0x1a0, v120
	v_dual_mov_b32 v59, v45 :: v_dual_mov_b32 v58, v44
	s_delay_alu instid0(VALU_DEP_2) | instskip(NEXT) | instid1(VALU_DEP_1)
	v_cmp_gt_i32_e64 s14, s38, v52
	s_and_b32 s16, s34, s14
	s_delay_alu instid0(SALU_CYCLE_1)
	s_and_saveexec_b32 s15, s16
	s_cbranch_execz .LBB789_28
; %bb.27:
	global_load_b64 v[44:45], v[134:135], off offset:3328
	global_load_b64 v[58:59], v[132:133], off offset:3328
.LBB789_28:
	s_or_b32 exec_lo, exec_lo, s15
	v_or_b32_e32 v60, 0x1c0, v120
	v_mov_b32_e32 v52, 0
	v_mov_b32_e32 v53, 0
	s_delay_alu instid0(VALU_DEP_3) | instskip(NEXT) | instid1(VALU_DEP_2)
	v_cmp_gt_i32_e64 s15, s38, v60
	v_dual_mov_b32 v61, v53 :: v_dual_mov_b32 v60, v52
	v_dual_mov_b32 v65, v53 :: v_dual_mov_b32 v64, v52
	s_delay_alu instid0(VALU_DEP_3) | instskip(NEXT) | instid1(SALU_CYCLE_1)
	s_and_b32 s17, s34, s15
	s_and_saveexec_b32 s16, s17
	s_cbranch_execz .LBB789_30
; %bb.29:
	global_load_b64 v[60:61], v[134:135], off offset:3584
	global_load_b64 v[64:65], v[132:133], off offset:3584
.LBB789_30:
	s_or_b32 exec_lo, exec_lo, s16
	v_or_b32_e32 v62, 0x1e0, v120
	v_dual_mov_b32 v67, v53 :: v_dual_mov_b32 v66, v52
	s_delay_alu instid0(VALU_DEP_2) | instskip(NEXT) | instid1(VALU_DEP_1)
	v_cmp_gt_i32_e64 s16, s38, v62
	s_and_b32 s18, s34, s16
	s_delay_alu instid0(SALU_CYCLE_1)
	s_and_saveexec_b32 s17, s18
	s_cbranch_execz .LBB789_32
; %bb.31:
	global_load_b64 v[52:53], v[134:135], off offset:3840
	global_load_b64 v[66:67], v[132:133], off offset:3840
.LBB789_32:
	s_or_b32 exec_lo, exec_lo, s17
	v_or_b32_e32 v68, 0x200, v120
	v_mov_b32_e32 v62, 0
	v_mov_b32_e32 v63, 0
	s_delay_alu instid0(VALU_DEP_3) | instskip(NEXT) | instid1(VALU_DEP_2)
	v_cmp_gt_i32_e64 s17, s38, v68
	v_dual_mov_b32 v69, v63 :: v_dual_mov_b32 v68, v62
	v_dual_mov_b32 v71, v63 :: v_dual_mov_b32 v70, v62
	s_delay_alu instid0(VALU_DEP_3) | instskip(NEXT) | instid1(SALU_CYCLE_1)
	s_and_b32 s18, s34, s17
	s_and_saveexec_b32 s19, s18
	s_cbranch_execz .LBB789_34
; %bb.33:
	v_add_co_u32 v68, s18, 0x1000, v134
	s_delay_alu instid0(VALU_DEP_1) | instskip(SKIP_1) | instid1(VALU_DEP_1)
	v_add_co_ci_u32_e64 v69, s18, 0, v135, s18
	v_add_co_u32 v70, s18, 0x1000, v132
	v_add_co_ci_u32_e64 v71, s18, 0, v133, s18
	global_load_b64 v[68:69], v[68:69], off
	global_load_b64 v[70:71], v[70:71], off
.LBB789_34:
	s_or_b32 exec_lo, exec_lo, s19
	v_or_b32_e32 v72, 0x220, v120
	v_dual_mov_b32 v75, v63 :: v_dual_mov_b32 v74, v62
	s_delay_alu instid0(VALU_DEP_2) | instskip(NEXT) | instid1(VALU_DEP_1)
	v_cmp_gt_i32_e64 s18, s38, v72
	s_and_b32 s19, s34, s18
	s_delay_alu instid0(SALU_CYCLE_1)
	s_and_saveexec_b32 s20, s19
	s_cbranch_execz .LBB789_36
; %bb.35:
	v_add_co_u32 v62, s19, 0x1000, v134
	s_delay_alu instid0(VALU_DEP_1) | instskip(SKIP_1) | instid1(VALU_DEP_1)
	v_add_co_ci_u32_e64 v63, s19, 0, v135, s19
	v_add_co_u32 v72, s19, 0x1000, v132
	v_add_co_ci_u32_e64 v73, s19, 0, v133, s19
	global_load_b64 v[62:63], v[62:63], off offset:256
	global_load_b64 v[74:75], v[72:73], off offset:256
.LBB789_36:
	s_or_b32 exec_lo, exec_lo, s20
	v_or_b32_e32 v76, 0x240, v120
	v_mov_b32_e32 v72, 0
	v_mov_b32_e32 v73, 0
	s_delay_alu instid0(VALU_DEP_3) | instskip(NEXT) | instid1(VALU_DEP_2)
	v_cmp_gt_i32_e64 s19, s38, v76
	v_dual_mov_b32 v77, v73 :: v_dual_mov_b32 v76, v72
	v_dual_mov_b32 v79, v73 :: v_dual_mov_b32 v78, v72
	s_delay_alu instid0(VALU_DEP_3) | instskip(NEXT) | instid1(SALU_CYCLE_1)
	s_and_b32 s20, s34, s19
	s_and_saveexec_b32 s21, s20
	s_cbranch_execz .LBB789_38
; %bb.37:
	v_add_co_u32 v76, s20, 0x1000, v134
	s_delay_alu instid0(VALU_DEP_1) | instskip(SKIP_1) | instid1(VALU_DEP_1)
	v_add_co_ci_u32_e64 v77, s20, 0, v135, s20
	v_add_co_u32 v78, s20, 0x1000, v132
	v_add_co_ci_u32_e64 v79, s20, 0, v133, s20
	global_load_b64 v[76:77], v[76:77], off offset:512
	global_load_b64 v[78:79], v[78:79], off offset:512
.LBB789_38:
	s_or_b32 exec_lo, exec_lo, s21
	v_or_b32_e32 v80, 0x260, v120
	v_dual_mov_b32 v83, v73 :: v_dual_mov_b32 v82, v72
	s_delay_alu instid0(VALU_DEP_2) | instskip(NEXT) | instid1(VALU_DEP_1)
	v_cmp_gt_i32_e64 s20, s38, v80
	s_and_b32 s21, s34, s20
	s_delay_alu instid0(SALU_CYCLE_1)
	s_and_saveexec_b32 s22, s21
	s_cbranch_execz .LBB789_40
; %bb.39:
	v_add_co_u32 v72, s21, 0x1000, v134
	s_delay_alu instid0(VALU_DEP_1) | instskip(SKIP_1) | instid1(VALU_DEP_1)
	v_add_co_ci_u32_e64 v73, s21, 0, v135, s21
	v_add_co_u32 v80, s21, 0x1000, v132
	v_add_co_ci_u32_e64 v81, s21, 0, v133, s21
	global_load_b64 v[72:73], v[72:73], off offset:768
	global_load_b64 v[82:83], v[80:81], off offset:768
.LBB789_40:
	s_or_b32 exec_lo, exec_lo, s22
	v_or_b32_e32 v84, 0x280, v120
	v_mov_b32_e32 v80, 0
	v_mov_b32_e32 v81, 0
	s_delay_alu instid0(VALU_DEP_3) | instskip(NEXT) | instid1(VALU_DEP_2)
	v_cmp_gt_i32_e64 s21, s38, v84
	v_dual_mov_b32 v85, v81 :: v_dual_mov_b32 v84, v80
	v_dual_mov_b32 v87, v81 :: v_dual_mov_b32 v86, v80
	s_delay_alu instid0(VALU_DEP_3) | instskip(NEXT) | instid1(SALU_CYCLE_1)
	s_and_b32 s22, s34, s21
	s_and_saveexec_b32 s23, s22
	s_cbranch_execz .LBB789_42
; %bb.41:
	v_add_co_u32 v84, s22, 0x1000, v134
	s_delay_alu instid0(VALU_DEP_1) | instskip(SKIP_1) | instid1(VALU_DEP_1)
	v_add_co_ci_u32_e64 v85, s22, 0, v135, s22
	v_add_co_u32 v86, s22, 0x1000, v132
	v_add_co_ci_u32_e64 v87, s22, 0, v133, s22
	global_load_b64 v[84:85], v[84:85], off offset:1024
	global_load_b64 v[86:87], v[86:87], off offset:1024
.LBB789_42:
	;; [unrolled: 39-line block ×7, first 2 shown]
	s_or_b32 exec_lo, exec_lo, s35
	v_or_b32_e32 v128, 0x3e0, v128
	s_delay_alu instid0(VALU_DEP_1) | instskip(SKIP_1) | instid1(VALU_DEP_2)
	v_cmp_gt_i32_e64 s33, s38, v128
	v_dual_mov_b32 v129, v121 :: v_dual_mov_b32 v128, v120
	s_and_b32 s34, s34, s33
	s_delay_alu instid0(SALU_CYCLE_1)
	s_and_saveexec_b32 s35, s34
	s_cbranch_execz .LBB789_64
; %bb.63:
	v_add_co_u32 v120, s34, 0x1000, v134
	s_delay_alu instid0(VALU_DEP_1) | instskip(SKIP_1) | instid1(VALU_DEP_1)
	v_add_co_ci_u32_e64 v121, s34, 0, v135, s34
	v_add_co_u32 v128, s34, 0x1000, v132
	v_add_co_ci_u32_e64 v129, s34, 0, v133, s34
	global_load_b64 v[120:121], v[120:121], off offset:3840
	global_load_b64 v[128:129], v[128:129], off offset:3840
.LBB789_64:
	s_or_b32 exec_lo, exec_lo, s35
	s_load_b64 s[0:1], s[0:1], 0x28
	s_mov_b32 s65, exec_lo
	s_waitcnt lgkmcnt(0)
	v_add_co_u32 v130, s0, s0, v130
	s_delay_alu instid0(VALU_DEP_1)
	v_add_co_ci_u32_e64 v131, s0, s1, v131, s0
	s_clause 0x1
	global_load_u8 v132, v[130:131], off
	global_load_u8 v134, v[130:131], off offset:32
	s_waitcnt vmcnt(1)
	v_and_b32_e32 v132, 1, v132
	s_waitcnt vmcnt(0)
	v_and_b32_e32 v134, 1, v134
	s_delay_alu instid0(VALU_DEP_2) | instskip(SKIP_1) | instid1(VALU_DEP_3)
	v_cmp_eq_u32_e64 s40, 1, v132
	v_add_f64 v[132:133], v[2:3], 0
	v_cmp_eq_u32_e64 s39, 1, v134
	s_delay_alu instid0(VALU_DEP_2) | instskip(NEXT) | instid1(VALU_DEP_3)
	v_cndmask_b32_e64 v133, v133, 0, s40
	v_cndmask_b32_e64 v132, v132, 0, s40
	s_delay_alu instid0(VALU_DEP_1) | instskip(NEXT) | instid1(VALU_DEP_1)
	v_add_f64 v[134:135], v[132:133], v[0:1]
	v_cndmask_b32_e64 v132, v134, v132, s39
	global_load_u8 v134, v[130:131], off offset:64
	v_cndmask_b32_e64 v133, v135, v133, s39
	s_waitcnt vmcnt(0)
	v_and_b32_e32 v134, 1, v134
	s_delay_alu instid0(VALU_DEP_1) | instskip(NEXT) | instid1(VALU_DEP_3)
	v_cmp_eq_u32_e64 s37, 1, v134
	v_add_f64 v[134:135], v[132:133], v[14:15]
	s_delay_alu instid0(VALU_DEP_1) | instskip(SKIP_4) | instid1(VALU_DEP_1)
	v_cndmask_b32_e64 v132, v134, v132, s37
	global_load_u8 v134, v[130:131], off offset:96
	v_cndmask_b32_e64 v133, v135, v133, s37
	s_waitcnt vmcnt(0)
	v_and_b32_e32 v134, 1, v134
	v_cmp_eq_u32_e64 s36, 1, v134
	s_delay_alu instid0(VALU_DEP_3) | instskip(NEXT) | instid1(VALU_DEP_1)
	v_add_f64 v[134:135], v[132:133], v[4:5]
	v_cndmask_b32_e64 v132, v134, v132, s36
	global_load_u8 v134, v[130:131], off offset:128
	v_cndmask_b32_e64 v133, v135, v133, s36
	s_waitcnt vmcnt(0)
	v_and_b32_e32 v134, 1, v134
	s_delay_alu instid0(VALU_DEP_1) | instskip(NEXT) | instid1(VALU_DEP_3)
	v_cmp_eq_u32_e64 s35, 1, v134
	v_add_f64 v[134:135], v[132:133], v[22:23]
	s_delay_alu instid0(VALU_DEP_1) | instskip(SKIP_4) | instid1(VALU_DEP_1)
	v_cndmask_b32_e64 v132, v134, v132, s35
	global_load_u8 v134, v[130:131], off offset:160
	v_cndmask_b32_e64 v133, v135, v133, s35
	s_waitcnt vmcnt(0)
	v_and_b32_e32 v134, 1, v134
	v_cmp_eq_u32_e64 s34, 1, v134
	s_delay_alu instid0(VALU_DEP_3) | instskip(NEXT) | instid1(VALU_DEP_1)
	;; [unrolled: 17-line block ×14, first 2 shown]
	v_add_f64 v[134:135], v[132:133], v[112:113]
	v_cndmask_b32_e64 v132, v134, v132, s61
	s_clause 0x1
	global_load_u8 v134, v[130:131], off offset:960
	global_load_u8 v130, v[130:131], off offset:992
	v_cndmask_b32_e64 v133, v135, v133, s61
	s_waitcnt vmcnt(1)
	v_and_b32_e32 v134, 1, v134
	s_waitcnt vmcnt(0)
	v_and_b32_e32 v130, 1, v130
	s_delay_alu instid0(VALU_DEP_2) | instskip(SKIP_1) | instid1(VALU_DEP_3)
	v_cmp_eq_u32_e64 s62, 1, v134
	v_add_f64 v[134:135], v[132:133], v[124:125]
	v_cmp_eq_u32_e64 s63, 1, v130
	s_delay_alu instid0(VALU_DEP_2) | instskip(NEXT) | instid1(VALU_DEP_3)
	v_cndmask_b32_e64 v133, v135, v133, s62
	v_cndmask_b32_e64 v132, v134, v132, s62
	v_mbcnt_lo_u32_b32 v134, -1, 0
	s_delay_alu instid0(VALU_DEP_2) | instskip(NEXT) | instid1(VALU_DEP_1)
	v_add_f64 v[130:131], v[132:133], v[120:121]
	v_cndmask_b32_e64 v130, v130, v132, s63
	s_delay_alu instid0(VALU_DEP_3) | instskip(NEXT) | instid1(VALU_DEP_3)
	v_xor_b32_e32 v132, 16, v134
	v_cndmask_b32_e64 v131, v131, v133, s63
	s_delay_alu instid0(VALU_DEP_2) | instskip(NEXT) | instid1(VALU_DEP_1)
	v_cmp_gt_i32_e64 s64, 32, v132
	v_cndmask_b32_e64 v132, v134, v132, s64
	s_delay_alu instid0(VALU_DEP_1)
	v_lshlrev_b32_e32 v133, 2, v132
	ds_bpermute_b32 v132, v133, v130
	ds_bpermute_b32 v133, v133, v131
	s_waitcnt lgkmcnt(0)
	v_add_f64 v[130:131], v[130:131], v[132:133]
	v_xor_b32_e32 v132, 8, v134
	s_delay_alu instid0(VALU_DEP_1) | instskip(NEXT) | instid1(VALU_DEP_1)
	v_cmp_gt_i32_e64 s64, 32, v132
	v_cndmask_b32_e64 v132, v134, v132, s64
	s_delay_alu instid0(VALU_DEP_1)
	v_lshlrev_b32_e32 v133, 2, v132
	ds_bpermute_b32 v132, v133, v130
	ds_bpermute_b32 v133, v133, v131
	s_waitcnt lgkmcnt(0)
	v_add_f64 v[130:131], v[130:131], v[132:133]
	v_xor_b32_e32 v132, 4, v134
	s_delay_alu instid0(VALU_DEP_1) | instskip(NEXT) | instid1(VALU_DEP_1)
	;; [unrolled: 10-line block ×4, first 2 shown]
	v_cmp_gt_i32_e64 s64, 32, v132
	v_cndmask_b32_e64 v132, v134, v132, s64
	s_delay_alu instid0(VALU_DEP_1)
	v_lshlrev_b32_e32 v133, 2, v132
	ds_bpermute_b32 v132, v133, v130
	ds_bpermute_b32 v133, v133, v131
	v_cmpx_lt_i32_e32 0, v136
	s_cbranch_execz .LBB789_98
; %bb.65:
	s_waitcnt lgkmcnt(0)
	v_add_f64 v[130:131], v[130:131], v[132:133]
	v_add_co_u32 v6, s64, s68, v6
	s_delay_alu instid0(VALU_DEP_1)
	v_add_co_ci_u32_e64 v7, s64, s69, v7, s64
	s_and_saveexec_b32 s64, vcc_lo
	s_cbranch_execnz .LBB789_99
; %bb.66:
	s_or_b32 exec_lo, exec_lo, s64
	s_and_saveexec_b32 s40, s2
	s_cbranch_execnz .LBB789_100
.LBB789_67:
	s_or_b32 exec_lo, exec_lo, s40
	s_and_saveexec_b32 s2, s3
	s_cbranch_execnz .LBB789_101
.LBB789_68:
	s_or_b32 exec_lo, exec_lo, s2
	s_and_saveexec_b32 s2, s4
	s_cbranch_execnz .LBB789_102
.LBB789_69:
	s_or_b32 exec_lo, exec_lo, s2
	s_and_saveexec_b32 s2, s5
	s_cbranch_execnz .LBB789_103
.LBB789_70:
	s_or_b32 exec_lo, exec_lo, s2
	s_and_saveexec_b32 s2, s6
	s_cbranch_execnz .LBB789_104
.LBB789_71:
	s_or_b32 exec_lo, exec_lo, s2
	s_and_saveexec_b32 s2, s7
	s_cbranch_execnz .LBB789_105
.LBB789_72:
	s_or_b32 exec_lo, exec_lo, s2
	s_and_saveexec_b32 s0, s8
	s_cbranch_execnz .LBB789_106
.LBB789_73:
	s_or_b32 exec_lo, exec_lo, s0
	s_and_saveexec_b32 s0, s9
	s_cbranch_execnz .LBB789_107
.LBB789_74:
	s_or_b32 exec_lo, exec_lo, s0
	s_and_saveexec_b32 s0, s10
	s_cbranch_execnz .LBB789_108
.LBB789_75:
	s_or_b32 exec_lo, exec_lo, s0
	s_and_saveexec_b32 s0, s11
	s_cbranch_execnz .LBB789_109
.LBB789_76:
	s_or_b32 exec_lo, exec_lo, s0
	s_and_saveexec_b32 s0, s12
	s_cbranch_execnz .LBB789_110
.LBB789_77:
	s_or_b32 exec_lo, exec_lo, s0
	s_and_saveexec_b32 s0, s13
	s_cbranch_execnz .LBB789_111
.LBB789_78:
	s_or_b32 exec_lo, exec_lo, s0
	s_and_saveexec_b32 s0, s14
	s_cbranch_execnz .LBB789_112
.LBB789_79:
	s_or_b32 exec_lo, exec_lo, s0
	s_and_saveexec_b32 s0, s15
	s_cbranch_execnz .LBB789_113
.LBB789_80:
	s_or_b32 exec_lo, exec_lo, s0
	s_and_saveexec_b32 s0, s16
	s_cbranch_execnz .LBB789_114
.LBB789_81:
	s_or_b32 exec_lo, exec_lo, s0
	s_and_saveexec_b32 s0, s17
	s_cbranch_execnz .LBB789_115
.LBB789_82:
	s_or_b32 exec_lo, exec_lo, s0
	s_and_saveexec_b32 s0, s18
	s_cbranch_execnz .LBB789_116
.LBB789_83:
	s_or_b32 exec_lo, exec_lo, s0
	s_and_saveexec_b32 s0, s19
	s_cbranch_execnz .LBB789_117
.LBB789_84:
	s_or_b32 exec_lo, exec_lo, s0
	s_and_saveexec_b32 s0, s20
	s_cbranch_execnz .LBB789_118
.LBB789_85:
	s_or_b32 exec_lo, exec_lo, s0
	s_and_saveexec_b32 s0, s21
	s_cbranch_execnz .LBB789_119
.LBB789_86:
	s_or_b32 exec_lo, exec_lo, s0
	s_and_saveexec_b32 s0, s22
	s_cbranch_execnz .LBB789_120
.LBB789_87:
	s_or_b32 exec_lo, exec_lo, s0
	s_and_saveexec_b32 s0, s23
	s_cbranch_execnz .LBB789_121
.LBB789_88:
	s_or_b32 exec_lo, exec_lo, s0
	s_and_saveexec_b32 s0, s24
	s_cbranch_execnz .LBB789_122
.LBB789_89:
	s_or_b32 exec_lo, exec_lo, s0
	s_and_saveexec_b32 s0, s25
	s_cbranch_execnz .LBB789_123
.LBB789_90:
	s_or_b32 exec_lo, exec_lo, s0
	s_and_saveexec_b32 s0, s26
	s_cbranch_execnz .LBB789_124
.LBB789_91:
	s_or_b32 exec_lo, exec_lo, s0
	s_and_saveexec_b32 s0, s27
	s_cbranch_execnz .LBB789_125
.LBB789_92:
	s_or_b32 exec_lo, exec_lo, s0
	s_and_saveexec_b32 s0, s28
	s_cbranch_execnz .LBB789_126
.LBB789_93:
	s_or_b32 exec_lo, exec_lo, s0
	s_and_saveexec_b32 s0, s29
	s_cbranch_execnz .LBB789_127
.LBB789_94:
	s_or_b32 exec_lo, exec_lo, s0
	s_and_saveexec_b32 s0, s30
	s_cbranch_execnz .LBB789_128
.LBB789_95:
	s_or_b32 exec_lo, exec_lo, s0
	s_and_saveexec_b32 s0, s31
	s_cbranch_execnz .LBB789_129
.LBB789_96:
	s_or_b32 exec_lo, exec_lo, s0
	s_delay_alu instid0(SALU_CYCLE_1)
	s_and_b32 exec_lo, exec_lo, s33
	s_cbranch_execz .LBB789_98
.LBB789_97:
	v_fma_f64 v[0:1], -v[130:131], v[128:129], v[120:121]
	v_add_co_u32 v2, vcc_lo, 0x1000, v6
	v_add_co_ci_u32_e32 v3, vcc_lo, 0, v7, vcc_lo
	s_delay_alu instid0(VALU_DEP_3) | instskip(NEXT) | instid1(VALU_DEP_4)
	v_cndmask_b32_e64 v1, v1, 0, s63
	v_cndmask_b32_e64 v0, v0, 0, s63
	global_store_b64 v[2:3], v[0:1], off offset:3840
.LBB789_98:
	s_nop 0
	s_sendmsg sendmsg(MSG_DEALLOC_VGPRS)
	s_endpgm
.LBB789_99:
	s_delay_alu instid0(VALU_DEP_3) | instskip(NEXT) | instid1(VALU_DEP_1)
	v_fma_f64 v[2:3], -v[130:131], v[8:9], v[2:3]
	v_cndmask_b32_e64 v3, v3, 0, s40
	s_delay_alu instid0(VALU_DEP_2)
	v_cndmask_b32_e64 v2, v2, 0, s40
	global_store_b64 v[6:7], v[2:3], off
	s_or_b32 exec_lo, exec_lo, s64
	s_and_saveexec_b32 s40, s2
	s_cbranch_execz .LBB789_67
.LBB789_100:
	s_delay_alu instid0(VALU_DEP_3) | instskip(NEXT) | instid1(VALU_DEP_1)
	v_fma_f64 v[0:1], -v[130:131], v[10:11], v[0:1]
	v_cndmask_b32_e64 v1, v1, 0, s39
	s_delay_alu instid0(VALU_DEP_2)
	v_cndmask_b32_e64 v0, v0, 0, s39
	global_store_b64 v[6:7], v[0:1], off offset:256
	s_or_b32 exec_lo, exec_lo, s40
	s_and_saveexec_b32 s2, s3
	s_cbranch_execz .LBB789_68
.LBB789_101:
	s_delay_alu instid0(VALU_DEP_3) | instskip(NEXT) | instid1(VALU_DEP_1)
	v_fma_f64 v[0:1], -v[130:131], v[16:17], v[14:15]
	v_cndmask_b32_e64 v1, v1, 0, s37
	s_delay_alu instid0(VALU_DEP_2)
	v_cndmask_b32_e64 v0, v0, 0, s37
	global_store_b64 v[6:7], v[0:1], off offset:512
	s_or_b32 exec_lo, exec_lo, s2
	s_and_saveexec_b32 s2, s4
	s_cbranch_execz .LBB789_69
.LBB789_102:
	s_delay_alu instid0(VALU_DEP_3) | instskip(NEXT) | instid1(VALU_DEP_1)
	v_fma_f64 v[0:1], -v[130:131], v[18:19], v[4:5]
	v_cndmask_b32_e64 v1, v1, 0, s36
	s_delay_alu instid0(VALU_DEP_2)
	v_cndmask_b32_e64 v0, v0, 0, s36
	global_store_b64 v[6:7], v[0:1], off offset:768
	s_or_b32 exec_lo, exec_lo, s2
	s_and_saveexec_b32 s2, s5
	s_cbranch_execz .LBB789_70
.LBB789_103:
	s_delay_alu instid0(VALU_DEP_3) | instskip(NEXT) | instid1(VALU_DEP_1)
	v_fma_f64 v[0:1], -v[130:131], v[24:25], v[22:23]
	v_cndmask_b32_e64 v1, v1, 0, s35
	s_delay_alu instid0(VALU_DEP_2)
	v_cndmask_b32_e64 v0, v0, 0, s35
	global_store_b64 v[6:7], v[0:1], off offset:1024
	s_or_b32 exec_lo, exec_lo, s2
	s_and_saveexec_b32 s2, s6
	s_cbranch_execz .LBB789_71
.LBB789_104:
	s_delay_alu instid0(VALU_DEP_3) | instskip(NEXT) | instid1(VALU_DEP_1)
	v_fma_f64 v[0:1], -v[130:131], v[26:27], v[12:13]
	v_cndmask_b32_e64 v1, v1, 0, s34
	s_delay_alu instid0(VALU_DEP_2)
	v_cndmask_b32_e64 v0, v0, 0, s34
	global_store_b64 v[6:7], v[0:1], off offset:1280
	s_or_b32 exec_lo, exec_lo, s2
	s_and_saveexec_b32 s2, s7
	s_cbranch_execz .LBB789_72
.LBB789_105:
	s_delay_alu instid0(VALU_DEP_3) | instskip(NEXT) | instid1(VALU_DEP_1)
	v_fma_f64 v[0:1], -v[130:131], v[32:33], v[30:31]
	v_cndmask_b32_e64 v1, v1, 0, s0
	s_delay_alu instid0(VALU_DEP_2)
	v_cndmask_b32_e64 v0, v0, 0, s0
	global_store_b64 v[6:7], v[0:1], off offset:1536
	s_or_b32 exec_lo, exec_lo, s2
	s_and_saveexec_b32 s0, s8
	s_cbranch_execz .LBB789_73
.LBB789_106:
	s_delay_alu instid0(VALU_DEP_3) | instskip(NEXT) | instid1(VALU_DEP_1)
	v_fma_f64 v[0:1], -v[130:131], v[34:35], v[20:21]
	v_cndmask_b32_e64 v1, v1, 0, s1
	s_delay_alu instid0(VALU_DEP_2)
	v_cndmask_b32_e64 v0, v0, 0, s1
	global_store_b64 v[6:7], v[0:1], off offset:1792
	s_or_b32 exec_lo, exec_lo, s0
	s_and_saveexec_b32 s0, s9
	s_cbranch_execz .LBB789_74
.LBB789_107:
	s_delay_alu instid0(VALU_DEP_3) | instskip(NEXT) | instid1(VALU_DEP_1)
	v_fma_f64 v[0:1], -v[130:131], v[40:41], v[38:39]
	v_cndmask_b32_e64 v1, v1, 0, s38
	s_delay_alu instid0(VALU_DEP_2)
	v_cndmask_b32_e64 v0, v0, 0, s38
	global_store_b64 v[6:7], v[0:1], off offset:2048
	s_or_b32 exec_lo, exec_lo, s0
	s_and_saveexec_b32 s0, s10
	s_cbranch_execz .LBB789_75
.LBB789_108:
	s_delay_alu instid0(VALU_DEP_3) | instskip(NEXT) | instid1(VALU_DEP_1)
	v_fma_f64 v[0:1], -v[130:131], v[42:43], v[28:29]
	v_cndmask_b32_e64 v1, v1, 0, s41
	s_delay_alu instid0(VALU_DEP_2)
	v_cndmask_b32_e64 v0, v0, 0, s41
	global_store_b64 v[6:7], v[0:1], off offset:2304
	s_or_b32 exec_lo, exec_lo, s0
	s_and_saveexec_b32 s0, s11
	s_cbranch_execz .LBB789_76
.LBB789_109:
	s_delay_alu instid0(VALU_DEP_3) | instskip(NEXT) | instid1(VALU_DEP_1)
	v_fma_f64 v[0:1], -v[130:131], v[48:49], v[46:47]
	v_cndmask_b32_e64 v1, v1, 0, s42
	s_delay_alu instid0(VALU_DEP_2)
	v_cndmask_b32_e64 v0, v0, 0, s42
	global_store_b64 v[6:7], v[0:1], off offset:2560
	s_or_b32 exec_lo, exec_lo, s0
	s_and_saveexec_b32 s0, s12
	s_cbranch_execz .LBB789_77
.LBB789_110:
	v_fma_f64 v[0:1], -v[130:131], v[50:51], v[36:37]
	s_delay_alu instid0(VALU_DEP_1) | instskip(NEXT) | instid1(VALU_DEP_2)
	v_cndmask_b32_e64 v1, v1, 0, s43
	v_cndmask_b32_e64 v0, v0, 0, s43
	global_store_b64 v[6:7], v[0:1], off offset:2816
	s_or_b32 exec_lo, exec_lo, s0
	s_and_saveexec_b32 s0, s13
	s_cbranch_execz .LBB789_78
.LBB789_111:
	v_fma_f64 v[0:1], -v[130:131], v[56:57], v[54:55]
	s_delay_alu instid0(VALU_DEP_1) | instskip(NEXT) | instid1(VALU_DEP_2)
	v_cndmask_b32_e64 v1, v1, 0, s44
	v_cndmask_b32_e64 v0, v0, 0, s44
	global_store_b64 v[6:7], v[0:1], off offset:3072
	s_or_b32 exec_lo, exec_lo, s0
	s_and_saveexec_b32 s0, s14
	s_cbranch_execz .LBB789_79
.LBB789_112:
	v_fma_f64 v[0:1], -v[130:131], v[58:59], v[44:45]
	s_delay_alu instid0(VALU_DEP_1) | instskip(NEXT) | instid1(VALU_DEP_2)
	v_cndmask_b32_e64 v1, v1, 0, s45
	v_cndmask_b32_e64 v0, v0, 0, s45
	global_store_b64 v[6:7], v[0:1], off offset:3328
	s_or_b32 exec_lo, exec_lo, s0
	s_and_saveexec_b32 s0, s15
	s_cbranch_execz .LBB789_80
.LBB789_113:
	v_fma_f64 v[0:1], -v[130:131], v[64:65], v[60:61]
	s_delay_alu instid0(VALU_DEP_1) | instskip(NEXT) | instid1(VALU_DEP_2)
	v_cndmask_b32_e64 v1, v1, 0, s46
	v_cndmask_b32_e64 v0, v0, 0, s46
	global_store_b64 v[6:7], v[0:1], off offset:3584
	s_or_b32 exec_lo, exec_lo, s0
	s_and_saveexec_b32 s0, s16
	s_cbranch_execz .LBB789_81
.LBB789_114:
	v_fma_f64 v[0:1], -v[130:131], v[66:67], v[52:53]
	s_delay_alu instid0(VALU_DEP_1) | instskip(NEXT) | instid1(VALU_DEP_2)
	v_cndmask_b32_e64 v1, v1, 0, s47
	v_cndmask_b32_e64 v0, v0, 0, s47
	global_store_b64 v[6:7], v[0:1], off offset:3840
	s_or_b32 exec_lo, exec_lo, s0
	s_and_saveexec_b32 s0, s17
	s_cbranch_execz .LBB789_82
.LBB789_115:
	v_fma_f64 v[0:1], -v[130:131], v[70:71], v[68:69]
	v_add_co_u32 v2, vcc_lo, 0x1000, v6
	v_add_co_ci_u32_e32 v3, vcc_lo, 0, v7, vcc_lo
	s_delay_alu instid0(VALU_DEP_3) | instskip(NEXT) | instid1(VALU_DEP_4)
	v_cndmask_b32_e64 v1, v1, 0, s48
	v_cndmask_b32_e64 v0, v0, 0, s48
	global_store_b64 v[2:3], v[0:1], off
	s_or_b32 exec_lo, exec_lo, s0
	s_and_saveexec_b32 s0, s18
	s_cbranch_execz .LBB789_83
.LBB789_116:
	v_fma_f64 v[0:1], -v[130:131], v[74:75], v[62:63]
	v_add_co_u32 v2, vcc_lo, 0x1000, v6
	v_add_co_ci_u32_e32 v3, vcc_lo, 0, v7, vcc_lo
	s_delay_alu instid0(VALU_DEP_3) | instskip(NEXT) | instid1(VALU_DEP_4)
	v_cndmask_b32_e64 v1, v1, 0, s49
	v_cndmask_b32_e64 v0, v0, 0, s49
	global_store_b64 v[2:3], v[0:1], off offset:256
	s_or_b32 exec_lo, exec_lo, s0
	s_and_saveexec_b32 s0, s19
	s_cbranch_execz .LBB789_84
.LBB789_117:
	v_fma_f64 v[0:1], -v[130:131], v[78:79], v[76:77]
	v_add_co_u32 v2, vcc_lo, 0x1000, v6
	v_add_co_ci_u32_e32 v3, vcc_lo, 0, v7, vcc_lo
	s_delay_alu instid0(VALU_DEP_3) | instskip(NEXT) | instid1(VALU_DEP_4)
	v_cndmask_b32_e64 v1, v1, 0, s50
	v_cndmask_b32_e64 v0, v0, 0, s50
	global_store_b64 v[2:3], v[0:1], off offset:512
	s_or_b32 exec_lo, exec_lo, s0
	s_and_saveexec_b32 s0, s20
	s_cbranch_execz .LBB789_85
.LBB789_118:
	v_fma_f64 v[0:1], -v[130:131], v[82:83], v[72:73]
	v_add_co_u32 v2, vcc_lo, 0x1000, v6
	v_add_co_ci_u32_e32 v3, vcc_lo, 0, v7, vcc_lo
	s_delay_alu instid0(VALU_DEP_3) | instskip(NEXT) | instid1(VALU_DEP_4)
	v_cndmask_b32_e64 v1, v1, 0, s51
	v_cndmask_b32_e64 v0, v0, 0, s51
	global_store_b64 v[2:3], v[0:1], off offset:768
	s_or_b32 exec_lo, exec_lo, s0
	s_and_saveexec_b32 s0, s21
	s_cbranch_execz .LBB789_86
.LBB789_119:
	v_fma_f64 v[0:1], -v[130:131], v[86:87], v[84:85]
	v_add_co_u32 v2, vcc_lo, 0x1000, v6
	v_add_co_ci_u32_e32 v3, vcc_lo, 0, v7, vcc_lo
	s_delay_alu instid0(VALU_DEP_3) | instskip(NEXT) | instid1(VALU_DEP_4)
	v_cndmask_b32_e64 v1, v1, 0, s52
	v_cndmask_b32_e64 v0, v0, 0, s52
	global_store_b64 v[2:3], v[0:1], off offset:1024
	s_or_b32 exec_lo, exec_lo, s0
	s_and_saveexec_b32 s0, s22
	s_cbranch_execz .LBB789_87
.LBB789_120:
	v_fma_f64 v[0:1], -v[130:131], v[90:91], v[80:81]
	v_add_co_u32 v2, vcc_lo, 0x1000, v6
	v_add_co_ci_u32_e32 v3, vcc_lo, 0, v7, vcc_lo
	s_delay_alu instid0(VALU_DEP_3) | instskip(NEXT) | instid1(VALU_DEP_4)
	v_cndmask_b32_e64 v1, v1, 0, s53
	v_cndmask_b32_e64 v0, v0, 0, s53
	global_store_b64 v[2:3], v[0:1], off offset:1280
	s_or_b32 exec_lo, exec_lo, s0
	s_and_saveexec_b32 s0, s23
	s_cbranch_execz .LBB789_88
.LBB789_121:
	v_fma_f64 v[0:1], -v[130:131], v[94:95], v[92:93]
	v_add_co_u32 v2, vcc_lo, 0x1000, v6
	v_add_co_ci_u32_e32 v3, vcc_lo, 0, v7, vcc_lo
	s_delay_alu instid0(VALU_DEP_3) | instskip(NEXT) | instid1(VALU_DEP_4)
	v_cndmask_b32_e64 v1, v1, 0, s54
	v_cndmask_b32_e64 v0, v0, 0, s54
	global_store_b64 v[2:3], v[0:1], off offset:1536
	s_or_b32 exec_lo, exec_lo, s0
	s_and_saveexec_b32 s0, s24
	s_cbranch_execz .LBB789_89
.LBB789_122:
	v_fma_f64 v[0:1], -v[130:131], v[98:99], v[88:89]
	v_add_co_u32 v2, vcc_lo, 0x1000, v6
	v_add_co_ci_u32_e32 v3, vcc_lo, 0, v7, vcc_lo
	s_delay_alu instid0(VALU_DEP_3) | instskip(NEXT) | instid1(VALU_DEP_4)
	v_cndmask_b32_e64 v1, v1, 0, s55
	v_cndmask_b32_e64 v0, v0, 0, s55
	global_store_b64 v[2:3], v[0:1], off offset:1792
	s_or_b32 exec_lo, exec_lo, s0
	s_and_saveexec_b32 s0, s25
	s_cbranch_execz .LBB789_90
.LBB789_123:
	v_fma_f64 v[0:1], -v[130:131], v[102:103], v[100:101]
	v_add_co_u32 v2, vcc_lo, 0x1000, v6
	v_add_co_ci_u32_e32 v3, vcc_lo, 0, v7, vcc_lo
	s_delay_alu instid0(VALU_DEP_3) | instskip(NEXT) | instid1(VALU_DEP_4)
	v_cndmask_b32_e64 v1, v1, 0, s56
	v_cndmask_b32_e64 v0, v0, 0, s56
	global_store_b64 v[2:3], v[0:1], off offset:2048
	s_or_b32 exec_lo, exec_lo, s0
	s_and_saveexec_b32 s0, s26
	s_cbranch_execz .LBB789_91
.LBB789_124:
	v_fma_f64 v[0:1], -v[130:131], v[106:107], v[96:97]
	v_add_co_u32 v2, vcc_lo, 0x1000, v6
	v_add_co_ci_u32_e32 v3, vcc_lo, 0, v7, vcc_lo
	s_delay_alu instid0(VALU_DEP_3) | instskip(NEXT) | instid1(VALU_DEP_4)
	v_cndmask_b32_e64 v1, v1, 0, s57
	v_cndmask_b32_e64 v0, v0, 0, s57
	global_store_b64 v[2:3], v[0:1], off offset:2304
	s_or_b32 exec_lo, exec_lo, s0
	s_and_saveexec_b32 s0, s27
	s_cbranch_execz .LBB789_92
.LBB789_125:
	v_fma_f64 v[0:1], -v[130:131], v[110:111], v[108:109]
	v_add_co_u32 v2, vcc_lo, 0x1000, v6
	v_add_co_ci_u32_e32 v3, vcc_lo, 0, v7, vcc_lo
	s_delay_alu instid0(VALU_DEP_3) | instskip(NEXT) | instid1(VALU_DEP_4)
	v_cndmask_b32_e64 v1, v1, 0, s58
	v_cndmask_b32_e64 v0, v0, 0, s58
	global_store_b64 v[2:3], v[0:1], off offset:2560
	s_or_b32 exec_lo, exec_lo, s0
	s_and_saveexec_b32 s0, s28
	s_cbranch_execz .LBB789_93
.LBB789_126:
	v_fma_f64 v[0:1], -v[130:131], v[114:115], v[104:105]
	v_add_co_u32 v2, vcc_lo, 0x1000, v6
	v_add_co_ci_u32_e32 v3, vcc_lo, 0, v7, vcc_lo
	s_delay_alu instid0(VALU_DEP_3) | instskip(NEXT) | instid1(VALU_DEP_4)
	v_cndmask_b32_e64 v1, v1, 0, s59
	v_cndmask_b32_e64 v0, v0, 0, s59
	global_store_b64 v[2:3], v[0:1], off offset:2816
	s_or_b32 exec_lo, exec_lo, s0
	s_and_saveexec_b32 s0, s29
	s_cbranch_execz .LBB789_94
.LBB789_127:
	v_fma_f64 v[0:1], -v[130:131], v[118:119], v[116:117]
	v_add_co_u32 v2, vcc_lo, 0x1000, v6
	v_add_co_ci_u32_e32 v3, vcc_lo, 0, v7, vcc_lo
	s_delay_alu instid0(VALU_DEP_3) | instskip(NEXT) | instid1(VALU_DEP_4)
	v_cndmask_b32_e64 v1, v1, 0, s60
	v_cndmask_b32_e64 v0, v0, 0, s60
	global_store_b64 v[2:3], v[0:1], off offset:3072
	s_or_b32 exec_lo, exec_lo, s0
	s_and_saveexec_b32 s0, s30
	s_cbranch_execz .LBB789_95
.LBB789_128:
	v_fma_f64 v[0:1], -v[130:131], v[122:123], v[112:113]
	v_add_co_u32 v2, vcc_lo, 0x1000, v6
	v_add_co_ci_u32_e32 v3, vcc_lo, 0, v7, vcc_lo
	s_delay_alu instid0(VALU_DEP_3) | instskip(NEXT) | instid1(VALU_DEP_4)
	v_cndmask_b32_e64 v1, v1, 0, s61
	v_cndmask_b32_e64 v0, v0, 0, s61
	global_store_b64 v[2:3], v[0:1], off offset:3328
	s_or_b32 exec_lo, exec_lo, s0
	s_and_saveexec_b32 s0, s31
	s_cbranch_execz .LBB789_96
.LBB789_129:
	v_fma_f64 v[0:1], -v[130:131], v[126:127], v[124:125]
	v_add_co_u32 v2, vcc_lo, 0x1000, v6
	v_add_co_ci_u32_e32 v3, vcc_lo, 0, v7, vcc_lo
	s_delay_alu instid0(VALU_DEP_3) | instskip(NEXT) | instid1(VALU_DEP_4)
	v_cndmask_b32_e64 v1, v1, 0, s62
	v_cndmask_b32_e64 v0, v0, 0, s62
	global_store_b64 v[2:3], v[0:1], off offset:3584
	s_or_b32 exec_lo, exec_lo, s0
	s_delay_alu instid0(SALU_CYCLE_1)
	s_and_b32 exec_lo, exec_lo, s33
	s_cbranch_execnz .LBB789_97
	s_branch .LBB789_98
	.section	.rodata,"a",@progbits
	.p2align	6, 0x0
	.amdhsa_kernel _ZN12_GLOBAL__N_121softmax_warp_backwardIdddLi10ELb0ELb1ELi32EEEvPT0_PKT_S5_iiiPKb
		.amdhsa_group_segment_fixed_size 0
		.amdhsa_private_segment_fixed_size 0
		.amdhsa_kernarg_size 304
		.amdhsa_user_sgpr_count 15
		.amdhsa_user_sgpr_dispatch_ptr 0
		.amdhsa_user_sgpr_queue_ptr 0
		.amdhsa_user_sgpr_kernarg_segment_ptr 1
		.amdhsa_user_sgpr_dispatch_id 0
		.amdhsa_user_sgpr_private_segment_size 0
		.amdhsa_wavefront_size32 1
		.amdhsa_uses_dynamic_stack 0
		.amdhsa_enable_private_segment 0
		.amdhsa_system_sgpr_workgroup_id_x 1
		.amdhsa_system_sgpr_workgroup_id_y 0
		.amdhsa_system_sgpr_workgroup_id_z 0
		.amdhsa_system_sgpr_workgroup_info 0
		.amdhsa_system_vgpr_workitem_id 1
		.amdhsa_next_free_vgpr 137
		.amdhsa_next_free_sgpr 72
		.amdhsa_reserve_vcc 1
		.amdhsa_float_round_mode_32 0
		.amdhsa_float_round_mode_16_64 0
		.amdhsa_float_denorm_mode_32 3
		.amdhsa_float_denorm_mode_16_64 3
		.amdhsa_dx10_clamp 1
		.amdhsa_ieee_mode 1
		.amdhsa_fp16_overflow 0
		.amdhsa_workgroup_processor_mode 1
		.amdhsa_memory_ordered 1
		.amdhsa_forward_progress 0
		.amdhsa_shared_vgpr_count 0
		.amdhsa_exception_fp_ieee_invalid_op 0
		.amdhsa_exception_fp_denorm_src 0
		.amdhsa_exception_fp_ieee_div_zero 0
		.amdhsa_exception_fp_ieee_overflow 0
		.amdhsa_exception_fp_ieee_underflow 0
		.amdhsa_exception_fp_ieee_inexact 0
		.amdhsa_exception_int_div_zero 0
	.end_amdhsa_kernel
	.section	.text._ZN12_GLOBAL__N_121softmax_warp_backwardIdddLi10ELb0ELb1ELi32EEEvPT0_PKT_S5_iiiPKb,"axG",@progbits,_ZN12_GLOBAL__N_121softmax_warp_backwardIdddLi10ELb0ELb1ELi32EEEvPT0_PKT_S5_iiiPKb,comdat
.Lfunc_end789:
	.size	_ZN12_GLOBAL__N_121softmax_warp_backwardIdddLi10ELb0ELb1ELi32EEEvPT0_PKT_S5_iiiPKb, .Lfunc_end789-_ZN12_GLOBAL__N_121softmax_warp_backwardIdddLi10ELb0ELb1ELi32EEEvPT0_PKT_S5_iiiPKb
                                        ; -- End function
	.section	.AMDGPU.csdata,"",@progbits
; Kernel info:
; codeLenInByte = 7480
; NumSgprs: 74
; NumVgprs: 137
; ScratchSize: 0
; MemoryBound: 0
; FloatMode: 240
; IeeeMode: 1
; LDSByteSize: 0 bytes/workgroup (compile time only)
; SGPRBlocks: 9
; VGPRBlocks: 17
; NumSGPRsForWavesPerEU: 74
; NumVGPRsForWavesPerEU: 137
; Occupancy: 10
; WaveLimiterHint : 0
; COMPUTE_PGM_RSRC2:SCRATCH_EN: 0
; COMPUTE_PGM_RSRC2:USER_SGPR: 15
; COMPUTE_PGM_RSRC2:TRAP_HANDLER: 0
; COMPUTE_PGM_RSRC2:TGID_X_EN: 1
; COMPUTE_PGM_RSRC2:TGID_Y_EN: 0
; COMPUTE_PGM_RSRC2:TGID_Z_EN: 0
; COMPUTE_PGM_RSRC2:TIDIG_COMP_CNT: 1
	.section	.text._ZN12_GLOBAL__N_121softmax_warp_backwardIfffLi0ELb0ELb1ELi64EEEvPT0_PKT_S5_iiiPKb,"axG",@progbits,_ZN12_GLOBAL__N_121softmax_warp_backwardIfffLi0ELb0ELb1ELi64EEEvPT0_PKT_S5_iiiPKb,comdat
	.globl	_ZN12_GLOBAL__N_121softmax_warp_backwardIfffLi0ELb0ELb1ELi64EEEvPT0_PKT_S5_iiiPKb ; -- Begin function _ZN12_GLOBAL__N_121softmax_warp_backwardIfffLi0ELb0ELb1ELi64EEEvPT0_PKT_S5_iiiPKb
	.p2align	8
	.type	_ZN12_GLOBAL__N_121softmax_warp_backwardIfffLi0ELb0ELb1ELi64EEEvPT0_PKT_S5_iiiPKb,@function
_ZN12_GLOBAL__N_121softmax_warp_backwardIfffLi0ELb0ELb1ELi64EEEvPT0_PKT_S5_iiiPKb: ; @_ZN12_GLOBAL__N_121softmax_warp_backwardIfffLi0ELb0ELb1ELi64EEEvPT0_PKT_S5_iiiPKb
; %bb.0:
	s_clause 0x1
	s_load_b32 s2, s[0:1], 0x3c
	s_load_b128 s[4:7], s[0:1], 0x18
	v_bfe_u32 v0, v0, 10, 10
	s_clause 0x1
	s_load_b128 s[8:11], s[0:1], 0x0
	s_load_b64 s[12:13], s[0:1], 0x10
	v_dual_mov_b32 v9, 0 :: v_dual_mov_b32 v10, 0
	v_mov_b32_e32 v11, 0
	s_waitcnt lgkmcnt(0)
	s_lshr_b32 s2, s2, 16
	s_cmp_gt_i32 s6, 0
	s_mul_i32 s15, s15, s2
	s_cselect_b32 s3, -1, 0
	v_add_lshl_u32 v0, s15, v0, 1
	s_delay_alu instid0(VALU_DEP_1) | instskip(SKIP_1) | instid1(VALU_DEP_1)
	v_mul_lo_u32 v2, v0, s5
	v_sub_nc_u32_e32 v8, s4, v0
	v_cmp_lt_i32_e32 vcc_lo, 0, v8
	s_delay_alu instid0(VALU_DEP_3) | instskip(SKIP_1) | instid1(VALU_DEP_1)
	v_ashrrev_i32_e32 v3, 31, v2
	s_and_b32 s4, s3, vcc_lo
	v_lshlrev_b64 v[0:1], 2, v[2:3]
	s_delay_alu instid0(VALU_DEP_1) | instskip(NEXT) | instid1(VALU_DEP_1)
	v_add_co_u32 v6, s2, s10, v0
	v_add_co_ci_u32_e64 v7, s2, s11, v1, s2
	v_add_co_u32 v4, s2, s12, v0
	s_delay_alu instid0(VALU_DEP_1)
	v_add_co_ci_u32_e64 v5, s2, s13, v1, s2
	s_and_saveexec_b32 s2, s4
	s_cbranch_execz .LBB790_2
; %bb.1:
	global_load_b32 v10, v[6:7], off
	global_load_b32 v11, v[4:5], off
.LBB790_2:
	s_or_b32 exec_lo, exec_lo, s2
	v_cmp_lt_i32_e64 s2, 1, v8
	v_mov_b32_e32 v12, 0
	s_mov_b32 s7, 0
	s_delay_alu instid0(VALU_DEP_2) | instskip(NEXT) | instid1(SALU_CYCLE_1)
	s_and_b32 s2, s3, s2
	s_and_saveexec_b32 s4, s2
	s_cbranch_execz .LBB790_4
; %bb.3:
	s_lshl_b64 s[10:11], s[6:7], 2
	s_delay_alu instid0(SALU_CYCLE_1) | instskip(NEXT) | instid1(VALU_DEP_1)
	v_add_co_u32 v6, s2, v6, s10
	v_add_co_ci_u32_e64 v7, s2, s11, v7, s2
	v_add_co_u32 v4, s2, v4, s10
	s_delay_alu instid0(VALU_DEP_1)
	v_add_co_ci_u32_e64 v5, s2, s11, v5, s2
	global_load_b32 v9, v[6:7], off
	global_load_b32 v12, v[4:5], off
.LBB790_4:
	s_or_b32 exec_lo, exec_lo, s4
	s_and_saveexec_b32 s2, vcc_lo
	s_cbranch_execz .LBB790_10
; %bb.5:
	s_load_b64 s[0:1], s[0:1], 0x28
	s_waitcnt vmcnt(1)
	v_add_f32_e32 v7, 0, v9
	s_waitcnt lgkmcnt(0)
	v_add_co_u32 v2, vcc_lo, s0, v2
	v_add_co_ci_u32_e32 v3, vcc_lo, s1, v3, vcc_lo
	s_ashr_i32 s0, s6, 31
	s_delay_alu instid0(VALU_DEP_2) | instskip(NEXT) | instid1(VALU_DEP_2)
	v_add_co_u32 v4, vcc_lo, v2, s6
	v_add_co_ci_u32_e32 v5, vcc_lo, s0, v3, vcc_lo
	v_add_co_u32 v0, vcc_lo, s8, v0
	s_clause 0x1
	global_load_u8 v3, v[2:3], off
	global_load_u8 v4, v[4:5], off
	v_add_f32_e32 v5, 0, v10
	v_cndmask_b32_e64 v2, 0, 1, s3
	v_add_co_ci_u32_e32 v1, vcc_lo, s9, v1, vcc_lo
	s_and_not1_b32 vcc_lo, exec_lo, s3
	s_waitcnt vmcnt(1)
	v_and_b32_e32 v3, 1, v3
	s_waitcnt vmcnt(0)
	v_and_b32_e32 v6, 1, v4
	s_delay_alu instid0(VALU_DEP_2) | instskip(NEXT) | instid1(VALU_DEP_2)
	v_cmp_eq_u32_e64 s1, 1, v3
	v_cmp_eq_u32_e64 s0, 1, v6
	s_delay_alu instid0(VALU_DEP_2) | instskip(NEXT) | instid1(VALU_DEP_2)
	v_cndmask_b32_e64 v4, v5, 0, s1
	v_cndmask_b32_e64 v3, v7, 0, s0
	s_cbranch_vccnz .LBB790_7
; %bb.6:
	s_delay_alu instid0(VALU_DEP_2) | instskip(NEXT) | instid1(VALU_DEP_1)
	v_fma_f32 v4, -v4, v11, v10
	v_cndmask_b32_e64 v4, v4, 0, s1
	global_store_b32 v[0:1], v4, off
.LBB790_7:
	v_cmp_ne_u32_e32 vcc_lo, 1, v8
	s_and_b32 exec_lo, exec_lo, vcc_lo
	s_cbranch_execz .LBB790_10
; %bb.8:
	v_cmp_ne_u32_e32 vcc_lo, 1, v2
	s_cbranch_vccnz .LBB790_10
; %bb.9:
	v_fma_f32 v2, -v3, v12, v9
	s_lshl_b64 s[2:3], s[6:7], 2
	s_delay_alu instid0(SALU_CYCLE_1) | instskip(SKIP_1) | instid1(VALU_DEP_3)
	v_add_co_u32 v0, vcc_lo, v0, s2
	v_add_co_ci_u32_e32 v1, vcc_lo, s3, v1, vcc_lo
	v_cndmask_b32_e64 v2, v2, 0, s0
	global_store_b32 v[0:1], v2, off
.LBB790_10:
	s_nop 0
	s_sendmsg sendmsg(MSG_DEALLOC_VGPRS)
	s_endpgm
	.section	.rodata,"a",@progbits
	.p2align	6, 0x0
	.amdhsa_kernel _ZN12_GLOBAL__N_121softmax_warp_backwardIfffLi0ELb0ELb1ELi64EEEvPT0_PKT_S5_iiiPKb
		.amdhsa_group_segment_fixed_size 0
		.amdhsa_private_segment_fixed_size 0
		.amdhsa_kernarg_size 304
		.amdhsa_user_sgpr_count 15
		.amdhsa_user_sgpr_dispatch_ptr 0
		.amdhsa_user_sgpr_queue_ptr 0
		.amdhsa_user_sgpr_kernarg_segment_ptr 1
		.amdhsa_user_sgpr_dispatch_id 0
		.amdhsa_user_sgpr_private_segment_size 0
		.amdhsa_wavefront_size32 1
		.amdhsa_uses_dynamic_stack 0
		.amdhsa_enable_private_segment 0
		.amdhsa_system_sgpr_workgroup_id_x 1
		.amdhsa_system_sgpr_workgroup_id_y 0
		.amdhsa_system_sgpr_workgroup_id_z 0
		.amdhsa_system_sgpr_workgroup_info 0
		.amdhsa_system_vgpr_workitem_id 1
		.amdhsa_next_free_vgpr 13
		.amdhsa_next_free_sgpr 16
		.amdhsa_reserve_vcc 1
		.amdhsa_float_round_mode_32 0
		.amdhsa_float_round_mode_16_64 0
		.amdhsa_float_denorm_mode_32 3
		.amdhsa_float_denorm_mode_16_64 3
		.amdhsa_dx10_clamp 1
		.amdhsa_ieee_mode 1
		.amdhsa_fp16_overflow 0
		.amdhsa_workgroup_processor_mode 1
		.amdhsa_memory_ordered 1
		.amdhsa_forward_progress 0
		.amdhsa_shared_vgpr_count 0
		.amdhsa_exception_fp_ieee_invalid_op 0
		.amdhsa_exception_fp_denorm_src 0
		.amdhsa_exception_fp_ieee_div_zero 0
		.amdhsa_exception_fp_ieee_overflow 0
		.amdhsa_exception_fp_ieee_underflow 0
		.amdhsa_exception_fp_ieee_inexact 0
		.amdhsa_exception_int_div_zero 0
	.end_amdhsa_kernel
	.section	.text._ZN12_GLOBAL__N_121softmax_warp_backwardIfffLi0ELb0ELb1ELi64EEEvPT0_PKT_S5_iiiPKb,"axG",@progbits,_ZN12_GLOBAL__N_121softmax_warp_backwardIfffLi0ELb0ELb1ELi64EEEvPT0_PKT_S5_iiiPKb,comdat
.Lfunc_end790:
	.size	_ZN12_GLOBAL__N_121softmax_warp_backwardIfffLi0ELb0ELb1ELi64EEEvPT0_PKT_S5_iiiPKb, .Lfunc_end790-_ZN12_GLOBAL__N_121softmax_warp_backwardIfffLi0ELb0ELb1ELi64EEEvPT0_PKT_S5_iiiPKb
                                        ; -- End function
	.section	.AMDGPU.csdata,"",@progbits
; Kernel info:
; codeLenInByte = 564
; NumSgprs: 18
; NumVgprs: 13
; ScratchSize: 0
; MemoryBound: 0
; FloatMode: 240
; IeeeMode: 1
; LDSByteSize: 0 bytes/workgroup (compile time only)
; SGPRBlocks: 2
; VGPRBlocks: 1
; NumSGPRsForWavesPerEU: 18
; NumVGPRsForWavesPerEU: 13
; Occupancy: 16
; WaveLimiterHint : 0
; COMPUTE_PGM_RSRC2:SCRATCH_EN: 0
; COMPUTE_PGM_RSRC2:USER_SGPR: 15
; COMPUTE_PGM_RSRC2:TRAP_HANDLER: 0
; COMPUTE_PGM_RSRC2:TGID_X_EN: 1
; COMPUTE_PGM_RSRC2:TGID_Y_EN: 0
; COMPUTE_PGM_RSRC2:TGID_Z_EN: 0
; COMPUTE_PGM_RSRC2:TIDIG_COMP_CNT: 1
	.section	.text._ZN12_GLOBAL__N_121softmax_warp_backwardIfffLi0ELb0ELb1ELi32EEEvPT0_PKT_S5_iiiPKb,"axG",@progbits,_ZN12_GLOBAL__N_121softmax_warp_backwardIfffLi0ELb0ELb1ELi32EEEvPT0_PKT_S5_iiiPKb,comdat
	.globl	_ZN12_GLOBAL__N_121softmax_warp_backwardIfffLi0ELb0ELb1ELi32EEEvPT0_PKT_S5_iiiPKb ; -- Begin function _ZN12_GLOBAL__N_121softmax_warp_backwardIfffLi0ELb0ELb1ELi32EEEvPT0_PKT_S5_iiiPKb
	.p2align	8
	.type	_ZN12_GLOBAL__N_121softmax_warp_backwardIfffLi0ELb0ELb1ELi32EEEvPT0_PKT_S5_iiiPKb,@function
_ZN12_GLOBAL__N_121softmax_warp_backwardIfffLi0ELb0ELb1ELi32EEEvPT0_PKT_S5_iiiPKb: ; @_ZN12_GLOBAL__N_121softmax_warp_backwardIfffLi0ELb0ELb1ELi32EEEvPT0_PKT_S5_iiiPKb
; %bb.0:
	s_clause 0x1
	s_load_b32 s2, s[0:1], 0x3c
	s_load_b128 s[4:7], s[0:1], 0x18
	v_bfe_u32 v0, v0, 10, 10
	s_clause 0x1
	s_load_b128 s[8:11], s[0:1], 0x0
	s_load_b64 s[12:13], s[0:1], 0x10
	v_dual_mov_b32 v9, 0 :: v_dual_mov_b32 v10, 0
	v_mov_b32_e32 v11, 0
	s_waitcnt lgkmcnt(0)
	s_lshr_b32 s2, s2, 16
	s_cmp_gt_i32 s6, 0
	s_mul_i32 s15, s15, s2
	s_cselect_b32 s3, -1, 0
	v_add_lshl_u32 v0, s15, v0, 1
	s_delay_alu instid0(VALU_DEP_1) | instskip(SKIP_1) | instid1(VALU_DEP_1)
	v_mul_lo_u32 v2, v0, s5
	v_sub_nc_u32_e32 v8, s4, v0
	v_cmp_lt_i32_e32 vcc_lo, 0, v8
	s_delay_alu instid0(VALU_DEP_3) | instskip(SKIP_1) | instid1(VALU_DEP_1)
	v_ashrrev_i32_e32 v3, 31, v2
	s_and_b32 s4, s3, vcc_lo
	v_lshlrev_b64 v[0:1], 2, v[2:3]
	s_delay_alu instid0(VALU_DEP_1) | instskip(NEXT) | instid1(VALU_DEP_1)
	v_add_co_u32 v6, s2, s10, v0
	v_add_co_ci_u32_e64 v7, s2, s11, v1, s2
	v_add_co_u32 v4, s2, s12, v0
	s_delay_alu instid0(VALU_DEP_1)
	v_add_co_ci_u32_e64 v5, s2, s13, v1, s2
	s_and_saveexec_b32 s2, s4
	s_cbranch_execz .LBB791_2
; %bb.1:
	global_load_b32 v10, v[6:7], off
	global_load_b32 v11, v[4:5], off
.LBB791_2:
	s_or_b32 exec_lo, exec_lo, s2
	v_cmp_lt_i32_e64 s2, 1, v8
	v_mov_b32_e32 v12, 0
	s_mov_b32 s7, 0
	s_delay_alu instid0(VALU_DEP_2) | instskip(NEXT) | instid1(SALU_CYCLE_1)
	s_and_b32 s2, s3, s2
	s_and_saveexec_b32 s4, s2
	s_cbranch_execz .LBB791_4
; %bb.3:
	s_lshl_b64 s[10:11], s[6:7], 2
	s_delay_alu instid0(SALU_CYCLE_1) | instskip(NEXT) | instid1(VALU_DEP_1)
	v_add_co_u32 v6, s2, v6, s10
	v_add_co_ci_u32_e64 v7, s2, s11, v7, s2
	v_add_co_u32 v4, s2, v4, s10
	s_delay_alu instid0(VALU_DEP_1)
	v_add_co_ci_u32_e64 v5, s2, s11, v5, s2
	global_load_b32 v9, v[6:7], off
	global_load_b32 v12, v[4:5], off
.LBB791_4:
	s_or_b32 exec_lo, exec_lo, s4
	s_and_saveexec_b32 s2, vcc_lo
	s_cbranch_execz .LBB791_10
; %bb.5:
	s_load_b64 s[0:1], s[0:1], 0x28
	s_waitcnt vmcnt(1)
	v_add_f32_e32 v7, 0, v9
	s_waitcnt lgkmcnt(0)
	v_add_co_u32 v2, vcc_lo, s0, v2
	v_add_co_ci_u32_e32 v3, vcc_lo, s1, v3, vcc_lo
	s_ashr_i32 s0, s6, 31
	s_delay_alu instid0(VALU_DEP_2) | instskip(NEXT) | instid1(VALU_DEP_2)
	v_add_co_u32 v4, vcc_lo, v2, s6
	v_add_co_ci_u32_e32 v5, vcc_lo, s0, v3, vcc_lo
	v_add_co_u32 v0, vcc_lo, s8, v0
	s_clause 0x1
	global_load_u8 v3, v[2:3], off
	global_load_u8 v4, v[4:5], off
	v_add_f32_e32 v5, 0, v10
	v_cndmask_b32_e64 v2, 0, 1, s3
	v_add_co_ci_u32_e32 v1, vcc_lo, s9, v1, vcc_lo
	s_and_not1_b32 vcc_lo, exec_lo, s3
	s_waitcnt vmcnt(1)
	v_and_b32_e32 v3, 1, v3
	s_waitcnt vmcnt(0)
	v_and_b32_e32 v6, 1, v4
	s_delay_alu instid0(VALU_DEP_2) | instskip(NEXT) | instid1(VALU_DEP_2)
	v_cmp_eq_u32_e64 s1, 1, v3
	v_cmp_eq_u32_e64 s0, 1, v6
	s_delay_alu instid0(VALU_DEP_2) | instskip(NEXT) | instid1(VALU_DEP_2)
	v_cndmask_b32_e64 v4, v5, 0, s1
	v_cndmask_b32_e64 v3, v7, 0, s0
	s_cbranch_vccnz .LBB791_7
; %bb.6:
	s_delay_alu instid0(VALU_DEP_2) | instskip(NEXT) | instid1(VALU_DEP_1)
	v_fma_f32 v4, -v4, v11, v10
	v_cndmask_b32_e64 v4, v4, 0, s1
	global_store_b32 v[0:1], v4, off
.LBB791_7:
	v_cmp_ne_u32_e32 vcc_lo, 1, v8
	s_and_b32 exec_lo, exec_lo, vcc_lo
	s_cbranch_execz .LBB791_10
; %bb.8:
	v_cmp_ne_u32_e32 vcc_lo, 1, v2
	s_cbranch_vccnz .LBB791_10
; %bb.9:
	v_fma_f32 v2, -v3, v12, v9
	s_lshl_b64 s[2:3], s[6:7], 2
	s_delay_alu instid0(SALU_CYCLE_1) | instskip(SKIP_1) | instid1(VALU_DEP_3)
	v_add_co_u32 v0, vcc_lo, v0, s2
	v_add_co_ci_u32_e32 v1, vcc_lo, s3, v1, vcc_lo
	v_cndmask_b32_e64 v2, v2, 0, s0
	global_store_b32 v[0:1], v2, off
.LBB791_10:
	s_nop 0
	s_sendmsg sendmsg(MSG_DEALLOC_VGPRS)
	s_endpgm
	.section	.rodata,"a",@progbits
	.p2align	6, 0x0
	.amdhsa_kernel _ZN12_GLOBAL__N_121softmax_warp_backwardIfffLi0ELb0ELb1ELi32EEEvPT0_PKT_S5_iiiPKb
		.amdhsa_group_segment_fixed_size 0
		.amdhsa_private_segment_fixed_size 0
		.amdhsa_kernarg_size 304
		.amdhsa_user_sgpr_count 15
		.amdhsa_user_sgpr_dispatch_ptr 0
		.amdhsa_user_sgpr_queue_ptr 0
		.amdhsa_user_sgpr_kernarg_segment_ptr 1
		.amdhsa_user_sgpr_dispatch_id 0
		.amdhsa_user_sgpr_private_segment_size 0
		.amdhsa_wavefront_size32 1
		.amdhsa_uses_dynamic_stack 0
		.amdhsa_enable_private_segment 0
		.amdhsa_system_sgpr_workgroup_id_x 1
		.amdhsa_system_sgpr_workgroup_id_y 0
		.amdhsa_system_sgpr_workgroup_id_z 0
		.amdhsa_system_sgpr_workgroup_info 0
		.amdhsa_system_vgpr_workitem_id 1
		.amdhsa_next_free_vgpr 13
		.amdhsa_next_free_sgpr 16
		.amdhsa_reserve_vcc 1
		.amdhsa_float_round_mode_32 0
		.amdhsa_float_round_mode_16_64 0
		.amdhsa_float_denorm_mode_32 3
		.amdhsa_float_denorm_mode_16_64 3
		.amdhsa_dx10_clamp 1
		.amdhsa_ieee_mode 1
		.amdhsa_fp16_overflow 0
		.amdhsa_workgroup_processor_mode 1
		.amdhsa_memory_ordered 1
		.amdhsa_forward_progress 0
		.amdhsa_shared_vgpr_count 0
		.amdhsa_exception_fp_ieee_invalid_op 0
		.amdhsa_exception_fp_denorm_src 0
		.amdhsa_exception_fp_ieee_div_zero 0
		.amdhsa_exception_fp_ieee_overflow 0
		.amdhsa_exception_fp_ieee_underflow 0
		.amdhsa_exception_fp_ieee_inexact 0
		.amdhsa_exception_int_div_zero 0
	.end_amdhsa_kernel
	.section	.text._ZN12_GLOBAL__N_121softmax_warp_backwardIfffLi0ELb0ELb1ELi32EEEvPT0_PKT_S5_iiiPKb,"axG",@progbits,_ZN12_GLOBAL__N_121softmax_warp_backwardIfffLi0ELb0ELb1ELi32EEEvPT0_PKT_S5_iiiPKb,comdat
.Lfunc_end791:
	.size	_ZN12_GLOBAL__N_121softmax_warp_backwardIfffLi0ELb0ELb1ELi32EEEvPT0_PKT_S5_iiiPKb, .Lfunc_end791-_ZN12_GLOBAL__N_121softmax_warp_backwardIfffLi0ELb0ELb1ELi32EEEvPT0_PKT_S5_iiiPKb
                                        ; -- End function
	.section	.AMDGPU.csdata,"",@progbits
; Kernel info:
; codeLenInByte = 564
; NumSgprs: 18
; NumVgprs: 13
; ScratchSize: 0
; MemoryBound: 0
; FloatMode: 240
; IeeeMode: 1
; LDSByteSize: 0 bytes/workgroup (compile time only)
; SGPRBlocks: 2
; VGPRBlocks: 1
; NumSGPRsForWavesPerEU: 18
; NumVGPRsForWavesPerEU: 13
; Occupancy: 16
; WaveLimiterHint : 0
; COMPUTE_PGM_RSRC2:SCRATCH_EN: 0
; COMPUTE_PGM_RSRC2:USER_SGPR: 15
; COMPUTE_PGM_RSRC2:TRAP_HANDLER: 0
; COMPUTE_PGM_RSRC2:TGID_X_EN: 1
; COMPUTE_PGM_RSRC2:TGID_Y_EN: 0
; COMPUTE_PGM_RSRC2:TGID_Z_EN: 0
; COMPUTE_PGM_RSRC2:TIDIG_COMP_CNT: 1
	.section	.text._ZN12_GLOBAL__N_121softmax_warp_backwardIfffLi1ELb0ELb1ELi64EEEvPT0_PKT_S5_iiiPKb,"axG",@progbits,_ZN12_GLOBAL__N_121softmax_warp_backwardIfffLi1ELb0ELb1ELi64EEEvPT0_PKT_S5_iiiPKb,comdat
	.globl	_ZN12_GLOBAL__N_121softmax_warp_backwardIfffLi1ELb0ELb1ELi64EEEvPT0_PKT_S5_iiiPKb ; -- Begin function _ZN12_GLOBAL__N_121softmax_warp_backwardIfffLi1ELb0ELb1ELi64EEEvPT0_PKT_S5_iiiPKb
	.p2align	8
	.type	_ZN12_GLOBAL__N_121softmax_warp_backwardIfffLi1ELb0ELb1ELi64EEEvPT0_PKT_S5_iiiPKb,@function
_ZN12_GLOBAL__N_121softmax_warp_backwardIfffLi1ELb0ELb1ELi64EEEvPT0_PKT_S5_iiiPKb: ; @_ZN12_GLOBAL__N_121softmax_warp_backwardIfffLi1ELb0ELb1ELi64EEEvPT0_PKT_S5_iiiPKb
; %bb.0:
	s_clause 0x1
	s_load_b32 s2, s[0:1], 0x3c
	s_load_b128 s[4:7], s[0:1], 0x18
	v_bfe_u32 v1, v0, 10, 10
	v_dual_mov_b32 v9, 0 :: v_dual_and_b32 v4, 1, v0
	s_clause 0x1
	s_load_b128 s[8:11], s[0:1], 0x0
	s_load_b64 s[12:13], s[0:1], 0x10
	v_dual_mov_b32 v10, 0 :: v_dual_mov_b32 v11, 0
	s_waitcnt lgkmcnt(0)
	s_lshr_b32 s2, s2, 16
	v_cmp_gt_i32_e32 vcc_lo, s6, v4
	s_mul_i32 s15, s15, s2
	s_delay_alu instid0(SALU_CYCLE_1) | instskip(NEXT) | instid1(VALU_DEP_1)
	v_add_lshl_u32 v1, s15, v1, 1
	v_mul_lo_u32 v2, v1, s5
	v_sub_nc_u32_e32 v8, s4, v1
	s_delay_alu instid0(VALU_DEP_1) | instskip(NEXT) | instid1(VALU_DEP_3)
	v_cmp_lt_i32_e64 s2, 0, v8
	v_or_b32_e32 v2, v2, v4
	s_delay_alu instid0(VALU_DEP_2) | instskip(NEXT) | instid1(VALU_DEP_1)
	s_and_b32 s4, vcc_lo, s2
	v_ashrrev_i32_e32 v3, 31, v2
	s_delay_alu instid0(VALU_DEP_1) | instskip(NEXT) | instid1(VALU_DEP_1)
	v_lshlrev_b64 v[0:1], 2, v[2:3]
	v_add_co_u32 v6, s3, s10, v0
	s_delay_alu instid0(VALU_DEP_1) | instskip(SKIP_1) | instid1(VALU_DEP_1)
	v_add_co_ci_u32_e64 v7, s3, s11, v1, s3
	v_add_co_u32 v4, s3, s12, v0
	v_add_co_ci_u32_e64 v5, s3, s13, v1, s3
	s_and_saveexec_b32 s3, s4
	s_cbranch_execz .LBB792_2
; %bb.1:
	global_load_b32 v10, v[6:7], off
	global_load_b32 v11, v[4:5], off
.LBB792_2:
	s_or_b32 exec_lo, exec_lo, s3
	v_cmp_lt_i32_e64 s3, 1, v8
	v_mov_b32_e32 v12, 0
	s_mov_b32 s7, 0
	s_delay_alu instid0(VALU_DEP_2) | instskip(NEXT) | instid1(SALU_CYCLE_1)
	s_and_b32 s3, vcc_lo, s3
	s_and_saveexec_b32 s4, s3
	s_cbranch_execz .LBB792_4
; %bb.3:
	s_lshl_b64 s[10:11], s[6:7], 2
	s_delay_alu instid0(SALU_CYCLE_1) | instskip(NEXT) | instid1(VALU_DEP_1)
	v_add_co_u32 v6, s3, v6, s10
	v_add_co_ci_u32_e64 v7, s3, s11, v7, s3
	v_add_co_u32 v4, s3, v4, s10
	s_delay_alu instid0(VALU_DEP_1)
	v_add_co_ci_u32_e64 v5, s3, s11, v5, s3
	global_load_b32 v9, v[6:7], off
	global_load_b32 v12, v[4:5], off
.LBB792_4:
	s_or_b32 exec_lo, exec_lo, s4
	s_load_b64 s[0:1], s[0:1], 0x28
	s_waitcnt lgkmcnt(0)
	v_add_co_u32 v2, s0, s0, v2
	s_delay_alu instid0(VALU_DEP_1) | instskip(SKIP_1) | instid1(VALU_DEP_2)
	v_add_co_ci_u32_e64 v3, s0, s1, v3, s0
	s_ashr_i32 s1, s6, 31
	v_add_co_u32 v4, s0, v2, s6
	s_delay_alu instid0(VALU_DEP_1) | instskip(SKIP_4) | instid1(VALU_DEP_1)
	v_add_co_ci_u32_e64 v5, s0, s1, v3, s0
	s_clause 0x1
	global_load_u8 v2, v[2:3], off
	global_load_u8 v3, v[4:5], off
	v_mbcnt_lo_u32_b32 v4, -1, 0
	v_and_b32_e32 v5, 30, v4
	v_xor_b32_e32 v6, 1, v4
	s_delay_alu instid0(VALU_DEP_2) | instskip(NEXT) | instid1(VALU_DEP_1)
	v_add_nc_u32_e32 v5, 2, v5
	v_cmp_lt_i32_e64 s0, v6, v5
	s_waitcnt vmcnt(3)
	v_add_f32_e32 v5, 0, v10
	s_delay_alu instid0(VALU_DEP_2) | instskip(NEXT) | instid1(VALU_DEP_1)
	v_cndmask_b32_e64 v4, v4, v6, s0
	v_dual_add_f32 v6, 0, v9 :: v_dual_lshlrev_b32 v7, 2, v4
	s_waitcnt vmcnt(1)
	v_and_b32_e32 v2, 1, v2
	s_waitcnt vmcnt(0)
	v_and_b32_e32 v3, 1, v3
	s_delay_alu instid0(VALU_DEP_2) | instskip(NEXT) | instid1(VALU_DEP_2)
	v_cmp_eq_u32_e64 s1, 1, v2
	v_cmp_eq_u32_e64 s0, 1, v3
	s_delay_alu instid0(VALU_DEP_2) | instskip(NEXT) | instid1(VALU_DEP_2)
	v_cndmask_b32_e64 v4, v5, 0, s1
	v_cndmask_b32_e64 v2, v6, 0, s0
	ds_bpermute_b32 v5, v7, v4
	ds_bpermute_b32 v3, v7, v2
	s_and_saveexec_b32 s3, s2
	s_cbranch_execz .LBB792_10
; %bb.5:
	v_add_co_u32 v0, s2, s8, v0
	s_delay_alu instid0(VALU_DEP_1)
	v_add_co_ci_u32_e64 v1, s2, s9, v1, s2
	s_and_saveexec_b32 s2, vcc_lo
	s_cbranch_execz .LBB792_7
; %bb.6:
	s_waitcnt lgkmcnt(1)
	v_add_f32_e32 v4, v4, v5
	s_delay_alu instid0(VALU_DEP_1) | instskip(NEXT) | instid1(VALU_DEP_1)
	v_fma_f32 v4, -v4, v11, v10
	v_cndmask_b32_e64 v4, v4, 0, s1
	global_store_b32 v[0:1], v4, off
.LBB792_7:
	s_or_b32 exec_lo, exec_lo, s2
	v_cmp_ne_u32_e64 s1, 1, v8
	s_delay_alu instid0(VALU_DEP_1)
	s_and_b32 exec_lo, exec_lo, s1
	s_cbranch_execz .LBB792_10
; %bb.8:
	s_and_b32 exec_lo, exec_lo, vcc_lo
	s_cbranch_execz .LBB792_10
; %bb.9:
	s_waitcnt lgkmcnt(0)
	v_add_f32_e32 v2, v2, v3
	s_lshl_b64 s[2:3], s[6:7], 2
	s_delay_alu instid0(SALU_CYCLE_1) | instskip(NEXT) | instid1(VALU_DEP_2)
	v_add_co_u32 v0, vcc_lo, v0, s2
	v_fma_f32 v2, -v2, v12, v9
	v_add_co_ci_u32_e32 v1, vcc_lo, s3, v1, vcc_lo
	s_delay_alu instid0(VALU_DEP_2)
	v_cndmask_b32_e64 v2, v2, 0, s0
	global_store_b32 v[0:1], v2, off
.LBB792_10:
	s_nop 0
	s_sendmsg sendmsg(MSG_DEALLOC_VGPRS)
	s_endpgm
	.section	.rodata,"a",@progbits
	.p2align	6, 0x0
	.amdhsa_kernel _ZN12_GLOBAL__N_121softmax_warp_backwardIfffLi1ELb0ELb1ELi64EEEvPT0_PKT_S5_iiiPKb
		.amdhsa_group_segment_fixed_size 0
		.amdhsa_private_segment_fixed_size 0
		.amdhsa_kernarg_size 304
		.amdhsa_user_sgpr_count 15
		.amdhsa_user_sgpr_dispatch_ptr 0
		.amdhsa_user_sgpr_queue_ptr 0
		.amdhsa_user_sgpr_kernarg_segment_ptr 1
		.amdhsa_user_sgpr_dispatch_id 0
		.amdhsa_user_sgpr_private_segment_size 0
		.amdhsa_wavefront_size32 1
		.amdhsa_uses_dynamic_stack 0
		.amdhsa_enable_private_segment 0
		.amdhsa_system_sgpr_workgroup_id_x 1
		.amdhsa_system_sgpr_workgroup_id_y 0
		.amdhsa_system_sgpr_workgroup_id_z 0
		.amdhsa_system_sgpr_workgroup_info 0
		.amdhsa_system_vgpr_workitem_id 1
		.amdhsa_next_free_vgpr 13
		.amdhsa_next_free_sgpr 16
		.amdhsa_reserve_vcc 1
		.amdhsa_float_round_mode_32 0
		.amdhsa_float_round_mode_16_64 0
		.amdhsa_float_denorm_mode_32 3
		.amdhsa_float_denorm_mode_16_64 3
		.amdhsa_dx10_clamp 1
		.amdhsa_ieee_mode 1
		.amdhsa_fp16_overflow 0
		.amdhsa_workgroup_processor_mode 1
		.amdhsa_memory_ordered 1
		.amdhsa_forward_progress 0
		.amdhsa_shared_vgpr_count 0
		.amdhsa_exception_fp_ieee_invalid_op 0
		.amdhsa_exception_fp_denorm_src 0
		.amdhsa_exception_fp_ieee_div_zero 0
		.amdhsa_exception_fp_ieee_overflow 0
		.amdhsa_exception_fp_ieee_underflow 0
		.amdhsa_exception_fp_ieee_inexact 0
		.amdhsa_exception_int_div_zero 0
	.end_amdhsa_kernel
	.section	.text._ZN12_GLOBAL__N_121softmax_warp_backwardIfffLi1ELb0ELb1ELi64EEEvPT0_PKT_S5_iiiPKb,"axG",@progbits,_ZN12_GLOBAL__N_121softmax_warp_backwardIfffLi1ELb0ELb1ELi64EEEvPT0_PKT_S5_iiiPKb,comdat
.Lfunc_end792:
	.size	_ZN12_GLOBAL__N_121softmax_warp_backwardIfffLi1ELb0ELb1ELi64EEEvPT0_PKT_S5_iiiPKb, .Lfunc_end792-_ZN12_GLOBAL__N_121softmax_warp_backwardIfffLi1ELb0ELb1ELi64EEEvPT0_PKT_S5_iiiPKb
                                        ; -- End function
	.section	.AMDGPU.csdata,"",@progbits
; Kernel info:
; codeLenInByte = 684
; NumSgprs: 18
; NumVgprs: 13
; ScratchSize: 0
; MemoryBound: 0
; FloatMode: 240
; IeeeMode: 1
; LDSByteSize: 0 bytes/workgroup (compile time only)
; SGPRBlocks: 2
; VGPRBlocks: 1
; NumSGPRsForWavesPerEU: 18
; NumVGPRsForWavesPerEU: 13
; Occupancy: 16
; WaveLimiterHint : 0
; COMPUTE_PGM_RSRC2:SCRATCH_EN: 0
; COMPUTE_PGM_RSRC2:USER_SGPR: 15
; COMPUTE_PGM_RSRC2:TRAP_HANDLER: 0
; COMPUTE_PGM_RSRC2:TGID_X_EN: 1
; COMPUTE_PGM_RSRC2:TGID_Y_EN: 0
; COMPUTE_PGM_RSRC2:TGID_Z_EN: 0
; COMPUTE_PGM_RSRC2:TIDIG_COMP_CNT: 1
	.section	.text._ZN12_GLOBAL__N_121softmax_warp_backwardIfffLi1ELb0ELb1ELi32EEEvPT0_PKT_S5_iiiPKb,"axG",@progbits,_ZN12_GLOBAL__N_121softmax_warp_backwardIfffLi1ELb0ELb1ELi32EEEvPT0_PKT_S5_iiiPKb,comdat
	.globl	_ZN12_GLOBAL__N_121softmax_warp_backwardIfffLi1ELb0ELb1ELi32EEEvPT0_PKT_S5_iiiPKb ; -- Begin function _ZN12_GLOBAL__N_121softmax_warp_backwardIfffLi1ELb0ELb1ELi32EEEvPT0_PKT_S5_iiiPKb
	.p2align	8
	.type	_ZN12_GLOBAL__N_121softmax_warp_backwardIfffLi1ELb0ELb1ELi32EEEvPT0_PKT_S5_iiiPKb,@function
_ZN12_GLOBAL__N_121softmax_warp_backwardIfffLi1ELb0ELb1ELi32EEEvPT0_PKT_S5_iiiPKb: ; @_ZN12_GLOBAL__N_121softmax_warp_backwardIfffLi1ELb0ELb1ELi32EEEvPT0_PKT_S5_iiiPKb
; %bb.0:
	s_clause 0x1
	s_load_b32 s2, s[0:1], 0x3c
	s_load_b128 s[4:7], s[0:1], 0x18
	v_bfe_u32 v1, v0, 10, 10
	v_dual_mov_b32 v9, 0 :: v_dual_and_b32 v4, 1, v0
	s_clause 0x1
	s_load_b128 s[8:11], s[0:1], 0x0
	s_load_b64 s[12:13], s[0:1], 0x10
	v_dual_mov_b32 v10, 0 :: v_dual_mov_b32 v11, 0
	s_waitcnt lgkmcnt(0)
	s_lshr_b32 s2, s2, 16
	v_cmp_gt_i32_e32 vcc_lo, s6, v4
	s_mul_i32 s15, s15, s2
	s_delay_alu instid0(SALU_CYCLE_1) | instskip(NEXT) | instid1(VALU_DEP_1)
	v_add_lshl_u32 v1, s15, v1, 1
	v_mul_lo_u32 v2, v1, s5
	v_sub_nc_u32_e32 v8, s4, v1
	s_delay_alu instid0(VALU_DEP_1) | instskip(NEXT) | instid1(VALU_DEP_3)
	v_cmp_lt_i32_e64 s2, 0, v8
	v_or_b32_e32 v2, v2, v4
	s_delay_alu instid0(VALU_DEP_2) | instskip(NEXT) | instid1(VALU_DEP_1)
	s_and_b32 s4, vcc_lo, s2
	v_ashrrev_i32_e32 v3, 31, v2
	s_delay_alu instid0(VALU_DEP_1) | instskip(NEXT) | instid1(VALU_DEP_1)
	v_lshlrev_b64 v[0:1], 2, v[2:3]
	v_add_co_u32 v6, s3, s10, v0
	s_delay_alu instid0(VALU_DEP_1) | instskip(SKIP_1) | instid1(VALU_DEP_1)
	v_add_co_ci_u32_e64 v7, s3, s11, v1, s3
	v_add_co_u32 v4, s3, s12, v0
	v_add_co_ci_u32_e64 v5, s3, s13, v1, s3
	s_and_saveexec_b32 s3, s4
	s_cbranch_execz .LBB793_2
; %bb.1:
	global_load_b32 v10, v[6:7], off
	global_load_b32 v11, v[4:5], off
.LBB793_2:
	s_or_b32 exec_lo, exec_lo, s3
	v_cmp_lt_i32_e64 s3, 1, v8
	v_mov_b32_e32 v12, 0
	s_mov_b32 s7, 0
	s_delay_alu instid0(VALU_DEP_2) | instskip(NEXT) | instid1(SALU_CYCLE_1)
	s_and_b32 s3, vcc_lo, s3
	s_and_saveexec_b32 s4, s3
	s_cbranch_execz .LBB793_4
; %bb.3:
	s_lshl_b64 s[10:11], s[6:7], 2
	s_delay_alu instid0(SALU_CYCLE_1) | instskip(NEXT) | instid1(VALU_DEP_1)
	v_add_co_u32 v6, s3, v6, s10
	v_add_co_ci_u32_e64 v7, s3, s11, v7, s3
	v_add_co_u32 v4, s3, v4, s10
	s_delay_alu instid0(VALU_DEP_1)
	v_add_co_ci_u32_e64 v5, s3, s11, v5, s3
	global_load_b32 v9, v[6:7], off
	global_load_b32 v12, v[4:5], off
.LBB793_4:
	s_or_b32 exec_lo, exec_lo, s4
	s_load_b64 s[0:1], s[0:1], 0x28
	s_waitcnt lgkmcnt(0)
	v_add_co_u32 v2, s0, s0, v2
	s_delay_alu instid0(VALU_DEP_1) | instskip(SKIP_1) | instid1(VALU_DEP_2)
	v_add_co_ci_u32_e64 v3, s0, s1, v3, s0
	s_ashr_i32 s1, s6, 31
	v_add_co_u32 v4, s0, v2, s6
	s_delay_alu instid0(VALU_DEP_1) | instskip(SKIP_4) | instid1(VALU_DEP_1)
	v_add_co_ci_u32_e64 v5, s0, s1, v3, s0
	s_clause 0x1
	global_load_u8 v2, v[2:3], off
	global_load_u8 v3, v[4:5], off
	v_mbcnt_lo_u32_b32 v4, -1, 0
	v_and_b32_e32 v5, 30, v4
	v_xor_b32_e32 v6, 1, v4
	s_delay_alu instid0(VALU_DEP_2) | instskip(NEXT) | instid1(VALU_DEP_1)
	v_add_nc_u32_e32 v5, 2, v5
	v_cmp_lt_i32_e64 s0, v6, v5
	s_waitcnt vmcnt(3)
	v_add_f32_e32 v5, 0, v10
	s_delay_alu instid0(VALU_DEP_2) | instskip(NEXT) | instid1(VALU_DEP_1)
	v_cndmask_b32_e64 v4, v4, v6, s0
	v_dual_add_f32 v6, 0, v9 :: v_dual_lshlrev_b32 v7, 2, v4
	s_waitcnt vmcnt(1)
	v_and_b32_e32 v2, 1, v2
	s_waitcnt vmcnt(0)
	v_and_b32_e32 v3, 1, v3
	s_delay_alu instid0(VALU_DEP_2) | instskip(NEXT) | instid1(VALU_DEP_2)
	v_cmp_eq_u32_e64 s1, 1, v2
	v_cmp_eq_u32_e64 s0, 1, v3
	s_delay_alu instid0(VALU_DEP_2) | instskip(NEXT) | instid1(VALU_DEP_2)
	v_cndmask_b32_e64 v4, v5, 0, s1
	v_cndmask_b32_e64 v2, v6, 0, s0
	ds_bpermute_b32 v5, v7, v4
	ds_bpermute_b32 v3, v7, v2
	s_and_saveexec_b32 s3, s2
	s_cbranch_execz .LBB793_10
; %bb.5:
	v_add_co_u32 v0, s2, s8, v0
	s_delay_alu instid0(VALU_DEP_1)
	v_add_co_ci_u32_e64 v1, s2, s9, v1, s2
	s_and_saveexec_b32 s2, vcc_lo
	s_cbranch_execz .LBB793_7
; %bb.6:
	s_waitcnt lgkmcnt(1)
	v_add_f32_e32 v4, v4, v5
	s_delay_alu instid0(VALU_DEP_1) | instskip(NEXT) | instid1(VALU_DEP_1)
	v_fma_f32 v4, -v4, v11, v10
	v_cndmask_b32_e64 v4, v4, 0, s1
	global_store_b32 v[0:1], v4, off
.LBB793_7:
	s_or_b32 exec_lo, exec_lo, s2
	v_cmp_ne_u32_e64 s1, 1, v8
	s_delay_alu instid0(VALU_DEP_1)
	s_and_b32 exec_lo, exec_lo, s1
	s_cbranch_execz .LBB793_10
; %bb.8:
	s_and_b32 exec_lo, exec_lo, vcc_lo
	s_cbranch_execz .LBB793_10
; %bb.9:
	s_waitcnt lgkmcnt(0)
	v_add_f32_e32 v2, v2, v3
	s_lshl_b64 s[2:3], s[6:7], 2
	s_delay_alu instid0(SALU_CYCLE_1) | instskip(NEXT) | instid1(VALU_DEP_2)
	v_add_co_u32 v0, vcc_lo, v0, s2
	v_fma_f32 v2, -v2, v12, v9
	v_add_co_ci_u32_e32 v1, vcc_lo, s3, v1, vcc_lo
	s_delay_alu instid0(VALU_DEP_2)
	v_cndmask_b32_e64 v2, v2, 0, s0
	global_store_b32 v[0:1], v2, off
.LBB793_10:
	s_nop 0
	s_sendmsg sendmsg(MSG_DEALLOC_VGPRS)
	s_endpgm
	.section	.rodata,"a",@progbits
	.p2align	6, 0x0
	.amdhsa_kernel _ZN12_GLOBAL__N_121softmax_warp_backwardIfffLi1ELb0ELb1ELi32EEEvPT0_PKT_S5_iiiPKb
		.amdhsa_group_segment_fixed_size 0
		.amdhsa_private_segment_fixed_size 0
		.amdhsa_kernarg_size 304
		.amdhsa_user_sgpr_count 15
		.amdhsa_user_sgpr_dispatch_ptr 0
		.amdhsa_user_sgpr_queue_ptr 0
		.amdhsa_user_sgpr_kernarg_segment_ptr 1
		.amdhsa_user_sgpr_dispatch_id 0
		.amdhsa_user_sgpr_private_segment_size 0
		.amdhsa_wavefront_size32 1
		.amdhsa_uses_dynamic_stack 0
		.amdhsa_enable_private_segment 0
		.amdhsa_system_sgpr_workgroup_id_x 1
		.amdhsa_system_sgpr_workgroup_id_y 0
		.amdhsa_system_sgpr_workgroup_id_z 0
		.amdhsa_system_sgpr_workgroup_info 0
		.amdhsa_system_vgpr_workitem_id 1
		.amdhsa_next_free_vgpr 13
		.amdhsa_next_free_sgpr 16
		.amdhsa_reserve_vcc 1
		.amdhsa_float_round_mode_32 0
		.amdhsa_float_round_mode_16_64 0
		.amdhsa_float_denorm_mode_32 3
		.amdhsa_float_denorm_mode_16_64 3
		.amdhsa_dx10_clamp 1
		.amdhsa_ieee_mode 1
		.amdhsa_fp16_overflow 0
		.amdhsa_workgroup_processor_mode 1
		.amdhsa_memory_ordered 1
		.amdhsa_forward_progress 0
		.amdhsa_shared_vgpr_count 0
		.amdhsa_exception_fp_ieee_invalid_op 0
		.amdhsa_exception_fp_denorm_src 0
		.amdhsa_exception_fp_ieee_div_zero 0
		.amdhsa_exception_fp_ieee_overflow 0
		.amdhsa_exception_fp_ieee_underflow 0
		.amdhsa_exception_fp_ieee_inexact 0
		.amdhsa_exception_int_div_zero 0
	.end_amdhsa_kernel
	.section	.text._ZN12_GLOBAL__N_121softmax_warp_backwardIfffLi1ELb0ELb1ELi32EEEvPT0_PKT_S5_iiiPKb,"axG",@progbits,_ZN12_GLOBAL__N_121softmax_warp_backwardIfffLi1ELb0ELb1ELi32EEEvPT0_PKT_S5_iiiPKb,comdat
.Lfunc_end793:
	.size	_ZN12_GLOBAL__N_121softmax_warp_backwardIfffLi1ELb0ELb1ELi32EEEvPT0_PKT_S5_iiiPKb, .Lfunc_end793-_ZN12_GLOBAL__N_121softmax_warp_backwardIfffLi1ELb0ELb1ELi32EEEvPT0_PKT_S5_iiiPKb
                                        ; -- End function
	.section	.AMDGPU.csdata,"",@progbits
; Kernel info:
; codeLenInByte = 684
; NumSgprs: 18
; NumVgprs: 13
; ScratchSize: 0
; MemoryBound: 0
; FloatMode: 240
; IeeeMode: 1
; LDSByteSize: 0 bytes/workgroup (compile time only)
; SGPRBlocks: 2
; VGPRBlocks: 1
; NumSGPRsForWavesPerEU: 18
; NumVGPRsForWavesPerEU: 13
; Occupancy: 16
; WaveLimiterHint : 0
; COMPUTE_PGM_RSRC2:SCRATCH_EN: 0
; COMPUTE_PGM_RSRC2:USER_SGPR: 15
; COMPUTE_PGM_RSRC2:TRAP_HANDLER: 0
; COMPUTE_PGM_RSRC2:TGID_X_EN: 1
; COMPUTE_PGM_RSRC2:TGID_Y_EN: 0
; COMPUTE_PGM_RSRC2:TGID_Z_EN: 0
; COMPUTE_PGM_RSRC2:TIDIG_COMP_CNT: 1
	.section	.text._ZN12_GLOBAL__N_121softmax_warp_backwardIfffLi2ELb0ELb1ELi64EEEvPT0_PKT_S5_iiiPKb,"axG",@progbits,_ZN12_GLOBAL__N_121softmax_warp_backwardIfffLi2ELb0ELb1ELi64EEEvPT0_PKT_S5_iiiPKb,comdat
	.globl	_ZN12_GLOBAL__N_121softmax_warp_backwardIfffLi2ELb0ELb1ELi64EEEvPT0_PKT_S5_iiiPKb ; -- Begin function _ZN12_GLOBAL__N_121softmax_warp_backwardIfffLi2ELb0ELb1ELi64EEEvPT0_PKT_S5_iiiPKb
	.p2align	8
	.type	_ZN12_GLOBAL__N_121softmax_warp_backwardIfffLi2ELb0ELb1ELi64EEEvPT0_PKT_S5_iiiPKb,@function
_ZN12_GLOBAL__N_121softmax_warp_backwardIfffLi2ELb0ELb1ELi64EEEvPT0_PKT_S5_iiiPKb: ; @_ZN12_GLOBAL__N_121softmax_warp_backwardIfffLi2ELb0ELb1ELi64EEEvPT0_PKT_S5_iiiPKb
; %bb.0:
	s_clause 0x1
	s_load_b32 s2, s[0:1], 0x3c
	s_load_b128 s[4:7], s[0:1], 0x18
	v_bfe_u32 v1, v0, 10, 10
	v_dual_mov_b32 v9, 0 :: v_dual_and_b32 v4, 3, v0
	s_clause 0x1
	s_load_b128 s[8:11], s[0:1], 0x0
	s_load_b64 s[12:13], s[0:1], 0x10
	v_dual_mov_b32 v10, 0 :: v_dual_mov_b32 v11, 0
	s_waitcnt lgkmcnt(0)
	s_lshr_b32 s2, s2, 16
	v_cmp_gt_i32_e32 vcc_lo, s6, v4
	s_mul_i32 s15, s15, s2
	s_delay_alu instid0(SALU_CYCLE_1) | instskip(NEXT) | instid1(VALU_DEP_1)
	v_add_lshl_u32 v0, s15, v1, 1
	v_mad_u64_u32 v[2:3], null, v0, s5, v[4:5]
	v_sub_nc_u32_e32 v8, s4, v0
	s_delay_alu instid0(VALU_DEP_1) | instskip(NEXT) | instid1(VALU_DEP_3)
	v_cmp_lt_i32_e64 s2, 0, v8
	v_ashrrev_i32_e32 v3, 31, v2
	s_delay_alu instid0(VALU_DEP_2) | instskip(NEXT) | instid1(VALU_DEP_1)
	s_and_b32 s4, vcc_lo, s2
	v_lshlrev_b64 v[0:1], 2, v[2:3]
	s_delay_alu instid0(VALU_DEP_1) | instskip(NEXT) | instid1(VALU_DEP_1)
	v_add_co_u32 v6, s3, s10, v0
	v_add_co_ci_u32_e64 v7, s3, s11, v1, s3
	v_add_co_u32 v4, s3, s12, v0
	s_delay_alu instid0(VALU_DEP_1)
	v_add_co_ci_u32_e64 v5, s3, s13, v1, s3
	s_and_saveexec_b32 s3, s4
	s_cbranch_execz .LBB794_2
; %bb.1:
	global_load_b32 v10, v[6:7], off
	global_load_b32 v11, v[4:5], off
.LBB794_2:
	s_or_b32 exec_lo, exec_lo, s3
	v_cmp_lt_i32_e64 s3, 1, v8
	v_mov_b32_e32 v12, 0
	s_mov_b32 s7, 0
	s_delay_alu instid0(VALU_DEP_2) | instskip(NEXT) | instid1(SALU_CYCLE_1)
	s_and_b32 s3, vcc_lo, s3
	s_and_saveexec_b32 s4, s3
	s_cbranch_execz .LBB794_4
; %bb.3:
	s_lshl_b64 s[10:11], s[6:7], 2
	s_delay_alu instid0(SALU_CYCLE_1) | instskip(NEXT) | instid1(VALU_DEP_1)
	v_add_co_u32 v6, s3, v6, s10
	v_add_co_ci_u32_e64 v7, s3, s11, v7, s3
	v_add_co_u32 v4, s3, v4, s10
	s_delay_alu instid0(VALU_DEP_1)
	v_add_co_ci_u32_e64 v5, s3, s11, v5, s3
	global_load_b32 v9, v[6:7], off
	global_load_b32 v12, v[4:5], off
.LBB794_4:
	s_or_b32 exec_lo, exec_lo, s4
	s_load_b64 s[0:1], s[0:1], 0x28
	s_waitcnt vmcnt(1)
	v_add_f32_e32 v7, 0, v10
	v_add_f32_e32 v13, 0, v9
	s_waitcnt lgkmcnt(0)
	v_add_co_u32 v2, s0, s0, v2
	s_delay_alu instid0(VALU_DEP_1) | instskip(SKIP_1) | instid1(VALU_DEP_2)
	v_add_co_ci_u32_e64 v3, s0, s1, v3, s0
	s_ashr_i32 s1, s6, 31
	v_add_co_u32 v4, s0, v2, s6
	s_delay_alu instid0(VALU_DEP_1) | instskip(SKIP_4) | instid1(VALU_DEP_1)
	v_add_co_ci_u32_e64 v5, s0, s1, v3, s0
	s_clause 0x1
	global_load_u8 v2, v[2:3], off
	global_load_u8 v3, v[4:5], off
	v_mbcnt_lo_u32_b32 v4, -1, 0
	v_xor_b32_e32 v6, 2, v4
	s_waitcnt vmcnt(1)
	v_and_b32_e32 v2, 1, v2
	s_waitcnt vmcnt(0)
	v_and_b32_e32 v3, 1, v3
	s_delay_alu instid0(VALU_DEP_2) | instskip(NEXT) | instid1(VALU_DEP_1)
	v_cmp_eq_u32_e64 s1, 1, v2
	v_cndmask_b32_e64 v2, v7, 0, s1
	v_and_b32_e32 v5, 28, v4
	s_delay_alu instid0(VALU_DEP_1) | instskip(NEXT) | instid1(VALU_DEP_1)
	v_add_nc_u32_e32 v5, 4, v5
	v_cmp_lt_i32_e64 s0, v6, v5
	s_delay_alu instid0(VALU_DEP_1) | instskip(SKIP_1) | instid1(VALU_DEP_2)
	v_cndmask_b32_e64 v6, v4, v6, s0
	v_cmp_eq_u32_e64 s0, 1, v3
	v_lshlrev_b32_e32 v6, 2, v6
	s_delay_alu instid0(VALU_DEP_2) | instskip(SKIP_4) | instid1(VALU_DEP_1)
	v_cndmask_b32_e64 v3, v13, 0, s0
	v_xor_b32_e32 v13, 1, v4
	ds_bpermute_b32 v7, v6, v2
	ds_bpermute_b32 v6, v6, v3
	v_cmp_lt_i32_e64 s3, v13, v5
	v_cndmask_b32_e64 v5, v4, v13, s3
	s_waitcnt lgkmcnt(1)
	v_add_f32_e32 v4, v2, v7
	s_waitcnt lgkmcnt(0)
	s_delay_alu instid0(VALU_DEP_2)
	v_dual_add_f32 v2, v3, v6 :: v_dual_lshlrev_b32 v7, 2, v5
	ds_bpermute_b32 v5, v7, v4
	ds_bpermute_b32 v3, v7, v2
	s_and_saveexec_b32 s3, s2
	s_cbranch_execz .LBB794_10
; %bb.5:
	v_add_co_u32 v0, s2, s8, v0
	s_delay_alu instid0(VALU_DEP_1)
	v_add_co_ci_u32_e64 v1, s2, s9, v1, s2
	s_and_saveexec_b32 s2, vcc_lo
	s_cbranch_execz .LBB794_7
; %bb.6:
	s_waitcnt lgkmcnt(1)
	v_add_f32_e32 v4, v4, v5
	s_delay_alu instid0(VALU_DEP_1) | instskip(NEXT) | instid1(VALU_DEP_1)
	v_fma_f32 v4, -v4, v11, v10
	v_cndmask_b32_e64 v4, v4, 0, s1
	global_store_b32 v[0:1], v4, off
.LBB794_7:
	s_or_b32 exec_lo, exec_lo, s2
	v_cmp_ne_u32_e64 s1, 1, v8
	s_delay_alu instid0(VALU_DEP_1)
	s_and_b32 exec_lo, exec_lo, s1
	s_cbranch_execz .LBB794_10
; %bb.8:
	s_and_b32 exec_lo, exec_lo, vcc_lo
	s_cbranch_execz .LBB794_10
; %bb.9:
	s_waitcnt lgkmcnt(0)
	v_add_f32_e32 v2, v2, v3
	s_lshl_b64 s[2:3], s[6:7], 2
	s_delay_alu instid0(SALU_CYCLE_1) | instskip(NEXT) | instid1(VALU_DEP_2)
	v_add_co_u32 v0, vcc_lo, v0, s2
	v_fma_f32 v2, -v2, v12, v9
	v_add_co_ci_u32_e32 v1, vcc_lo, s3, v1, vcc_lo
	s_delay_alu instid0(VALU_DEP_2)
	v_cndmask_b32_e64 v2, v2, 0, s0
	global_store_b32 v[0:1], v2, off
.LBB794_10:
	s_nop 0
	s_sendmsg sendmsg(MSG_DEALLOC_VGPRS)
	s_endpgm
	.section	.rodata,"a",@progbits
	.p2align	6, 0x0
	.amdhsa_kernel _ZN12_GLOBAL__N_121softmax_warp_backwardIfffLi2ELb0ELb1ELi64EEEvPT0_PKT_S5_iiiPKb
		.amdhsa_group_segment_fixed_size 0
		.amdhsa_private_segment_fixed_size 0
		.amdhsa_kernarg_size 304
		.amdhsa_user_sgpr_count 15
		.amdhsa_user_sgpr_dispatch_ptr 0
		.amdhsa_user_sgpr_queue_ptr 0
		.amdhsa_user_sgpr_kernarg_segment_ptr 1
		.amdhsa_user_sgpr_dispatch_id 0
		.amdhsa_user_sgpr_private_segment_size 0
		.amdhsa_wavefront_size32 1
		.amdhsa_uses_dynamic_stack 0
		.amdhsa_enable_private_segment 0
		.amdhsa_system_sgpr_workgroup_id_x 1
		.amdhsa_system_sgpr_workgroup_id_y 0
		.amdhsa_system_sgpr_workgroup_id_z 0
		.amdhsa_system_sgpr_workgroup_info 0
		.amdhsa_system_vgpr_workitem_id 1
		.amdhsa_next_free_vgpr 14
		.amdhsa_next_free_sgpr 16
		.amdhsa_reserve_vcc 1
		.amdhsa_float_round_mode_32 0
		.amdhsa_float_round_mode_16_64 0
		.amdhsa_float_denorm_mode_32 3
		.amdhsa_float_denorm_mode_16_64 3
		.amdhsa_dx10_clamp 1
		.amdhsa_ieee_mode 1
		.amdhsa_fp16_overflow 0
		.amdhsa_workgroup_processor_mode 1
		.amdhsa_memory_ordered 1
		.amdhsa_forward_progress 0
		.amdhsa_shared_vgpr_count 0
		.amdhsa_exception_fp_ieee_invalid_op 0
		.amdhsa_exception_fp_denorm_src 0
		.amdhsa_exception_fp_ieee_div_zero 0
		.amdhsa_exception_fp_ieee_overflow 0
		.amdhsa_exception_fp_ieee_underflow 0
		.amdhsa_exception_fp_ieee_inexact 0
		.amdhsa_exception_int_div_zero 0
	.end_amdhsa_kernel
	.section	.text._ZN12_GLOBAL__N_121softmax_warp_backwardIfffLi2ELb0ELb1ELi64EEEvPT0_PKT_S5_iiiPKb,"axG",@progbits,_ZN12_GLOBAL__N_121softmax_warp_backwardIfffLi2ELb0ELb1ELi64EEEvPT0_PKT_S5_iiiPKb,comdat
.Lfunc_end794:
	.size	_ZN12_GLOBAL__N_121softmax_warp_backwardIfffLi2ELb0ELb1ELi64EEEvPT0_PKT_S5_iiiPKb, .Lfunc_end794-_ZN12_GLOBAL__N_121softmax_warp_backwardIfffLi2ELb0ELb1ELi64EEEvPT0_PKT_S5_iiiPKb
                                        ; -- End function
	.section	.AMDGPU.csdata,"",@progbits
; Kernel info:
; codeLenInByte = 740
; NumSgprs: 18
; NumVgprs: 14
; ScratchSize: 0
; MemoryBound: 0
; FloatMode: 240
; IeeeMode: 1
; LDSByteSize: 0 bytes/workgroup (compile time only)
; SGPRBlocks: 2
; VGPRBlocks: 1
; NumSGPRsForWavesPerEU: 18
; NumVGPRsForWavesPerEU: 14
; Occupancy: 16
; WaveLimiterHint : 0
; COMPUTE_PGM_RSRC2:SCRATCH_EN: 0
; COMPUTE_PGM_RSRC2:USER_SGPR: 15
; COMPUTE_PGM_RSRC2:TRAP_HANDLER: 0
; COMPUTE_PGM_RSRC2:TGID_X_EN: 1
; COMPUTE_PGM_RSRC2:TGID_Y_EN: 0
; COMPUTE_PGM_RSRC2:TGID_Z_EN: 0
; COMPUTE_PGM_RSRC2:TIDIG_COMP_CNT: 1
	.section	.text._ZN12_GLOBAL__N_121softmax_warp_backwardIfffLi2ELb0ELb1ELi32EEEvPT0_PKT_S5_iiiPKb,"axG",@progbits,_ZN12_GLOBAL__N_121softmax_warp_backwardIfffLi2ELb0ELb1ELi32EEEvPT0_PKT_S5_iiiPKb,comdat
	.globl	_ZN12_GLOBAL__N_121softmax_warp_backwardIfffLi2ELb0ELb1ELi32EEEvPT0_PKT_S5_iiiPKb ; -- Begin function _ZN12_GLOBAL__N_121softmax_warp_backwardIfffLi2ELb0ELb1ELi32EEEvPT0_PKT_S5_iiiPKb
	.p2align	8
	.type	_ZN12_GLOBAL__N_121softmax_warp_backwardIfffLi2ELb0ELb1ELi32EEEvPT0_PKT_S5_iiiPKb,@function
_ZN12_GLOBAL__N_121softmax_warp_backwardIfffLi2ELb0ELb1ELi32EEEvPT0_PKT_S5_iiiPKb: ; @_ZN12_GLOBAL__N_121softmax_warp_backwardIfffLi2ELb0ELb1ELi32EEEvPT0_PKT_S5_iiiPKb
; %bb.0:
	s_clause 0x1
	s_load_b32 s2, s[0:1], 0x3c
	s_load_b128 s[4:7], s[0:1], 0x18
	v_bfe_u32 v1, v0, 10, 10
	v_dual_mov_b32 v9, 0 :: v_dual_and_b32 v4, 3, v0
	s_clause 0x1
	s_load_b128 s[8:11], s[0:1], 0x0
	s_load_b64 s[12:13], s[0:1], 0x10
	v_dual_mov_b32 v10, 0 :: v_dual_mov_b32 v11, 0
	s_waitcnt lgkmcnt(0)
	s_lshr_b32 s2, s2, 16
	v_cmp_gt_i32_e32 vcc_lo, s6, v4
	s_mul_i32 s15, s15, s2
	s_delay_alu instid0(SALU_CYCLE_1) | instskip(NEXT) | instid1(VALU_DEP_1)
	v_add_lshl_u32 v0, s15, v1, 1
	v_mad_u64_u32 v[2:3], null, v0, s5, v[4:5]
	v_sub_nc_u32_e32 v8, s4, v0
	s_delay_alu instid0(VALU_DEP_1) | instskip(NEXT) | instid1(VALU_DEP_3)
	v_cmp_lt_i32_e64 s2, 0, v8
	v_ashrrev_i32_e32 v3, 31, v2
	s_delay_alu instid0(VALU_DEP_2) | instskip(NEXT) | instid1(VALU_DEP_1)
	s_and_b32 s4, vcc_lo, s2
	v_lshlrev_b64 v[0:1], 2, v[2:3]
	s_delay_alu instid0(VALU_DEP_1) | instskip(NEXT) | instid1(VALU_DEP_1)
	v_add_co_u32 v6, s3, s10, v0
	v_add_co_ci_u32_e64 v7, s3, s11, v1, s3
	v_add_co_u32 v4, s3, s12, v0
	s_delay_alu instid0(VALU_DEP_1)
	v_add_co_ci_u32_e64 v5, s3, s13, v1, s3
	s_and_saveexec_b32 s3, s4
	s_cbranch_execz .LBB795_2
; %bb.1:
	global_load_b32 v10, v[6:7], off
	global_load_b32 v11, v[4:5], off
.LBB795_2:
	s_or_b32 exec_lo, exec_lo, s3
	v_cmp_lt_i32_e64 s3, 1, v8
	v_mov_b32_e32 v12, 0
	s_mov_b32 s7, 0
	s_delay_alu instid0(VALU_DEP_2) | instskip(NEXT) | instid1(SALU_CYCLE_1)
	s_and_b32 s3, vcc_lo, s3
	s_and_saveexec_b32 s4, s3
	s_cbranch_execz .LBB795_4
; %bb.3:
	s_lshl_b64 s[10:11], s[6:7], 2
	s_delay_alu instid0(SALU_CYCLE_1) | instskip(NEXT) | instid1(VALU_DEP_1)
	v_add_co_u32 v6, s3, v6, s10
	v_add_co_ci_u32_e64 v7, s3, s11, v7, s3
	v_add_co_u32 v4, s3, v4, s10
	s_delay_alu instid0(VALU_DEP_1)
	v_add_co_ci_u32_e64 v5, s3, s11, v5, s3
	global_load_b32 v9, v[6:7], off
	global_load_b32 v12, v[4:5], off
.LBB795_4:
	s_or_b32 exec_lo, exec_lo, s4
	s_load_b64 s[0:1], s[0:1], 0x28
	s_waitcnt vmcnt(1)
	v_add_f32_e32 v7, 0, v10
	v_add_f32_e32 v13, 0, v9
	s_waitcnt lgkmcnt(0)
	v_add_co_u32 v2, s0, s0, v2
	s_delay_alu instid0(VALU_DEP_1) | instskip(SKIP_1) | instid1(VALU_DEP_2)
	v_add_co_ci_u32_e64 v3, s0, s1, v3, s0
	s_ashr_i32 s1, s6, 31
	v_add_co_u32 v4, s0, v2, s6
	s_delay_alu instid0(VALU_DEP_1) | instskip(SKIP_4) | instid1(VALU_DEP_1)
	v_add_co_ci_u32_e64 v5, s0, s1, v3, s0
	s_clause 0x1
	global_load_u8 v2, v[2:3], off
	global_load_u8 v3, v[4:5], off
	v_mbcnt_lo_u32_b32 v4, -1, 0
	v_xor_b32_e32 v6, 2, v4
	s_waitcnt vmcnt(1)
	v_and_b32_e32 v2, 1, v2
	s_waitcnt vmcnt(0)
	v_and_b32_e32 v3, 1, v3
	s_delay_alu instid0(VALU_DEP_2) | instskip(NEXT) | instid1(VALU_DEP_1)
	v_cmp_eq_u32_e64 s1, 1, v2
	v_cndmask_b32_e64 v2, v7, 0, s1
	v_and_b32_e32 v5, 28, v4
	s_delay_alu instid0(VALU_DEP_1) | instskip(NEXT) | instid1(VALU_DEP_1)
	v_add_nc_u32_e32 v5, 4, v5
	v_cmp_lt_i32_e64 s0, v6, v5
	s_delay_alu instid0(VALU_DEP_1) | instskip(SKIP_1) | instid1(VALU_DEP_2)
	v_cndmask_b32_e64 v6, v4, v6, s0
	v_cmp_eq_u32_e64 s0, 1, v3
	v_lshlrev_b32_e32 v6, 2, v6
	s_delay_alu instid0(VALU_DEP_2) | instskip(SKIP_4) | instid1(VALU_DEP_1)
	v_cndmask_b32_e64 v3, v13, 0, s0
	v_xor_b32_e32 v13, 1, v4
	ds_bpermute_b32 v7, v6, v2
	ds_bpermute_b32 v6, v6, v3
	v_cmp_lt_i32_e64 s3, v13, v5
	v_cndmask_b32_e64 v5, v4, v13, s3
	s_waitcnt lgkmcnt(1)
	v_add_f32_e32 v4, v2, v7
	s_waitcnt lgkmcnt(0)
	s_delay_alu instid0(VALU_DEP_2)
	v_dual_add_f32 v2, v3, v6 :: v_dual_lshlrev_b32 v7, 2, v5
	ds_bpermute_b32 v5, v7, v4
	ds_bpermute_b32 v3, v7, v2
	s_and_saveexec_b32 s3, s2
	s_cbranch_execz .LBB795_10
; %bb.5:
	v_add_co_u32 v0, s2, s8, v0
	s_delay_alu instid0(VALU_DEP_1)
	v_add_co_ci_u32_e64 v1, s2, s9, v1, s2
	s_and_saveexec_b32 s2, vcc_lo
	s_cbranch_execz .LBB795_7
; %bb.6:
	s_waitcnt lgkmcnt(1)
	v_add_f32_e32 v4, v4, v5
	s_delay_alu instid0(VALU_DEP_1) | instskip(NEXT) | instid1(VALU_DEP_1)
	v_fma_f32 v4, -v4, v11, v10
	v_cndmask_b32_e64 v4, v4, 0, s1
	global_store_b32 v[0:1], v4, off
.LBB795_7:
	s_or_b32 exec_lo, exec_lo, s2
	v_cmp_ne_u32_e64 s1, 1, v8
	s_delay_alu instid0(VALU_DEP_1)
	s_and_b32 exec_lo, exec_lo, s1
	s_cbranch_execz .LBB795_10
; %bb.8:
	s_and_b32 exec_lo, exec_lo, vcc_lo
	s_cbranch_execz .LBB795_10
; %bb.9:
	s_waitcnt lgkmcnt(0)
	v_add_f32_e32 v2, v2, v3
	s_lshl_b64 s[2:3], s[6:7], 2
	s_delay_alu instid0(SALU_CYCLE_1) | instskip(NEXT) | instid1(VALU_DEP_2)
	v_add_co_u32 v0, vcc_lo, v0, s2
	v_fma_f32 v2, -v2, v12, v9
	v_add_co_ci_u32_e32 v1, vcc_lo, s3, v1, vcc_lo
	s_delay_alu instid0(VALU_DEP_2)
	v_cndmask_b32_e64 v2, v2, 0, s0
	global_store_b32 v[0:1], v2, off
.LBB795_10:
	s_nop 0
	s_sendmsg sendmsg(MSG_DEALLOC_VGPRS)
	s_endpgm
	.section	.rodata,"a",@progbits
	.p2align	6, 0x0
	.amdhsa_kernel _ZN12_GLOBAL__N_121softmax_warp_backwardIfffLi2ELb0ELb1ELi32EEEvPT0_PKT_S5_iiiPKb
		.amdhsa_group_segment_fixed_size 0
		.amdhsa_private_segment_fixed_size 0
		.amdhsa_kernarg_size 304
		.amdhsa_user_sgpr_count 15
		.amdhsa_user_sgpr_dispatch_ptr 0
		.amdhsa_user_sgpr_queue_ptr 0
		.amdhsa_user_sgpr_kernarg_segment_ptr 1
		.amdhsa_user_sgpr_dispatch_id 0
		.amdhsa_user_sgpr_private_segment_size 0
		.amdhsa_wavefront_size32 1
		.amdhsa_uses_dynamic_stack 0
		.amdhsa_enable_private_segment 0
		.amdhsa_system_sgpr_workgroup_id_x 1
		.amdhsa_system_sgpr_workgroup_id_y 0
		.amdhsa_system_sgpr_workgroup_id_z 0
		.amdhsa_system_sgpr_workgroup_info 0
		.amdhsa_system_vgpr_workitem_id 1
		.amdhsa_next_free_vgpr 14
		.amdhsa_next_free_sgpr 16
		.amdhsa_reserve_vcc 1
		.amdhsa_float_round_mode_32 0
		.amdhsa_float_round_mode_16_64 0
		.amdhsa_float_denorm_mode_32 3
		.amdhsa_float_denorm_mode_16_64 3
		.amdhsa_dx10_clamp 1
		.amdhsa_ieee_mode 1
		.amdhsa_fp16_overflow 0
		.amdhsa_workgroup_processor_mode 1
		.amdhsa_memory_ordered 1
		.amdhsa_forward_progress 0
		.amdhsa_shared_vgpr_count 0
		.amdhsa_exception_fp_ieee_invalid_op 0
		.amdhsa_exception_fp_denorm_src 0
		.amdhsa_exception_fp_ieee_div_zero 0
		.amdhsa_exception_fp_ieee_overflow 0
		.amdhsa_exception_fp_ieee_underflow 0
		.amdhsa_exception_fp_ieee_inexact 0
		.amdhsa_exception_int_div_zero 0
	.end_amdhsa_kernel
	.section	.text._ZN12_GLOBAL__N_121softmax_warp_backwardIfffLi2ELb0ELb1ELi32EEEvPT0_PKT_S5_iiiPKb,"axG",@progbits,_ZN12_GLOBAL__N_121softmax_warp_backwardIfffLi2ELb0ELb1ELi32EEEvPT0_PKT_S5_iiiPKb,comdat
.Lfunc_end795:
	.size	_ZN12_GLOBAL__N_121softmax_warp_backwardIfffLi2ELb0ELb1ELi32EEEvPT0_PKT_S5_iiiPKb, .Lfunc_end795-_ZN12_GLOBAL__N_121softmax_warp_backwardIfffLi2ELb0ELb1ELi32EEEvPT0_PKT_S5_iiiPKb
                                        ; -- End function
	.section	.AMDGPU.csdata,"",@progbits
; Kernel info:
; codeLenInByte = 740
; NumSgprs: 18
; NumVgprs: 14
; ScratchSize: 0
; MemoryBound: 0
; FloatMode: 240
; IeeeMode: 1
; LDSByteSize: 0 bytes/workgroup (compile time only)
; SGPRBlocks: 2
; VGPRBlocks: 1
; NumSGPRsForWavesPerEU: 18
; NumVGPRsForWavesPerEU: 14
; Occupancy: 16
; WaveLimiterHint : 0
; COMPUTE_PGM_RSRC2:SCRATCH_EN: 0
; COMPUTE_PGM_RSRC2:USER_SGPR: 15
; COMPUTE_PGM_RSRC2:TRAP_HANDLER: 0
; COMPUTE_PGM_RSRC2:TGID_X_EN: 1
; COMPUTE_PGM_RSRC2:TGID_Y_EN: 0
; COMPUTE_PGM_RSRC2:TGID_Z_EN: 0
; COMPUTE_PGM_RSRC2:TIDIG_COMP_CNT: 1
	.section	.text._ZN12_GLOBAL__N_121softmax_warp_backwardIfffLi3ELb0ELb1ELi64EEEvPT0_PKT_S5_iiiPKb,"axG",@progbits,_ZN12_GLOBAL__N_121softmax_warp_backwardIfffLi3ELb0ELb1ELi64EEEvPT0_PKT_S5_iiiPKb,comdat
	.globl	_ZN12_GLOBAL__N_121softmax_warp_backwardIfffLi3ELb0ELb1ELi64EEEvPT0_PKT_S5_iiiPKb ; -- Begin function _ZN12_GLOBAL__N_121softmax_warp_backwardIfffLi3ELb0ELb1ELi64EEEvPT0_PKT_S5_iiiPKb
	.p2align	8
	.type	_ZN12_GLOBAL__N_121softmax_warp_backwardIfffLi3ELb0ELb1ELi64EEEvPT0_PKT_S5_iiiPKb,@function
_ZN12_GLOBAL__N_121softmax_warp_backwardIfffLi3ELb0ELb1ELi64EEEvPT0_PKT_S5_iiiPKb: ; @_ZN12_GLOBAL__N_121softmax_warp_backwardIfffLi3ELb0ELb1ELi64EEEvPT0_PKT_S5_iiiPKb
; %bb.0:
	s_clause 0x1
	s_load_b32 s2, s[0:1], 0x3c
	s_load_b128 s[4:7], s[0:1], 0x18
	v_bfe_u32 v1, v0, 10, 10
	v_dual_mov_b32 v9, 0 :: v_dual_and_b32 v4, 7, v0
	s_clause 0x1
	s_load_b128 s[8:11], s[0:1], 0x0
	s_load_b64 s[12:13], s[0:1], 0x10
	v_dual_mov_b32 v10, 0 :: v_dual_mov_b32 v11, 0
	s_waitcnt lgkmcnt(0)
	s_lshr_b32 s2, s2, 16
	v_cmp_gt_i32_e32 vcc_lo, s6, v4
	s_mul_i32 s15, s15, s2
	s_delay_alu instid0(SALU_CYCLE_1) | instskip(NEXT) | instid1(VALU_DEP_1)
	v_add_lshl_u32 v0, s15, v1, 1
	v_mad_u64_u32 v[2:3], null, v0, s5, v[4:5]
	v_sub_nc_u32_e32 v8, s4, v0
	s_delay_alu instid0(VALU_DEP_1) | instskip(NEXT) | instid1(VALU_DEP_3)
	v_cmp_lt_i32_e64 s2, 0, v8
	v_ashrrev_i32_e32 v3, 31, v2
	s_delay_alu instid0(VALU_DEP_2) | instskip(NEXT) | instid1(VALU_DEP_1)
	s_and_b32 s4, vcc_lo, s2
	v_lshlrev_b64 v[0:1], 2, v[2:3]
	s_delay_alu instid0(VALU_DEP_1) | instskip(NEXT) | instid1(VALU_DEP_1)
	v_add_co_u32 v6, s3, s10, v0
	v_add_co_ci_u32_e64 v7, s3, s11, v1, s3
	v_add_co_u32 v4, s3, s12, v0
	s_delay_alu instid0(VALU_DEP_1)
	v_add_co_ci_u32_e64 v5, s3, s13, v1, s3
	s_and_saveexec_b32 s3, s4
	s_cbranch_execz .LBB796_2
; %bb.1:
	global_load_b32 v10, v[6:7], off
	global_load_b32 v11, v[4:5], off
.LBB796_2:
	s_or_b32 exec_lo, exec_lo, s3
	v_cmp_lt_i32_e64 s3, 1, v8
	v_mov_b32_e32 v12, 0
	s_mov_b32 s7, 0
	s_delay_alu instid0(VALU_DEP_2) | instskip(NEXT) | instid1(SALU_CYCLE_1)
	s_and_b32 s3, vcc_lo, s3
	s_and_saveexec_b32 s4, s3
	s_cbranch_execz .LBB796_4
; %bb.3:
	s_lshl_b64 s[10:11], s[6:7], 2
	s_delay_alu instid0(SALU_CYCLE_1) | instskip(NEXT) | instid1(VALU_DEP_1)
	v_add_co_u32 v6, s3, v6, s10
	v_add_co_ci_u32_e64 v7, s3, s11, v7, s3
	v_add_co_u32 v4, s3, v4, s10
	s_delay_alu instid0(VALU_DEP_1)
	v_add_co_ci_u32_e64 v5, s3, s11, v5, s3
	global_load_b32 v9, v[6:7], off
	global_load_b32 v12, v[4:5], off
.LBB796_4:
	s_or_b32 exec_lo, exec_lo, s4
	s_load_b64 s[0:1], s[0:1], 0x28
	s_waitcnt vmcnt(1)
	v_add_f32_e32 v7, 0, v10
	v_add_f32_e32 v13, 0, v9
	s_waitcnt lgkmcnt(0)
	v_add_co_u32 v2, s0, s0, v2
	s_delay_alu instid0(VALU_DEP_1) | instskip(SKIP_1) | instid1(VALU_DEP_2)
	v_add_co_ci_u32_e64 v3, s0, s1, v3, s0
	s_ashr_i32 s1, s6, 31
	v_add_co_u32 v4, s0, v2, s6
	s_delay_alu instid0(VALU_DEP_1) | instskip(SKIP_4) | instid1(VALU_DEP_1)
	v_add_co_ci_u32_e64 v5, s0, s1, v3, s0
	s_clause 0x1
	global_load_u8 v2, v[2:3], off
	global_load_u8 v3, v[4:5], off
	v_mbcnt_lo_u32_b32 v4, -1, 0
	v_xor_b32_e32 v6, 4, v4
	s_waitcnt vmcnt(1)
	v_and_b32_e32 v2, 1, v2
	s_waitcnt vmcnt(0)
	v_and_b32_e32 v3, 1, v3
	s_delay_alu instid0(VALU_DEP_2) | instskip(NEXT) | instid1(VALU_DEP_1)
	v_cmp_eq_u32_e64 s1, 1, v2
	v_cndmask_b32_e64 v2, v7, 0, s1
	v_and_b32_e32 v5, 24, v4
	s_delay_alu instid0(VALU_DEP_1) | instskip(NEXT) | instid1(VALU_DEP_1)
	v_add_nc_u32_e32 v5, 8, v5
	v_cmp_lt_i32_e64 s0, v6, v5
	s_delay_alu instid0(VALU_DEP_1) | instskip(SKIP_1) | instid1(VALU_DEP_2)
	v_cndmask_b32_e64 v6, v4, v6, s0
	v_cmp_eq_u32_e64 s0, 1, v3
	v_lshlrev_b32_e32 v6, 2, v6
	s_delay_alu instid0(VALU_DEP_2) | instskip(SKIP_4) | instid1(VALU_DEP_1)
	v_cndmask_b32_e64 v3, v13, 0, s0
	v_xor_b32_e32 v13, 2, v4
	ds_bpermute_b32 v7, v6, v2
	ds_bpermute_b32 v6, v6, v3
	v_cmp_lt_i32_e64 s3, v13, v5
	v_cndmask_b32_e64 v13, v4, v13, s3
	s_waitcnt lgkmcnt(1)
	s_delay_alu instid0(VALU_DEP_1)
	v_dual_add_f32 v2, v2, v7 :: v_dual_lshlrev_b32 v7, 2, v13
	s_waitcnt lgkmcnt(0)
	v_add_f32_e32 v3, v3, v6
	v_xor_b32_e32 v13, 1, v4
	ds_bpermute_b32 v6, v7, v2
	ds_bpermute_b32 v7, v7, v3
	v_cmp_lt_i32_e64 s3, v13, v5
	s_delay_alu instid0(VALU_DEP_1) | instskip(SKIP_2) | instid1(VALU_DEP_2)
	v_cndmask_b32_e64 v5, v4, v13, s3
	s_waitcnt lgkmcnt(1)
	v_add_f32_e32 v4, v2, v6
	v_lshlrev_b32_e32 v6, 2, v5
	s_waitcnt lgkmcnt(0)
	v_add_f32_e32 v2, v3, v7
	ds_bpermute_b32 v5, v6, v4
	ds_bpermute_b32 v3, v6, v2
	s_and_saveexec_b32 s3, s2
	s_cbranch_execz .LBB796_10
; %bb.5:
	v_add_co_u32 v0, s2, s8, v0
	s_delay_alu instid0(VALU_DEP_1)
	v_add_co_ci_u32_e64 v1, s2, s9, v1, s2
	s_and_saveexec_b32 s2, vcc_lo
	s_cbranch_execz .LBB796_7
; %bb.6:
	s_waitcnt lgkmcnt(1)
	v_add_f32_e32 v4, v4, v5
	s_delay_alu instid0(VALU_DEP_1) | instskip(NEXT) | instid1(VALU_DEP_1)
	v_fma_f32 v4, -v4, v11, v10
	v_cndmask_b32_e64 v4, v4, 0, s1
	global_store_b32 v[0:1], v4, off
.LBB796_7:
	s_or_b32 exec_lo, exec_lo, s2
	v_cmp_ne_u32_e64 s1, 1, v8
	s_delay_alu instid0(VALU_DEP_1)
	s_and_b32 exec_lo, exec_lo, s1
	s_cbranch_execz .LBB796_10
; %bb.8:
	s_and_b32 exec_lo, exec_lo, vcc_lo
	s_cbranch_execz .LBB796_10
; %bb.9:
	s_waitcnt lgkmcnt(0)
	v_add_f32_e32 v2, v2, v3
	s_lshl_b64 s[2:3], s[6:7], 2
	s_delay_alu instid0(SALU_CYCLE_1) | instskip(NEXT) | instid1(VALU_DEP_2)
	v_add_co_u32 v0, vcc_lo, v0, s2
	v_fma_f32 v2, -v2, v12, v9
	v_add_co_ci_u32_e32 v1, vcc_lo, s3, v1, vcc_lo
	s_delay_alu instid0(VALU_DEP_2)
	v_cndmask_b32_e64 v2, v2, 0, s0
	global_store_b32 v[0:1], v2, off
.LBB796_10:
	s_nop 0
	s_sendmsg sendmsg(MSG_DEALLOC_VGPRS)
	s_endpgm
	.section	.rodata,"a",@progbits
	.p2align	6, 0x0
	.amdhsa_kernel _ZN12_GLOBAL__N_121softmax_warp_backwardIfffLi3ELb0ELb1ELi64EEEvPT0_PKT_S5_iiiPKb
		.amdhsa_group_segment_fixed_size 0
		.amdhsa_private_segment_fixed_size 0
		.amdhsa_kernarg_size 304
		.amdhsa_user_sgpr_count 15
		.amdhsa_user_sgpr_dispatch_ptr 0
		.amdhsa_user_sgpr_queue_ptr 0
		.amdhsa_user_sgpr_kernarg_segment_ptr 1
		.amdhsa_user_sgpr_dispatch_id 0
		.amdhsa_user_sgpr_private_segment_size 0
		.amdhsa_wavefront_size32 1
		.amdhsa_uses_dynamic_stack 0
		.amdhsa_enable_private_segment 0
		.amdhsa_system_sgpr_workgroup_id_x 1
		.amdhsa_system_sgpr_workgroup_id_y 0
		.amdhsa_system_sgpr_workgroup_id_z 0
		.amdhsa_system_sgpr_workgroup_info 0
		.amdhsa_system_vgpr_workitem_id 1
		.amdhsa_next_free_vgpr 14
		.amdhsa_next_free_sgpr 16
		.amdhsa_reserve_vcc 1
		.amdhsa_float_round_mode_32 0
		.amdhsa_float_round_mode_16_64 0
		.amdhsa_float_denorm_mode_32 3
		.amdhsa_float_denorm_mode_16_64 3
		.amdhsa_dx10_clamp 1
		.amdhsa_ieee_mode 1
		.amdhsa_fp16_overflow 0
		.amdhsa_workgroup_processor_mode 1
		.amdhsa_memory_ordered 1
		.amdhsa_forward_progress 0
		.amdhsa_shared_vgpr_count 0
		.amdhsa_exception_fp_ieee_invalid_op 0
		.amdhsa_exception_fp_denorm_src 0
		.amdhsa_exception_fp_ieee_div_zero 0
		.amdhsa_exception_fp_ieee_overflow 0
		.amdhsa_exception_fp_ieee_underflow 0
		.amdhsa_exception_fp_ieee_inexact 0
		.amdhsa_exception_int_div_zero 0
	.end_amdhsa_kernel
	.section	.text._ZN12_GLOBAL__N_121softmax_warp_backwardIfffLi3ELb0ELb1ELi64EEEvPT0_PKT_S5_iiiPKb,"axG",@progbits,_ZN12_GLOBAL__N_121softmax_warp_backwardIfffLi3ELb0ELb1ELi64EEEvPT0_PKT_S5_iiiPKb,comdat
.Lfunc_end796:
	.size	_ZN12_GLOBAL__N_121softmax_warp_backwardIfffLi3ELb0ELb1ELi64EEEvPT0_PKT_S5_iiiPKb, .Lfunc_end796-_ZN12_GLOBAL__N_121softmax_warp_backwardIfffLi3ELb0ELb1ELi64EEEvPT0_PKT_S5_iiiPKb
                                        ; -- End function
	.section	.AMDGPU.csdata,"",@progbits
; Kernel info:
; codeLenInByte = 800
; NumSgprs: 18
; NumVgprs: 14
; ScratchSize: 0
; MemoryBound: 0
; FloatMode: 240
; IeeeMode: 1
; LDSByteSize: 0 bytes/workgroup (compile time only)
; SGPRBlocks: 2
; VGPRBlocks: 1
; NumSGPRsForWavesPerEU: 18
; NumVGPRsForWavesPerEU: 14
; Occupancy: 16
; WaveLimiterHint : 0
; COMPUTE_PGM_RSRC2:SCRATCH_EN: 0
; COMPUTE_PGM_RSRC2:USER_SGPR: 15
; COMPUTE_PGM_RSRC2:TRAP_HANDLER: 0
; COMPUTE_PGM_RSRC2:TGID_X_EN: 1
; COMPUTE_PGM_RSRC2:TGID_Y_EN: 0
; COMPUTE_PGM_RSRC2:TGID_Z_EN: 0
; COMPUTE_PGM_RSRC2:TIDIG_COMP_CNT: 1
	.section	.text._ZN12_GLOBAL__N_121softmax_warp_backwardIfffLi3ELb0ELb1ELi32EEEvPT0_PKT_S5_iiiPKb,"axG",@progbits,_ZN12_GLOBAL__N_121softmax_warp_backwardIfffLi3ELb0ELb1ELi32EEEvPT0_PKT_S5_iiiPKb,comdat
	.globl	_ZN12_GLOBAL__N_121softmax_warp_backwardIfffLi3ELb0ELb1ELi32EEEvPT0_PKT_S5_iiiPKb ; -- Begin function _ZN12_GLOBAL__N_121softmax_warp_backwardIfffLi3ELb0ELb1ELi32EEEvPT0_PKT_S5_iiiPKb
	.p2align	8
	.type	_ZN12_GLOBAL__N_121softmax_warp_backwardIfffLi3ELb0ELb1ELi32EEEvPT0_PKT_S5_iiiPKb,@function
_ZN12_GLOBAL__N_121softmax_warp_backwardIfffLi3ELb0ELb1ELi32EEEvPT0_PKT_S5_iiiPKb: ; @_ZN12_GLOBAL__N_121softmax_warp_backwardIfffLi3ELb0ELb1ELi32EEEvPT0_PKT_S5_iiiPKb
; %bb.0:
	s_clause 0x1
	s_load_b32 s2, s[0:1], 0x3c
	s_load_b128 s[4:7], s[0:1], 0x18
	v_bfe_u32 v1, v0, 10, 10
	v_dual_mov_b32 v9, 0 :: v_dual_and_b32 v4, 7, v0
	s_clause 0x1
	s_load_b128 s[8:11], s[0:1], 0x0
	s_load_b64 s[12:13], s[0:1], 0x10
	v_dual_mov_b32 v10, 0 :: v_dual_mov_b32 v11, 0
	s_waitcnt lgkmcnt(0)
	s_lshr_b32 s2, s2, 16
	v_cmp_gt_i32_e32 vcc_lo, s6, v4
	s_mul_i32 s15, s15, s2
	s_delay_alu instid0(SALU_CYCLE_1) | instskip(NEXT) | instid1(VALU_DEP_1)
	v_add_lshl_u32 v0, s15, v1, 1
	v_mad_u64_u32 v[2:3], null, v0, s5, v[4:5]
	v_sub_nc_u32_e32 v8, s4, v0
	s_delay_alu instid0(VALU_DEP_1) | instskip(NEXT) | instid1(VALU_DEP_3)
	v_cmp_lt_i32_e64 s2, 0, v8
	v_ashrrev_i32_e32 v3, 31, v2
	s_delay_alu instid0(VALU_DEP_2) | instskip(NEXT) | instid1(VALU_DEP_1)
	s_and_b32 s4, vcc_lo, s2
	v_lshlrev_b64 v[0:1], 2, v[2:3]
	s_delay_alu instid0(VALU_DEP_1) | instskip(NEXT) | instid1(VALU_DEP_1)
	v_add_co_u32 v6, s3, s10, v0
	v_add_co_ci_u32_e64 v7, s3, s11, v1, s3
	v_add_co_u32 v4, s3, s12, v0
	s_delay_alu instid0(VALU_DEP_1)
	v_add_co_ci_u32_e64 v5, s3, s13, v1, s3
	s_and_saveexec_b32 s3, s4
	s_cbranch_execz .LBB797_2
; %bb.1:
	global_load_b32 v10, v[6:7], off
	global_load_b32 v11, v[4:5], off
.LBB797_2:
	s_or_b32 exec_lo, exec_lo, s3
	v_cmp_lt_i32_e64 s3, 1, v8
	v_mov_b32_e32 v12, 0
	s_mov_b32 s7, 0
	s_delay_alu instid0(VALU_DEP_2) | instskip(NEXT) | instid1(SALU_CYCLE_1)
	s_and_b32 s3, vcc_lo, s3
	s_and_saveexec_b32 s4, s3
	s_cbranch_execz .LBB797_4
; %bb.3:
	s_lshl_b64 s[10:11], s[6:7], 2
	s_delay_alu instid0(SALU_CYCLE_1) | instskip(NEXT) | instid1(VALU_DEP_1)
	v_add_co_u32 v6, s3, v6, s10
	v_add_co_ci_u32_e64 v7, s3, s11, v7, s3
	v_add_co_u32 v4, s3, v4, s10
	s_delay_alu instid0(VALU_DEP_1)
	v_add_co_ci_u32_e64 v5, s3, s11, v5, s3
	global_load_b32 v9, v[6:7], off
	global_load_b32 v12, v[4:5], off
.LBB797_4:
	s_or_b32 exec_lo, exec_lo, s4
	s_load_b64 s[0:1], s[0:1], 0x28
	s_waitcnt vmcnt(1)
	v_add_f32_e32 v7, 0, v10
	v_add_f32_e32 v13, 0, v9
	s_waitcnt lgkmcnt(0)
	v_add_co_u32 v2, s0, s0, v2
	s_delay_alu instid0(VALU_DEP_1) | instskip(SKIP_1) | instid1(VALU_DEP_2)
	v_add_co_ci_u32_e64 v3, s0, s1, v3, s0
	s_ashr_i32 s1, s6, 31
	v_add_co_u32 v4, s0, v2, s6
	s_delay_alu instid0(VALU_DEP_1) | instskip(SKIP_4) | instid1(VALU_DEP_1)
	v_add_co_ci_u32_e64 v5, s0, s1, v3, s0
	s_clause 0x1
	global_load_u8 v2, v[2:3], off
	global_load_u8 v3, v[4:5], off
	v_mbcnt_lo_u32_b32 v4, -1, 0
	v_xor_b32_e32 v6, 4, v4
	s_waitcnt vmcnt(1)
	v_and_b32_e32 v2, 1, v2
	s_waitcnt vmcnt(0)
	v_and_b32_e32 v3, 1, v3
	s_delay_alu instid0(VALU_DEP_2) | instskip(NEXT) | instid1(VALU_DEP_1)
	v_cmp_eq_u32_e64 s1, 1, v2
	v_cndmask_b32_e64 v2, v7, 0, s1
	v_and_b32_e32 v5, 24, v4
	s_delay_alu instid0(VALU_DEP_1) | instskip(NEXT) | instid1(VALU_DEP_1)
	v_add_nc_u32_e32 v5, 8, v5
	v_cmp_lt_i32_e64 s0, v6, v5
	s_delay_alu instid0(VALU_DEP_1) | instskip(SKIP_1) | instid1(VALU_DEP_2)
	v_cndmask_b32_e64 v6, v4, v6, s0
	v_cmp_eq_u32_e64 s0, 1, v3
	v_lshlrev_b32_e32 v6, 2, v6
	s_delay_alu instid0(VALU_DEP_2) | instskip(SKIP_4) | instid1(VALU_DEP_1)
	v_cndmask_b32_e64 v3, v13, 0, s0
	v_xor_b32_e32 v13, 2, v4
	ds_bpermute_b32 v7, v6, v2
	ds_bpermute_b32 v6, v6, v3
	v_cmp_lt_i32_e64 s3, v13, v5
	v_cndmask_b32_e64 v13, v4, v13, s3
	s_waitcnt lgkmcnt(1)
	s_delay_alu instid0(VALU_DEP_1)
	v_dual_add_f32 v2, v2, v7 :: v_dual_lshlrev_b32 v7, 2, v13
	s_waitcnt lgkmcnt(0)
	v_add_f32_e32 v3, v3, v6
	v_xor_b32_e32 v13, 1, v4
	ds_bpermute_b32 v6, v7, v2
	ds_bpermute_b32 v7, v7, v3
	v_cmp_lt_i32_e64 s3, v13, v5
	s_delay_alu instid0(VALU_DEP_1) | instskip(SKIP_2) | instid1(VALU_DEP_2)
	v_cndmask_b32_e64 v5, v4, v13, s3
	s_waitcnt lgkmcnt(1)
	v_add_f32_e32 v4, v2, v6
	v_lshlrev_b32_e32 v6, 2, v5
	s_waitcnt lgkmcnt(0)
	v_add_f32_e32 v2, v3, v7
	ds_bpermute_b32 v5, v6, v4
	ds_bpermute_b32 v3, v6, v2
	s_and_saveexec_b32 s3, s2
	s_cbranch_execz .LBB797_10
; %bb.5:
	v_add_co_u32 v0, s2, s8, v0
	s_delay_alu instid0(VALU_DEP_1)
	v_add_co_ci_u32_e64 v1, s2, s9, v1, s2
	s_and_saveexec_b32 s2, vcc_lo
	s_cbranch_execz .LBB797_7
; %bb.6:
	s_waitcnt lgkmcnt(1)
	v_add_f32_e32 v4, v4, v5
	s_delay_alu instid0(VALU_DEP_1) | instskip(NEXT) | instid1(VALU_DEP_1)
	v_fma_f32 v4, -v4, v11, v10
	v_cndmask_b32_e64 v4, v4, 0, s1
	global_store_b32 v[0:1], v4, off
.LBB797_7:
	s_or_b32 exec_lo, exec_lo, s2
	v_cmp_ne_u32_e64 s1, 1, v8
	s_delay_alu instid0(VALU_DEP_1)
	s_and_b32 exec_lo, exec_lo, s1
	s_cbranch_execz .LBB797_10
; %bb.8:
	s_and_b32 exec_lo, exec_lo, vcc_lo
	s_cbranch_execz .LBB797_10
; %bb.9:
	s_waitcnt lgkmcnt(0)
	v_add_f32_e32 v2, v2, v3
	s_lshl_b64 s[2:3], s[6:7], 2
	s_delay_alu instid0(SALU_CYCLE_1) | instskip(NEXT) | instid1(VALU_DEP_2)
	v_add_co_u32 v0, vcc_lo, v0, s2
	v_fma_f32 v2, -v2, v12, v9
	v_add_co_ci_u32_e32 v1, vcc_lo, s3, v1, vcc_lo
	s_delay_alu instid0(VALU_DEP_2)
	v_cndmask_b32_e64 v2, v2, 0, s0
	global_store_b32 v[0:1], v2, off
.LBB797_10:
	s_nop 0
	s_sendmsg sendmsg(MSG_DEALLOC_VGPRS)
	s_endpgm
	.section	.rodata,"a",@progbits
	.p2align	6, 0x0
	.amdhsa_kernel _ZN12_GLOBAL__N_121softmax_warp_backwardIfffLi3ELb0ELb1ELi32EEEvPT0_PKT_S5_iiiPKb
		.amdhsa_group_segment_fixed_size 0
		.amdhsa_private_segment_fixed_size 0
		.amdhsa_kernarg_size 304
		.amdhsa_user_sgpr_count 15
		.amdhsa_user_sgpr_dispatch_ptr 0
		.amdhsa_user_sgpr_queue_ptr 0
		.amdhsa_user_sgpr_kernarg_segment_ptr 1
		.amdhsa_user_sgpr_dispatch_id 0
		.amdhsa_user_sgpr_private_segment_size 0
		.amdhsa_wavefront_size32 1
		.amdhsa_uses_dynamic_stack 0
		.amdhsa_enable_private_segment 0
		.amdhsa_system_sgpr_workgroup_id_x 1
		.amdhsa_system_sgpr_workgroup_id_y 0
		.amdhsa_system_sgpr_workgroup_id_z 0
		.amdhsa_system_sgpr_workgroup_info 0
		.amdhsa_system_vgpr_workitem_id 1
		.amdhsa_next_free_vgpr 14
		.amdhsa_next_free_sgpr 16
		.amdhsa_reserve_vcc 1
		.amdhsa_float_round_mode_32 0
		.amdhsa_float_round_mode_16_64 0
		.amdhsa_float_denorm_mode_32 3
		.amdhsa_float_denorm_mode_16_64 3
		.amdhsa_dx10_clamp 1
		.amdhsa_ieee_mode 1
		.amdhsa_fp16_overflow 0
		.amdhsa_workgroup_processor_mode 1
		.amdhsa_memory_ordered 1
		.amdhsa_forward_progress 0
		.amdhsa_shared_vgpr_count 0
		.amdhsa_exception_fp_ieee_invalid_op 0
		.amdhsa_exception_fp_denorm_src 0
		.amdhsa_exception_fp_ieee_div_zero 0
		.amdhsa_exception_fp_ieee_overflow 0
		.amdhsa_exception_fp_ieee_underflow 0
		.amdhsa_exception_fp_ieee_inexact 0
		.amdhsa_exception_int_div_zero 0
	.end_amdhsa_kernel
	.section	.text._ZN12_GLOBAL__N_121softmax_warp_backwardIfffLi3ELb0ELb1ELi32EEEvPT0_PKT_S5_iiiPKb,"axG",@progbits,_ZN12_GLOBAL__N_121softmax_warp_backwardIfffLi3ELb0ELb1ELi32EEEvPT0_PKT_S5_iiiPKb,comdat
.Lfunc_end797:
	.size	_ZN12_GLOBAL__N_121softmax_warp_backwardIfffLi3ELb0ELb1ELi32EEEvPT0_PKT_S5_iiiPKb, .Lfunc_end797-_ZN12_GLOBAL__N_121softmax_warp_backwardIfffLi3ELb0ELb1ELi32EEEvPT0_PKT_S5_iiiPKb
                                        ; -- End function
	.section	.AMDGPU.csdata,"",@progbits
; Kernel info:
; codeLenInByte = 800
; NumSgprs: 18
; NumVgprs: 14
; ScratchSize: 0
; MemoryBound: 0
; FloatMode: 240
; IeeeMode: 1
; LDSByteSize: 0 bytes/workgroup (compile time only)
; SGPRBlocks: 2
; VGPRBlocks: 1
; NumSGPRsForWavesPerEU: 18
; NumVGPRsForWavesPerEU: 14
; Occupancy: 16
; WaveLimiterHint : 0
; COMPUTE_PGM_RSRC2:SCRATCH_EN: 0
; COMPUTE_PGM_RSRC2:USER_SGPR: 15
; COMPUTE_PGM_RSRC2:TRAP_HANDLER: 0
; COMPUTE_PGM_RSRC2:TGID_X_EN: 1
; COMPUTE_PGM_RSRC2:TGID_Y_EN: 0
; COMPUTE_PGM_RSRC2:TGID_Z_EN: 0
; COMPUTE_PGM_RSRC2:TIDIG_COMP_CNT: 1
	.section	.text._ZN12_GLOBAL__N_121softmax_warp_backwardIfffLi4ELb0ELb1ELi64EEEvPT0_PKT_S5_iiiPKb,"axG",@progbits,_ZN12_GLOBAL__N_121softmax_warp_backwardIfffLi4ELb0ELb1ELi64EEEvPT0_PKT_S5_iiiPKb,comdat
	.globl	_ZN12_GLOBAL__N_121softmax_warp_backwardIfffLi4ELb0ELb1ELi64EEEvPT0_PKT_S5_iiiPKb ; -- Begin function _ZN12_GLOBAL__N_121softmax_warp_backwardIfffLi4ELb0ELb1ELi64EEEvPT0_PKT_S5_iiiPKb
	.p2align	8
	.type	_ZN12_GLOBAL__N_121softmax_warp_backwardIfffLi4ELb0ELb1ELi64EEEvPT0_PKT_S5_iiiPKb,@function
_ZN12_GLOBAL__N_121softmax_warp_backwardIfffLi4ELb0ELb1ELi64EEEvPT0_PKT_S5_iiiPKb: ; @_ZN12_GLOBAL__N_121softmax_warp_backwardIfffLi4ELb0ELb1ELi64EEEvPT0_PKT_S5_iiiPKb
; %bb.0:
	s_clause 0x1
	s_load_b32 s2, s[0:1], 0x3c
	s_load_b128 s[4:7], s[0:1], 0x18
	v_bfe_u32 v1, v0, 10, 10
	v_dual_mov_b32 v9, 0 :: v_dual_and_b32 v4, 15, v0
	s_clause 0x1
	s_load_b128 s[8:11], s[0:1], 0x0
	s_load_b64 s[12:13], s[0:1], 0x10
	v_dual_mov_b32 v10, 0 :: v_dual_mov_b32 v11, 0
	s_waitcnt lgkmcnt(0)
	s_lshr_b32 s2, s2, 16
	v_cmp_gt_i32_e32 vcc_lo, s6, v4
	s_mul_i32 s15, s15, s2
	s_delay_alu instid0(SALU_CYCLE_1) | instskip(NEXT) | instid1(VALU_DEP_1)
	v_add_lshl_u32 v0, s15, v1, 1
	v_mad_u64_u32 v[2:3], null, v0, s5, v[4:5]
	v_sub_nc_u32_e32 v8, s4, v0
	s_delay_alu instid0(VALU_DEP_1) | instskip(NEXT) | instid1(VALU_DEP_3)
	v_cmp_lt_i32_e64 s2, 0, v8
	v_ashrrev_i32_e32 v3, 31, v2
	s_delay_alu instid0(VALU_DEP_2) | instskip(NEXT) | instid1(VALU_DEP_1)
	s_and_b32 s4, vcc_lo, s2
	v_lshlrev_b64 v[0:1], 2, v[2:3]
	s_delay_alu instid0(VALU_DEP_1) | instskip(NEXT) | instid1(VALU_DEP_1)
	v_add_co_u32 v6, s3, s10, v0
	v_add_co_ci_u32_e64 v7, s3, s11, v1, s3
	v_add_co_u32 v4, s3, s12, v0
	s_delay_alu instid0(VALU_DEP_1)
	v_add_co_ci_u32_e64 v5, s3, s13, v1, s3
	s_and_saveexec_b32 s3, s4
	s_cbranch_execz .LBB798_2
; %bb.1:
	global_load_b32 v10, v[6:7], off
	global_load_b32 v11, v[4:5], off
.LBB798_2:
	s_or_b32 exec_lo, exec_lo, s3
	v_cmp_lt_i32_e64 s3, 1, v8
	v_mov_b32_e32 v12, 0
	s_mov_b32 s7, 0
	s_delay_alu instid0(VALU_DEP_2) | instskip(NEXT) | instid1(SALU_CYCLE_1)
	s_and_b32 s3, vcc_lo, s3
	s_and_saveexec_b32 s4, s3
	s_cbranch_execz .LBB798_4
; %bb.3:
	s_lshl_b64 s[10:11], s[6:7], 2
	s_delay_alu instid0(SALU_CYCLE_1) | instskip(NEXT) | instid1(VALU_DEP_1)
	v_add_co_u32 v6, s3, v6, s10
	v_add_co_ci_u32_e64 v7, s3, s11, v7, s3
	v_add_co_u32 v4, s3, v4, s10
	s_delay_alu instid0(VALU_DEP_1)
	v_add_co_ci_u32_e64 v5, s3, s11, v5, s3
	global_load_b32 v9, v[6:7], off
	global_load_b32 v12, v[4:5], off
.LBB798_4:
	s_or_b32 exec_lo, exec_lo, s4
	s_load_b64 s[0:1], s[0:1], 0x28
	s_waitcnt vmcnt(1)
	v_add_f32_e32 v7, 0, v10
	v_add_f32_e32 v13, 0, v9
	s_waitcnt lgkmcnt(0)
	v_add_co_u32 v2, s0, s0, v2
	s_delay_alu instid0(VALU_DEP_1) | instskip(SKIP_1) | instid1(VALU_DEP_2)
	v_add_co_ci_u32_e64 v3, s0, s1, v3, s0
	s_ashr_i32 s1, s6, 31
	v_add_co_u32 v4, s0, v2, s6
	s_delay_alu instid0(VALU_DEP_1) | instskip(SKIP_4) | instid1(VALU_DEP_1)
	v_add_co_ci_u32_e64 v5, s0, s1, v3, s0
	s_clause 0x1
	global_load_u8 v2, v[2:3], off
	global_load_u8 v3, v[4:5], off
	v_mbcnt_lo_u32_b32 v4, -1, 0
	v_xor_b32_e32 v6, 8, v4
	s_waitcnt vmcnt(1)
	v_and_b32_e32 v2, 1, v2
	s_waitcnt vmcnt(0)
	v_and_b32_e32 v3, 1, v3
	s_delay_alu instid0(VALU_DEP_2) | instskip(NEXT) | instid1(VALU_DEP_1)
	v_cmp_eq_u32_e64 s1, 1, v2
	v_cndmask_b32_e64 v2, v7, 0, s1
	v_and_b32_e32 v5, 16, v4
	s_delay_alu instid0(VALU_DEP_1) | instskip(NEXT) | instid1(VALU_DEP_1)
	v_add_nc_u32_e32 v5, 16, v5
	v_cmp_lt_i32_e64 s0, v6, v5
	s_delay_alu instid0(VALU_DEP_1) | instskip(SKIP_1) | instid1(VALU_DEP_2)
	v_cndmask_b32_e64 v6, v4, v6, s0
	v_cmp_eq_u32_e64 s0, 1, v3
	v_lshlrev_b32_e32 v6, 2, v6
	s_delay_alu instid0(VALU_DEP_2) | instskip(SKIP_4) | instid1(VALU_DEP_1)
	v_cndmask_b32_e64 v3, v13, 0, s0
	v_xor_b32_e32 v13, 4, v4
	ds_bpermute_b32 v7, v6, v2
	ds_bpermute_b32 v6, v6, v3
	v_cmp_lt_i32_e64 s3, v13, v5
	v_cndmask_b32_e64 v13, v4, v13, s3
	s_waitcnt lgkmcnt(1)
	s_delay_alu instid0(VALU_DEP_1)
	v_dual_add_f32 v2, v2, v7 :: v_dual_lshlrev_b32 v7, 2, v13
	s_waitcnt lgkmcnt(0)
	v_add_f32_e32 v3, v3, v6
	v_xor_b32_e32 v13, 2, v4
	ds_bpermute_b32 v6, v7, v2
	ds_bpermute_b32 v7, v7, v3
	s_waitcnt lgkmcnt(1)
	v_add_f32_e32 v2, v2, v6
	v_cmp_lt_i32_e64 s3, v13, v5
	s_waitcnt lgkmcnt(0)
	v_add_f32_e32 v3, v3, v7
	s_delay_alu instid0(VALU_DEP_2) | instskip(NEXT) | instid1(VALU_DEP_1)
	v_cndmask_b32_e64 v13, v4, v13, s3
	v_lshlrev_b32_e32 v6, 2, v13
	v_xor_b32_e32 v13, 1, v4
	ds_bpermute_b32 v7, v6, v2
	ds_bpermute_b32 v6, v6, v3
	v_cmp_lt_i32_e64 s3, v13, v5
	s_delay_alu instid0(VALU_DEP_1) | instskip(SKIP_1) | instid1(VALU_DEP_1)
	v_cndmask_b32_e64 v5, v4, v13, s3
	s_waitcnt lgkmcnt(1)
	v_dual_add_f32 v4, v2, v7 :: v_dual_lshlrev_b32 v7, 2, v5
	s_waitcnt lgkmcnt(0)
	v_add_f32_e32 v2, v3, v6
	ds_bpermute_b32 v5, v7, v4
	ds_bpermute_b32 v3, v7, v2
	s_and_saveexec_b32 s3, s2
	s_cbranch_execz .LBB798_10
; %bb.5:
	v_add_co_u32 v0, s2, s8, v0
	s_delay_alu instid0(VALU_DEP_1)
	v_add_co_ci_u32_e64 v1, s2, s9, v1, s2
	s_and_saveexec_b32 s2, vcc_lo
	s_cbranch_execz .LBB798_7
; %bb.6:
	s_waitcnt lgkmcnt(1)
	v_add_f32_e32 v4, v4, v5
	s_delay_alu instid0(VALU_DEP_1) | instskip(NEXT) | instid1(VALU_DEP_1)
	v_fma_f32 v4, -v4, v11, v10
	v_cndmask_b32_e64 v4, v4, 0, s1
	global_store_b32 v[0:1], v4, off
.LBB798_7:
	s_or_b32 exec_lo, exec_lo, s2
	v_cmp_ne_u32_e64 s1, 1, v8
	s_delay_alu instid0(VALU_DEP_1)
	s_and_b32 exec_lo, exec_lo, s1
	s_cbranch_execz .LBB798_10
; %bb.8:
	s_and_b32 exec_lo, exec_lo, vcc_lo
	s_cbranch_execz .LBB798_10
; %bb.9:
	s_waitcnt lgkmcnt(0)
	v_add_f32_e32 v2, v2, v3
	s_lshl_b64 s[2:3], s[6:7], 2
	s_delay_alu instid0(SALU_CYCLE_1) | instskip(NEXT) | instid1(VALU_DEP_2)
	v_add_co_u32 v0, vcc_lo, v0, s2
	v_fma_f32 v2, -v2, v12, v9
	v_add_co_ci_u32_e32 v1, vcc_lo, s3, v1, vcc_lo
	s_delay_alu instid0(VALU_DEP_2)
	v_cndmask_b32_e64 v2, v2, 0, s0
	global_store_b32 v[0:1], v2, off
.LBB798_10:
	s_nop 0
	s_sendmsg sendmsg(MSG_DEALLOC_VGPRS)
	s_endpgm
	.section	.rodata,"a",@progbits
	.p2align	6, 0x0
	.amdhsa_kernel _ZN12_GLOBAL__N_121softmax_warp_backwardIfffLi4ELb0ELb1ELi64EEEvPT0_PKT_S5_iiiPKb
		.amdhsa_group_segment_fixed_size 0
		.amdhsa_private_segment_fixed_size 0
		.amdhsa_kernarg_size 304
		.amdhsa_user_sgpr_count 15
		.amdhsa_user_sgpr_dispatch_ptr 0
		.amdhsa_user_sgpr_queue_ptr 0
		.amdhsa_user_sgpr_kernarg_segment_ptr 1
		.amdhsa_user_sgpr_dispatch_id 0
		.amdhsa_user_sgpr_private_segment_size 0
		.amdhsa_wavefront_size32 1
		.amdhsa_uses_dynamic_stack 0
		.amdhsa_enable_private_segment 0
		.amdhsa_system_sgpr_workgroup_id_x 1
		.amdhsa_system_sgpr_workgroup_id_y 0
		.amdhsa_system_sgpr_workgroup_id_z 0
		.amdhsa_system_sgpr_workgroup_info 0
		.amdhsa_system_vgpr_workitem_id 1
		.amdhsa_next_free_vgpr 14
		.amdhsa_next_free_sgpr 16
		.amdhsa_reserve_vcc 1
		.amdhsa_float_round_mode_32 0
		.amdhsa_float_round_mode_16_64 0
		.amdhsa_float_denorm_mode_32 3
		.amdhsa_float_denorm_mode_16_64 3
		.amdhsa_dx10_clamp 1
		.amdhsa_ieee_mode 1
		.amdhsa_fp16_overflow 0
		.amdhsa_workgroup_processor_mode 1
		.amdhsa_memory_ordered 1
		.amdhsa_forward_progress 0
		.amdhsa_shared_vgpr_count 0
		.amdhsa_exception_fp_ieee_invalid_op 0
		.amdhsa_exception_fp_denorm_src 0
		.amdhsa_exception_fp_ieee_div_zero 0
		.amdhsa_exception_fp_ieee_overflow 0
		.amdhsa_exception_fp_ieee_underflow 0
		.amdhsa_exception_fp_ieee_inexact 0
		.amdhsa_exception_int_div_zero 0
	.end_amdhsa_kernel
	.section	.text._ZN12_GLOBAL__N_121softmax_warp_backwardIfffLi4ELb0ELb1ELi64EEEvPT0_PKT_S5_iiiPKb,"axG",@progbits,_ZN12_GLOBAL__N_121softmax_warp_backwardIfffLi4ELb0ELb1ELi64EEEvPT0_PKT_S5_iiiPKb,comdat
.Lfunc_end798:
	.size	_ZN12_GLOBAL__N_121softmax_warp_backwardIfffLi4ELb0ELb1ELi64EEEvPT0_PKT_S5_iiiPKb, .Lfunc_end798-_ZN12_GLOBAL__N_121softmax_warp_backwardIfffLi4ELb0ELb1ELi64EEEvPT0_PKT_S5_iiiPKb
                                        ; -- End function
	.section	.AMDGPU.csdata,"",@progbits
; Kernel info:
; codeLenInByte = 860
; NumSgprs: 18
; NumVgprs: 14
; ScratchSize: 0
; MemoryBound: 0
; FloatMode: 240
; IeeeMode: 1
; LDSByteSize: 0 bytes/workgroup (compile time only)
; SGPRBlocks: 2
; VGPRBlocks: 1
; NumSGPRsForWavesPerEU: 18
; NumVGPRsForWavesPerEU: 14
; Occupancy: 16
; WaveLimiterHint : 0
; COMPUTE_PGM_RSRC2:SCRATCH_EN: 0
; COMPUTE_PGM_RSRC2:USER_SGPR: 15
; COMPUTE_PGM_RSRC2:TRAP_HANDLER: 0
; COMPUTE_PGM_RSRC2:TGID_X_EN: 1
; COMPUTE_PGM_RSRC2:TGID_Y_EN: 0
; COMPUTE_PGM_RSRC2:TGID_Z_EN: 0
; COMPUTE_PGM_RSRC2:TIDIG_COMP_CNT: 1
	.section	.text._ZN12_GLOBAL__N_121softmax_warp_backwardIfffLi4ELb0ELb1ELi32EEEvPT0_PKT_S5_iiiPKb,"axG",@progbits,_ZN12_GLOBAL__N_121softmax_warp_backwardIfffLi4ELb0ELb1ELi32EEEvPT0_PKT_S5_iiiPKb,comdat
	.globl	_ZN12_GLOBAL__N_121softmax_warp_backwardIfffLi4ELb0ELb1ELi32EEEvPT0_PKT_S5_iiiPKb ; -- Begin function _ZN12_GLOBAL__N_121softmax_warp_backwardIfffLi4ELb0ELb1ELi32EEEvPT0_PKT_S5_iiiPKb
	.p2align	8
	.type	_ZN12_GLOBAL__N_121softmax_warp_backwardIfffLi4ELb0ELb1ELi32EEEvPT0_PKT_S5_iiiPKb,@function
_ZN12_GLOBAL__N_121softmax_warp_backwardIfffLi4ELb0ELb1ELi32EEEvPT0_PKT_S5_iiiPKb: ; @_ZN12_GLOBAL__N_121softmax_warp_backwardIfffLi4ELb0ELb1ELi32EEEvPT0_PKT_S5_iiiPKb
; %bb.0:
	s_clause 0x1
	s_load_b32 s2, s[0:1], 0x3c
	s_load_b128 s[4:7], s[0:1], 0x18
	v_bfe_u32 v1, v0, 10, 10
	v_dual_mov_b32 v9, 0 :: v_dual_and_b32 v4, 15, v0
	s_clause 0x1
	s_load_b128 s[8:11], s[0:1], 0x0
	s_load_b64 s[12:13], s[0:1], 0x10
	v_dual_mov_b32 v10, 0 :: v_dual_mov_b32 v11, 0
	s_waitcnt lgkmcnt(0)
	s_lshr_b32 s2, s2, 16
	v_cmp_gt_i32_e32 vcc_lo, s6, v4
	s_mul_i32 s15, s15, s2
	s_delay_alu instid0(SALU_CYCLE_1) | instskip(NEXT) | instid1(VALU_DEP_1)
	v_add_lshl_u32 v0, s15, v1, 1
	v_mad_u64_u32 v[2:3], null, v0, s5, v[4:5]
	v_sub_nc_u32_e32 v8, s4, v0
	s_delay_alu instid0(VALU_DEP_1) | instskip(NEXT) | instid1(VALU_DEP_3)
	v_cmp_lt_i32_e64 s2, 0, v8
	v_ashrrev_i32_e32 v3, 31, v2
	s_delay_alu instid0(VALU_DEP_2) | instskip(NEXT) | instid1(VALU_DEP_1)
	s_and_b32 s4, vcc_lo, s2
	v_lshlrev_b64 v[0:1], 2, v[2:3]
	s_delay_alu instid0(VALU_DEP_1) | instskip(NEXT) | instid1(VALU_DEP_1)
	v_add_co_u32 v6, s3, s10, v0
	v_add_co_ci_u32_e64 v7, s3, s11, v1, s3
	v_add_co_u32 v4, s3, s12, v0
	s_delay_alu instid0(VALU_DEP_1)
	v_add_co_ci_u32_e64 v5, s3, s13, v1, s3
	s_and_saveexec_b32 s3, s4
	s_cbranch_execz .LBB799_2
; %bb.1:
	global_load_b32 v10, v[6:7], off
	global_load_b32 v11, v[4:5], off
.LBB799_2:
	s_or_b32 exec_lo, exec_lo, s3
	v_cmp_lt_i32_e64 s3, 1, v8
	v_mov_b32_e32 v12, 0
	s_mov_b32 s7, 0
	s_delay_alu instid0(VALU_DEP_2) | instskip(NEXT) | instid1(SALU_CYCLE_1)
	s_and_b32 s3, vcc_lo, s3
	s_and_saveexec_b32 s4, s3
	s_cbranch_execz .LBB799_4
; %bb.3:
	s_lshl_b64 s[10:11], s[6:7], 2
	s_delay_alu instid0(SALU_CYCLE_1) | instskip(NEXT) | instid1(VALU_DEP_1)
	v_add_co_u32 v6, s3, v6, s10
	v_add_co_ci_u32_e64 v7, s3, s11, v7, s3
	v_add_co_u32 v4, s3, v4, s10
	s_delay_alu instid0(VALU_DEP_1)
	v_add_co_ci_u32_e64 v5, s3, s11, v5, s3
	global_load_b32 v9, v[6:7], off
	global_load_b32 v12, v[4:5], off
.LBB799_4:
	s_or_b32 exec_lo, exec_lo, s4
	s_load_b64 s[0:1], s[0:1], 0x28
	s_waitcnt vmcnt(1)
	v_add_f32_e32 v7, 0, v10
	v_add_f32_e32 v13, 0, v9
	s_waitcnt lgkmcnt(0)
	v_add_co_u32 v2, s0, s0, v2
	s_delay_alu instid0(VALU_DEP_1) | instskip(SKIP_1) | instid1(VALU_DEP_2)
	v_add_co_ci_u32_e64 v3, s0, s1, v3, s0
	s_ashr_i32 s1, s6, 31
	v_add_co_u32 v4, s0, v2, s6
	s_delay_alu instid0(VALU_DEP_1) | instskip(SKIP_4) | instid1(VALU_DEP_1)
	v_add_co_ci_u32_e64 v5, s0, s1, v3, s0
	s_clause 0x1
	global_load_u8 v2, v[2:3], off
	global_load_u8 v3, v[4:5], off
	v_mbcnt_lo_u32_b32 v4, -1, 0
	v_xor_b32_e32 v6, 8, v4
	s_waitcnt vmcnt(1)
	v_and_b32_e32 v2, 1, v2
	s_waitcnt vmcnt(0)
	v_and_b32_e32 v3, 1, v3
	s_delay_alu instid0(VALU_DEP_2) | instskip(NEXT) | instid1(VALU_DEP_1)
	v_cmp_eq_u32_e64 s1, 1, v2
	v_cndmask_b32_e64 v2, v7, 0, s1
	v_and_b32_e32 v5, 16, v4
	s_delay_alu instid0(VALU_DEP_1) | instskip(NEXT) | instid1(VALU_DEP_1)
	v_add_nc_u32_e32 v5, 16, v5
	v_cmp_lt_i32_e64 s0, v6, v5
	s_delay_alu instid0(VALU_DEP_1) | instskip(SKIP_1) | instid1(VALU_DEP_2)
	v_cndmask_b32_e64 v6, v4, v6, s0
	v_cmp_eq_u32_e64 s0, 1, v3
	v_lshlrev_b32_e32 v6, 2, v6
	s_delay_alu instid0(VALU_DEP_2) | instskip(SKIP_4) | instid1(VALU_DEP_1)
	v_cndmask_b32_e64 v3, v13, 0, s0
	v_xor_b32_e32 v13, 4, v4
	ds_bpermute_b32 v7, v6, v2
	ds_bpermute_b32 v6, v6, v3
	v_cmp_lt_i32_e64 s3, v13, v5
	v_cndmask_b32_e64 v13, v4, v13, s3
	s_waitcnt lgkmcnt(1)
	s_delay_alu instid0(VALU_DEP_1)
	v_dual_add_f32 v2, v2, v7 :: v_dual_lshlrev_b32 v7, 2, v13
	s_waitcnt lgkmcnt(0)
	v_add_f32_e32 v3, v3, v6
	v_xor_b32_e32 v13, 2, v4
	ds_bpermute_b32 v6, v7, v2
	ds_bpermute_b32 v7, v7, v3
	s_waitcnt lgkmcnt(1)
	v_add_f32_e32 v2, v2, v6
	v_cmp_lt_i32_e64 s3, v13, v5
	s_waitcnt lgkmcnt(0)
	v_add_f32_e32 v3, v3, v7
	s_delay_alu instid0(VALU_DEP_2) | instskip(NEXT) | instid1(VALU_DEP_1)
	v_cndmask_b32_e64 v13, v4, v13, s3
	v_lshlrev_b32_e32 v6, 2, v13
	v_xor_b32_e32 v13, 1, v4
	ds_bpermute_b32 v7, v6, v2
	ds_bpermute_b32 v6, v6, v3
	v_cmp_lt_i32_e64 s3, v13, v5
	s_delay_alu instid0(VALU_DEP_1) | instskip(SKIP_1) | instid1(VALU_DEP_1)
	v_cndmask_b32_e64 v5, v4, v13, s3
	s_waitcnt lgkmcnt(1)
	v_dual_add_f32 v4, v2, v7 :: v_dual_lshlrev_b32 v7, 2, v5
	s_waitcnt lgkmcnt(0)
	v_add_f32_e32 v2, v3, v6
	ds_bpermute_b32 v5, v7, v4
	ds_bpermute_b32 v3, v7, v2
	s_and_saveexec_b32 s3, s2
	s_cbranch_execz .LBB799_10
; %bb.5:
	v_add_co_u32 v0, s2, s8, v0
	s_delay_alu instid0(VALU_DEP_1)
	v_add_co_ci_u32_e64 v1, s2, s9, v1, s2
	s_and_saveexec_b32 s2, vcc_lo
	s_cbranch_execz .LBB799_7
; %bb.6:
	s_waitcnt lgkmcnt(1)
	v_add_f32_e32 v4, v4, v5
	s_delay_alu instid0(VALU_DEP_1) | instskip(NEXT) | instid1(VALU_DEP_1)
	v_fma_f32 v4, -v4, v11, v10
	v_cndmask_b32_e64 v4, v4, 0, s1
	global_store_b32 v[0:1], v4, off
.LBB799_7:
	s_or_b32 exec_lo, exec_lo, s2
	v_cmp_ne_u32_e64 s1, 1, v8
	s_delay_alu instid0(VALU_DEP_1)
	s_and_b32 exec_lo, exec_lo, s1
	s_cbranch_execz .LBB799_10
; %bb.8:
	s_and_b32 exec_lo, exec_lo, vcc_lo
	s_cbranch_execz .LBB799_10
; %bb.9:
	s_waitcnt lgkmcnt(0)
	v_add_f32_e32 v2, v2, v3
	s_lshl_b64 s[2:3], s[6:7], 2
	s_delay_alu instid0(SALU_CYCLE_1) | instskip(NEXT) | instid1(VALU_DEP_2)
	v_add_co_u32 v0, vcc_lo, v0, s2
	v_fma_f32 v2, -v2, v12, v9
	v_add_co_ci_u32_e32 v1, vcc_lo, s3, v1, vcc_lo
	s_delay_alu instid0(VALU_DEP_2)
	v_cndmask_b32_e64 v2, v2, 0, s0
	global_store_b32 v[0:1], v2, off
.LBB799_10:
	s_nop 0
	s_sendmsg sendmsg(MSG_DEALLOC_VGPRS)
	s_endpgm
	.section	.rodata,"a",@progbits
	.p2align	6, 0x0
	.amdhsa_kernel _ZN12_GLOBAL__N_121softmax_warp_backwardIfffLi4ELb0ELb1ELi32EEEvPT0_PKT_S5_iiiPKb
		.amdhsa_group_segment_fixed_size 0
		.amdhsa_private_segment_fixed_size 0
		.amdhsa_kernarg_size 304
		.amdhsa_user_sgpr_count 15
		.amdhsa_user_sgpr_dispatch_ptr 0
		.amdhsa_user_sgpr_queue_ptr 0
		.amdhsa_user_sgpr_kernarg_segment_ptr 1
		.amdhsa_user_sgpr_dispatch_id 0
		.amdhsa_user_sgpr_private_segment_size 0
		.amdhsa_wavefront_size32 1
		.amdhsa_uses_dynamic_stack 0
		.amdhsa_enable_private_segment 0
		.amdhsa_system_sgpr_workgroup_id_x 1
		.amdhsa_system_sgpr_workgroup_id_y 0
		.amdhsa_system_sgpr_workgroup_id_z 0
		.amdhsa_system_sgpr_workgroup_info 0
		.amdhsa_system_vgpr_workitem_id 1
		.amdhsa_next_free_vgpr 14
		.amdhsa_next_free_sgpr 16
		.amdhsa_reserve_vcc 1
		.amdhsa_float_round_mode_32 0
		.amdhsa_float_round_mode_16_64 0
		.amdhsa_float_denorm_mode_32 3
		.amdhsa_float_denorm_mode_16_64 3
		.amdhsa_dx10_clamp 1
		.amdhsa_ieee_mode 1
		.amdhsa_fp16_overflow 0
		.amdhsa_workgroup_processor_mode 1
		.amdhsa_memory_ordered 1
		.amdhsa_forward_progress 0
		.amdhsa_shared_vgpr_count 0
		.amdhsa_exception_fp_ieee_invalid_op 0
		.amdhsa_exception_fp_denorm_src 0
		.amdhsa_exception_fp_ieee_div_zero 0
		.amdhsa_exception_fp_ieee_overflow 0
		.amdhsa_exception_fp_ieee_underflow 0
		.amdhsa_exception_fp_ieee_inexact 0
		.amdhsa_exception_int_div_zero 0
	.end_amdhsa_kernel
	.section	.text._ZN12_GLOBAL__N_121softmax_warp_backwardIfffLi4ELb0ELb1ELi32EEEvPT0_PKT_S5_iiiPKb,"axG",@progbits,_ZN12_GLOBAL__N_121softmax_warp_backwardIfffLi4ELb0ELb1ELi32EEEvPT0_PKT_S5_iiiPKb,comdat
.Lfunc_end799:
	.size	_ZN12_GLOBAL__N_121softmax_warp_backwardIfffLi4ELb0ELb1ELi32EEEvPT0_PKT_S5_iiiPKb, .Lfunc_end799-_ZN12_GLOBAL__N_121softmax_warp_backwardIfffLi4ELb0ELb1ELi32EEEvPT0_PKT_S5_iiiPKb
                                        ; -- End function
	.section	.AMDGPU.csdata,"",@progbits
; Kernel info:
; codeLenInByte = 860
; NumSgprs: 18
; NumVgprs: 14
; ScratchSize: 0
; MemoryBound: 0
; FloatMode: 240
; IeeeMode: 1
; LDSByteSize: 0 bytes/workgroup (compile time only)
; SGPRBlocks: 2
; VGPRBlocks: 1
; NumSGPRsForWavesPerEU: 18
; NumVGPRsForWavesPerEU: 14
; Occupancy: 16
; WaveLimiterHint : 0
; COMPUTE_PGM_RSRC2:SCRATCH_EN: 0
; COMPUTE_PGM_RSRC2:USER_SGPR: 15
; COMPUTE_PGM_RSRC2:TRAP_HANDLER: 0
; COMPUTE_PGM_RSRC2:TGID_X_EN: 1
; COMPUTE_PGM_RSRC2:TGID_Y_EN: 0
; COMPUTE_PGM_RSRC2:TGID_Z_EN: 0
; COMPUTE_PGM_RSRC2:TIDIG_COMP_CNT: 1
	.section	.text._ZN12_GLOBAL__N_121softmax_warp_backwardIfffLi5ELb0ELb1ELi64EEEvPT0_PKT_S5_iiiPKb,"axG",@progbits,_ZN12_GLOBAL__N_121softmax_warp_backwardIfffLi5ELb0ELb1ELi64EEEvPT0_PKT_S5_iiiPKb,comdat
	.globl	_ZN12_GLOBAL__N_121softmax_warp_backwardIfffLi5ELb0ELb1ELi64EEEvPT0_PKT_S5_iiiPKb ; -- Begin function _ZN12_GLOBAL__N_121softmax_warp_backwardIfffLi5ELb0ELb1ELi64EEEvPT0_PKT_S5_iiiPKb
	.p2align	8
	.type	_ZN12_GLOBAL__N_121softmax_warp_backwardIfffLi5ELb0ELb1ELi64EEEvPT0_PKT_S5_iiiPKb,@function
_ZN12_GLOBAL__N_121softmax_warp_backwardIfffLi5ELb0ELb1ELi64EEEvPT0_PKT_S5_iiiPKb: ; @_ZN12_GLOBAL__N_121softmax_warp_backwardIfffLi5ELb0ELb1ELi64EEEvPT0_PKT_S5_iiiPKb
; %bb.0:
	s_clause 0x1
	s_load_b32 s2, s[0:1], 0x3c
	s_load_b128 s[4:7], s[0:1], 0x18
	v_bfe_u32 v1, v0, 10, 10
	v_dual_mov_b32 v9, 0 :: v_dual_and_b32 v4, 31, v0
	s_clause 0x1
	s_load_b128 s[8:11], s[0:1], 0x0
	s_load_b64 s[12:13], s[0:1], 0x10
	v_dual_mov_b32 v10, 0 :: v_dual_mov_b32 v11, 0
	s_waitcnt lgkmcnt(0)
	s_lshr_b32 s2, s2, 16
	v_cmp_gt_i32_e32 vcc_lo, s6, v4
	s_mul_i32 s15, s15, s2
	s_delay_alu instid0(SALU_CYCLE_1) | instskip(NEXT) | instid1(VALU_DEP_1)
	v_add_lshl_u32 v0, s15, v1, 1
	v_mad_u64_u32 v[2:3], null, v0, s5, v[4:5]
	v_sub_nc_u32_e32 v8, s4, v0
	s_delay_alu instid0(VALU_DEP_1) | instskip(NEXT) | instid1(VALU_DEP_3)
	v_cmp_lt_i32_e64 s2, 0, v8
	v_ashrrev_i32_e32 v3, 31, v2
	s_delay_alu instid0(VALU_DEP_2) | instskip(NEXT) | instid1(VALU_DEP_1)
	s_and_b32 s4, vcc_lo, s2
	v_lshlrev_b64 v[0:1], 2, v[2:3]
	s_delay_alu instid0(VALU_DEP_1) | instskip(NEXT) | instid1(VALU_DEP_1)
	v_add_co_u32 v6, s3, s10, v0
	v_add_co_ci_u32_e64 v7, s3, s11, v1, s3
	v_add_co_u32 v4, s3, s12, v0
	s_delay_alu instid0(VALU_DEP_1)
	v_add_co_ci_u32_e64 v5, s3, s13, v1, s3
	s_and_saveexec_b32 s3, s4
	s_cbranch_execz .LBB800_2
; %bb.1:
	global_load_b32 v10, v[6:7], off
	global_load_b32 v11, v[4:5], off
.LBB800_2:
	s_or_b32 exec_lo, exec_lo, s3
	v_cmp_lt_i32_e64 s3, 1, v8
	v_mov_b32_e32 v12, 0
	s_mov_b32 s7, 0
	s_delay_alu instid0(VALU_DEP_2) | instskip(NEXT) | instid1(SALU_CYCLE_1)
	s_and_b32 s3, vcc_lo, s3
	s_and_saveexec_b32 s4, s3
	s_cbranch_execz .LBB800_4
; %bb.3:
	s_lshl_b64 s[10:11], s[6:7], 2
	s_delay_alu instid0(SALU_CYCLE_1) | instskip(NEXT) | instid1(VALU_DEP_1)
	v_add_co_u32 v6, s3, v6, s10
	v_add_co_ci_u32_e64 v7, s3, s11, v7, s3
	v_add_co_u32 v4, s3, v4, s10
	s_delay_alu instid0(VALU_DEP_1)
	v_add_co_ci_u32_e64 v5, s3, s11, v5, s3
	global_load_b32 v9, v[6:7], off
	global_load_b32 v12, v[4:5], off
.LBB800_4:
	s_or_b32 exec_lo, exec_lo, s4
	s_load_b64 s[0:1], s[0:1], 0x28
	s_waitcnt vmcnt(1)
	v_add_f32_e32 v7, 0, v9
	s_waitcnt lgkmcnt(0)
	v_add_co_u32 v2, s0, s0, v2
	s_delay_alu instid0(VALU_DEP_1) | instskip(SKIP_1) | instid1(VALU_DEP_2)
	v_add_co_ci_u32_e64 v3, s0, s1, v3, s0
	s_ashr_i32 s1, s6, 31
	v_add_co_u32 v4, s0, v2, s6
	s_delay_alu instid0(VALU_DEP_1) | instskip(SKIP_4) | instid1(VALU_DEP_1)
	v_add_co_ci_u32_e64 v5, s0, s1, v3, s0
	s_clause 0x1
	global_load_u8 v2, v[2:3], off
	global_load_u8 v3, v[4:5], off
	v_mbcnt_lo_u32_b32 v4, -1, 0
	v_xor_b32_e32 v5, 16, v4
	s_delay_alu instid0(VALU_DEP_1) | instskip(NEXT) | instid1(VALU_DEP_1)
	v_cmp_gt_i32_e64 s0, 32, v5
	v_cndmask_b32_e64 v5, v4, v5, s0
	s_delay_alu instid0(VALU_DEP_1) | instskip(SKIP_2) | instid1(VALU_DEP_1)
	v_dual_add_f32 v6, 0, v10 :: v_dual_lshlrev_b32 v5, 2, v5
	s_waitcnt vmcnt(1)
	v_and_b32_e32 v2, 1, v2
	v_cmp_eq_u32_e64 s1, 1, v2
	s_delay_alu instid0(VALU_DEP_1) | instskip(SKIP_3) | instid1(VALU_DEP_1)
	v_cndmask_b32_e64 v2, v6, 0, s1
	ds_bpermute_b32 v6, v5, v2
	s_waitcnt vmcnt(0) lgkmcnt(0)
	v_dual_add_f32 v2, v2, v6 :: v_dual_and_b32 v3, 1, v3
	v_cmp_eq_u32_e64 s0, 1, v3
	s_delay_alu instid0(VALU_DEP_1) | instskip(SKIP_3) | instid1(VALU_DEP_1)
	v_cndmask_b32_e64 v3, v7, 0, s0
	v_xor_b32_e32 v7, 8, v4
	ds_bpermute_b32 v5, v5, v3
	v_cmp_gt_i32_e64 s3, 32, v7
	v_cndmask_b32_e64 v7, v4, v7, s3
	s_delay_alu instid0(VALU_DEP_1) | instskip(SKIP_1) | instid1(VALU_DEP_1)
	v_lshlrev_b32_e32 v6, 2, v7
	v_xor_b32_e32 v7, 4, v4
	v_cmp_gt_i32_e64 s3, 32, v7
	s_waitcnt lgkmcnt(0)
	v_add_f32_e32 v3, v3, v5
	ds_bpermute_b32 v5, v6, v2
	v_cndmask_b32_e64 v7, v4, v7, s3
	ds_bpermute_b32 v6, v6, v3
	s_waitcnt lgkmcnt(1)
	v_dual_add_f32 v2, v2, v5 :: v_dual_lshlrev_b32 v5, 2, v7
	v_xor_b32_e32 v7, 2, v4
	s_delay_alu instid0(VALU_DEP_1) | instskip(NEXT) | instid1(VALU_DEP_1)
	v_cmp_gt_i32_e64 s3, 32, v7
	v_cndmask_b32_e64 v7, v4, v7, s3
	s_waitcnt lgkmcnt(0)
	v_add_f32_e32 v3, v3, v6
	ds_bpermute_b32 v6, v5, v2
	s_waitcnt lgkmcnt(0)
	v_add_f32_e32 v2, v2, v6
	v_lshlrev_b32_e32 v6, 2, v7
	ds_bpermute_b32 v5, v5, v3
	v_xor_b32_e32 v7, 1, v4
	s_delay_alu instid0(VALU_DEP_1) | instskip(NEXT) | instid1(VALU_DEP_1)
	v_cmp_gt_i32_e64 s3, 32, v7
	v_cndmask_b32_e64 v7, v4, v7, s3
	s_delay_alu instid0(VALU_DEP_1)
	v_lshlrev_b32_e32 v7, 2, v7
	s_waitcnt lgkmcnt(0)
	v_add_f32_e32 v3, v3, v5
	ds_bpermute_b32 v5, v6, v2
	ds_bpermute_b32 v6, v6, v3
	s_waitcnt lgkmcnt(1)
	v_add_f32_e32 v4, v2, v5
	s_waitcnt lgkmcnt(0)
	v_add_f32_e32 v2, v3, v6
	ds_bpermute_b32 v5, v7, v4
	ds_bpermute_b32 v3, v7, v2
	s_and_saveexec_b32 s3, s2
	s_cbranch_execz .LBB800_10
; %bb.5:
	v_add_co_u32 v0, s2, s8, v0
	s_delay_alu instid0(VALU_DEP_1)
	v_add_co_ci_u32_e64 v1, s2, s9, v1, s2
	s_and_saveexec_b32 s2, vcc_lo
	s_cbranch_execz .LBB800_7
; %bb.6:
	s_waitcnt lgkmcnt(1)
	v_add_f32_e32 v4, v4, v5
	s_delay_alu instid0(VALU_DEP_1) | instskip(NEXT) | instid1(VALU_DEP_1)
	v_fma_f32 v4, -v4, v11, v10
	v_cndmask_b32_e64 v4, v4, 0, s1
	global_store_b32 v[0:1], v4, off
.LBB800_7:
	s_or_b32 exec_lo, exec_lo, s2
	v_cmp_ne_u32_e64 s1, 1, v8
	s_delay_alu instid0(VALU_DEP_1)
	s_and_b32 exec_lo, exec_lo, s1
	s_cbranch_execz .LBB800_10
; %bb.8:
	s_and_b32 exec_lo, exec_lo, vcc_lo
	s_cbranch_execz .LBB800_10
; %bb.9:
	s_waitcnt lgkmcnt(0)
	v_add_f32_e32 v2, v2, v3
	s_lshl_b64 s[2:3], s[6:7], 2
	s_delay_alu instid0(SALU_CYCLE_1) | instskip(NEXT) | instid1(VALU_DEP_2)
	v_add_co_u32 v0, vcc_lo, v0, s2
	v_fma_f32 v2, -v2, v12, v9
	v_add_co_ci_u32_e32 v1, vcc_lo, s3, v1, vcc_lo
	s_delay_alu instid0(VALU_DEP_2)
	v_cndmask_b32_e64 v2, v2, 0, s0
	global_store_b32 v[0:1], v2, off
.LBB800_10:
	s_nop 0
	s_sendmsg sendmsg(MSG_DEALLOC_VGPRS)
	s_endpgm
	.section	.rodata,"a",@progbits
	.p2align	6, 0x0
	.amdhsa_kernel _ZN12_GLOBAL__N_121softmax_warp_backwardIfffLi5ELb0ELb1ELi64EEEvPT0_PKT_S5_iiiPKb
		.amdhsa_group_segment_fixed_size 0
		.amdhsa_private_segment_fixed_size 0
		.amdhsa_kernarg_size 304
		.amdhsa_user_sgpr_count 15
		.amdhsa_user_sgpr_dispatch_ptr 0
		.amdhsa_user_sgpr_queue_ptr 0
		.amdhsa_user_sgpr_kernarg_segment_ptr 1
		.amdhsa_user_sgpr_dispatch_id 0
		.amdhsa_user_sgpr_private_segment_size 0
		.amdhsa_wavefront_size32 1
		.amdhsa_uses_dynamic_stack 0
		.amdhsa_enable_private_segment 0
		.amdhsa_system_sgpr_workgroup_id_x 1
		.amdhsa_system_sgpr_workgroup_id_y 0
		.amdhsa_system_sgpr_workgroup_id_z 0
		.amdhsa_system_sgpr_workgroup_info 0
		.amdhsa_system_vgpr_workitem_id 1
		.amdhsa_next_free_vgpr 13
		.amdhsa_next_free_sgpr 16
		.amdhsa_reserve_vcc 1
		.amdhsa_float_round_mode_32 0
		.amdhsa_float_round_mode_16_64 0
		.amdhsa_float_denorm_mode_32 3
		.amdhsa_float_denorm_mode_16_64 3
		.amdhsa_dx10_clamp 1
		.amdhsa_ieee_mode 1
		.amdhsa_fp16_overflow 0
		.amdhsa_workgroup_processor_mode 1
		.amdhsa_memory_ordered 1
		.amdhsa_forward_progress 0
		.amdhsa_shared_vgpr_count 0
		.amdhsa_exception_fp_ieee_invalid_op 0
		.amdhsa_exception_fp_denorm_src 0
		.amdhsa_exception_fp_ieee_div_zero 0
		.amdhsa_exception_fp_ieee_overflow 0
		.amdhsa_exception_fp_ieee_underflow 0
		.amdhsa_exception_fp_ieee_inexact 0
		.amdhsa_exception_int_div_zero 0
	.end_amdhsa_kernel
	.section	.text._ZN12_GLOBAL__N_121softmax_warp_backwardIfffLi5ELb0ELb1ELi64EEEvPT0_PKT_S5_iiiPKb,"axG",@progbits,_ZN12_GLOBAL__N_121softmax_warp_backwardIfffLi5ELb0ELb1ELi64EEEvPT0_PKT_S5_iiiPKb,comdat
.Lfunc_end800:
	.size	_ZN12_GLOBAL__N_121softmax_warp_backwardIfffLi5ELb0ELb1ELi64EEEvPT0_PKT_S5_iiiPKb, .Lfunc_end800-_ZN12_GLOBAL__N_121softmax_warp_backwardIfffLi5ELb0ELb1ELi64EEEvPT0_PKT_S5_iiiPKb
                                        ; -- End function
	.section	.AMDGPU.csdata,"",@progbits
; Kernel info:
; codeLenInByte = 908
; NumSgprs: 18
; NumVgprs: 13
; ScratchSize: 0
; MemoryBound: 0
; FloatMode: 240
; IeeeMode: 1
; LDSByteSize: 0 bytes/workgroup (compile time only)
; SGPRBlocks: 2
; VGPRBlocks: 1
; NumSGPRsForWavesPerEU: 18
; NumVGPRsForWavesPerEU: 13
; Occupancy: 16
; WaveLimiterHint : 0
; COMPUTE_PGM_RSRC2:SCRATCH_EN: 0
; COMPUTE_PGM_RSRC2:USER_SGPR: 15
; COMPUTE_PGM_RSRC2:TRAP_HANDLER: 0
; COMPUTE_PGM_RSRC2:TGID_X_EN: 1
; COMPUTE_PGM_RSRC2:TGID_Y_EN: 0
; COMPUTE_PGM_RSRC2:TGID_Z_EN: 0
; COMPUTE_PGM_RSRC2:TIDIG_COMP_CNT: 1
	.section	.text._ZN12_GLOBAL__N_121softmax_warp_backwardIfffLi5ELb0ELb1ELi32EEEvPT0_PKT_S5_iiiPKb,"axG",@progbits,_ZN12_GLOBAL__N_121softmax_warp_backwardIfffLi5ELb0ELb1ELi32EEEvPT0_PKT_S5_iiiPKb,comdat
	.globl	_ZN12_GLOBAL__N_121softmax_warp_backwardIfffLi5ELb0ELb1ELi32EEEvPT0_PKT_S5_iiiPKb ; -- Begin function _ZN12_GLOBAL__N_121softmax_warp_backwardIfffLi5ELb0ELb1ELi32EEEvPT0_PKT_S5_iiiPKb
	.p2align	8
	.type	_ZN12_GLOBAL__N_121softmax_warp_backwardIfffLi5ELb0ELb1ELi32EEEvPT0_PKT_S5_iiiPKb,@function
_ZN12_GLOBAL__N_121softmax_warp_backwardIfffLi5ELb0ELb1ELi32EEEvPT0_PKT_S5_iiiPKb: ; @_ZN12_GLOBAL__N_121softmax_warp_backwardIfffLi5ELb0ELb1ELi32EEEvPT0_PKT_S5_iiiPKb
; %bb.0:
	s_clause 0x1
	s_load_b32 s2, s[0:1], 0x3c
	s_load_b128 s[4:7], s[0:1], 0x18
	v_bfe_u32 v1, v0, 10, 10
	v_dual_mov_b32 v9, 0 :: v_dual_and_b32 v4, 31, v0
	s_clause 0x1
	s_load_b128 s[8:11], s[0:1], 0x0
	s_load_b64 s[12:13], s[0:1], 0x10
	v_dual_mov_b32 v10, 0 :: v_dual_mov_b32 v11, 0
	s_waitcnt lgkmcnt(0)
	s_lshr_b32 s2, s2, 16
	v_cmp_gt_i32_e32 vcc_lo, s6, v4
	s_mul_i32 s15, s15, s2
	s_delay_alu instid0(SALU_CYCLE_1) | instskip(NEXT) | instid1(VALU_DEP_1)
	v_add_lshl_u32 v0, s15, v1, 1
	v_mad_u64_u32 v[2:3], null, v0, s5, v[4:5]
	v_sub_nc_u32_e32 v8, s4, v0
	s_delay_alu instid0(VALU_DEP_1) | instskip(NEXT) | instid1(VALU_DEP_3)
	v_cmp_lt_i32_e64 s2, 0, v8
	v_ashrrev_i32_e32 v3, 31, v2
	s_delay_alu instid0(VALU_DEP_2) | instskip(NEXT) | instid1(VALU_DEP_1)
	s_and_b32 s4, vcc_lo, s2
	v_lshlrev_b64 v[0:1], 2, v[2:3]
	s_delay_alu instid0(VALU_DEP_1) | instskip(NEXT) | instid1(VALU_DEP_1)
	v_add_co_u32 v6, s3, s10, v0
	v_add_co_ci_u32_e64 v7, s3, s11, v1, s3
	v_add_co_u32 v4, s3, s12, v0
	s_delay_alu instid0(VALU_DEP_1)
	v_add_co_ci_u32_e64 v5, s3, s13, v1, s3
	s_and_saveexec_b32 s3, s4
	s_cbranch_execz .LBB801_2
; %bb.1:
	global_load_b32 v10, v[6:7], off
	global_load_b32 v11, v[4:5], off
.LBB801_2:
	s_or_b32 exec_lo, exec_lo, s3
	v_cmp_lt_i32_e64 s3, 1, v8
	v_mov_b32_e32 v12, 0
	s_mov_b32 s7, 0
	s_delay_alu instid0(VALU_DEP_2) | instskip(NEXT) | instid1(SALU_CYCLE_1)
	s_and_b32 s3, vcc_lo, s3
	s_and_saveexec_b32 s4, s3
	s_cbranch_execz .LBB801_4
; %bb.3:
	s_lshl_b64 s[10:11], s[6:7], 2
	s_delay_alu instid0(SALU_CYCLE_1) | instskip(NEXT) | instid1(VALU_DEP_1)
	v_add_co_u32 v6, s3, v6, s10
	v_add_co_ci_u32_e64 v7, s3, s11, v7, s3
	v_add_co_u32 v4, s3, v4, s10
	s_delay_alu instid0(VALU_DEP_1)
	v_add_co_ci_u32_e64 v5, s3, s11, v5, s3
	global_load_b32 v9, v[6:7], off
	global_load_b32 v12, v[4:5], off
.LBB801_4:
	s_or_b32 exec_lo, exec_lo, s4
	s_load_b64 s[0:1], s[0:1], 0x28
	s_waitcnt vmcnt(1)
	v_add_f32_e32 v7, 0, v9
	s_waitcnt lgkmcnt(0)
	v_add_co_u32 v2, s0, s0, v2
	s_delay_alu instid0(VALU_DEP_1) | instskip(SKIP_1) | instid1(VALU_DEP_2)
	v_add_co_ci_u32_e64 v3, s0, s1, v3, s0
	s_ashr_i32 s1, s6, 31
	v_add_co_u32 v4, s0, v2, s6
	s_delay_alu instid0(VALU_DEP_1) | instskip(SKIP_4) | instid1(VALU_DEP_1)
	v_add_co_ci_u32_e64 v5, s0, s1, v3, s0
	s_clause 0x1
	global_load_u8 v2, v[2:3], off
	global_load_u8 v3, v[4:5], off
	v_mbcnt_lo_u32_b32 v4, -1, 0
	v_xor_b32_e32 v5, 16, v4
	s_delay_alu instid0(VALU_DEP_1) | instskip(NEXT) | instid1(VALU_DEP_1)
	v_cmp_gt_i32_e64 s0, 32, v5
	v_cndmask_b32_e64 v5, v4, v5, s0
	s_delay_alu instid0(VALU_DEP_1) | instskip(SKIP_2) | instid1(VALU_DEP_1)
	v_dual_add_f32 v6, 0, v10 :: v_dual_lshlrev_b32 v5, 2, v5
	s_waitcnt vmcnt(1)
	v_and_b32_e32 v2, 1, v2
	v_cmp_eq_u32_e64 s1, 1, v2
	s_delay_alu instid0(VALU_DEP_1) | instskip(SKIP_3) | instid1(VALU_DEP_1)
	v_cndmask_b32_e64 v2, v6, 0, s1
	ds_bpermute_b32 v6, v5, v2
	s_waitcnt vmcnt(0) lgkmcnt(0)
	v_dual_add_f32 v2, v2, v6 :: v_dual_and_b32 v3, 1, v3
	v_cmp_eq_u32_e64 s0, 1, v3
	s_delay_alu instid0(VALU_DEP_1) | instskip(SKIP_3) | instid1(VALU_DEP_1)
	v_cndmask_b32_e64 v3, v7, 0, s0
	v_xor_b32_e32 v7, 8, v4
	ds_bpermute_b32 v5, v5, v3
	v_cmp_gt_i32_e64 s3, 32, v7
	v_cndmask_b32_e64 v7, v4, v7, s3
	s_delay_alu instid0(VALU_DEP_1) | instskip(SKIP_1) | instid1(VALU_DEP_1)
	v_lshlrev_b32_e32 v6, 2, v7
	v_xor_b32_e32 v7, 4, v4
	v_cmp_gt_i32_e64 s3, 32, v7
	s_waitcnt lgkmcnt(0)
	v_add_f32_e32 v3, v3, v5
	ds_bpermute_b32 v5, v6, v2
	v_cndmask_b32_e64 v7, v4, v7, s3
	ds_bpermute_b32 v6, v6, v3
	s_waitcnt lgkmcnt(1)
	v_dual_add_f32 v2, v2, v5 :: v_dual_lshlrev_b32 v5, 2, v7
	v_xor_b32_e32 v7, 2, v4
	s_delay_alu instid0(VALU_DEP_1) | instskip(NEXT) | instid1(VALU_DEP_1)
	v_cmp_gt_i32_e64 s3, 32, v7
	v_cndmask_b32_e64 v7, v4, v7, s3
	s_waitcnt lgkmcnt(0)
	v_add_f32_e32 v3, v3, v6
	ds_bpermute_b32 v6, v5, v2
	s_waitcnt lgkmcnt(0)
	v_add_f32_e32 v2, v2, v6
	v_lshlrev_b32_e32 v6, 2, v7
	ds_bpermute_b32 v5, v5, v3
	v_xor_b32_e32 v7, 1, v4
	s_delay_alu instid0(VALU_DEP_1) | instskip(NEXT) | instid1(VALU_DEP_1)
	v_cmp_gt_i32_e64 s3, 32, v7
	v_cndmask_b32_e64 v7, v4, v7, s3
	s_delay_alu instid0(VALU_DEP_1)
	v_lshlrev_b32_e32 v7, 2, v7
	s_waitcnt lgkmcnt(0)
	v_add_f32_e32 v3, v3, v5
	ds_bpermute_b32 v5, v6, v2
	ds_bpermute_b32 v6, v6, v3
	s_waitcnt lgkmcnt(1)
	v_add_f32_e32 v4, v2, v5
	s_waitcnt lgkmcnt(0)
	v_add_f32_e32 v2, v3, v6
	ds_bpermute_b32 v5, v7, v4
	ds_bpermute_b32 v3, v7, v2
	s_and_saveexec_b32 s3, s2
	s_cbranch_execz .LBB801_10
; %bb.5:
	v_add_co_u32 v0, s2, s8, v0
	s_delay_alu instid0(VALU_DEP_1)
	v_add_co_ci_u32_e64 v1, s2, s9, v1, s2
	s_and_saveexec_b32 s2, vcc_lo
	s_cbranch_execz .LBB801_7
; %bb.6:
	s_waitcnt lgkmcnt(1)
	v_add_f32_e32 v4, v4, v5
	s_delay_alu instid0(VALU_DEP_1) | instskip(NEXT) | instid1(VALU_DEP_1)
	v_fma_f32 v4, -v4, v11, v10
	v_cndmask_b32_e64 v4, v4, 0, s1
	global_store_b32 v[0:1], v4, off
.LBB801_7:
	s_or_b32 exec_lo, exec_lo, s2
	v_cmp_ne_u32_e64 s1, 1, v8
	s_delay_alu instid0(VALU_DEP_1)
	s_and_b32 exec_lo, exec_lo, s1
	s_cbranch_execz .LBB801_10
; %bb.8:
	s_and_b32 exec_lo, exec_lo, vcc_lo
	s_cbranch_execz .LBB801_10
; %bb.9:
	s_waitcnt lgkmcnt(0)
	v_add_f32_e32 v2, v2, v3
	s_lshl_b64 s[2:3], s[6:7], 2
	s_delay_alu instid0(SALU_CYCLE_1) | instskip(NEXT) | instid1(VALU_DEP_2)
	v_add_co_u32 v0, vcc_lo, v0, s2
	v_fma_f32 v2, -v2, v12, v9
	v_add_co_ci_u32_e32 v1, vcc_lo, s3, v1, vcc_lo
	s_delay_alu instid0(VALU_DEP_2)
	v_cndmask_b32_e64 v2, v2, 0, s0
	global_store_b32 v[0:1], v2, off
.LBB801_10:
	s_nop 0
	s_sendmsg sendmsg(MSG_DEALLOC_VGPRS)
	s_endpgm
	.section	.rodata,"a",@progbits
	.p2align	6, 0x0
	.amdhsa_kernel _ZN12_GLOBAL__N_121softmax_warp_backwardIfffLi5ELb0ELb1ELi32EEEvPT0_PKT_S5_iiiPKb
		.amdhsa_group_segment_fixed_size 0
		.amdhsa_private_segment_fixed_size 0
		.amdhsa_kernarg_size 304
		.amdhsa_user_sgpr_count 15
		.amdhsa_user_sgpr_dispatch_ptr 0
		.amdhsa_user_sgpr_queue_ptr 0
		.amdhsa_user_sgpr_kernarg_segment_ptr 1
		.amdhsa_user_sgpr_dispatch_id 0
		.amdhsa_user_sgpr_private_segment_size 0
		.amdhsa_wavefront_size32 1
		.amdhsa_uses_dynamic_stack 0
		.amdhsa_enable_private_segment 0
		.amdhsa_system_sgpr_workgroup_id_x 1
		.amdhsa_system_sgpr_workgroup_id_y 0
		.amdhsa_system_sgpr_workgroup_id_z 0
		.amdhsa_system_sgpr_workgroup_info 0
		.amdhsa_system_vgpr_workitem_id 1
		.amdhsa_next_free_vgpr 13
		.amdhsa_next_free_sgpr 16
		.amdhsa_reserve_vcc 1
		.amdhsa_float_round_mode_32 0
		.amdhsa_float_round_mode_16_64 0
		.amdhsa_float_denorm_mode_32 3
		.amdhsa_float_denorm_mode_16_64 3
		.amdhsa_dx10_clamp 1
		.amdhsa_ieee_mode 1
		.amdhsa_fp16_overflow 0
		.amdhsa_workgroup_processor_mode 1
		.amdhsa_memory_ordered 1
		.amdhsa_forward_progress 0
		.amdhsa_shared_vgpr_count 0
		.amdhsa_exception_fp_ieee_invalid_op 0
		.amdhsa_exception_fp_denorm_src 0
		.amdhsa_exception_fp_ieee_div_zero 0
		.amdhsa_exception_fp_ieee_overflow 0
		.amdhsa_exception_fp_ieee_underflow 0
		.amdhsa_exception_fp_ieee_inexact 0
		.amdhsa_exception_int_div_zero 0
	.end_amdhsa_kernel
	.section	.text._ZN12_GLOBAL__N_121softmax_warp_backwardIfffLi5ELb0ELb1ELi32EEEvPT0_PKT_S5_iiiPKb,"axG",@progbits,_ZN12_GLOBAL__N_121softmax_warp_backwardIfffLi5ELb0ELb1ELi32EEEvPT0_PKT_S5_iiiPKb,comdat
.Lfunc_end801:
	.size	_ZN12_GLOBAL__N_121softmax_warp_backwardIfffLi5ELb0ELb1ELi32EEEvPT0_PKT_S5_iiiPKb, .Lfunc_end801-_ZN12_GLOBAL__N_121softmax_warp_backwardIfffLi5ELb0ELb1ELi32EEEvPT0_PKT_S5_iiiPKb
                                        ; -- End function
	.section	.AMDGPU.csdata,"",@progbits
; Kernel info:
; codeLenInByte = 908
; NumSgprs: 18
; NumVgprs: 13
; ScratchSize: 0
; MemoryBound: 0
; FloatMode: 240
; IeeeMode: 1
; LDSByteSize: 0 bytes/workgroup (compile time only)
; SGPRBlocks: 2
; VGPRBlocks: 1
; NumSGPRsForWavesPerEU: 18
; NumVGPRsForWavesPerEU: 13
; Occupancy: 16
; WaveLimiterHint : 0
; COMPUTE_PGM_RSRC2:SCRATCH_EN: 0
; COMPUTE_PGM_RSRC2:USER_SGPR: 15
; COMPUTE_PGM_RSRC2:TRAP_HANDLER: 0
; COMPUTE_PGM_RSRC2:TGID_X_EN: 1
; COMPUTE_PGM_RSRC2:TGID_Y_EN: 0
; COMPUTE_PGM_RSRC2:TGID_Z_EN: 0
; COMPUTE_PGM_RSRC2:TIDIG_COMP_CNT: 1
	.section	.text._ZN12_GLOBAL__N_121softmax_warp_backwardIfffLi6ELb0ELb1ELi64EEEvPT0_PKT_S5_iiiPKb,"axG",@progbits,_ZN12_GLOBAL__N_121softmax_warp_backwardIfffLi6ELb0ELb1ELi64EEEvPT0_PKT_S5_iiiPKb,comdat
	.globl	_ZN12_GLOBAL__N_121softmax_warp_backwardIfffLi6ELb0ELb1ELi64EEEvPT0_PKT_S5_iiiPKb ; -- Begin function _ZN12_GLOBAL__N_121softmax_warp_backwardIfffLi6ELb0ELb1ELi64EEEvPT0_PKT_S5_iiiPKb
	.p2align	8
	.type	_ZN12_GLOBAL__N_121softmax_warp_backwardIfffLi6ELb0ELb1ELi64EEEvPT0_PKT_S5_iiiPKb,@function
_ZN12_GLOBAL__N_121softmax_warp_backwardIfffLi6ELb0ELb1ELi64EEEvPT0_PKT_S5_iiiPKb: ; @_ZN12_GLOBAL__N_121softmax_warp_backwardIfffLi6ELb0ELb1ELi64EEEvPT0_PKT_S5_iiiPKb
; %bb.0:
	s_clause 0x1
	s_load_b32 s2, s[0:1], 0x3c
	s_load_b128 s[4:7], s[0:1], 0x18
	v_bfe_u32 v1, v0, 10, 10
	v_dual_mov_b32 v9, 0 :: v_dual_and_b32 v4, 63, v0
	s_clause 0x1
	s_load_b128 s[8:11], s[0:1], 0x0
	s_load_b64 s[12:13], s[0:1], 0x10
	v_dual_mov_b32 v10, 0 :: v_dual_mov_b32 v11, 0
	s_waitcnt lgkmcnt(0)
	s_lshr_b32 s2, s2, 16
	v_cmp_gt_i32_e32 vcc_lo, s6, v4
	s_mul_i32 s15, s15, s2
	s_delay_alu instid0(SALU_CYCLE_1) | instskip(NEXT) | instid1(VALU_DEP_1)
	v_add_lshl_u32 v0, s15, v1, 1
	v_mad_u64_u32 v[2:3], null, v0, s5, v[4:5]
	v_sub_nc_u32_e32 v8, s4, v0
	s_delay_alu instid0(VALU_DEP_1) | instskip(NEXT) | instid1(VALU_DEP_3)
	v_cmp_lt_i32_e64 s2, 0, v8
	v_ashrrev_i32_e32 v3, 31, v2
	s_delay_alu instid0(VALU_DEP_2) | instskip(NEXT) | instid1(VALU_DEP_1)
	s_and_b32 s4, vcc_lo, s2
	v_lshlrev_b64 v[0:1], 2, v[2:3]
	s_delay_alu instid0(VALU_DEP_1) | instskip(NEXT) | instid1(VALU_DEP_1)
	v_add_co_u32 v6, s3, s10, v0
	v_add_co_ci_u32_e64 v7, s3, s11, v1, s3
	v_add_co_u32 v4, s3, s12, v0
	s_delay_alu instid0(VALU_DEP_1)
	v_add_co_ci_u32_e64 v5, s3, s13, v1, s3
	s_and_saveexec_b32 s3, s4
	s_cbranch_execz .LBB802_2
; %bb.1:
	global_load_b32 v10, v[6:7], off
	global_load_b32 v11, v[4:5], off
.LBB802_2:
	s_or_b32 exec_lo, exec_lo, s3
	v_cmp_lt_i32_e64 s3, 1, v8
	v_mov_b32_e32 v12, 0
	s_mov_b32 s7, 0
	s_delay_alu instid0(VALU_DEP_2) | instskip(NEXT) | instid1(SALU_CYCLE_1)
	s_and_b32 s3, vcc_lo, s3
	s_and_saveexec_b32 s4, s3
	s_cbranch_execz .LBB802_4
; %bb.3:
	s_lshl_b64 s[10:11], s[6:7], 2
	s_delay_alu instid0(SALU_CYCLE_1) | instskip(NEXT) | instid1(VALU_DEP_1)
	v_add_co_u32 v6, s3, v6, s10
	v_add_co_ci_u32_e64 v7, s3, s11, v7, s3
	v_add_co_u32 v4, s3, v4, s10
	s_delay_alu instid0(VALU_DEP_1)
	v_add_co_ci_u32_e64 v5, s3, s11, v5, s3
	global_load_b32 v9, v[6:7], off
	global_load_b32 v12, v[4:5], off
.LBB802_4:
	s_or_b32 exec_lo, exec_lo, s4
	s_load_b64 s[0:1], s[0:1], 0x28
	s_waitcnt vmcnt(1)
	v_add_f32_e32 v7, 0, v9
	s_waitcnt lgkmcnt(0)
	v_add_co_u32 v2, s0, s0, v2
	s_delay_alu instid0(VALU_DEP_1) | instskip(SKIP_1) | instid1(VALU_DEP_2)
	v_add_co_ci_u32_e64 v3, s0, s1, v3, s0
	s_ashr_i32 s1, s6, 31
	v_add_co_u32 v4, s0, v2, s6
	s_delay_alu instid0(VALU_DEP_1) | instskip(SKIP_4) | instid1(VALU_DEP_1)
	v_add_co_ci_u32_e64 v5, s0, s1, v3, s0
	s_clause 0x1
	global_load_u8 v2, v[2:3], off
	global_load_u8 v3, v[4:5], off
	v_mbcnt_lo_u32_b32 v4, -1, 0
	v_or_b32_e32 v5, 32, v4
	s_delay_alu instid0(VALU_DEP_1) | instskip(NEXT) | instid1(VALU_DEP_1)
	v_cmp_gt_i32_e64 s0, 64, v5
	v_cndmask_b32_e64 v5, v4, v5, s0
	s_delay_alu instid0(VALU_DEP_1) | instskip(SKIP_2) | instid1(VALU_DEP_1)
	v_dual_add_f32 v6, 0, v10 :: v_dual_lshlrev_b32 v5, 2, v5
	s_waitcnt vmcnt(1)
	v_and_b32_e32 v2, 1, v2
	v_cmp_eq_u32_e64 s1, 1, v2
	s_delay_alu instid0(VALU_DEP_1) | instskip(SKIP_3) | instid1(VALU_DEP_1)
	v_cndmask_b32_e64 v2, v6, 0, s1
	ds_bpermute_b32 v6, v5, v2
	s_waitcnt vmcnt(0) lgkmcnt(0)
	v_dual_add_f32 v2, v2, v6 :: v_dual_and_b32 v3, 1, v3
	v_cmp_eq_u32_e64 s0, 1, v3
	s_delay_alu instid0(VALU_DEP_1) | instskip(SKIP_3) | instid1(VALU_DEP_1)
	v_cndmask_b32_e64 v3, v7, 0, s0
	v_xor_b32_e32 v7, 16, v4
	ds_bpermute_b32 v5, v5, v3
	v_cmp_gt_i32_e64 s3, 64, v7
	v_cndmask_b32_e64 v7, v4, v7, s3
	s_delay_alu instid0(VALU_DEP_1)
	v_lshlrev_b32_e32 v7, 2, v7
	s_waitcnt lgkmcnt(0)
	v_add_f32_e32 v3, v3, v5
	ds_bpermute_b32 v5, v7, v2
	s_waitcnt lgkmcnt(0)
	v_add_f32_e32 v2, v2, v5
	ds_bpermute_b32 v6, v7, v3
	v_xor_b32_e32 v7, 8, v4
	s_delay_alu instid0(VALU_DEP_1) | instskip(NEXT) | instid1(VALU_DEP_1)
	v_cmp_gt_i32_e64 s3, 64, v7
	v_cndmask_b32_e64 v7, v4, v7, s3
	s_delay_alu instid0(VALU_DEP_1) | instskip(SKIP_1) | instid1(VALU_DEP_1)
	v_lshlrev_b32_e32 v5, 2, v7
	v_xor_b32_e32 v7, 4, v4
	v_cmp_gt_i32_e64 s3, 64, v7
	s_delay_alu instid0(VALU_DEP_1)
	v_cndmask_b32_e64 v7, v4, v7, s3
	s_waitcnt lgkmcnt(0)
	v_add_f32_e32 v3, v3, v6
	ds_bpermute_b32 v6, v5, v2
	s_waitcnt lgkmcnt(0)
	v_add_f32_e32 v2, v2, v6
	v_lshlrev_b32_e32 v6, 2, v7
	ds_bpermute_b32 v5, v5, v3
	v_xor_b32_e32 v7, 2, v4
	s_delay_alu instid0(VALU_DEP_1) | instskip(NEXT) | instid1(VALU_DEP_1)
	v_cmp_gt_i32_e64 s3, 64, v7
	v_cndmask_b32_e64 v7, v4, v7, s3
	s_waitcnt lgkmcnt(0)
	v_add_f32_e32 v3, v3, v5
	ds_bpermute_b32 v5, v6, v2
	ds_bpermute_b32 v6, v6, v3
	s_waitcnt lgkmcnt(1)
	v_dual_add_f32 v2, v2, v5 :: v_dual_lshlrev_b32 v5, 2, v7
	v_xor_b32_e32 v7, 1, v4
	s_waitcnt lgkmcnt(0)
	v_add_f32_e32 v3, v3, v6
	ds_bpermute_b32 v6, v5, v2
	v_cmp_gt_i32_e64 s3, 64, v7
	ds_bpermute_b32 v5, v5, v3
	v_cndmask_b32_e64 v7, v4, v7, s3
	s_waitcnt lgkmcnt(1)
	v_add_f32_e32 v4, v2, v6
	s_delay_alu instid0(VALU_DEP_2)
	v_lshlrev_b32_e32 v6, 2, v7
	s_waitcnt lgkmcnt(0)
	v_add_f32_e32 v2, v3, v5
	ds_bpermute_b32 v5, v6, v4
	ds_bpermute_b32 v3, v6, v2
	s_and_saveexec_b32 s3, s2
	s_cbranch_execz .LBB802_10
; %bb.5:
	v_add_co_u32 v0, s2, s8, v0
	s_delay_alu instid0(VALU_DEP_1)
	v_add_co_ci_u32_e64 v1, s2, s9, v1, s2
	s_and_saveexec_b32 s2, vcc_lo
	s_cbranch_execz .LBB802_7
; %bb.6:
	s_waitcnt lgkmcnt(1)
	v_add_f32_e32 v4, v4, v5
	s_delay_alu instid0(VALU_DEP_1) | instskip(NEXT) | instid1(VALU_DEP_1)
	v_fma_f32 v4, -v4, v11, v10
	v_cndmask_b32_e64 v4, v4, 0, s1
	global_store_b32 v[0:1], v4, off
.LBB802_7:
	s_or_b32 exec_lo, exec_lo, s2
	v_cmp_ne_u32_e64 s1, 1, v8
	s_delay_alu instid0(VALU_DEP_1)
	s_and_b32 exec_lo, exec_lo, s1
	s_cbranch_execz .LBB802_10
; %bb.8:
	s_and_b32 exec_lo, exec_lo, vcc_lo
	s_cbranch_execz .LBB802_10
; %bb.9:
	s_waitcnt lgkmcnt(0)
	v_add_f32_e32 v2, v2, v3
	s_lshl_b64 s[2:3], s[6:7], 2
	s_delay_alu instid0(SALU_CYCLE_1) | instskip(NEXT) | instid1(VALU_DEP_2)
	v_add_co_u32 v0, vcc_lo, v0, s2
	v_fma_f32 v2, -v2, v12, v9
	v_add_co_ci_u32_e32 v1, vcc_lo, s3, v1, vcc_lo
	s_delay_alu instid0(VALU_DEP_2)
	v_cndmask_b32_e64 v2, v2, 0, s0
	global_store_b32 v[0:1], v2, off
.LBB802_10:
	s_nop 0
	s_sendmsg sendmsg(MSG_DEALLOC_VGPRS)
	s_endpgm
	.section	.rodata,"a",@progbits
	.p2align	6, 0x0
	.amdhsa_kernel _ZN12_GLOBAL__N_121softmax_warp_backwardIfffLi6ELb0ELb1ELi64EEEvPT0_PKT_S5_iiiPKb
		.amdhsa_group_segment_fixed_size 0
		.amdhsa_private_segment_fixed_size 0
		.amdhsa_kernarg_size 304
		.amdhsa_user_sgpr_count 15
		.amdhsa_user_sgpr_dispatch_ptr 0
		.amdhsa_user_sgpr_queue_ptr 0
		.amdhsa_user_sgpr_kernarg_segment_ptr 1
		.amdhsa_user_sgpr_dispatch_id 0
		.amdhsa_user_sgpr_private_segment_size 0
		.amdhsa_wavefront_size32 1
		.amdhsa_uses_dynamic_stack 0
		.amdhsa_enable_private_segment 0
		.amdhsa_system_sgpr_workgroup_id_x 1
		.amdhsa_system_sgpr_workgroup_id_y 0
		.amdhsa_system_sgpr_workgroup_id_z 0
		.amdhsa_system_sgpr_workgroup_info 0
		.amdhsa_system_vgpr_workitem_id 1
		.amdhsa_next_free_vgpr 13
		.amdhsa_next_free_sgpr 16
		.amdhsa_reserve_vcc 1
		.amdhsa_float_round_mode_32 0
		.amdhsa_float_round_mode_16_64 0
		.amdhsa_float_denorm_mode_32 3
		.amdhsa_float_denorm_mode_16_64 3
		.amdhsa_dx10_clamp 1
		.amdhsa_ieee_mode 1
		.amdhsa_fp16_overflow 0
		.amdhsa_workgroup_processor_mode 1
		.amdhsa_memory_ordered 1
		.amdhsa_forward_progress 0
		.amdhsa_shared_vgpr_count 0
		.amdhsa_exception_fp_ieee_invalid_op 0
		.amdhsa_exception_fp_denorm_src 0
		.amdhsa_exception_fp_ieee_div_zero 0
		.amdhsa_exception_fp_ieee_overflow 0
		.amdhsa_exception_fp_ieee_underflow 0
		.amdhsa_exception_fp_ieee_inexact 0
		.amdhsa_exception_int_div_zero 0
	.end_amdhsa_kernel
	.section	.text._ZN12_GLOBAL__N_121softmax_warp_backwardIfffLi6ELb0ELb1ELi64EEEvPT0_PKT_S5_iiiPKb,"axG",@progbits,_ZN12_GLOBAL__N_121softmax_warp_backwardIfffLi6ELb0ELb1ELi64EEEvPT0_PKT_S5_iiiPKb,comdat
.Lfunc_end802:
	.size	_ZN12_GLOBAL__N_121softmax_warp_backwardIfffLi6ELb0ELb1ELi64EEEvPT0_PKT_S5_iiiPKb, .Lfunc_end802-_ZN12_GLOBAL__N_121softmax_warp_backwardIfffLi6ELb0ELb1ELi64EEEvPT0_PKT_S5_iiiPKb
                                        ; -- End function
	.section	.AMDGPU.csdata,"",@progbits
; Kernel info:
; codeLenInByte = 972
; NumSgprs: 18
; NumVgprs: 13
; ScratchSize: 0
; MemoryBound: 0
; FloatMode: 240
; IeeeMode: 1
; LDSByteSize: 0 bytes/workgroup (compile time only)
; SGPRBlocks: 2
; VGPRBlocks: 1
; NumSGPRsForWavesPerEU: 18
; NumVGPRsForWavesPerEU: 13
; Occupancy: 16
; WaveLimiterHint : 0
; COMPUTE_PGM_RSRC2:SCRATCH_EN: 0
; COMPUTE_PGM_RSRC2:USER_SGPR: 15
; COMPUTE_PGM_RSRC2:TRAP_HANDLER: 0
; COMPUTE_PGM_RSRC2:TGID_X_EN: 1
; COMPUTE_PGM_RSRC2:TGID_Y_EN: 0
; COMPUTE_PGM_RSRC2:TGID_Z_EN: 0
; COMPUTE_PGM_RSRC2:TIDIG_COMP_CNT: 1
	.section	.text._ZN12_GLOBAL__N_121softmax_warp_backwardIfffLi6ELb0ELb1ELi32EEEvPT0_PKT_S5_iiiPKb,"axG",@progbits,_ZN12_GLOBAL__N_121softmax_warp_backwardIfffLi6ELb0ELb1ELi32EEEvPT0_PKT_S5_iiiPKb,comdat
	.globl	_ZN12_GLOBAL__N_121softmax_warp_backwardIfffLi6ELb0ELb1ELi32EEEvPT0_PKT_S5_iiiPKb ; -- Begin function _ZN12_GLOBAL__N_121softmax_warp_backwardIfffLi6ELb0ELb1ELi32EEEvPT0_PKT_S5_iiiPKb
	.p2align	8
	.type	_ZN12_GLOBAL__N_121softmax_warp_backwardIfffLi6ELb0ELb1ELi32EEEvPT0_PKT_S5_iiiPKb,@function
_ZN12_GLOBAL__N_121softmax_warp_backwardIfffLi6ELb0ELb1ELi32EEEvPT0_PKT_S5_iiiPKb: ; @_ZN12_GLOBAL__N_121softmax_warp_backwardIfffLi6ELb0ELb1ELi32EEEvPT0_PKT_S5_iiiPKb
; %bb.0:
	s_clause 0x1
	s_load_b32 s2, s[0:1], 0x3c
	s_load_b128 s[8:11], s[0:1], 0x18
	v_bfe_u32 v1, v0, 10, 10
	v_dual_mov_b32 v11, 0 :: v_dual_and_b32 v8, 31, v0
	v_mov_b32_e32 v10, 0
	v_mov_b32_e32 v12, 0
	s_load_b64 s[4:5], s[0:1], 0x10
	s_waitcnt lgkmcnt(0)
	s_lshr_b32 s2, s2, 16
	v_cmp_gt_i32_e32 vcc_lo, s10, v8
	s_mul_i32 s15, s15, s2
	s_delay_alu instid0(SALU_CYCLE_1) | instskip(SKIP_1) | instid1(VALU_DEP_1)
	v_add_lshl_u32 v0, s15, v1, 1
	s_load_b128 s[12:15], s[0:1], 0x0
	v_mad_u64_u32 v[2:3], null, v0, s9, v[8:9]
	v_sub_nc_u32_e32 v9, s8, v0
	s_delay_alu instid0(VALU_DEP_1) | instskip(NEXT) | instid1(VALU_DEP_3)
	v_cmp_lt_i32_e64 s3, 0, v9
	v_ashrrev_i32_e32 v3, 31, v2
	s_delay_alu instid0(VALU_DEP_1) | instskip(SKIP_1) | instid1(VALU_DEP_1)
	v_lshlrev_b64 v[0:1], 2, v[2:3]
	s_waitcnt lgkmcnt(0)
	v_add_co_u32 v6, s2, s14, v0
	s_delay_alu instid0(VALU_DEP_1) | instskip(SKIP_1) | instid1(VALU_DEP_1)
	v_add_co_ci_u32_e64 v7, s2, s15, v1, s2
	v_add_co_u32 v4, s2, s4, v0
	v_add_co_ci_u32_e64 v5, s2, s5, v1, s2
	s_and_b32 s4, s3, vcc_lo
	s_delay_alu instid0(SALU_CYCLE_1)
	s_and_saveexec_b32 s2, s4
	s_cbranch_execz .LBB803_2
; %bb.1:
	global_load_b32 v11, v[6:7], off
	global_load_b32 v12, v[4:5], off
.LBB803_2:
	s_or_b32 exec_lo, exec_lo, s2
	v_or_b32_e32 v8, 32, v8
	v_mov_b32_e32 v13, 0
	s_delay_alu instid0(VALU_DEP_2) | instskip(NEXT) | instid1(VALU_DEP_1)
	v_cmp_gt_i32_e64 s2, s10, v8
	s_and_b32 s5, s3, s2
	s_delay_alu instid0(SALU_CYCLE_1)
	s_and_saveexec_b32 s4, s5
	s_cbranch_execz .LBB803_4
; %bb.3:
	global_load_b32 v10, v[6:7], off offset:128
	global_load_b32 v13, v[4:5], off offset:128
.LBB803_4:
	s_or_b32 exec_lo, exec_lo, s4
	v_cmp_lt_i32_e64 s4, 1, v9
	v_dual_mov_b32 v8, 0 :: v_dual_mov_b32 v15, 0
	v_mov_b32_e32 v14, 0
	s_mov_b32 s11, 0
	s_delay_alu instid0(VALU_DEP_3) | instskip(NEXT) | instid1(SALU_CYCLE_1)
	s_and_b32 s5, s4, vcc_lo
	s_and_saveexec_b32 s6, s5
	s_cbranch_execz .LBB803_6
; %bb.5:
	s_lshl_b64 s[8:9], s[10:11], 2
	s_delay_alu instid0(SALU_CYCLE_1) | instskip(NEXT) | instid1(VALU_DEP_1)
	v_add_co_u32 v14, s5, v6, s8
	v_add_co_ci_u32_e64 v15, s5, s9, v7, s5
	v_add_co_u32 v16, s5, v4, s8
	s_delay_alu instid0(VALU_DEP_1)
	v_add_co_ci_u32_e64 v17, s5, s9, v5, s5
	global_load_b32 v14, v[14:15], off
	global_load_b32 v15, v[16:17], off
.LBB803_6:
	s_or_b32 exec_lo, exec_lo, s6
	v_mov_b32_e32 v16, 0
	s_and_b32 s4, s4, s2
	s_delay_alu instid0(SALU_CYCLE_1)
	s_and_saveexec_b32 s5, s4
	s_cbranch_execz .LBB803_8
; %bb.7:
	s_lshl_b64 s[6:7], s[10:11], 2
	s_delay_alu instid0(SALU_CYCLE_1) | instskip(NEXT) | instid1(VALU_DEP_1)
	v_add_co_u32 v6, s4, v6, s6
	v_add_co_ci_u32_e64 v7, s4, s7, v7, s4
	v_add_co_u32 v4, s4, v4, s6
	s_delay_alu instid0(VALU_DEP_1)
	v_add_co_ci_u32_e64 v5, s4, s7, v5, s4
	global_load_b32 v8, v[6:7], off offset:128
	global_load_b32 v16, v[4:5], off offset:128
.LBB803_8:
	s_or_b32 exec_lo, exec_lo, s5
	s_load_b64 s[0:1], s[0:1], 0x28
	s_waitcnt lgkmcnt(0)
	v_add_co_u32 v2, s0, s0, v2
	s_delay_alu instid0(VALU_DEP_1) | instskip(SKIP_1) | instid1(VALU_DEP_2)
	v_add_co_ci_u32_e64 v3, s0, s1, v3, s0
	s_ashr_i32 s1, s10, 31
	v_add_co_u32 v4, s0, v2, s10
	s_delay_alu instid0(VALU_DEP_1)
	v_add_co_ci_u32_e64 v5, s0, s1, v3, s0
	s_clause 0x3
	global_load_u8 v6, v[2:3], off
	global_load_u8 v7, v[4:5], off
	global_load_u8 v2, v[2:3], off offset:32
	global_load_u8 v3, v[4:5], off offset:32
	v_mbcnt_lo_u32_b32 v4, -1, 0
	s_waitcnt vmcnt(5)
	v_add_f32_e32 v18, 0, v14
	s_delay_alu instid0(VALU_DEP_2) | instskip(NEXT) | instid1(VALU_DEP_1)
	v_xor_b32_e32 v17, 16, v4
	v_cmp_gt_i32_e64 s0, 32, v17
	s_waitcnt vmcnt(3)
	v_dual_add_f32 v6, 0, v11 :: v_dual_and_b32 v5, 1, v6
	s_waitcnt vmcnt(2)
	v_and_b32_e32 v7, 1, v7
	s_waitcnt vmcnt(1)
	v_and_b32_e32 v2, 1, v2
	v_cmp_eq_u32_e64 s5, 1, v5
	s_delay_alu instid0(VALU_DEP_3) | instskip(NEXT) | instid1(VALU_DEP_3)
	v_cmp_eq_u32_e64 s1, 1, v7
	v_cmp_eq_u32_e64 s4, 1, v2
	s_delay_alu instid0(VALU_DEP_3) | instskip(SKIP_1) | instid1(VALU_DEP_4)
	v_cndmask_b32_e64 v5, v6, 0, s5
	v_cndmask_b32_e64 v6, v4, v17, s0
	;; [unrolled: 1-line block ×3, first 2 shown]
	s_delay_alu instid0(VALU_DEP_3) | instskip(NEXT) | instid1(VALU_DEP_3)
	v_add_f32_e32 v17, v5, v10
	v_lshlrev_b32_e32 v6, 2, v6
	s_delay_alu instid0(VALU_DEP_3) | instskip(NEXT) | instid1(VALU_DEP_3)
	v_add_f32_e32 v18, v7, v8
	v_cndmask_b32_e64 v2, v17, v5, s4
	ds_bpermute_b32 v5, v6, v2
	s_waitcnt vmcnt(0) lgkmcnt(0)
	v_dual_add_f32 v2, v2, v5 :: v_dual_and_b32 v3, 1, v3
	s_delay_alu instid0(VALU_DEP_1) | instskip(NEXT) | instid1(VALU_DEP_1)
	v_cmp_eq_u32_e64 s0, 1, v3
	v_cndmask_b32_e64 v3, v18, v7, s0
	v_xor_b32_e32 v7, 8, v4
	ds_bpermute_b32 v6, v6, v3
	v_cmp_gt_i32_e64 s6, 32, v7
	s_delay_alu instid0(VALU_DEP_1) | instskip(NEXT) | instid1(VALU_DEP_1)
	v_cndmask_b32_e64 v7, v4, v7, s6
	v_lshlrev_b32_e32 v5, 2, v7
	v_xor_b32_e32 v7, 4, v4
	s_delay_alu instid0(VALU_DEP_1) | instskip(NEXT) | instid1(VALU_DEP_1)
	v_cmp_gt_i32_e64 s6, 32, v7
	v_cndmask_b32_e64 v7, v4, v7, s6
	s_waitcnt lgkmcnt(0)
	v_add_f32_e32 v3, v3, v6
	ds_bpermute_b32 v6, v5, v2
	s_waitcnt lgkmcnt(0)
	v_add_f32_e32 v2, v2, v6
	v_lshlrev_b32_e32 v6, 2, v7
	ds_bpermute_b32 v5, v5, v3
	v_xor_b32_e32 v7, 2, v4
	s_delay_alu instid0(VALU_DEP_1) | instskip(NEXT) | instid1(VALU_DEP_1)
	v_cmp_gt_i32_e64 s6, 32, v7
	v_cndmask_b32_e64 v7, v4, v7, s6
	s_waitcnt lgkmcnt(0)
	v_add_f32_e32 v3, v3, v5
	ds_bpermute_b32 v5, v6, v2
	ds_bpermute_b32 v6, v6, v3
	s_waitcnt lgkmcnt(1)
	v_dual_add_f32 v2, v2, v5 :: v_dual_lshlrev_b32 v5, 2, v7
	v_xor_b32_e32 v7, 1, v4
	s_delay_alu instid0(VALU_DEP_1) | instskip(NEXT) | instid1(VALU_DEP_1)
	v_cmp_gt_i32_e64 s6, 32, v7
	v_cndmask_b32_e64 v7, v4, v7, s6
	s_waitcnt lgkmcnt(0)
	v_add_f32_e32 v3, v3, v6
	ds_bpermute_b32 v6, v5, v2
	s_waitcnt lgkmcnt(0)
	v_add_f32_e32 v4, v2, v6
	v_lshlrev_b32_e32 v6, 2, v7
	ds_bpermute_b32 v5, v5, v3
	s_waitcnt lgkmcnt(0)
	v_add_f32_e32 v2, v3, v5
	ds_bpermute_b32 v5, v6, v4
	ds_bpermute_b32 v3, v6, v2
	s_and_saveexec_b32 s6, s3
	s_cbranch_execz .LBB803_12
; %bb.9:
	v_add_co_u32 v0, s3, s12, v0
	s_waitcnt lgkmcnt(1)
	v_add_f32_e32 v4, v4, v5
	v_add_co_ci_u32_e64 v1, s3, s13, v1, s3
	s_and_saveexec_b32 s3, vcc_lo
	s_cbranch_execnz .LBB803_13
; %bb.10:
	s_or_b32 exec_lo, exec_lo, s3
	s_and_saveexec_b32 s3, s2
	s_cbranch_execnz .LBB803_14
.LBB803_11:
	s_or_b32 exec_lo, exec_lo, s3
	v_cmp_ne_u32_e64 s3, 1, v9
	s_delay_alu instid0(VALU_DEP_1)
	s_and_b32 exec_lo, exec_lo, s3
	s_cbranch_execnz .LBB803_15
.LBB803_12:
	s_nop 0
	s_sendmsg sendmsg(MSG_DEALLOC_VGPRS)
	s_endpgm
.LBB803_13:
	s_delay_alu instid0(VALU_DEP_2) | instskip(NEXT) | instid1(VALU_DEP_1)
	v_fma_f32 v5, -v4, v12, v11
	v_cndmask_b32_e64 v5, v5, 0, s5
	global_store_b32 v[0:1], v5, off
	s_or_b32 exec_lo, exec_lo, s3
	s_and_saveexec_b32 s3, s2
	s_cbranch_execz .LBB803_11
.LBB803_14:
	v_fma_f32 v4, -v4, v13, v10
	s_delay_alu instid0(VALU_DEP_1) | instskip(SKIP_3) | instid1(VALU_DEP_1)
	v_cndmask_b32_e64 v4, v4, 0, s4
	global_store_b32 v[0:1], v4, off offset:128
	s_or_b32 exec_lo, exec_lo, s3
	v_cmp_ne_u32_e64 s3, 1, v9
	s_and_b32 exec_lo, exec_lo, s3
	s_cbranch_execz .LBB803_12
.LBB803_15:
	s_lshl_b64 s[4:5], s[10:11], 2
	s_waitcnt lgkmcnt(0)
	v_add_f32_e32 v2, v2, v3
	v_add_co_u32 v0, s3, v0, s4
	s_delay_alu instid0(VALU_DEP_1)
	v_add_co_ci_u32_e64 v1, s3, s5, v1, s3
	s_and_saveexec_b32 s3, vcc_lo
	s_cbranch_execz .LBB803_17
; %bb.16:
	v_fma_f32 v3, -v2, v15, v14
	s_delay_alu instid0(VALU_DEP_1)
	v_cndmask_b32_e64 v3, v3, 0, s1
	global_store_b32 v[0:1], v3, off
.LBB803_17:
	s_or_b32 exec_lo, exec_lo, s3
	s_delay_alu instid0(SALU_CYCLE_1)
	s_and_b32 exec_lo, exec_lo, s2
	s_cbranch_execz .LBB803_12
; %bb.18:
	v_fma_f32 v2, -v2, v16, v8
	s_delay_alu instid0(VALU_DEP_1)
	v_cndmask_b32_e64 v2, v2, 0, s0
	global_store_b32 v[0:1], v2, off offset:128
	s_nop 0
	s_sendmsg sendmsg(MSG_DEALLOC_VGPRS)
	s_endpgm
	.section	.rodata,"a",@progbits
	.p2align	6, 0x0
	.amdhsa_kernel _ZN12_GLOBAL__N_121softmax_warp_backwardIfffLi6ELb0ELb1ELi32EEEvPT0_PKT_S5_iiiPKb
		.amdhsa_group_segment_fixed_size 0
		.amdhsa_private_segment_fixed_size 0
		.amdhsa_kernarg_size 304
		.amdhsa_user_sgpr_count 15
		.amdhsa_user_sgpr_dispatch_ptr 0
		.amdhsa_user_sgpr_queue_ptr 0
		.amdhsa_user_sgpr_kernarg_segment_ptr 1
		.amdhsa_user_sgpr_dispatch_id 0
		.amdhsa_user_sgpr_private_segment_size 0
		.amdhsa_wavefront_size32 1
		.amdhsa_uses_dynamic_stack 0
		.amdhsa_enable_private_segment 0
		.amdhsa_system_sgpr_workgroup_id_x 1
		.amdhsa_system_sgpr_workgroup_id_y 0
		.amdhsa_system_sgpr_workgroup_id_z 0
		.amdhsa_system_sgpr_workgroup_info 0
		.amdhsa_system_vgpr_workitem_id 1
		.amdhsa_next_free_vgpr 19
		.amdhsa_next_free_sgpr 16
		.amdhsa_reserve_vcc 1
		.amdhsa_float_round_mode_32 0
		.amdhsa_float_round_mode_16_64 0
		.amdhsa_float_denorm_mode_32 3
		.amdhsa_float_denorm_mode_16_64 3
		.amdhsa_dx10_clamp 1
		.amdhsa_ieee_mode 1
		.amdhsa_fp16_overflow 0
		.amdhsa_workgroup_processor_mode 1
		.amdhsa_memory_ordered 1
		.amdhsa_forward_progress 0
		.amdhsa_shared_vgpr_count 0
		.amdhsa_exception_fp_ieee_invalid_op 0
		.amdhsa_exception_fp_denorm_src 0
		.amdhsa_exception_fp_ieee_div_zero 0
		.amdhsa_exception_fp_ieee_overflow 0
		.amdhsa_exception_fp_ieee_underflow 0
		.amdhsa_exception_fp_ieee_inexact 0
		.amdhsa_exception_int_div_zero 0
	.end_amdhsa_kernel
	.section	.text._ZN12_GLOBAL__N_121softmax_warp_backwardIfffLi6ELb0ELb1ELi32EEEvPT0_PKT_S5_iiiPKb,"axG",@progbits,_ZN12_GLOBAL__N_121softmax_warp_backwardIfffLi6ELb0ELb1ELi32EEEvPT0_PKT_S5_iiiPKb,comdat
.Lfunc_end803:
	.size	_ZN12_GLOBAL__N_121softmax_warp_backwardIfffLi6ELb0ELb1ELi32EEEvPT0_PKT_S5_iiiPKb, .Lfunc_end803-_ZN12_GLOBAL__N_121softmax_warp_backwardIfffLi6ELb0ELb1ELi32EEEvPT0_PKT_S5_iiiPKb
                                        ; -- End function
	.section	.AMDGPU.csdata,"",@progbits
; Kernel info:
; codeLenInByte = 1264
; NumSgprs: 18
; NumVgprs: 19
; ScratchSize: 0
; MemoryBound: 0
; FloatMode: 240
; IeeeMode: 1
; LDSByteSize: 0 bytes/workgroup (compile time only)
; SGPRBlocks: 2
; VGPRBlocks: 2
; NumSGPRsForWavesPerEU: 18
; NumVGPRsForWavesPerEU: 19
; Occupancy: 16
; WaveLimiterHint : 0
; COMPUTE_PGM_RSRC2:SCRATCH_EN: 0
; COMPUTE_PGM_RSRC2:USER_SGPR: 15
; COMPUTE_PGM_RSRC2:TRAP_HANDLER: 0
; COMPUTE_PGM_RSRC2:TGID_X_EN: 1
; COMPUTE_PGM_RSRC2:TGID_Y_EN: 0
; COMPUTE_PGM_RSRC2:TGID_Z_EN: 0
; COMPUTE_PGM_RSRC2:TIDIG_COMP_CNT: 1
	.section	.text._ZN12_GLOBAL__N_121softmax_warp_backwardIfffLi7ELb0ELb1ELi64EEEvPT0_PKT_S5_iiiPKb,"axG",@progbits,_ZN12_GLOBAL__N_121softmax_warp_backwardIfffLi7ELb0ELb1ELi64EEEvPT0_PKT_S5_iiiPKb,comdat
	.globl	_ZN12_GLOBAL__N_121softmax_warp_backwardIfffLi7ELb0ELb1ELi64EEEvPT0_PKT_S5_iiiPKb ; -- Begin function _ZN12_GLOBAL__N_121softmax_warp_backwardIfffLi7ELb0ELb1ELi64EEEvPT0_PKT_S5_iiiPKb
	.p2align	8
	.type	_ZN12_GLOBAL__N_121softmax_warp_backwardIfffLi7ELb0ELb1ELi64EEEvPT0_PKT_S5_iiiPKb,@function
_ZN12_GLOBAL__N_121softmax_warp_backwardIfffLi7ELb0ELb1ELi64EEEvPT0_PKT_S5_iiiPKb: ; @_ZN12_GLOBAL__N_121softmax_warp_backwardIfffLi7ELb0ELb1ELi64EEEvPT0_PKT_S5_iiiPKb
; %bb.0:
	s_clause 0x1
	s_load_b32 s2, s[0:1], 0x3c
	s_load_b128 s[8:11], s[0:1], 0x18
	v_bfe_u32 v1, v0, 10, 10
	v_dual_mov_b32 v11, 0 :: v_dual_and_b32 v8, 63, v0
	v_mov_b32_e32 v10, 0
	v_mov_b32_e32 v12, 0
	s_load_b64 s[4:5], s[0:1], 0x10
	s_waitcnt lgkmcnt(0)
	s_lshr_b32 s2, s2, 16
	v_cmp_gt_i32_e32 vcc_lo, s10, v8
	s_mul_i32 s15, s15, s2
	s_delay_alu instid0(SALU_CYCLE_1) | instskip(SKIP_1) | instid1(VALU_DEP_1)
	v_add_lshl_u32 v0, s15, v1, 1
	s_load_b128 s[12:15], s[0:1], 0x0
	v_mad_u64_u32 v[2:3], null, v0, s9, v[8:9]
	v_sub_nc_u32_e32 v9, s8, v0
	s_delay_alu instid0(VALU_DEP_1) | instskip(NEXT) | instid1(VALU_DEP_3)
	v_cmp_lt_i32_e64 s3, 0, v9
	v_ashrrev_i32_e32 v3, 31, v2
	s_delay_alu instid0(VALU_DEP_1) | instskip(SKIP_1) | instid1(VALU_DEP_1)
	v_lshlrev_b64 v[0:1], 2, v[2:3]
	s_waitcnt lgkmcnt(0)
	v_add_co_u32 v6, s2, s14, v0
	s_delay_alu instid0(VALU_DEP_1) | instskip(SKIP_1) | instid1(VALU_DEP_1)
	v_add_co_ci_u32_e64 v7, s2, s15, v1, s2
	v_add_co_u32 v4, s2, s4, v0
	v_add_co_ci_u32_e64 v5, s2, s5, v1, s2
	s_and_b32 s4, s3, vcc_lo
	s_delay_alu instid0(SALU_CYCLE_1)
	s_and_saveexec_b32 s2, s4
	s_cbranch_execz .LBB804_2
; %bb.1:
	global_load_b32 v11, v[6:7], off
	global_load_b32 v12, v[4:5], off
.LBB804_2:
	s_or_b32 exec_lo, exec_lo, s2
	v_or_b32_e32 v8, 64, v8
	v_mov_b32_e32 v13, 0
	s_delay_alu instid0(VALU_DEP_2) | instskip(NEXT) | instid1(VALU_DEP_1)
	v_cmp_gt_i32_e64 s2, s10, v8
	s_and_b32 s5, s3, s2
	s_delay_alu instid0(SALU_CYCLE_1)
	s_and_saveexec_b32 s4, s5
	s_cbranch_execz .LBB804_4
; %bb.3:
	global_load_b32 v10, v[6:7], off offset:256
	global_load_b32 v13, v[4:5], off offset:256
.LBB804_4:
	s_or_b32 exec_lo, exec_lo, s4
	v_cmp_lt_i32_e64 s4, 1, v9
	v_dual_mov_b32 v8, 0 :: v_dual_mov_b32 v15, 0
	v_mov_b32_e32 v14, 0
	s_mov_b32 s11, 0
	s_delay_alu instid0(VALU_DEP_3) | instskip(NEXT) | instid1(SALU_CYCLE_1)
	s_and_b32 s5, s4, vcc_lo
	s_and_saveexec_b32 s6, s5
	s_cbranch_execz .LBB804_6
; %bb.5:
	s_lshl_b64 s[8:9], s[10:11], 2
	s_delay_alu instid0(SALU_CYCLE_1) | instskip(NEXT) | instid1(VALU_DEP_1)
	v_add_co_u32 v14, s5, v6, s8
	v_add_co_ci_u32_e64 v15, s5, s9, v7, s5
	v_add_co_u32 v16, s5, v4, s8
	s_delay_alu instid0(VALU_DEP_1)
	v_add_co_ci_u32_e64 v17, s5, s9, v5, s5
	global_load_b32 v14, v[14:15], off
	global_load_b32 v15, v[16:17], off
.LBB804_6:
	s_or_b32 exec_lo, exec_lo, s6
	v_mov_b32_e32 v16, 0
	s_and_b32 s4, s4, s2
	s_delay_alu instid0(SALU_CYCLE_1)
	s_and_saveexec_b32 s5, s4
	s_cbranch_execz .LBB804_8
; %bb.7:
	s_lshl_b64 s[6:7], s[10:11], 2
	s_delay_alu instid0(SALU_CYCLE_1) | instskip(NEXT) | instid1(VALU_DEP_1)
	v_add_co_u32 v6, s4, v6, s6
	v_add_co_ci_u32_e64 v7, s4, s7, v7, s4
	v_add_co_u32 v4, s4, v4, s6
	s_delay_alu instid0(VALU_DEP_1)
	v_add_co_ci_u32_e64 v5, s4, s7, v5, s4
	global_load_b32 v8, v[6:7], off offset:256
	global_load_b32 v16, v[4:5], off offset:256
.LBB804_8:
	s_or_b32 exec_lo, exec_lo, s5
	s_load_b64 s[0:1], s[0:1], 0x28
	s_waitcnt lgkmcnt(0)
	v_add_co_u32 v2, s0, s0, v2
	s_delay_alu instid0(VALU_DEP_1) | instskip(SKIP_1) | instid1(VALU_DEP_2)
	v_add_co_ci_u32_e64 v3, s0, s1, v3, s0
	s_ashr_i32 s1, s10, 31
	v_add_co_u32 v4, s0, v2, s10
	s_delay_alu instid0(VALU_DEP_1)
	v_add_co_ci_u32_e64 v5, s0, s1, v3, s0
	s_clause 0x3
	global_load_u8 v6, v[2:3], off
	global_load_u8 v7, v[4:5], off
	global_load_u8 v2, v[2:3], off offset:64
	global_load_u8 v3, v[4:5], off offset:64
	v_mbcnt_lo_u32_b32 v4, -1, 0
	s_waitcnt vmcnt(5)
	v_add_f32_e32 v18, 0, v14
	s_delay_alu instid0(VALU_DEP_2) | instskip(NEXT) | instid1(VALU_DEP_1)
	v_or_b32_e32 v17, 32, v4
	v_cmp_gt_i32_e64 s0, 64, v17
	s_waitcnt vmcnt(3)
	v_dual_add_f32 v6, 0, v11 :: v_dual_and_b32 v5, 1, v6
	s_waitcnt vmcnt(2)
	v_and_b32_e32 v7, 1, v7
	s_waitcnt vmcnt(1)
	v_and_b32_e32 v2, 1, v2
	v_cmp_eq_u32_e64 s5, 1, v5
	s_delay_alu instid0(VALU_DEP_3) | instskip(NEXT) | instid1(VALU_DEP_3)
	v_cmp_eq_u32_e64 s1, 1, v7
	v_cmp_eq_u32_e64 s4, 1, v2
	s_delay_alu instid0(VALU_DEP_3) | instskip(SKIP_1) | instid1(VALU_DEP_4)
	v_cndmask_b32_e64 v5, v6, 0, s5
	v_cndmask_b32_e64 v6, v4, v17, s0
	;; [unrolled: 1-line block ×3, first 2 shown]
	s_delay_alu instid0(VALU_DEP_3) | instskip(NEXT) | instid1(VALU_DEP_3)
	v_add_f32_e32 v17, v5, v10
	v_lshlrev_b32_e32 v6, 2, v6
	s_delay_alu instid0(VALU_DEP_3) | instskip(NEXT) | instid1(VALU_DEP_3)
	v_add_f32_e32 v18, v7, v8
	v_cndmask_b32_e64 v2, v17, v5, s4
	ds_bpermute_b32 v5, v6, v2
	s_waitcnt vmcnt(0) lgkmcnt(0)
	v_dual_add_f32 v2, v2, v5 :: v_dual_and_b32 v3, 1, v3
	s_delay_alu instid0(VALU_DEP_1) | instskip(NEXT) | instid1(VALU_DEP_1)
	v_cmp_eq_u32_e64 s0, 1, v3
	v_cndmask_b32_e64 v3, v18, v7, s0
	v_xor_b32_e32 v7, 16, v4
	ds_bpermute_b32 v6, v6, v3
	v_cmp_gt_i32_e64 s6, 64, v7
	s_delay_alu instid0(VALU_DEP_1) | instskip(NEXT) | instid1(VALU_DEP_1)
	v_cndmask_b32_e64 v7, v4, v7, s6
	v_lshlrev_b32_e32 v7, 2, v7
	ds_bpermute_b32 v5, v7, v2
	s_waitcnt lgkmcnt(0)
	v_dual_add_f32 v3, v3, v6 :: v_dual_add_f32 v2, v2, v5
	ds_bpermute_b32 v6, v7, v3
	v_xor_b32_e32 v7, 8, v4
	s_delay_alu instid0(VALU_DEP_1) | instskip(NEXT) | instid1(VALU_DEP_1)
	v_cmp_gt_i32_e64 s6, 64, v7
	v_cndmask_b32_e64 v7, v4, v7, s6
	s_delay_alu instid0(VALU_DEP_1)
	v_lshlrev_b32_e32 v5, 2, v7
	v_xor_b32_e32 v7, 4, v4
	s_waitcnt lgkmcnt(0)
	v_add_f32_e32 v3, v3, v6
	ds_bpermute_b32 v6, v5, v2
	v_cmp_gt_i32_e64 s6, 64, v7
	s_delay_alu instid0(VALU_DEP_1)
	v_cndmask_b32_e64 v7, v4, v7, s6
	s_waitcnt lgkmcnt(0)
	v_add_f32_e32 v2, v2, v6
	ds_bpermute_b32 v5, v5, v3
	v_lshlrev_b32_e32 v6, 2, v7
	v_xor_b32_e32 v7, 2, v4
	s_delay_alu instid0(VALU_DEP_1) | instskip(NEXT) | instid1(VALU_DEP_1)
	v_cmp_gt_i32_e64 s6, 64, v7
	v_cndmask_b32_e64 v7, v4, v7, s6
	s_waitcnt lgkmcnt(0)
	v_add_f32_e32 v3, v3, v5
	ds_bpermute_b32 v5, v6, v2
	ds_bpermute_b32 v6, v6, v3
	s_waitcnt lgkmcnt(1)
	v_dual_add_f32 v2, v2, v5 :: v_dual_lshlrev_b32 v5, 2, v7
	v_xor_b32_e32 v7, 1, v4
	s_delay_alu instid0(VALU_DEP_1) | instskip(NEXT) | instid1(VALU_DEP_1)
	v_cmp_gt_i32_e64 s6, 64, v7
	v_cndmask_b32_e64 v7, v4, v7, s6
	s_waitcnt lgkmcnt(0)
	v_add_f32_e32 v3, v3, v6
	ds_bpermute_b32 v6, v5, v2
	s_waitcnt lgkmcnt(0)
	v_add_f32_e32 v4, v2, v6
	v_lshlrev_b32_e32 v6, 2, v7
	ds_bpermute_b32 v5, v5, v3
	s_waitcnt lgkmcnt(0)
	v_add_f32_e32 v2, v3, v5
	ds_bpermute_b32 v5, v6, v4
	ds_bpermute_b32 v3, v6, v2
	s_and_saveexec_b32 s6, s3
	s_cbranch_execz .LBB804_12
; %bb.9:
	v_add_co_u32 v0, s3, s12, v0
	s_waitcnt lgkmcnt(1)
	v_add_f32_e32 v4, v4, v5
	v_add_co_ci_u32_e64 v1, s3, s13, v1, s3
	s_and_saveexec_b32 s3, vcc_lo
	s_cbranch_execnz .LBB804_13
; %bb.10:
	s_or_b32 exec_lo, exec_lo, s3
	s_and_saveexec_b32 s3, s2
	s_cbranch_execnz .LBB804_14
.LBB804_11:
	s_or_b32 exec_lo, exec_lo, s3
	v_cmp_ne_u32_e64 s3, 1, v9
	s_delay_alu instid0(VALU_DEP_1)
	s_and_b32 exec_lo, exec_lo, s3
	s_cbranch_execnz .LBB804_15
.LBB804_12:
	s_nop 0
	s_sendmsg sendmsg(MSG_DEALLOC_VGPRS)
	s_endpgm
.LBB804_13:
	s_delay_alu instid0(VALU_DEP_2) | instskip(NEXT) | instid1(VALU_DEP_1)
	v_fma_f32 v5, -v4, v12, v11
	v_cndmask_b32_e64 v5, v5, 0, s5
	global_store_b32 v[0:1], v5, off
	s_or_b32 exec_lo, exec_lo, s3
	s_and_saveexec_b32 s3, s2
	s_cbranch_execz .LBB804_11
.LBB804_14:
	v_fma_f32 v4, -v4, v13, v10
	s_delay_alu instid0(VALU_DEP_1) | instskip(SKIP_3) | instid1(VALU_DEP_1)
	v_cndmask_b32_e64 v4, v4, 0, s4
	global_store_b32 v[0:1], v4, off offset:256
	s_or_b32 exec_lo, exec_lo, s3
	v_cmp_ne_u32_e64 s3, 1, v9
	s_and_b32 exec_lo, exec_lo, s3
	s_cbranch_execz .LBB804_12
.LBB804_15:
	s_lshl_b64 s[4:5], s[10:11], 2
	s_waitcnt lgkmcnt(0)
	v_add_f32_e32 v2, v2, v3
	v_add_co_u32 v0, s3, v0, s4
	s_delay_alu instid0(VALU_DEP_1)
	v_add_co_ci_u32_e64 v1, s3, s5, v1, s3
	s_and_saveexec_b32 s3, vcc_lo
	s_cbranch_execz .LBB804_17
; %bb.16:
	v_fma_f32 v3, -v2, v15, v14
	s_delay_alu instid0(VALU_DEP_1)
	v_cndmask_b32_e64 v3, v3, 0, s1
	global_store_b32 v[0:1], v3, off
.LBB804_17:
	s_or_b32 exec_lo, exec_lo, s3
	s_delay_alu instid0(SALU_CYCLE_1)
	s_and_b32 exec_lo, exec_lo, s2
	s_cbranch_execz .LBB804_12
; %bb.18:
	v_fma_f32 v2, -v2, v16, v8
	s_delay_alu instid0(VALU_DEP_1)
	v_cndmask_b32_e64 v2, v2, 0, s0
	global_store_b32 v[0:1], v2, off offset:256
	s_nop 0
	s_sendmsg sendmsg(MSG_DEALLOC_VGPRS)
	s_endpgm
	.section	.rodata,"a",@progbits
	.p2align	6, 0x0
	.amdhsa_kernel _ZN12_GLOBAL__N_121softmax_warp_backwardIfffLi7ELb0ELb1ELi64EEEvPT0_PKT_S5_iiiPKb
		.amdhsa_group_segment_fixed_size 0
		.amdhsa_private_segment_fixed_size 0
		.amdhsa_kernarg_size 304
		.amdhsa_user_sgpr_count 15
		.amdhsa_user_sgpr_dispatch_ptr 0
		.amdhsa_user_sgpr_queue_ptr 0
		.amdhsa_user_sgpr_kernarg_segment_ptr 1
		.amdhsa_user_sgpr_dispatch_id 0
		.amdhsa_user_sgpr_private_segment_size 0
		.amdhsa_wavefront_size32 1
		.amdhsa_uses_dynamic_stack 0
		.amdhsa_enable_private_segment 0
		.amdhsa_system_sgpr_workgroup_id_x 1
		.amdhsa_system_sgpr_workgroup_id_y 0
		.amdhsa_system_sgpr_workgroup_id_z 0
		.amdhsa_system_sgpr_workgroup_info 0
		.amdhsa_system_vgpr_workitem_id 1
		.amdhsa_next_free_vgpr 19
		.amdhsa_next_free_sgpr 16
		.amdhsa_reserve_vcc 1
		.amdhsa_float_round_mode_32 0
		.amdhsa_float_round_mode_16_64 0
		.amdhsa_float_denorm_mode_32 3
		.amdhsa_float_denorm_mode_16_64 3
		.amdhsa_dx10_clamp 1
		.amdhsa_ieee_mode 1
		.amdhsa_fp16_overflow 0
		.amdhsa_workgroup_processor_mode 1
		.amdhsa_memory_ordered 1
		.amdhsa_forward_progress 0
		.amdhsa_shared_vgpr_count 0
		.amdhsa_exception_fp_ieee_invalid_op 0
		.amdhsa_exception_fp_denorm_src 0
		.amdhsa_exception_fp_ieee_div_zero 0
		.amdhsa_exception_fp_ieee_overflow 0
		.amdhsa_exception_fp_ieee_underflow 0
		.amdhsa_exception_fp_ieee_inexact 0
		.amdhsa_exception_int_div_zero 0
	.end_amdhsa_kernel
	.section	.text._ZN12_GLOBAL__N_121softmax_warp_backwardIfffLi7ELb0ELb1ELi64EEEvPT0_PKT_S5_iiiPKb,"axG",@progbits,_ZN12_GLOBAL__N_121softmax_warp_backwardIfffLi7ELb0ELb1ELi64EEEvPT0_PKT_S5_iiiPKb,comdat
.Lfunc_end804:
	.size	_ZN12_GLOBAL__N_121softmax_warp_backwardIfffLi7ELb0ELb1ELi64EEEvPT0_PKT_S5_iiiPKb, .Lfunc_end804-_ZN12_GLOBAL__N_121softmax_warp_backwardIfffLi7ELb0ELb1ELi64EEEvPT0_PKT_S5_iiiPKb
                                        ; -- End function
	.section	.AMDGPU.csdata,"",@progbits
; Kernel info:
; codeLenInByte = 1324
; NumSgprs: 18
; NumVgprs: 19
; ScratchSize: 0
; MemoryBound: 0
; FloatMode: 240
; IeeeMode: 1
; LDSByteSize: 0 bytes/workgroup (compile time only)
; SGPRBlocks: 2
; VGPRBlocks: 2
; NumSGPRsForWavesPerEU: 18
; NumVGPRsForWavesPerEU: 19
; Occupancy: 16
; WaveLimiterHint : 0
; COMPUTE_PGM_RSRC2:SCRATCH_EN: 0
; COMPUTE_PGM_RSRC2:USER_SGPR: 15
; COMPUTE_PGM_RSRC2:TRAP_HANDLER: 0
; COMPUTE_PGM_RSRC2:TGID_X_EN: 1
; COMPUTE_PGM_RSRC2:TGID_Y_EN: 0
; COMPUTE_PGM_RSRC2:TGID_Z_EN: 0
; COMPUTE_PGM_RSRC2:TIDIG_COMP_CNT: 1
	.section	.text._ZN12_GLOBAL__N_121softmax_warp_backwardIfffLi7ELb0ELb1ELi32EEEvPT0_PKT_S5_iiiPKb,"axG",@progbits,_ZN12_GLOBAL__N_121softmax_warp_backwardIfffLi7ELb0ELb1ELi32EEEvPT0_PKT_S5_iiiPKb,comdat
	.globl	_ZN12_GLOBAL__N_121softmax_warp_backwardIfffLi7ELb0ELb1ELi32EEEvPT0_PKT_S5_iiiPKb ; -- Begin function _ZN12_GLOBAL__N_121softmax_warp_backwardIfffLi7ELb0ELb1ELi32EEEvPT0_PKT_S5_iiiPKb
	.p2align	8
	.type	_ZN12_GLOBAL__N_121softmax_warp_backwardIfffLi7ELb0ELb1ELi32EEEvPT0_PKT_S5_iiiPKb,@function
_ZN12_GLOBAL__N_121softmax_warp_backwardIfffLi7ELb0ELb1ELi32EEEvPT0_PKT_S5_iiiPKb: ; @_ZN12_GLOBAL__N_121softmax_warp_backwardIfffLi7ELb0ELb1ELi32EEEvPT0_PKT_S5_iiiPKb
; %bb.0:
	s_clause 0x1
	s_load_b32 s2, s[0:1], 0x3c
	s_load_b128 s[8:11], s[0:1], 0x18
	v_bfe_u32 v1, v0, 10, 10
	v_dual_mov_b32 v11, 0 :: v_dual_and_b32 v8, 31, v0
	v_dual_mov_b32 v10, 0 :: v_dual_mov_b32 v13, 0
	s_load_b64 s[6:7], s[0:1], 0x10
	s_waitcnt lgkmcnt(0)
	s_lshr_b32 s2, s2, 16
	v_cmp_gt_i32_e32 vcc_lo, s10, v8
	s_mul_i32 s15, s15, s2
	s_delay_alu instid0(SALU_CYCLE_1) | instskip(SKIP_1) | instid1(VALU_DEP_1)
	v_add_lshl_u32 v0, s15, v1, 1
	s_load_b128 s[12:15], s[0:1], 0x0
	v_mad_u64_u32 v[2:3], null, v0, s9, v[8:9]
	v_sub_nc_u32_e32 v9, s8, v0
	s_delay_alu instid0(VALU_DEP_1) | instskip(NEXT) | instid1(VALU_DEP_3)
	v_cmp_lt_i32_e64 s5, 0, v9
	v_ashrrev_i32_e32 v3, 31, v2
	s_delay_alu instid0(VALU_DEP_2) | instskip(NEXT) | instid1(VALU_DEP_1)
	s_and_b32 s3, s5, vcc_lo
	v_lshlrev_b64 v[0:1], 2, v[2:3]
	s_waitcnt lgkmcnt(0)
	s_delay_alu instid0(VALU_DEP_1) | instskip(NEXT) | instid1(VALU_DEP_1)
	v_add_co_u32 v6, s2, s14, v0
	v_add_co_ci_u32_e64 v7, s2, s15, v1, s2
	v_add_co_u32 v4, s2, s6, v0
	s_delay_alu instid0(VALU_DEP_1)
	v_add_co_ci_u32_e64 v5, s2, s7, v1, s2
	s_and_saveexec_b32 s2, s3
	s_cbranch_execz .LBB805_2
; %bb.1:
	global_load_b32 v11, v[6:7], off
	global_load_b32 v13, v[4:5], off
.LBB805_2:
	s_or_b32 exec_lo, exec_lo, s2
	v_or_b32_e32 v12, 32, v8
	v_mov_b32_e32 v14, 0
	s_delay_alu instid0(VALU_DEP_2) | instskip(NEXT) | instid1(VALU_DEP_1)
	v_cmp_gt_i32_e64 s2, s10, v12
	s_and_b32 s4, s5, s2
	s_delay_alu instid0(SALU_CYCLE_1)
	s_and_saveexec_b32 s3, s4
	s_cbranch_execz .LBB805_4
; %bb.3:
	global_load_b32 v10, v[6:7], off offset:128
	global_load_b32 v14, v[4:5], off offset:128
.LBB805_4:
	s_or_b32 exec_lo, exec_lo, s3
	v_or_b32_e32 v12, 64, v8
	v_dual_mov_b32 v16, 0 :: v_dual_mov_b32 v15, 0
	s_delay_alu instid0(VALU_DEP_2) | instskip(SKIP_1) | instid1(VALU_DEP_2)
	v_cmp_gt_i32_e64 s3, s10, v12
	v_mov_b32_e32 v12, 0
	s_and_b32 s6, s5, s3
	s_delay_alu instid0(SALU_CYCLE_1)
	s_and_saveexec_b32 s4, s6
	s_cbranch_execz .LBB805_6
; %bb.5:
	global_load_b32 v15, v[6:7], off offset:256
	global_load_b32 v16, v[4:5], off offset:256
.LBB805_6:
	s_or_b32 exec_lo, exec_lo, s4
	v_or_b32_e32 v8, 0x60, v8
	v_mov_b32_e32 v17, 0
	s_delay_alu instid0(VALU_DEP_2) | instskip(NEXT) | instid1(VALU_DEP_1)
	v_cmp_gt_i32_e64 s4, s10, v8
	s_and_b32 s7, s5, s4
	s_delay_alu instid0(SALU_CYCLE_1)
	s_and_saveexec_b32 s6, s7
	s_cbranch_execz .LBB805_8
; %bb.7:
	global_load_b32 v12, v[6:7], off offset:384
	global_load_b32 v17, v[4:5], off offset:384
.LBB805_8:
	s_or_b32 exec_lo, exec_lo, s6
	v_cmp_lt_i32_e64 s6, 1, v9
	v_dual_mov_b32 v8, 0 :: v_dual_mov_b32 v19, 0
	v_mov_b32_e32 v18, 0
	s_mov_b32 s11, 0
	s_delay_alu instid0(VALU_DEP_3) | instskip(NEXT) | instid1(SALU_CYCLE_1)
	s_and_b32 s7, s6, vcc_lo
	s_and_saveexec_b32 s8, s7
	s_cbranch_execz .LBB805_10
; %bb.9:
	s_lshl_b64 s[14:15], s[10:11], 2
	s_delay_alu instid0(SALU_CYCLE_1) | instskip(NEXT) | instid1(VALU_DEP_1)
	v_add_co_u32 v18, s7, v6, s14
	v_add_co_ci_u32_e64 v19, s7, s15, v7, s7
	v_add_co_u32 v20, s7, v4, s14
	s_delay_alu instid0(VALU_DEP_1)
	v_add_co_ci_u32_e64 v21, s7, s15, v5, s7
	global_load_b32 v18, v[18:19], off
	global_load_b32 v19, v[20:21], off
.LBB805_10:
	s_or_b32 exec_lo, exec_lo, s8
	v_mov_b32_e32 v20, 0
	s_and_b32 s7, s6, s2
	s_delay_alu instid0(SALU_CYCLE_1)
	s_and_saveexec_b32 s8, s7
	s_cbranch_execz .LBB805_12
; %bb.11:
	s_lshl_b64 s[14:15], s[10:11], 2
	s_delay_alu instid0(SALU_CYCLE_1) | instskip(NEXT) | instid1(VALU_DEP_1)
	v_add_co_u32 v20, s7, v6, s14
	v_add_co_ci_u32_e64 v21, s7, s15, v7, s7
	v_add_co_u32 v22, s7, v4, s14
	s_delay_alu instid0(VALU_DEP_1)
	v_add_co_ci_u32_e64 v23, s7, s15, v5, s7
	global_load_b32 v8, v[20:21], off offset:128
	global_load_b32 v20, v[22:23], off offset:128
.LBB805_12:
	s_or_b32 exec_lo, exec_lo, s8
	v_dual_mov_b32 v21, 0 :: v_dual_mov_b32 v22, 0
	v_mov_b32_e32 v23, 0
	s_and_b32 s7, s6, s3
	s_delay_alu instid0(SALU_CYCLE_1)
	s_and_saveexec_b32 s8, s7
	s_cbranch_execz .LBB805_14
; %bb.13:
	s_lshl_b64 s[14:15], s[10:11], 2
	s_delay_alu instid0(SALU_CYCLE_1) | instskip(NEXT) | instid1(VALU_DEP_1)
	v_add_co_u32 v22, s7, v6, s14
	v_add_co_ci_u32_e64 v23, s7, s15, v7, s7
	v_add_co_u32 v24, s7, v4, s14
	s_delay_alu instid0(VALU_DEP_1)
	v_add_co_ci_u32_e64 v25, s7, s15, v5, s7
	global_load_b32 v22, v[22:23], off offset:256
	global_load_b32 v23, v[24:25], off offset:256
.LBB805_14:
	s_or_b32 exec_lo, exec_lo, s8
	v_mov_b32_e32 v24, 0
	s_and_b32 s6, s6, s4
	s_delay_alu instid0(SALU_CYCLE_1)
	s_and_saveexec_b32 s7, s6
	s_cbranch_execz .LBB805_16
; %bb.15:
	s_lshl_b64 s[8:9], s[10:11], 2
	s_delay_alu instid0(SALU_CYCLE_1) | instskip(NEXT) | instid1(VALU_DEP_1)
	v_add_co_u32 v6, s6, v6, s8
	v_add_co_ci_u32_e64 v7, s6, s9, v7, s6
	v_add_co_u32 v4, s6, v4, s8
	s_delay_alu instid0(VALU_DEP_1)
	v_add_co_ci_u32_e64 v5, s6, s9, v5, s6
	global_load_b32 v21, v[6:7], off offset:384
	global_load_b32 v24, v[4:5], off offset:384
.LBB805_16:
	s_or_b32 exec_lo, exec_lo, s7
	s_load_b64 s[0:1], s[0:1], 0x28
	s_ashr_i32 s11, s10, 31
	s_waitcnt vmcnt(1)
	v_add_f32_e32 v30, 0, v18
	s_waitcnt lgkmcnt(0)
	v_add_co_u32 v2, s0, s0, v2
	s_delay_alu instid0(VALU_DEP_1) | instskip(NEXT) | instid1(VALU_DEP_2)
	v_add_co_ci_u32_e64 v3, s0, s1, v3, s0
	v_add_co_u32 v4, s0, v2, s10
	s_delay_alu instid0(VALU_DEP_1)
	v_add_co_ci_u32_e64 v5, s0, s11, v3, s0
	s_clause 0x7
	global_load_u8 v6, v[2:3], off
	global_load_u8 v7, v[4:5], off
	global_load_u8 v25, v[2:3], off offset:32
	global_load_u8 v26, v[4:5], off offset:32
	;; [unrolled: 1-line block ×6, first 2 shown]
	s_waitcnt vmcnt(7)
	v_dual_add_f32 v6, 0, v11 :: v_dual_and_b32 v5, 1, v6
	s_waitcnt vmcnt(6)
	v_and_b32_e32 v7, 1, v7
	s_waitcnt vmcnt(4)
	v_and_b32_e32 v26, 1, v26
	v_cmp_eq_u32_e64 s8, 1, v5
	s_waitcnt vmcnt(2)
	v_and_b32_e32 v28, 1, v28
	v_cmp_eq_u32_e64 s1, 1, v7
	v_cmp_eq_u32_e64 s6, 1, v26
	s_waitcnt vmcnt(0)
	v_and_b32_e32 v4, 1, v4
	v_cndmask_b32_e64 v5, v6, 0, s8
	v_cmp_eq_u32_e64 s7, 1, v28
	v_cndmask_b32_e64 v6, v30, 0, s1
	v_and_b32_e32 v7, 1, v25
	s_delay_alu instid0(VALU_DEP_2) | instskip(NEXT) | instid1(VALU_DEP_2)
	v_dual_add_f32 v25, v5, v10 :: v_dual_add_f32 v30, v6, v8
	v_cmp_eq_u32_e64 s0, 1, v7
	v_mbcnt_lo_u32_b32 v7, -1, 0
	s_delay_alu instid0(VALU_DEP_3) | instskip(NEXT) | instid1(VALU_DEP_3)
	v_cndmask_b32_e64 v6, v30, v6, s6
	v_cndmask_b32_e64 v5, v25, v5, s0
	v_and_b32_e32 v25, 1, v27
	s_delay_alu instid0(VALU_DEP_4) | instskip(NEXT) | instid1(VALU_DEP_4)
	v_xor_b32_e32 v27, 16, v7
	v_add_f32_e32 v30, v6, v22
	s_delay_alu instid0(VALU_DEP_4) | instskip(NEXT) | instid1(VALU_DEP_4)
	v_add_f32_e32 v26, v5, v15
	v_cmp_eq_u32_e64 s0, 1, v25
	s_delay_alu instid0(VALU_DEP_3) | instskip(NEXT) | instid1(VALU_DEP_2)
	v_cndmask_b32_e64 v6, v30, v6, s7
	v_cndmask_b32_e64 v5, v26, v5, s0
	v_cmp_gt_i32_e64 s0, 32, v27
	v_and_b32_e32 v26, 1, v29
	s_delay_alu instid0(VALU_DEP_4) | instskip(NEXT) | instid1(VALU_DEP_3)
	v_add_f32_e32 v28, v6, v21
	v_cndmask_b32_e64 v25, v7, v27, s0
	v_add_f32_e32 v27, v5, v12
	s_delay_alu instid0(VALU_DEP_4) | instskip(SKIP_1) | instid1(VALU_DEP_4)
	v_cmp_eq_u32_e64 s0, 1, v26
	v_xor_b32_e32 v26, 8, v7
	v_lshlrev_b32_e32 v25, 2, v25
	s_delay_alu instid0(VALU_DEP_3) | instskip(SKIP_1) | instid1(VALU_DEP_4)
	v_cndmask_b32_e64 v5, v27, v5, s0
	v_cmp_eq_u32_e64 s0, 1, v4
	v_cmp_gt_i32_e64 s9, 32, v26
	s_delay_alu instid0(VALU_DEP_2)
	v_cndmask_b32_e64 v4, v28, v6, s0
	ds_bpermute_b32 v6, v25, v5
	v_cndmask_b32_e64 v26, v7, v26, s9
	ds_bpermute_b32 v25, v25, v4
	s_waitcnt lgkmcnt(1)
	v_add_f32_e32 v5, v5, v6
	v_lshlrev_b32_e32 v6, 2, v26
	v_xor_b32_e32 v26, 4, v7
	s_waitcnt lgkmcnt(0)
	v_add_f32_e32 v4, v4, v25
	ds_bpermute_b32 v25, v6, v5
	v_cmp_gt_i32_e64 s9, 32, v26
	ds_bpermute_b32 v6, v6, v4
	v_cndmask_b32_e64 v26, v7, v26, s9
	s_waitcnt lgkmcnt(1)
	v_add_f32_e32 v5, v5, v25
	s_delay_alu instid0(VALU_DEP_2)
	v_lshlrev_b32_e32 v25, 2, v26
	v_xor_b32_e32 v26, 2, v7
	s_waitcnt lgkmcnt(0)
	v_add_f32_e32 v4, v4, v6
	ds_bpermute_b32 v6, v25, v5
	v_cmp_gt_i32_e64 s9, 32, v26
	ds_bpermute_b32 v25, v25, v4
	v_cndmask_b32_e64 v26, v7, v26, s9
	s_waitcnt lgkmcnt(1)
	v_add_f32_e32 v5, v5, v6
	s_delay_alu instid0(VALU_DEP_2)
	v_lshlrev_b32_e32 v6, 2, v26
	s_waitcnt lgkmcnt(0)
	v_add_f32_e32 v4, v4, v25
	ds_bpermute_b32 v25, v6, v5
	ds_bpermute_b32 v26, v6, v4
	v_xor_b32_e32 v6, 1, v7
	s_delay_alu instid0(VALU_DEP_1) | instskip(NEXT) | instid1(VALU_DEP_1)
	v_cmp_gt_i32_e64 s9, 32, v6
	v_cndmask_b32_e64 v7, v7, v6, s9
	s_waitcnt lgkmcnt(1)
	s_delay_alu instid0(VALU_DEP_1)
	v_dual_add_f32 v6, v5, v25 :: v_dual_lshlrev_b32 v5, 2, v7
	s_waitcnt lgkmcnt(0)
	v_add_f32_e32 v4, v4, v26
	ds_bpermute_b32 v7, v5, v6
	ds_bpermute_b32 v5, v5, v4
	s_and_saveexec_b32 s9, s5
	s_cbranch_execz .LBB805_22
; %bb.17:
	v_add_co_u32 v0, s5, s12, v0
	s_waitcnt lgkmcnt(1)
	v_add_f32_e32 v6, v6, v7
	v_add_co_ci_u32_e64 v1, s5, s13, v1, s5
	s_and_saveexec_b32 s5, vcc_lo
	s_cbranch_execnz .LBB805_23
; %bb.18:
	s_or_b32 exec_lo, exec_lo, s5
	s_and_saveexec_b32 s8, s2
	s_cbranch_execnz .LBB805_24
.LBB805_19:
	s_or_b32 exec_lo, exec_lo, s8
	s_and_saveexec_b32 s8, s3
	s_cbranch_execnz .LBB805_25
.LBB805_20:
	s_or_b32 exec_lo, exec_lo, s8
	s_and_saveexec_b32 s8, s4
	s_cbranch_execnz .LBB805_26
.LBB805_21:
	s_or_b32 exec_lo, exec_lo, s8
	v_cmp_ne_u32_e64 s5, 1, v9
	s_delay_alu instid0(VALU_DEP_1)
	s_and_b32 exec_lo, exec_lo, s5
	s_cbranch_execnz .LBB805_27
.LBB805_22:
	s_nop 0
	s_sendmsg sendmsg(MSG_DEALLOC_VGPRS)
	s_endpgm
.LBB805_23:
	s_delay_alu instid0(VALU_DEP_2) | instskip(NEXT) | instid1(VALU_DEP_1)
	v_fma_f32 v7, -v6, v13, v11
	v_cndmask_b32_e64 v7, v7, 0, s8
	global_store_b32 v[0:1], v7, off
	s_or_b32 exec_lo, exec_lo, s5
	s_and_saveexec_b32 s8, s2
	s_cbranch_execz .LBB805_19
.LBB805_24:
	global_load_u8 v7, v[2:3], off offset:32
	v_fma_f32 v10, -v6, v14, v10
	s_waitcnt vmcnt(0)
	v_and_b32_e32 v7, 1, v7
	s_delay_alu instid0(VALU_DEP_1) | instskip(NEXT) | instid1(VALU_DEP_1)
	v_cmp_eq_u32_e64 s5, 1, v7
	v_cndmask_b32_e64 v7, v10, 0, s5
	global_store_b32 v[0:1], v7, off offset:128
	s_or_b32 exec_lo, exec_lo, s8
	s_and_saveexec_b32 s8, s3
	s_cbranch_execz .LBB805_20
.LBB805_25:
	global_load_u8 v7, v[2:3], off offset:64
	v_fma_f32 v10, -v6, v16, v15
	s_waitcnt vmcnt(0)
	v_and_b32_e32 v7, 1, v7
	s_delay_alu instid0(VALU_DEP_1) | instskip(NEXT) | instid1(VALU_DEP_1)
	v_cmp_eq_u32_e64 s5, 1, v7
	v_cndmask_b32_e64 v7, v10, 0, s5
	global_store_b32 v[0:1], v7, off offset:256
	s_or_b32 exec_lo, exec_lo, s8
	s_and_saveexec_b32 s8, s4
	s_cbranch_execz .LBB805_21
.LBB805_26:
	global_load_u8 v2, v[2:3], off offset:96
	v_fma_f32 v3, -v6, v17, v12
	s_waitcnt vmcnt(0)
	v_and_b32_e32 v2, 1, v2
	s_delay_alu instid0(VALU_DEP_1) | instskip(NEXT) | instid1(VALU_DEP_1)
	v_cmp_eq_u32_e64 s5, 1, v2
	v_cndmask_b32_e64 v2, v3, 0, s5
	global_store_b32 v[0:1], v2, off offset:384
	s_or_b32 exec_lo, exec_lo, s8
	v_cmp_ne_u32_e64 s5, 1, v9
	s_delay_alu instid0(VALU_DEP_1)
	s_and_b32 exec_lo, exec_lo, s5
	s_cbranch_execz .LBB805_22
.LBB805_27:
	s_lshl_b64 s[8:9], s[10:11], 2
	s_waitcnt lgkmcnt(0)
	v_add_f32_e32 v2, v4, v5
	v_add_co_u32 v0, s5, v0, s8
	s_delay_alu instid0(VALU_DEP_1)
	v_add_co_ci_u32_e64 v1, s5, s9, v1, s5
	s_and_saveexec_b32 s5, vcc_lo
	s_cbranch_execnz .LBB805_31
; %bb.28:
	s_or_b32 exec_lo, exec_lo, s5
	s_and_saveexec_b32 s1, s2
	s_cbranch_execnz .LBB805_32
.LBB805_29:
	s_or_b32 exec_lo, exec_lo, s1
	s_and_saveexec_b32 s1, s3
	s_cbranch_execnz .LBB805_33
.LBB805_30:
	s_or_b32 exec_lo, exec_lo, s1
	s_delay_alu instid0(SALU_CYCLE_1)
	s_and_b32 exec_lo, exec_lo, s4
	s_cbranch_execz .LBB805_22
	s_branch .LBB805_34
.LBB805_31:
	v_fma_f32 v3, -v2, v19, v18
	s_delay_alu instid0(VALU_DEP_1)
	v_cndmask_b32_e64 v3, v3, 0, s1
	global_store_b32 v[0:1], v3, off
	s_or_b32 exec_lo, exec_lo, s5
	s_and_saveexec_b32 s1, s2
	s_cbranch_execz .LBB805_29
.LBB805_32:
	v_fma_f32 v3, -v2, v20, v8
	s_delay_alu instid0(VALU_DEP_1)
	v_cndmask_b32_e64 v3, v3, 0, s6
	global_store_b32 v[0:1], v3, off offset:128
	s_or_b32 exec_lo, exec_lo, s1
	s_and_saveexec_b32 s1, s3
	s_cbranch_execz .LBB805_30
.LBB805_33:
	v_fma_f32 v3, -v2, v23, v22
	s_delay_alu instid0(VALU_DEP_1) | instskip(SKIP_2) | instid1(SALU_CYCLE_1)
	v_cndmask_b32_e64 v3, v3, 0, s7
	global_store_b32 v[0:1], v3, off offset:256
	s_or_b32 exec_lo, exec_lo, s1
	s_and_b32 exec_lo, exec_lo, s4
	s_cbranch_execz .LBB805_22
.LBB805_34:
	v_fma_f32 v2, -v2, v24, v21
	s_delay_alu instid0(VALU_DEP_1)
	v_cndmask_b32_e64 v2, v2, 0, s0
	global_store_b32 v[0:1], v2, off offset:384
	s_nop 0
	s_sendmsg sendmsg(MSG_DEALLOC_VGPRS)
	s_endpgm
	.section	.rodata,"a",@progbits
	.p2align	6, 0x0
	.amdhsa_kernel _ZN12_GLOBAL__N_121softmax_warp_backwardIfffLi7ELb0ELb1ELi32EEEvPT0_PKT_S5_iiiPKb
		.amdhsa_group_segment_fixed_size 0
		.amdhsa_private_segment_fixed_size 0
		.amdhsa_kernarg_size 304
		.amdhsa_user_sgpr_count 15
		.amdhsa_user_sgpr_dispatch_ptr 0
		.amdhsa_user_sgpr_queue_ptr 0
		.amdhsa_user_sgpr_kernarg_segment_ptr 1
		.amdhsa_user_sgpr_dispatch_id 0
		.amdhsa_user_sgpr_private_segment_size 0
		.amdhsa_wavefront_size32 1
		.amdhsa_uses_dynamic_stack 0
		.amdhsa_enable_private_segment 0
		.amdhsa_system_sgpr_workgroup_id_x 1
		.amdhsa_system_sgpr_workgroup_id_y 0
		.amdhsa_system_sgpr_workgroup_id_z 0
		.amdhsa_system_sgpr_workgroup_info 0
		.amdhsa_system_vgpr_workitem_id 1
		.amdhsa_next_free_vgpr 31
		.amdhsa_next_free_sgpr 16
		.amdhsa_reserve_vcc 1
		.amdhsa_float_round_mode_32 0
		.amdhsa_float_round_mode_16_64 0
		.amdhsa_float_denorm_mode_32 3
		.amdhsa_float_denorm_mode_16_64 3
		.amdhsa_dx10_clamp 1
		.amdhsa_ieee_mode 1
		.amdhsa_fp16_overflow 0
		.amdhsa_workgroup_processor_mode 1
		.amdhsa_memory_ordered 1
		.amdhsa_forward_progress 0
		.amdhsa_shared_vgpr_count 0
		.amdhsa_exception_fp_ieee_invalid_op 0
		.amdhsa_exception_fp_denorm_src 0
		.amdhsa_exception_fp_ieee_div_zero 0
		.amdhsa_exception_fp_ieee_overflow 0
		.amdhsa_exception_fp_ieee_underflow 0
		.amdhsa_exception_fp_ieee_inexact 0
		.amdhsa_exception_int_div_zero 0
	.end_amdhsa_kernel
	.section	.text._ZN12_GLOBAL__N_121softmax_warp_backwardIfffLi7ELb0ELb1ELi32EEEvPT0_PKT_S5_iiiPKb,"axG",@progbits,_ZN12_GLOBAL__N_121softmax_warp_backwardIfffLi7ELb0ELb1ELi32EEEvPT0_PKT_S5_iiiPKb,comdat
.Lfunc_end805:
	.size	_ZN12_GLOBAL__N_121softmax_warp_backwardIfffLi7ELb0ELb1ELi32EEEvPT0_PKT_S5_iiiPKb, .Lfunc_end805-_ZN12_GLOBAL__N_121softmax_warp_backwardIfffLi7ELb0ELb1ELi32EEEvPT0_PKT_S5_iiiPKb
                                        ; -- End function
	.section	.AMDGPU.csdata,"",@progbits
; Kernel info:
; codeLenInByte = 2012
; NumSgprs: 18
; NumVgprs: 31
; ScratchSize: 0
; MemoryBound: 0
; FloatMode: 240
; IeeeMode: 1
; LDSByteSize: 0 bytes/workgroup (compile time only)
; SGPRBlocks: 2
; VGPRBlocks: 3
; NumSGPRsForWavesPerEU: 18
; NumVGPRsForWavesPerEU: 31
; Occupancy: 16
; WaveLimiterHint : 0
; COMPUTE_PGM_RSRC2:SCRATCH_EN: 0
; COMPUTE_PGM_RSRC2:USER_SGPR: 15
; COMPUTE_PGM_RSRC2:TRAP_HANDLER: 0
; COMPUTE_PGM_RSRC2:TGID_X_EN: 1
; COMPUTE_PGM_RSRC2:TGID_Y_EN: 0
; COMPUTE_PGM_RSRC2:TGID_Z_EN: 0
; COMPUTE_PGM_RSRC2:TIDIG_COMP_CNT: 1
	.section	.text._ZN12_GLOBAL__N_121softmax_warp_backwardIfffLi8ELb0ELb1ELi64EEEvPT0_PKT_S5_iiiPKb,"axG",@progbits,_ZN12_GLOBAL__N_121softmax_warp_backwardIfffLi8ELb0ELb1ELi64EEEvPT0_PKT_S5_iiiPKb,comdat
	.globl	_ZN12_GLOBAL__N_121softmax_warp_backwardIfffLi8ELb0ELb1ELi64EEEvPT0_PKT_S5_iiiPKb ; -- Begin function _ZN12_GLOBAL__N_121softmax_warp_backwardIfffLi8ELb0ELb1ELi64EEEvPT0_PKT_S5_iiiPKb
	.p2align	8
	.type	_ZN12_GLOBAL__N_121softmax_warp_backwardIfffLi8ELb0ELb1ELi64EEEvPT0_PKT_S5_iiiPKb,@function
_ZN12_GLOBAL__N_121softmax_warp_backwardIfffLi8ELb0ELb1ELi64EEEvPT0_PKT_S5_iiiPKb: ; @_ZN12_GLOBAL__N_121softmax_warp_backwardIfffLi8ELb0ELb1ELi64EEEvPT0_PKT_S5_iiiPKb
; %bb.0:
	s_clause 0x1
	s_load_b32 s2, s[0:1], 0x3c
	s_load_b128 s[4:7], s[0:1], 0x18
	v_bfe_u32 v1, v0, 10, 10
	v_dual_mov_b32 v9, 0 :: v_dual_and_b32 v4, 63, v0
	s_clause 0x1
	s_load_b128 s[8:11], s[0:1], 0x0
	s_load_b64 s[12:13], s[0:1], 0x10
	v_mov_b32_e32 v10, 0
	v_mov_b32_e32 v12, 0
	s_waitcnt lgkmcnt(0)
	s_lshr_b32 s2, s2, 16
	v_cmp_gt_i32_e32 vcc_lo, s6, v4
	v_mad_u64_u32 v[5:6], null, s15, s2, v[1:2]
	s_delay_alu instid0(VALU_DEP_1) | instskip(SKIP_1) | instid1(VALU_DEP_1)
	v_mad_u64_u32 v[2:3], null, v5, s5, v[4:5]
	v_sub_nc_u32_e32 v11, s4, v5
	v_cmp_lt_i32_e64 s5, 0, v11
	s_delay_alu instid0(VALU_DEP_3) | instskip(NEXT) | instid1(VALU_DEP_2)
	v_ashrrev_i32_e32 v3, 31, v2
	s_and_b32 s3, s5, vcc_lo
	s_delay_alu instid0(VALU_DEP_1) | instskip(NEXT) | instid1(VALU_DEP_1)
	v_lshlrev_b64 v[0:1], 2, v[2:3]
	v_add_co_u32 v5, s2, s10, v0
	s_delay_alu instid0(VALU_DEP_1) | instskip(SKIP_1) | instid1(VALU_DEP_1)
	v_add_co_ci_u32_e64 v6, s2, s11, v1, s2
	v_add_co_u32 v7, s2, s12, v0
	v_add_co_ci_u32_e64 v8, s2, s13, v1, s2
	s_and_saveexec_b32 s2, s3
	s_cbranch_execz .LBB806_2
; %bb.1:
	global_load_b32 v10, v[5:6], off
	global_load_b32 v12, v[7:8], off
.LBB806_2:
	s_or_b32 exec_lo, exec_lo, s2
	v_or_b32_e32 v13, 64, v4
	v_mov_b32_e32 v14, 0
	s_delay_alu instid0(VALU_DEP_2) | instskip(NEXT) | instid1(VALU_DEP_1)
	v_cmp_gt_i32_e64 s2, s6, v13
	s_and_b32 s4, s5, s2
	s_delay_alu instid0(SALU_CYCLE_1)
	s_and_saveexec_b32 s3, s4
	s_cbranch_execz .LBB806_4
; %bb.3:
	global_load_b32 v9, v[5:6], off offset:256
	global_load_b32 v14, v[7:8], off offset:256
.LBB806_4:
	s_or_b32 exec_lo, exec_lo, s3
	v_or_b32_e32 v13, 0x80, v4
	v_dual_mov_b32 v15, 0 :: v_dual_mov_b32 v16, 0
	s_delay_alu instid0(VALU_DEP_2) | instskip(SKIP_1) | instid1(VALU_DEP_2)
	v_cmp_gt_i32_e64 s3, s6, v13
	v_mov_b32_e32 v13, 0
	s_and_b32 s7, s5, s3
	s_delay_alu instid0(SALU_CYCLE_1)
	s_and_saveexec_b32 s4, s7
	s_cbranch_execz .LBB806_6
; %bb.5:
	global_load_b32 v15, v[5:6], off offset:512
	global_load_b32 v16, v[7:8], off offset:512
.LBB806_6:
	s_or_b32 exec_lo, exec_lo, s4
	v_or_b32_e32 v4, 0xc0, v4
	s_delay_alu instid0(VALU_DEP_1) | instskip(SKIP_1) | instid1(VALU_DEP_2)
	v_cmp_gt_i32_e64 s4, s6, v4
	v_mov_b32_e32 v4, 0
	s_and_b32 s6, s5, s4
	s_delay_alu instid0(SALU_CYCLE_1)
	s_and_saveexec_b32 s5, s6
	s_cbranch_execz .LBB806_8
; %bb.7:
	global_load_b32 v13, v[5:6], off offset:768
	global_load_b32 v4, v[7:8], off offset:768
.LBB806_8:
	s_or_b32 exec_lo, exec_lo, s5
	s_load_b64 s[0:1], s[0:1], 0x28
	s_mov_b32 s10, exec_lo
	s_waitcnt lgkmcnt(0)
	v_add_co_u32 v2, s0, s0, v2
	s_delay_alu instid0(VALU_DEP_1)
	v_add_co_ci_u32_e64 v3, s0, s1, v3, s0
	s_clause 0x3
	global_load_u8 v5, v[2:3], off
	global_load_u8 v6, v[2:3], off offset:64
	global_load_u8 v7, v[2:3], off offset:128
	;; [unrolled: 1-line block ×3, first 2 shown]
	s_waitcnt vmcnt(3)
	v_and_b32_e32 v3, 1, v5
	v_add_f32_e32 v5, 0, v10
	s_waitcnt vmcnt(0)
	v_and_b32_e32 v2, 1, v2
	s_delay_alu instid0(VALU_DEP_3) | instskip(NEXT) | instid1(VALU_DEP_1)
	v_cmp_eq_u32_e64 s6, 1, v3
	v_cndmask_b32_e64 v3, v5, 0, s6
	s_delay_alu instid0(VALU_DEP_1) | instskip(NEXT) | instid1(VALU_DEP_1)
	v_dual_add_f32 v6, v3, v9 :: v_dual_and_b32 v5, 1, v6
	v_cmp_eq_u32_e64 s5, 1, v5
	v_mbcnt_lo_u32_b32 v5, -1, 0
	s_delay_alu instid0(VALU_DEP_2) | instskip(SKIP_1) | instid1(VALU_DEP_3)
	v_cndmask_b32_e64 v3, v6, v3, s5
	v_and_b32_e32 v6, 1, v7
	v_or_b32_e32 v8, 32, v5
	s_delay_alu instid0(VALU_DEP_3) | instskip(NEXT) | instid1(VALU_DEP_3)
	v_add_f32_e32 v7, v3, v15
	v_cmp_eq_u32_e64 s1, 1, v6
	s_delay_alu instid0(VALU_DEP_3) | instskip(NEXT) | instid1(VALU_DEP_2)
	v_cmp_gt_i32_e64 s0, 64, v8
	v_cndmask_b32_e64 v3, v7, v3, s1
	s_delay_alu instid0(VALU_DEP_2) | instskip(SKIP_1) | instid1(VALU_DEP_2)
	v_cndmask_b32_e64 v6, v5, v8, s0
	v_cmp_eq_u32_e64 s0, 1, v2
	v_dual_add_f32 v7, v3, v13 :: v_dual_lshlrev_b32 v6, 2, v6
	s_delay_alu instid0(VALU_DEP_1) | instskip(SKIP_2) | instid1(VALU_DEP_1)
	v_cndmask_b32_e64 v2, v7, v3, s0
	ds_bpermute_b32 v3, v6, v2
	v_xor_b32_e32 v6, 16, v5
	v_cmp_gt_i32_e64 s7, 64, v6
	s_delay_alu instid0(VALU_DEP_1) | instskip(NEXT) | instid1(VALU_DEP_1)
	v_cndmask_b32_e64 v6, v5, v6, s7
	v_lshlrev_b32_e32 v6, 2, v6
	s_waitcnt lgkmcnt(0)
	v_add_f32_e32 v2, v2, v3
	ds_bpermute_b32 v3, v6, v2
	v_xor_b32_e32 v6, 8, v5
	s_delay_alu instid0(VALU_DEP_1) | instskip(NEXT) | instid1(VALU_DEP_1)
	v_cmp_gt_i32_e64 s7, 64, v6
	v_cndmask_b32_e64 v6, v5, v6, s7
	s_delay_alu instid0(VALU_DEP_1) | instskip(SKIP_4) | instid1(VALU_DEP_1)
	v_lshlrev_b32_e32 v6, 2, v6
	s_waitcnt lgkmcnt(0)
	v_add_f32_e32 v2, v2, v3
	ds_bpermute_b32 v3, v6, v2
	v_xor_b32_e32 v6, 4, v5
	v_cmp_gt_i32_e64 s7, 64, v6
	s_delay_alu instid0(VALU_DEP_1) | instskip(NEXT) | instid1(VALU_DEP_1)
	v_cndmask_b32_e64 v6, v5, v6, s7
	v_lshlrev_b32_e32 v6, 2, v6
	s_waitcnt lgkmcnt(0)
	v_add_f32_e32 v2, v2, v3
	ds_bpermute_b32 v3, v6, v2
	v_xor_b32_e32 v6, 2, v5
	s_delay_alu instid0(VALU_DEP_1) | instskip(NEXT) | instid1(VALU_DEP_1)
	v_cmp_gt_i32_e64 s7, 64, v6
	v_cndmask_b32_e64 v6, v5, v6, s7
	s_delay_alu instid0(VALU_DEP_1) | instskip(SKIP_4) | instid1(VALU_DEP_1)
	v_lshlrev_b32_e32 v6, 2, v6
	s_waitcnt lgkmcnt(0)
	v_add_f32_e32 v2, v2, v3
	ds_bpermute_b32 v3, v6, v2
	v_xor_b32_e32 v6, 1, v5
	v_cmp_gt_i32_e64 s7, 64, v6
	s_delay_alu instid0(VALU_DEP_1) | instskip(SKIP_1) | instid1(VALU_DEP_1)
	v_cndmask_b32_e64 v5, v5, v6, s7
	s_waitcnt lgkmcnt(0)
	v_dual_add_f32 v2, v2, v3 :: v_dual_lshlrev_b32 v3, 2, v5
	ds_bpermute_b32 v3, v3, v2
	v_cmpx_lt_i32_e32 0, v11
	s_cbranch_execz .LBB806_14
; %bb.9:
	v_add_co_u32 v0, s7, s8, v0
	s_waitcnt lgkmcnt(0)
	v_add_f32_e32 v2, v2, v3
	v_add_co_ci_u32_e64 v1, s7, s9, v1, s7
	s_and_saveexec_b32 s7, vcc_lo
	s_cbranch_execnz .LBB806_15
; %bb.10:
	s_or_b32 exec_lo, exec_lo, s7
	s_and_saveexec_b32 s6, s2
	s_cbranch_execnz .LBB806_16
.LBB806_11:
	s_or_b32 exec_lo, exec_lo, s6
	s_and_saveexec_b32 s2, s3
	s_cbranch_execnz .LBB806_17
.LBB806_12:
	s_or_b32 exec_lo, exec_lo, s2
	s_delay_alu instid0(SALU_CYCLE_1)
	s_and_b32 exec_lo, exec_lo, s4
	s_cbranch_execz .LBB806_14
.LBB806_13:
	v_fma_f32 v2, -v2, v4, v13
	s_delay_alu instid0(VALU_DEP_1)
	v_cndmask_b32_e64 v2, v2, 0, s0
	global_store_b32 v[0:1], v2, off offset:768
.LBB806_14:
	s_nop 0
	s_sendmsg sendmsg(MSG_DEALLOC_VGPRS)
	s_endpgm
.LBB806_15:
	s_delay_alu instid0(VALU_DEP_2) | instskip(NEXT) | instid1(VALU_DEP_1)
	v_fma_f32 v3, -v2, v12, v10
	v_cndmask_b32_e64 v3, v3, 0, s6
	global_store_b32 v[0:1], v3, off
	s_or_b32 exec_lo, exec_lo, s7
	s_and_saveexec_b32 s6, s2
	s_cbranch_execz .LBB806_11
.LBB806_16:
	v_fma_f32 v3, -v2, v14, v9
	s_delay_alu instid0(VALU_DEP_1)
	v_cndmask_b32_e64 v3, v3, 0, s5
	global_store_b32 v[0:1], v3, off offset:256
	s_or_b32 exec_lo, exec_lo, s6
	s_and_saveexec_b32 s2, s3
	s_cbranch_execz .LBB806_12
.LBB806_17:
	v_fma_f32 v3, -v2, v16, v15
	s_delay_alu instid0(VALU_DEP_1) | instskip(SKIP_2) | instid1(SALU_CYCLE_1)
	v_cndmask_b32_e64 v3, v3, 0, s1
	global_store_b32 v[0:1], v3, off offset:512
	s_or_b32 exec_lo, exec_lo, s2
	s_and_b32 exec_lo, exec_lo, s4
	s_cbranch_execnz .LBB806_13
	s_branch .LBB806_14
	.section	.rodata,"a",@progbits
	.p2align	6, 0x0
	.amdhsa_kernel _ZN12_GLOBAL__N_121softmax_warp_backwardIfffLi8ELb0ELb1ELi64EEEvPT0_PKT_S5_iiiPKb
		.amdhsa_group_segment_fixed_size 0
		.amdhsa_private_segment_fixed_size 0
		.amdhsa_kernarg_size 304
		.amdhsa_user_sgpr_count 15
		.amdhsa_user_sgpr_dispatch_ptr 0
		.amdhsa_user_sgpr_queue_ptr 0
		.amdhsa_user_sgpr_kernarg_segment_ptr 1
		.amdhsa_user_sgpr_dispatch_id 0
		.amdhsa_user_sgpr_private_segment_size 0
		.amdhsa_wavefront_size32 1
		.amdhsa_uses_dynamic_stack 0
		.amdhsa_enable_private_segment 0
		.amdhsa_system_sgpr_workgroup_id_x 1
		.amdhsa_system_sgpr_workgroup_id_y 0
		.amdhsa_system_sgpr_workgroup_id_z 0
		.amdhsa_system_sgpr_workgroup_info 0
		.amdhsa_system_vgpr_workitem_id 1
		.amdhsa_next_free_vgpr 17
		.amdhsa_next_free_sgpr 16
		.amdhsa_reserve_vcc 1
		.amdhsa_float_round_mode_32 0
		.amdhsa_float_round_mode_16_64 0
		.amdhsa_float_denorm_mode_32 3
		.amdhsa_float_denorm_mode_16_64 3
		.amdhsa_dx10_clamp 1
		.amdhsa_ieee_mode 1
		.amdhsa_fp16_overflow 0
		.amdhsa_workgroup_processor_mode 1
		.amdhsa_memory_ordered 1
		.amdhsa_forward_progress 0
		.amdhsa_shared_vgpr_count 0
		.amdhsa_exception_fp_ieee_invalid_op 0
		.amdhsa_exception_fp_denorm_src 0
		.amdhsa_exception_fp_ieee_div_zero 0
		.amdhsa_exception_fp_ieee_overflow 0
		.amdhsa_exception_fp_ieee_underflow 0
		.amdhsa_exception_fp_ieee_inexact 0
		.amdhsa_exception_int_div_zero 0
	.end_amdhsa_kernel
	.section	.text._ZN12_GLOBAL__N_121softmax_warp_backwardIfffLi8ELb0ELb1ELi64EEEvPT0_PKT_S5_iiiPKb,"axG",@progbits,_ZN12_GLOBAL__N_121softmax_warp_backwardIfffLi8ELb0ELb1ELi64EEEvPT0_PKT_S5_iiiPKb,comdat
.Lfunc_end806:
	.size	_ZN12_GLOBAL__N_121softmax_warp_backwardIfffLi8ELb0ELb1ELi64EEEvPT0_PKT_S5_iiiPKb, .Lfunc_end806-_ZN12_GLOBAL__N_121softmax_warp_backwardIfffLi8ELb0ELb1ELi64EEEvPT0_PKT_S5_iiiPKb
                                        ; -- End function
	.section	.AMDGPU.csdata,"",@progbits
; Kernel info:
; codeLenInByte = 1096
; NumSgprs: 18
; NumVgprs: 17
; ScratchSize: 0
; MemoryBound: 0
; FloatMode: 240
; IeeeMode: 1
; LDSByteSize: 0 bytes/workgroup (compile time only)
; SGPRBlocks: 2
; VGPRBlocks: 2
; NumSGPRsForWavesPerEU: 18
; NumVGPRsForWavesPerEU: 17
; Occupancy: 16
; WaveLimiterHint : 0
; COMPUTE_PGM_RSRC2:SCRATCH_EN: 0
; COMPUTE_PGM_RSRC2:USER_SGPR: 15
; COMPUTE_PGM_RSRC2:TRAP_HANDLER: 0
; COMPUTE_PGM_RSRC2:TGID_X_EN: 1
; COMPUTE_PGM_RSRC2:TGID_Y_EN: 0
; COMPUTE_PGM_RSRC2:TGID_Z_EN: 0
; COMPUTE_PGM_RSRC2:TIDIG_COMP_CNT: 1
	.section	.text._ZN12_GLOBAL__N_121softmax_warp_backwardIfffLi8ELb0ELb1ELi32EEEvPT0_PKT_S5_iiiPKb,"axG",@progbits,_ZN12_GLOBAL__N_121softmax_warp_backwardIfffLi8ELb0ELb1ELi32EEEvPT0_PKT_S5_iiiPKb,comdat
	.globl	_ZN12_GLOBAL__N_121softmax_warp_backwardIfffLi8ELb0ELb1ELi32EEEvPT0_PKT_S5_iiiPKb ; -- Begin function _ZN12_GLOBAL__N_121softmax_warp_backwardIfffLi8ELb0ELb1ELi32EEEvPT0_PKT_S5_iiiPKb
	.p2align	8
	.type	_ZN12_GLOBAL__N_121softmax_warp_backwardIfffLi8ELb0ELb1ELi32EEEvPT0_PKT_S5_iiiPKb,@function
_ZN12_GLOBAL__N_121softmax_warp_backwardIfffLi8ELb0ELb1ELi32EEEvPT0_PKT_S5_iiiPKb: ; @_ZN12_GLOBAL__N_121softmax_warp_backwardIfffLi8ELb0ELb1ELi32EEEvPT0_PKT_S5_iiiPKb
; %bb.0:
	s_clause 0x1
	s_load_b32 s2, s[0:1], 0x3c
	s_load_b128 s[8:11], s[0:1], 0x18
	v_bfe_u32 v1, v0, 10, 10
	v_dual_mov_b32 v9, 0 :: v_dual_and_b32 v4, 31, v0
	s_clause 0x1
	s_load_b128 s[16:19], s[0:1], 0x0
	s_load_b64 s[4:5], s[0:1], 0x10
	v_mov_b32_e32 v10, 0
	v_mov_b32_e32 v12, 0
	s_waitcnt lgkmcnt(0)
	s_lshr_b32 s2, s2, 16
	v_cmp_gt_i32_e32 vcc_lo, s10, v4
	v_mad_u64_u32 v[5:6], null, s15, s2, v[1:2]
	s_delay_alu instid0(VALU_DEP_1) | instskip(SKIP_1) | instid1(VALU_DEP_1)
	v_mad_u64_u32 v[2:3], null, v5, s9, v[4:5]
	v_sub_nc_u32_e32 v11, s8, v5
	v_cmp_lt_i32_e64 s9, 0, v11
	s_delay_alu instid0(VALU_DEP_3) | instskip(NEXT) | instid1(VALU_DEP_2)
	v_ashrrev_i32_e32 v3, 31, v2
	s_and_b32 s3, s9, vcc_lo
	s_delay_alu instid0(VALU_DEP_1) | instskip(NEXT) | instid1(VALU_DEP_1)
	v_lshlrev_b64 v[0:1], 2, v[2:3]
	v_add_co_u32 v5, s2, s18, v0
	s_delay_alu instid0(VALU_DEP_1) | instskip(SKIP_1) | instid1(VALU_DEP_1)
	v_add_co_ci_u32_e64 v6, s2, s19, v1, s2
	v_add_co_u32 v7, s2, s4, v0
	v_add_co_ci_u32_e64 v8, s2, s5, v1, s2
	s_and_saveexec_b32 s2, s3
	s_cbranch_execz .LBB807_2
; %bb.1:
	global_load_b32 v10, v[5:6], off
	global_load_b32 v12, v[7:8], off
.LBB807_2:
	s_or_b32 exec_lo, exec_lo, s2
	v_or_b32_e32 v13, 32, v4
	v_mov_b32_e32 v14, 0
	s_delay_alu instid0(VALU_DEP_2) | instskip(NEXT) | instid1(VALU_DEP_1)
	v_cmp_gt_i32_e64 s2, s10, v13
	s_and_b32 s4, s9, s2
	s_delay_alu instid0(SALU_CYCLE_1)
	s_and_saveexec_b32 s3, s4
	s_cbranch_execz .LBB807_4
; %bb.3:
	global_load_b32 v9, v[5:6], off offset:128
	global_load_b32 v14, v[7:8], off offset:128
.LBB807_4:
	s_or_b32 exec_lo, exec_lo, s3
	v_or_b32_e32 v13, 64, v4
	v_dual_mov_b32 v15, 0 :: v_dual_mov_b32 v16, 0
	s_delay_alu instid0(VALU_DEP_2) | instskip(SKIP_1) | instid1(VALU_DEP_2)
	v_cmp_gt_i32_e64 s3, s10, v13
	v_mov_b32_e32 v13, 0
	s_and_b32 s5, s9, s3
	s_delay_alu instid0(SALU_CYCLE_1)
	s_and_saveexec_b32 s4, s5
	s_cbranch_execz .LBB807_6
; %bb.5:
	global_load_b32 v15, v[5:6], off offset:256
	global_load_b32 v16, v[7:8], off offset:256
.LBB807_6:
	s_or_b32 exec_lo, exec_lo, s4
	v_or_b32_e32 v17, 0x60, v4
	v_mov_b32_e32 v18, 0
	s_delay_alu instid0(VALU_DEP_2) | instskip(NEXT) | instid1(VALU_DEP_1)
	v_cmp_gt_i32_e64 s4, s10, v17
	s_and_b32 s6, s9, s4
	s_delay_alu instid0(SALU_CYCLE_1)
	s_and_saveexec_b32 s5, s6
	s_cbranch_execz .LBB807_8
; %bb.7:
	global_load_b32 v13, v[5:6], off offset:384
	global_load_b32 v18, v[7:8], off offset:384
.LBB807_8:
	s_or_b32 exec_lo, exec_lo, s5
	v_or_b32_e32 v17, 0x80, v4
	v_dual_mov_b32 v19, 0 :: v_dual_mov_b32 v20, 0
	s_delay_alu instid0(VALU_DEP_2) | instskip(SKIP_1) | instid1(VALU_DEP_2)
	v_cmp_gt_i32_e64 s5, s10, v17
	v_mov_b32_e32 v17, 0
	s_and_b32 s7, s9, s5
	s_delay_alu instid0(SALU_CYCLE_1)
	s_and_saveexec_b32 s6, s7
	s_cbranch_execz .LBB807_10
; %bb.9:
	global_load_b32 v19, v[5:6], off offset:512
	global_load_b32 v20, v[7:8], off offset:512
.LBB807_10:
	;; [unrolled: 27-line block ×3, first 2 shown]
	s_or_b32 exec_lo, exec_lo, s8
	v_or_b32_e32 v4, 0xe0, v4
	s_delay_alu instid0(VALU_DEP_1) | instskip(SKIP_1) | instid1(VALU_DEP_2)
	v_cmp_gt_i32_e64 s8, s10, v4
	v_mov_b32_e32 v4, 0
	s_and_b32 s10, s9, s8
	s_delay_alu instid0(SALU_CYCLE_1)
	s_and_saveexec_b32 s9, s10
	s_cbranch_execz .LBB807_16
; %bb.15:
	global_load_b32 v21, v[5:6], off offset:896
	global_load_b32 v4, v[7:8], off offset:896
.LBB807_16:
	s_or_b32 exec_lo, exec_lo, s9
	s_load_b64 s[0:1], s[0:1], 0x28
	s_mov_b32 s18, exec_lo
	s_waitcnt lgkmcnt(0)
	v_add_co_u32 v2, s0, s0, v2
	s_delay_alu instid0(VALU_DEP_1)
	v_add_co_ci_u32_e64 v3, s0, s1, v3, s0
	s_clause 0x7
	global_load_u8 v5, v[2:3], off
	global_load_u8 v6, v[2:3], off offset:32
	global_load_u8 v7, v[2:3], off offset:64
	;; [unrolled: 1-line block ×7, first 2 shown]
	s_waitcnt vmcnt(7)
	v_and_b32_e32 v3, 1, v5
	v_add_f32_e32 v5, 0, v10
	s_delay_alu instid0(VALU_DEP_2) | instskip(SKIP_2) | instid1(VALU_DEP_2)
	v_cmp_eq_u32_e64 s14, 1, v3
	s_waitcnt vmcnt(0)
	v_and_b32_e32 v2, 1, v2
	v_cndmask_b32_e64 v3, v5, 0, s14
	s_delay_alu instid0(VALU_DEP_1) | instskip(NEXT) | instid1(VALU_DEP_1)
	v_dual_add_f32 v6, v3, v9 :: v_dual_and_b32 v5, 1, v6
	v_cmp_eq_u32_e64 s13, 1, v5
	v_and_b32_e32 v5, 1, v7
	s_delay_alu instid0(VALU_DEP_2) | instskip(NEXT) | instid1(VALU_DEP_2)
	v_cndmask_b32_e64 v3, v6, v3, s13
	v_cmp_eq_u32_e64 s12, 1, v5
	s_delay_alu instid0(VALU_DEP_2) | instskip(NEXT) | instid1(VALU_DEP_1)
	v_dual_add_f32 v6, v3, v15 :: v_dual_and_b32 v5, 1, v8
	v_cmp_eq_u32_e64 s11, 1, v5
	v_and_b32_e32 v5, 1, v25
	s_delay_alu instid0(VALU_DEP_3) | instskip(NEXT) | instid1(VALU_DEP_2)
	v_cndmask_b32_e64 v3, v6, v3, s12
	v_cmp_eq_u32_e64 s10, 1, v5
	s_delay_alu instid0(VALU_DEP_2) | instskip(NEXT) | instid1(VALU_DEP_1)
	v_add_f32_e32 v6, v3, v13
	v_cndmask_b32_e64 v3, v6, v3, s11
	s_delay_alu instid0(VALU_DEP_1) | instskip(NEXT) | instid1(VALU_DEP_1)
	v_add_f32_e32 v6, v3, v19
	v_cndmask_b32_e64 v3, v6, v3, s10
	s_delay_alu instid0(VALU_DEP_1) | instskip(NEXT) | instid1(VALU_DEP_1)
	v_dual_add_f32 v6, v3, v17 :: v_dual_and_b32 v5, 1, v26
	v_cmp_eq_u32_e64 s9, 1, v5
	v_mbcnt_lo_u32_b32 v5, -1, 0
	s_delay_alu instid0(VALU_DEP_2) | instskip(SKIP_1) | instid1(VALU_DEP_3)
	v_cndmask_b32_e64 v3, v6, v3, s9
	v_and_b32_e32 v6, 1, v27
	v_xor_b32_e32 v8, 16, v5
	s_delay_alu instid0(VALU_DEP_3) | instskip(NEXT) | instid1(VALU_DEP_3)
	v_add_f32_e32 v7, v3, v23
	v_cmp_eq_u32_e64 s1, 1, v6
	s_delay_alu instid0(VALU_DEP_3) | instskip(NEXT) | instid1(VALU_DEP_2)
	v_cmp_gt_i32_e64 s0, 32, v8
	v_cndmask_b32_e64 v3, v7, v3, s1
	s_delay_alu instid0(VALU_DEP_2) | instskip(SKIP_1) | instid1(VALU_DEP_2)
	v_cndmask_b32_e64 v6, v5, v8, s0
	v_cmp_eq_u32_e64 s0, 1, v2
	v_dual_add_f32 v7, v3, v21 :: v_dual_lshlrev_b32 v6, 2, v6
	s_delay_alu instid0(VALU_DEP_1) | instskip(SKIP_2) | instid1(VALU_DEP_1)
	v_cndmask_b32_e64 v2, v7, v3, s0
	ds_bpermute_b32 v3, v6, v2
	v_xor_b32_e32 v6, 8, v5
	v_cmp_gt_i32_e64 s15, 32, v6
	s_delay_alu instid0(VALU_DEP_1) | instskip(NEXT) | instid1(VALU_DEP_1)
	v_cndmask_b32_e64 v6, v5, v6, s15
	v_lshlrev_b32_e32 v6, 2, v6
	s_waitcnt lgkmcnt(0)
	v_add_f32_e32 v2, v2, v3
	ds_bpermute_b32 v3, v6, v2
	v_xor_b32_e32 v6, 4, v5
	s_delay_alu instid0(VALU_DEP_1) | instskip(NEXT) | instid1(VALU_DEP_1)
	v_cmp_gt_i32_e64 s15, 32, v6
	v_cndmask_b32_e64 v6, v5, v6, s15
	s_delay_alu instid0(VALU_DEP_1) | instskip(SKIP_4) | instid1(VALU_DEP_1)
	v_lshlrev_b32_e32 v6, 2, v6
	s_waitcnt lgkmcnt(0)
	v_add_f32_e32 v2, v2, v3
	ds_bpermute_b32 v3, v6, v2
	v_xor_b32_e32 v6, 2, v5
	v_cmp_gt_i32_e64 s15, 32, v6
	s_delay_alu instid0(VALU_DEP_1) | instskip(NEXT) | instid1(VALU_DEP_1)
	v_cndmask_b32_e64 v6, v5, v6, s15
	v_lshlrev_b32_e32 v6, 2, v6
	s_waitcnt lgkmcnt(0)
	v_add_f32_e32 v2, v2, v3
	ds_bpermute_b32 v3, v6, v2
	v_xor_b32_e32 v6, 1, v5
	s_delay_alu instid0(VALU_DEP_1) | instskip(NEXT) | instid1(VALU_DEP_1)
	v_cmp_gt_i32_e64 s15, 32, v6
	v_cndmask_b32_e64 v5, v5, v6, s15
	s_waitcnt lgkmcnt(0)
	s_delay_alu instid0(VALU_DEP_1)
	v_dual_add_f32 v2, v2, v3 :: v_dual_lshlrev_b32 v3, 2, v5
	ds_bpermute_b32 v3, v3, v2
	v_cmpx_lt_i32_e32 0, v11
	s_cbranch_execz .LBB807_26
; %bb.17:
	v_add_co_u32 v0, s15, s16, v0
	s_waitcnt lgkmcnt(0)
	v_add_f32_e32 v2, v2, v3
	v_add_co_ci_u32_e64 v1, s15, s17, v1, s15
	s_and_saveexec_b32 s15, vcc_lo
	s_cbranch_execnz .LBB807_27
; %bb.18:
	s_or_b32 exec_lo, exec_lo, s15
	s_and_saveexec_b32 s14, s2
	s_cbranch_execnz .LBB807_28
.LBB807_19:
	s_or_b32 exec_lo, exec_lo, s14
	s_and_saveexec_b32 s2, s3
	s_cbranch_execnz .LBB807_29
.LBB807_20:
	s_or_b32 exec_lo, exec_lo, s2
	s_and_saveexec_b32 s2, s4
	s_cbranch_execnz .LBB807_30
.LBB807_21:
	s_or_b32 exec_lo, exec_lo, s2
	s_and_saveexec_b32 s2, s5
	s_cbranch_execnz .LBB807_31
.LBB807_22:
	s_or_b32 exec_lo, exec_lo, s2
	s_and_saveexec_b32 s2, s6
	s_cbranch_execnz .LBB807_32
.LBB807_23:
	s_or_b32 exec_lo, exec_lo, s2
	s_and_saveexec_b32 s2, s7
	s_cbranch_execnz .LBB807_33
.LBB807_24:
	s_or_b32 exec_lo, exec_lo, s2
	s_delay_alu instid0(SALU_CYCLE_1)
	s_and_b32 exec_lo, exec_lo, s8
	s_cbranch_execz .LBB807_26
.LBB807_25:
	v_fma_f32 v2, -v2, v4, v21
	s_delay_alu instid0(VALU_DEP_1)
	v_cndmask_b32_e64 v2, v2, 0, s0
	global_store_b32 v[0:1], v2, off offset:896
.LBB807_26:
	s_nop 0
	s_sendmsg sendmsg(MSG_DEALLOC_VGPRS)
	s_endpgm
.LBB807_27:
	s_delay_alu instid0(VALU_DEP_2) | instskip(NEXT) | instid1(VALU_DEP_1)
	v_fma_f32 v3, -v2, v12, v10
	v_cndmask_b32_e64 v3, v3, 0, s14
	global_store_b32 v[0:1], v3, off
	s_or_b32 exec_lo, exec_lo, s15
	s_and_saveexec_b32 s14, s2
	s_cbranch_execz .LBB807_19
.LBB807_28:
	v_fma_f32 v3, -v2, v14, v9
	s_delay_alu instid0(VALU_DEP_1)
	v_cndmask_b32_e64 v3, v3, 0, s13
	global_store_b32 v[0:1], v3, off offset:128
	s_or_b32 exec_lo, exec_lo, s14
	s_and_saveexec_b32 s2, s3
	s_cbranch_execz .LBB807_20
.LBB807_29:
	v_fma_f32 v3, -v2, v16, v15
	s_delay_alu instid0(VALU_DEP_1)
	v_cndmask_b32_e64 v3, v3, 0, s12
	global_store_b32 v[0:1], v3, off offset:256
	s_or_b32 exec_lo, exec_lo, s2
	s_and_saveexec_b32 s2, s4
	s_cbranch_execz .LBB807_21
.LBB807_30:
	v_fma_f32 v3, -v2, v18, v13
	s_delay_alu instid0(VALU_DEP_1)
	v_cndmask_b32_e64 v3, v3, 0, s11
	global_store_b32 v[0:1], v3, off offset:384
	s_or_b32 exec_lo, exec_lo, s2
	s_and_saveexec_b32 s2, s5
	s_cbranch_execz .LBB807_22
.LBB807_31:
	v_fma_f32 v3, -v2, v20, v19
	s_delay_alu instid0(VALU_DEP_1)
	v_cndmask_b32_e64 v3, v3, 0, s10
	global_store_b32 v[0:1], v3, off offset:512
	s_or_b32 exec_lo, exec_lo, s2
	s_and_saveexec_b32 s2, s6
	s_cbranch_execz .LBB807_23
.LBB807_32:
	v_fma_f32 v3, -v2, v22, v17
	s_delay_alu instid0(VALU_DEP_1)
	v_cndmask_b32_e64 v3, v3, 0, s9
	global_store_b32 v[0:1], v3, off offset:640
	s_or_b32 exec_lo, exec_lo, s2
	s_and_saveexec_b32 s2, s7
	s_cbranch_execz .LBB807_24
.LBB807_33:
	v_fma_f32 v3, -v2, v24, v23
	s_delay_alu instid0(VALU_DEP_1) | instskip(SKIP_2) | instid1(SALU_CYCLE_1)
	v_cndmask_b32_e64 v3, v3, 0, s1
	global_store_b32 v[0:1], v3, off offset:768
	s_or_b32 exec_lo, exec_lo, s2
	s_and_b32 exec_lo, exec_lo, s8
	s_cbranch_execnz .LBB807_25
	s_branch .LBB807_26
	.section	.rodata,"a",@progbits
	.p2align	6, 0x0
	.amdhsa_kernel _ZN12_GLOBAL__N_121softmax_warp_backwardIfffLi8ELb0ELb1ELi32EEEvPT0_PKT_S5_iiiPKb
		.amdhsa_group_segment_fixed_size 0
		.amdhsa_private_segment_fixed_size 0
		.amdhsa_kernarg_size 304
		.amdhsa_user_sgpr_count 15
		.amdhsa_user_sgpr_dispatch_ptr 0
		.amdhsa_user_sgpr_queue_ptr 0
		.amdhsa_user_sgpr_kernarg_segment_ptr 1
		.amdhsa_user_sgpr_dispatch_id 0
		.amdhsa_user_sgpr_private_segment_size 0
		.amdhsa_wavefront_size32 1
		.amdhsa_uses_dynamic_stack 0
		.amdhsa_enable_private_segment 0
		.amdhsa_system_sgpr_workgroup_id_x 1
		.amdhsa_system_sgpr_workgroup_id_y 0
		.amdhsa_system_sgpr_workgroup_id_z 0
		.amdhsa_system_sgpr_workgroup_info 0
		.amdhsa_system_vgpr_workitem_id 1
		.amdhsa_next_free_vgpr 28
		.amdhsa_next_free_sgpr 20
		.amdhsa_reserve_vcc 1
		.amdhsa_float_round_mode_32 0
		.amdhsa_float_round_mode_16_64 0
		.amdhsa_float_denorm_mode_32 3
		.amdhsa_float_denorm_mode_16_64 3
		.amdhsa_dx10_clamp 1
		.amdhsa_ieee_mode 1
		.amdhsa_fp16_overflow 0
		.amdhsa_workgroup_processor_mode 1
		.amdhsa_memory_ordered 1
		.amdhsa_forward_progress 0
		.amdhsa_shared_vgpr_count 0
		.amdhsa_exception_fp_ieee_invalid_op 0
		.amdhsa_exception_fp_denorm_src 0
		.amdhsa_exception_fp_ieee_div_zero 0
		.amdhsa_exception_fp_ieee_overflow 0
		.amdhsa_exception_fp_ieee_underflow 0
		.amdhsa_exception_fp_ieee_inexact 0
		.amdhsa_exception_int_div_zero 0
	.end_amdhsa_kernel
	.section	.text._ZN12_GLOBAL__N_121softmax_warp_backwardIfffLi8ELb0ELb1ELi32EEEvPT0_PKT_S5_iiiPKb,"axG",@progbits,_ZN12_GLOBAL__N_121softmax_warp_backwardIfffLi8ELb0ELb1ELi32EEEvPT0_PKT_S5_iiiPKb,comdat
.Lfunc_end807:
	.size	_ZN12_GLOBAL__N_121softmax_warp_backwardIfffLi8ELb0ELb1ELi32EEEvPT0_PKT_S5_iiiPKb, .Lfunc_end807-_ZN12_GLOBAL__N_121softmax_warp_backwardIfffLi8ELb0ELb1ELi32EEEvPT0_PKT_S5_iiiPKb
                                        ; -- End function
	.section	.AMDGPU.csdata,"",@progbits
; Kernel info:
; codeLenInByte = 1664
; NumSgprs: 22
; NumVgprs: 28
; ScratchSize: 0
; MemoryBound: 0
; FloatMode: 240
; IeeeMode: 1
; LDSByteSize: 0 bytes/workgroup (compile time only)
; SGPRBlocks: 2
; VGPRBlocks: 3
; NumSGPRsForWavesPerEU: 22
; NumVGPRsForWavesPerEU: 28
; Occupancy: 16
; WaveLimiterHint : 0
; COMPUTE_PGM_RSRC2:SCRATCH_EN: 0
; COMPUTE_PGM_RSRC2:USER_SGPR: 15
; COMPUTE_PGM_RSRC2:TRAP_HANDLER: 0
; COMPUTE_PGM_RSRC2:TGID_X_EN: 1
; COMPUTE_PGM_RSRC2:TGID_Y_EN: 0
; COMPUTE_PGM_RSRC2:TGID_Z_EN: 0
; COMPUTE_PGM_RSRC2:TIDIG_COMP_CNT: 1
	.section	.text._ZN12_GLOBAL__N_121softmax_warp_backwardIfffLi9ELb0ELb1ELi64EEEvPT0_PKT_S5_iiiPKb,"axG",@progbits,_ZN12_GLOBAL__N_121softmax_warp_backwardIfffLi9ELb0ELb1ELi64EEEvPT0_PKT_S5_iiiPKb,comdat
	.globl	_ZN12_GLOBAL__N_121softmax_warp_backwardIfffLi9ELb0ELb1ELi64EEEvPT0_PKT_S5_iiiPKb ; -- Begin function _ZN12_GLOBAL__N_121softmax_warp_backwardIfffLi9ELb0ELb1ELi64EEEvPT0_PKT_S5_iiiPKb
	.p2align	8
	.type	_ZN12_GLOBAL__N_121softmax_warp_backwardIfffLi9ELb0ELb1ELi64EEEvPT0_PKT_S5_iiiPKb,@function
_ZN12_GLOBAL__N_121softmax_warp_backwardIfffLi9ELb0ELb1ELi64EEEvPT0_PKT_S5_iiiPKb: ; @_ZN12_GLOBAL__N_121softmax_warp_backwardIfffLi9ELb0ELb1ELi64EEEvPT0_PKT_S5_iiiPKb
; %bb.0:
	s_clause 0x1
	s_load_b32 s2, s[0:1], 0x3c
	s_load_b128 s[8:11], s[0:1], 0x18
	v_bfe_u32 v1, v0, 10, 10
	v_dual_mov_b32 v9, 0 :: v_dual_and_b32 v4, 63, v0
	s_clause 0x1
	s_load_b128 s[16:19], s[0:1], 0x0
	s_load_b64 s[4:5], s[0:1], 0x10
	v_mov_b32_e32 v10, 0
	v_mov_b32_e32 v12, 0
	s_waitcnt lgkmcnt(0)
	s_lshr_b32 s2, s2, 16
	v_cmp_gt_i32_e32 vcc_lo, s10, v4
	v_mad_u64_u32 v[5:6], null, s15, s2, v[1:2]
	s_delay_alu instid0(VALU_DEP_1) | instskip(SKIP_1) | instid1(VALU_DEP_1)
	v_mad_u64_u32 v[2:3], null, v5, s9, v[4:5]
	v_sub_nc_u32_e32 v11, s8, v5
	v_cmp_lt_i32_e64 s9, 0, v11
	s_delay_alu instid0(VALU_DEP_3) | instskip(NEXT) | instid1(VALU_DEP_2)
	v_ashrrev_i32_e32 v3, 31, v2
	s_and_b32 s3, s9, vcc_lo
	s_delay_alu instid0(VALU_DEP_1) | instskip(NEXT) | instid1(VALU_DEP_1)
	v_lshlrev_b64 v[0:1], 2, v[2:3]
	v_add_co_u32 v5, s2, s18, v0
	s_delay_alu instid0(VALU_DEP_1) | instskip(SKIP_1) | instid1(VALU_DEP_1)
	v_add_co_ci_u32_e64 v6, s2, s19, v1, s2
	v_add_co_u32 v7, s2, s4, v0
	v_add_co_ci_u32_e64 v8, s2, s5, v1, s2
	s_and_saveexec_b32 s2, s3
	s_cbranch_execz .LBB808_2
; %bb.1:
	global_load_b32 v10, v[5:6], off
	global_load_b32 v12, v[7:8], off
.LBB808_2:
	s_or_b32 exec_lo, exec_lo, s2
	v_or_b32_e32 v13, 64, v4
	v_mov_b32_e32 v14, 0
	s_delay_alu instid0(VALU_DEP_2) | instskip(NEXT) | instid1(VALU_DEP_1)
	v_cmp_gt_i32_e64 s2, s10, v13
	s_and_b32 s4, s9, s2
	s_delay_alu instid0(SALU_CYCLE_1)
	s_and_saveexec_b32 s3, s4
	s_cbranch_execz .LBB808_4
; %bb.3:
	global_load_b32 v9, v[5:6], off offset:256
	global_load_b32 v14, v[7:8], off offset:256
.LBB808_4:
	s_or_b32 exec_lo, exec_lo, s3
	v_or_b32_e32 v13, 0x80, v4
	v_dual_mov_b32 v15, 0 :: v_dual_mov_b32 v16, 0
	s_delay_alu instid0(VALU_DEP_2) | instskip(SKIP_1) | instid1(VALU_DEP_2)
	v_cmp_gt_i32_e64 s3, s10, v13
	v_mov_b32_e32 v13, 0
	s_and_b32 s5, s9, s3
	s_delay_alu instid0(SALU_CYCLE_1)
	s_and_saveexec_b32 s4, s5
	s_cbranch_execz .LBB808_6
; %bb.5:
	global_load_b32 v15, v[5:6], off offset:512
	global_load_b32 v16, v[7:8], off offset:512
.LBB808_6:
	s_or_b32 exec_lo, exec_lo, s4
	v_or_b32_e32 v17, 0xc0, v4
	v_mov_b32_e32 v18, 0
	s_delay_alu instid0(VALU_DEP_2) | instskip(NEXT) | instid1(VALU_DEP_1)
	v_cmp_gt_i32_e64 s4, s10, v17
	s_and_b32 s6, s9, s4
	s_delay_alu instid0(SALU_CYCLE_1)
	s_and_saveexec_b32 s5, s6
	s_cbranch_execz .LBB808_8
; %bb.7:
	global_load_b32 v13, v[5:6], off offset:768
	global_load_b32 v18, v[7:8], off offset:768
.LBB808_8:
	s_or_b32 exec_lo, exec_lo, s5
	v_or_b32_e32 v17, 0x100, v4
	v_dual_mov_b32 v19, 0 :: v_dual_mov_b32 v20, 0
	s_delay_alu instid0(VALU_DEP_2) | instskip(SKIP_1) | instid1(VALU_DEP_2)
	v_cmp_gt_i32_e64 s5, s10, v17
	v_mov_b32_e32 v17, 0
	s_and_b32 s7, s9, s5
	s_delay_alu instid0(SALU_CYCLE_1)
	s_and_saveexec_b32 s6, s7
	s_cbranch_execz .LBB808_10
; %bb.9:
	global_load_b32 v19, v[5:6], off offset:1024
	global_load_b32 v20, v[7:8], off offset:1024
.LBB808_10:
	;; [unrolled: 27-line block ×3, first 2 shown]
	s_or_b32 exec_lo, exec_lo, s8
	v_or_b32_e32 v4, 0x1c0, v4
	s_delay_alu instid0(VALU_DEP_1) | instskip(SKIP_1) | instid1(VALU_DEP_2)
	v_cmp_gt_i32_e64 s8, s10, v4
	v_mov_b32_e32 v4, 0
	s_and_b32 s10, s9, s8
	s_delay_alu instid0(SALU_CYCLE_1)
	s_and_saveexec_b32 s9, s10
	s_cbranch_execz .LBB808_16
; %bb.15:
	global_load_b32 v21, v[5:6], off offset:1792
	global_load_b32 v4, v[7:8], off offset:1792
.LBB808_16:
	s_or_b32 exec_lo, exec_lo, s9
	s_load_b64 s[0:1], s[0:1], 0x28
	s_mov_b32 s18, exec_lo
	s_waitcnt lgkmcnt(0)
	v_add_co_u32 v2, s0, s0, v2
	s_delay_alu instid0(VALU_DEP_1)
	v_add_co_ci_u32_e64 v3, s0, s1, v3, s0
	s_clause 0x7
	global_load_u8 v5, v[2:3], off
	global_load_u8 v6, v[2:3], off offset:64
	global_load_u8 v7, v[2:3], off offset:128
	;; [unrolled: 1-line block ×7, first 2 shown]
	s_waitcnt vmcnt(7)
	v_and_b32_e32 v3, 1, v5
	v_add_f32_e32 v5, 0, v10
	s_delay_alu instid0(VALU_DEP_2) | instskip(SKIP_2) | instid1(VALU_DEP_2)
	v_cmp_eq_u32_e64 s14, 1, v3
	s_waitcnt vmcnt(0)
	v_and_b32_e32 v2, 1, v2
	v_cndmask_b32_e64 v3, v5, 0, s14
	s_delay_alu instid0(VALU_DEP_1) | instskip(NEXT) | instid1(VALU_DEP_1)
	v_dual_add_f32 v6, v3, v9 :: v_dual_and_b32 v5, 1, v6
	v_cmp_eq_u32_e64 s13, 1, v5
	v_and_b32_e32 v5, 1, v7
	s_delay_alu instid0(VALU_DEP_2) | instskip(NEXT) | instid1(VALU_DEP_2)
	v_cndmask_b32_e64 v3, v6, v3, s13
	v_cmp_eq_u32_e64 s12, 1, v5
	s_delay_alu instid0(VALU_DEP_2) | instskip(NEXT) | instid1(VALU_DEP_1)
	v_dual_add_f32 v6, v3, v15 :: v_dual_and_b32 v5, 1, v8
	v_cmp_eq_u32_e64 s11, 1, v5
	v_and_b32_e32 v5, 1, v25
	s_delay_alu instid0(VALU_DEP_3) | instskip(NEXT) | instid1(VALU_DEP_2)
	v_cndmask_b32_e64 v3, v6, v3, s12
	v_cmp_eq_u32_e64 s10, 1, v5
	s_delay_alu instid0(VALU_DEP_2) | instskip(NEXT) | instid1(VALU_DEP_1)
	v_add_f32_e32 v6, v3, v13
	v_cndmask_b32_e64 v3, v6, v3, s11
	s_delay_alu instid0(VALU_DEP_1) | instskip(NEXT) | instid1(VALU_DEP_1)
	v_add_f32_e32 v6, v3, v19
	v_cndmask_b32_e64 v3, v6, v3, s10
	s_delay_alu instid0(VALU_DEP_1) | instskip(NEXT) | instid1(VALU_DEP_1)
	v_dual_add_f32 v6, v3, v17 :: v_dual_and_b32 v5, 1, v26
	v_cmp_eq_u32_e64 s9, 1, v5
	v_mbcnt_lo_u32_b32 v5, -1, 0
	s_delay_alu instid0(VALU_DEP_2) | instskip(SKIP_1) | instid1(VALU_DEP_3)
	v_cndmask_b32_e64 v3, v6, v3, s9
	v_and_b32_e32 v6, 1, v27
	v_or_b32_e32 v8, 32, v5
	s_delay_alu instid0(VALU_DEP_3) | instskip(NEXT) | instid1(VALU_DEP_3)
	v_add_f32_e32 v7, v3, v23
	v_cmp_eq_u32_e64 s1, 1, v6
	s_delay_alu instid0(VALU_DEP_3) | instskip(NEXT) | instid1(VALU_DEP_2)
	v_cmp_gt_i32_e64 s0, 64, v8
	v_cndmask_b32_e64 v3, v7, v3, s1
	s_delay_alu instid0(VALU_DEP_2) | instskip(SKIP_1) | instid1(VALU_DEP_2)
	v_cndmask_b32_e64 v6, v5, v8, s0
	v_cmp_eq_u32_e64 s0, 1, v2
	v_dual_add_f32 v7, v3, v21 :: v_dual_lshlrev_b32 v6, 2, v6
	s_delay_alu instid0(VALU_DEP_1) | instskip(SKIP_2) | instid1(VALU_DEP_1)
	v_cndmask_b32_e64 v2, v7, v3, s0
	ds_bpermute_b32 v3, v6, v2
	v_xor_b32_e32 v6, 16, v5
	v_cmp_gt_i32_e64 s15, 64, v6
	s_delay_alu instid0(VALU_DEP_1) | instskip(NEXT) | instid1(VALU_DEP_1)
	v_cndmask_b32_e64 v6, v5, v6, s15
	v_lshlrev_b32_e32 v6, 2, v6
	s_waitcnt lgkmcnt(0)
	v_add_f32_e32 v2, v2, v3
	ds_bpermute_b32 v3, v6, v2
	v_xor_b32_e32 v6, 8, v5
	s_delay_alu instid0(VALU_DEP_1) | instskip(NEXT) | instid1(VALU_DEP_1)
	v_cmp_gt_i32_e64 s15, 64, v6
	v_cndmask_b32_e64 v6, v5, v6, s15
	s_delay_alu instid0(VALU_DEP_1) | instskip(SKIP_4) | instid1(VALU_DEP_1)
	v_lshlrev_b32_e32 v6, 2, v6
	s_waitcnt lgkmcnt(0)
	v_add_f32_e32 v2, v2, v3
	ds_bpermute_b32 v3, v6, v2
	v_xor_b32_e32 v6, 4, v5
	v_cmp_gt_i32_e64 s15, 64, v6
	s_delay_alu instid0(VALU_DEP_1) | instskip(NEXT) | instid1(VALU_DEP_1)
	v_cndmask_b32_e64 v6, v5, v6, s15
	v_lshlrev_b32_e32 v6, 2, v6
	s_waitcnt lgkmcnt(0)
	v_add_f32_e32 v2, v2, v3
	ds_bpermute_b32 v3, v6, v2
	v_xor_b32_e32 v6, 2, v5
	s_delay_alu instid0(VALU_DEP_1) | instskip(NEXT) | instid1(VALU_DEP_1)
	v_cmp_gt_i32_e64 s15, 64, v6
	v_cndmask_b32_e64 v6, v5, v6, s15
	s_delay_alu instid0(VALU_DEP_1) | instskip(SKIP_4) | instid1(VALU_DEP_1)
	v_lshlrev_b32_e32 v6, 2, v6
	s_waitcnt lgkmcnt(0)
	v_add_f32_e32 v2, v2, v3
	ds_bpermute_b32 v3, v6, v2
	v_xor_b32_e32 v6, 1, v5
	v_cmp_gt_i32_e64 s15, 64, v6
	s_delay_alu instid0(VALU_DEP_1) | instskip(SKIP_1) | instid1(VALU_DEP_1)
	v_cndmask_b32_e64 v5, v5, v6, s15
	s_waitcnt lgkmcnt(0)
	v_dual_add_f32 v2, v2, v3 :: v_dual_lshlrev_b32 v3, 2, v5
	ds_bpermute_b32 v3, v3, v2
	v_cmpx_lt_i32_e32 0, v11
	s_cbranch_execz .LBB808_26
; %bb.17:
	v_add_co_u32 v0, s15, s16, v0
	s_waitcnt lgkmcnt(0)
	v_add_f32_e32 v2, v2, v3
	v_add_co_ci_u32_e64 v1, s15, s17, v1, s15
	s_and_saveexec_b32 s15, vcc_lo
	s_cbranch_execnz .LBB808_27
; %bb.18:
	s_or_b32 exec_lo, exec_lo, s15
	s_and_saveexec_b32 s14, s2
	s_cbranch_execnz .LBB808_28
.LBB808_19:
	s_or_b32 exec_lo, exec_lo, s14
	s_and_saveexec_b32 s2, s3
	s_cbranch_execnz .LBB808_29
.LBB808_20:
	s_or_b32 exec_lo, exec_lo, s2
	s_and_saveexec_b32 s2, s4
	s_cbranch_execnz .LBB808_30
.LBB808_21:
	s_or_b32 exec_lo, exec_lo, s2
	s_and_saveexec_b32 s2, s5
	s_cbranch_execnz .LBB808_31
.LBB808_22:
	s_or_b32 exec_lo, exec_lo, s2
	s_and_saveexec_b32 s2, s6
	s_cbranch_execnz .LBB808_32
.LBB808_23:
	s_or_b32 exec_lo, exec_lo, s2
	s_and_saveexec_b32 s2, s7
	s_cbranch_execnz .LBB808_33
.LBB808_24:
	s_or_b32 exec_lo, exec_lo, s2
	s_delay_alu instid0(SALU_CYCLE_1)
	s_and_b32 exec_lo, exec_lo, s8
	s_cbranch_execz .LBB808_26
.LBB808_25:
	v_fma_f32 v2, -v2, v4, v21
	s_delay_alu instid0(VALU_DEP_1)
	v_cndmask_b32_e64 v2, v2, 0, s0
	global_store_b32 v[0:1], v2, off offset:1792
.LBB808_26:
	s_nop 0
	s_sendmsg sendmsg(MSG_DEALLOC_VGPRS)
	s_endpgm
.LBB808_27:
	s_delay_alu instid0(VALU_DEP_2) | instskip(NEXT) | instid1(VALU_DEP_1)
	v_fma_f32 v3, -v2, v12, v10
	v_cndmask_b32_e64 v3, v3, 0, s14
	global_store_b32 v[0:1], v3, off
	s_or_b32 exec_lo, exec_lo, s15
	s_and_saveexec_b32 s14, s2
	s_cbranch_execz .LBB808_19
.LBB808_28:
	v_fma_f32 v3, -v2, v14, v9
	s_delay_alu instid0(VALU_DEP_1)
	v_cndmask_b32_e64 v3, v3, 0, s13
	global_store_b32 v[0:1], v3, off offset:256
	s_or_b32 exec_lo, exec_lo, s14
	s_and_saveexec_b32 s2, s3
	s_cbranch_execz .LBB808_20
.LBB808_29:
	v_fma_f32 v3, -v2, v16, v15
	s_delay_alu instid0(VALU_DEP_1)
	v_cndmask_b32_e64 v3, v3, 0, s12
	global_store_b32 v[0:1], v3, off offset:512
	s_or_b32 exec_lo, exec_lo, s2
	s_and_saveexec_b32 s2, s4
	s_cbranch_execz .LBB808_21
.LBB808_30:
	v_fma_f32 v3, -v2, v18, v13
	s_delay_alu instid0(VALU_DEP_1)
	v_cndmask_b32_e64 v3, v3, 0, s11
	global_store_b32 v[0:1], v3, off offset:768
	s_or_b32 exec_lo, exec_lo, s2
	s_and_saveexec_b32 s2, s5
	s_cbranch_execz .LBB808_22
.LBB808_31:
	v_fma_f32 v3, -v2, v20, v19
	s_delay_alu instid0(VALU_DEP_1)
	v_cndmask_b32_e64 v3, v3, 0, s10
	global_store_b32 v[0:1], v3, off offset:1024
	s_or_b32 exec_lo, exec_lo, s2
	s_and_saveexec_b32 s2, s6
	s_cbranch_execz .LBB808_23
.LBB808_32:
	v_fma_f32 v3, -v2, v22, v17
	s_delay_alu instid0(VALU_DEP_1)
	v_cndmask_b32_e64 v3, v3, 0, s9
	global_store_b32 v[0:1], v3, off offset:1280
	s_or_b32 exec_lo, exec_lo, s2
	s_and_saveexec_b32 s2, s7
	s_cbranch_execz .LBB808_24
.LBB808_33:
	v_fma_f32 v3, -v2, v24, v23
	s_delay_alu instid0(VALU_DEP_1) | instskip(SKIP_2) | instid1(SALU_CYCLE_1)
	v_cndmask_b32_e64 v3, v3, 0, s1
	global_store_b32 v[0:1], v3, off offset:1536
	s_or_b32 exec_lo, exec_lo, s2
	s_and_b32 exec_lo, exec_lo, s8
	s_cbranch_execnz .LBB808_25
	s_branch .LBB808_26
	.section	.rodata,"a",@progbits
	.p2align	6, 0x0
	.amdhsa_kernel _ZN12_GLOBAL__N_121softmax_warp_backwardIfffLi9ELb0ELb1ELi64EEEvPT0_PKT_S5_iiiPKb
		.amdhsa_group_segment_fixed_size 0
		.amdhsa_private_segment_fixed_size 0
		.amdhsa_kernarg_size 304
		.amdhsa_user_sgpr_count 15
		.amdhsa_user_sgpr_dispatch_ptr 0
		.amdhsa_user_sgpr_queue_ptr 0
		.amdhsa_user_sgpr_kernarg_segment_ptr 1
		.amdhsa_user_sgpr_dispatch_id 0
		.amdhsa_user_sgpr_private_segment_size 0
		.amdhsa_wavefront_size32 1
		.amdhsa_uses_dynamic_stack 0
		.amdhsa_enable_private_segment 0
		.amdhsa_system_sgpr_workgroup_id_x 1
		.amdhsa_system_sgpr_workgroup_id_y 0
		.amdhsa_system_sgpr_workgroup_id_z 0
		.amdhsa_system_sgpr_workgroup_info 0
		.amdhsa_system_vgpr_workitem_id 1
		.amdhsa_next_free_vgpr 28
		.amdhsa_next_free_sgpr 20
		.amdhsa_reserve_vcc 1
		.amdhsa_float_round_mode_32 0
		.amdhsa_float_round_mode_16_64 0
		.amdhsa_float_denorm_mode_32 3
		.amdhsa_float_denorm_mode_16_64 3
		.amdhsa_dx10_clamp 1
		.amdhsa_ieee_mode 1
		.amdhsa_fp16_overflow 0
		.amdhsa_workgroup_processor_mode 1
		.amdhsa_memory_ordered 1
		.amdhsa_forward_progress 0
		.amdhsa_shared_vgpr_count 0
		.amdhsa_exception_fp_ieee_invalid_op 0
		.amdhsa_exception_fp_denorm_src 0
		.amdhsa_exception_fp_ieee_div_zero 0
		.amdhsa_exception_fp_ieee_overflow 0
		.amdhsa_exception_fp_ieee_underflow 0
		.amdhsa_exception_fp_ieee_inexact 0
		.amdhsa_exception_int_div_zero 0
	.end_amdhsa_kernel
	.section	.text._ZN12_GLOBAL__N_121softmax_warp_backwardIfffLi9ELb0ELb1ELi64EEEvPT0_PKT_S5_iiiPKb,"axG",@progbits,_ZN12_GLOBAL__N_121softmax_warp_backwardIfffLi9ELb0ELb1ELi64EEEvPT0_PKT_S5_iiiPKb,comdat
.Lfunc_end808:
	.size	_ZN12_GLOBAL__N_121softmax_warp_backwardIfffLi9ELb0ELb1ELi64EEEvPT0_PKT_S5_iiiPKb, .Lfunc_end808-_ZN12_GLOBAL__N_121softmax_warp_backwardIfffLi9ELb0ELb1ELi64EEEvPT0_PKT_S5_iiiPKb
                                        ; -- End function
	.section	.AMDGPU.csdata,"",@progbits
; Kernel info:
; codeLenInByte = 1712
; NumSgprs: 22
; NumVgprs: 28
; ScratchSize: 0
; MemoryBound: 0
; FloatMode: 240
; IeeeMode: 1
; LDSByteSize: 0 bytes/workgroup (compile time only)
; SGPRBlocks: 2
; VGPRBlocks: 3
; NumSGPRsForWavesPerEU: 22
; NumVGPRsForWavesPerEU: 28
; Occupancy: 16
; WaveLimiterHint : 0
; COMPUTE_PGM_RSRC2:SCRATCH_EN: 0
; COMPUTE_PGM_RSRC2:USER_SGPR: 15
; COMPUTE_PGM_RSRC2:TRAP_HANDLER: 0
; COMPUTE_PGM_RSRC2:TGID_X_EN: 1
; COMPUTE_PGM_RSRC2:TGID_Y_EN: 0
; COMPUTE_PGM_RSRC2:TGID_Z_EN: 0
; COMPUTE_PGM_RSRC2:TIDIG_COMP_CNT: 1
	.section	.text._ZN12_GLOBAL__N_121softmax_warp_backwardIfffLi9ELb0ELb1ELi32EEEvPT0_PKT_S5_iiiPKb,"axG",@progbits,_ZN12_GLOBAL__N_121softmax_warp_backwardIfffLi9ELb0ELb1ELi32EEEvPT0_PKT_S5_iiiPKb,comdat
	.globl	_ZN12_GLOBAL__N_121softmax_warp_backwardIfffLi9ELb0ELb1ELi32EEEvPT0_PKT_S5_iiiPKb ; -- Begin function _ZN12_GLOBAL__N_121softmax_warp_backwardIfffLi9ELb0ELb1ELi32EEEvPT0_PKT_S5_iiiPKb
	.p2align	8
	.type	_ZN12_GLOBAL__N_121softmax_warp_backwardIfffLi9ELb0ELb1ELi32EEEvPT0_PKT_S5_iiiPKb,@function
_ZN12_GLOBAL__N_121softmax_warp_backwardIfffLi9ELb0ELb1ELi32EEEvPT0_PKT_S5_iiiPKb: ; @_ZN12_GLOBAL__N_121softmax_warp_backwardIfffLi9ELb0ELb1ELi32EEEvPT0_PKT_S5_iiiPKb
; %bb.0:
	s_clause 0x1
	s_load_b32 s2, s[0:1], 0x3c
	s_load_b128 s[16:19], s[0:1], 0x18
	v_bfe_u32 v1, v0, 10, 10
	v_dual_mov_b32 v9, 0 :: v_dual_and_b32 v4, 31, v0
	s_clause 0x1
	s_load_b128 s[36:39], s[0:1], 0x0
	s_load_b64 s[4:5], s[0:1], 0x10
	v_mov_b32_e32 v10, 0
	v_mov_b32_e32 v12, 0
	s_waitcnt lgkmcnt(0)
	s_lshr_b32 s2, s2, 16
	v_cmp_gt_i32_e32 vcc_lo, s18, v4
	v_mad_u64_u32 v[5:6], null, s15, s2, v[1:2]
	s_delay_alu instid0(VALU_DEP_1) | instskip(SKIP_1) | instid1(VALU_DEP_1)
	v_mad_u64_u32 v[2:3], null, v5, s17, v[4:5]
	v_sub_nc_u32_e32 v11, s16, v5
	v_cmp_lt_i32_e64 s17, 0, v11
	s_delay_alu instid0(VALU_DEP_3) | instskip(NEXT) | instid1(VALU_DEP_2)
	v_ashrrev_i32_e32 v3, 31, v2
	s_and_b32 s3, s17, vcc_lo
	s_delay_alu instid0(VALU_DEP_1) | instskip(NEXT) | instid1(VALU_DEP_1)
	v_lshlrev_b64 v[0:1], 2, v[2:3]
	v_add_co_u32 v5, s2, s38, v0
	s_delay_alu instid0(VALU_DEP_1) | instskip(SKIP_1) | instid1(VALU_DEP_1)
	v_add_co_ci_u32_e64 v6, s2, s39, v1, s2
	v_add_co_u32 v7, s2, s4, v0
	v_add_co_ci_u32_e64 v8, s2, s5, v1, s2
	s_and_saveexec_b32 s2, s3
	s_cbranch_execz .LBB809_2
; %bb.1:
	global_load_b32 v10, v[5:6], off
	global_load_b32 v12, v[7:8], off
.LBB809_2:
	s_or_b32 exec_lo, exec_lo, s2
	v_or_b32_e32 v13, 32, v4
	v_mov_b32_e32 v14, 0
	s_delay_alu instid0(VALU_DEP_2) | instskip(NEXT) | instid1(VALU_DEP_1)
	v_cmp_gt_i32_e64 s2, s18, v13
	s_and_b32 s4, s17, s2
	s_delay_alu instid0(SALU_CYCLE_1)
	s_and_saveexec_b32 s3, s4
	s_cbranch_execz .LBB809_4
; %bb.3:
	global_load_b32 v9, v[5:6], off offset:128
	global_load_b32 v14, v[7:8], off offset:128
.LBB809_4:
	s_or_b32 exec_lo, exec_lo, s3
	v_or_b32_e32 v13, 64, v4
	v_dual_mov_b32 v15, 0 :: v_dual_mov_b32 v16, 0
	s_delay_alu instid0(VALU_DEP_2) | instskip(SKIP_1) | instid1(VALU_DEP_2)
	v_cmp_gt_i32_e64 s3, s18, v13
	v_mov_b32_e32 v13, 0
	s_and_b32 s5, s17, s3
	s_delay_alu instid0(SALU_CYCLE_1)
	s_and_saveexec_b32 s4, s5
	s_cbranch_execz .LBB809_6
; %bb.5:
	global_load_b32 v15, v[5:6], off offset:256
	global_load_b32 v16, v[7:8], off offset:256
.LBB809_6:
	s_or_b32 exec_lo, exec_lo, s4
	v_or_b32_e32 v17, 0x60, v4
	v_mov_b32_e32 v18, 0
	s_delay_alu instid0(VALU_DEP_2) | instskip(NEXT) | instid1(VALU_DEP_1)
	v_cmp_gt_i32_e64 s4, s18, v17
	s_and_b32 s6, s17, s4
	s_delay_alu instid0(SALU_CYCLE_1)
	s_and_saveexec_b32 s5, s6
	s_cbranch_execz .LBB809_8
; %bb.7:
	global_load_b32 v13, v[5:6], off offset:384
	global_load_b32 v18, v[7:8], off offset:384
.LBB809_8:
	s_or_b32 exec_lo, exec_lo, s5
	v_or_b32_e32 v17, 0x80, v4
	v_dual_mov_b32 v19, 0 :: v_dual_mov_b32 v20, 0
	s_delay_alu instid0(VALU_DEP_2) | instskip(SKIP_1) | instid1(VALU_DEP_2)
	v_cmp_gt_i32_e64 s5, s18, v17
	v_mov_b32_e32 v17, 0
	s_and_b32 s7, s17, s5
	s_delay_alu instid0(SALU_CYCLE_1)
	s_and_saveexec_b32 s6, s7
	s_cbranch_execz .LBB809_10
; %bb.9:
	global_load_b32 v19, v[5:6], off offset:512
	global_load_b32 v20, v[7:8], off offset:512
.LBB809_10:
	;; [unrolled: 27-line block ×7, first 2 shown]
	s_or_b32 exec_lo, exec_lo, s16
	v_or_b32_e32 v4, 0x1e0, v4
	s_delay_alu instid0(VALU_DEP_1) | instskip(SKIP_1) | instid1(VALU_DEP_2)
	v_cmp_gt_i32_e64 s16, s18, v4
	v_mov_b32_e32 v4, 0
	s_and_b32 s18, s17, s16
	s_delay_alu instid0(SALU_CYCLE_1)
	s_and_saveexec_b32 s17, s18
	s_cbranch_execz .LBB809_32
; %bb.31:
	global_load_b32 v37, v[5:6], off offset:1920
	global_load_b32 v4, v[7:8], off offset:1920
.LBB809_32:
	s_or_b32 exec_lo, exec_lo, s17
	s_load_b64 s[0:1], s[0:1], 0x28
	s_mov_b32 s33, exec_lo
	s_waitcnt lgkmcnt(0)
	v_add_co_u32 v2, s0, s0, v2
	s_delay_alu instid0(VALU_DEP_1)
	v_add_co_ci_u32_e64 v3, s0, s1, v3, s0
	s_clause 0xf
	global_load_u8 v5, v[2:3], off
	global_load_u8 v6, v[2:3], off offset:32
	global_load_u8 v7, v[2:3], off offset:64
	;; [unrolled: 1-line block ×15, first 2 shown]
	s_waitcnt vmcnt(15)
	v_and_b32_e32 v3, 1, v5
	v_add_f32_e32 v5, 0, v10
	s_delay_alu instid0(VALU_DEP_2) | instskip(NEXT) | instid1(VALU_DEP_1)
	v_cmp_eq_u32_e64 s30, 1, v3
	v_cndmask_b32_e64 v3, v5, 0, s30
	s_waitcnt vmcnt(14)
	s_delay_alu instid0(VALU_DEP_1) | instskip(NEXT) | instid1(VALU_DEP_1)
	v_dual_add_f32 v6, v3, v9 :: v_dual_and_b32 v5, 1, v6
	v_cmp_eq_u32_e64 s29, 1, v5
	s_waitcnt vmcnt(13)
	v_and_b32_e32 v5, 1, v7
	s_waitcnt vmcnt(0)
	v_and_b32_e32 v2, 1, v2
	v_cndmask_b32_e64 v3, v6, v3, s29
	s_delay_alu instid0(VALU_DEP_3) | instskip(NEXT) | instid1(VALU_DEP_2)
	v_cmp_eq_u32_e64 s28, 1, v5
	v_dual_add_f32 v6, v3, v15 :: v_dual_and_b32 v5, 1, v8
	s_delay_alu instid0(VALU_DEP_1) | instskip(SKIP_1) | instid1(VALU_DEP_3)
	v_cmp_eq_u32_e64 s27, 1, v5
	v_and_b32_e32 v5, 1, v41
	v_cndmask_b32_e64 v3, v6, v3, s28
	s_delay_alu instid0(VALU_DEP_2) | instskip(NEXT) | instid1(VALU_DEP_2)
	v_cmp_eq_u32_e64 s26, 1, v5
	v_add_f32_e32 v6, v3, v13
	s_delay_alu instid0(VALU_DEP_1) | instskip(NEXT) | instid1(VALU_DEP_1)
	v_cndmask_b32_e64 v3, v6, v3, s27
	v_add_f32_e32 v6, v3, v19
	s_delay_alu instid0(VALU_DEP_1) | instskip(NEXT) | instid1(VALU_DEP_1)
	v_cndmask_b32_e64 v3, v6, v3, s26
	v_dual_add_f32 v6, v3, v17 :: v_dual_and_b32 v5, 1, v42
	s_delay_alu instid0(VALU_DEP_1) | instskip(SKIP_1) | instid1(VALU_DEP_2)
	v_cmp_eq_u32_e64 s25, 1, v5
	v_and_b32_e32 v5, 1, v43
	v_cndmask_b32_e64 v3, v6, v3, s25
	s_delay_alu instid0(VALU_DEP_2) | instskip(NEXT) | instid1(VALU_DEP_2)
	v_cmp_eq_u32_e64 s24, 1, v5
	v_dual_add_f32 v6, v3, v23 :: v_dual_and_b32 v5, 1, v44
	s_delay_alu instid0(VALU_DEP_1) | instskip(SKIP_1) | instid1(VALU_DEP_3)
	v_cmp_eq_u32_e64 s23, 1, v5
	v_and_b32_e32 v5, 1, v45
	v_cndmask_b32_e64 v3, v6, v3, s24
	s_delay_alu instid0(VALU_DEP_2) | instskip(NEXT) | instid1(VALU_DEP_2)
	v_cmp_eq_u32_e64 s22, 1, v5
	v_add_f32_e32 v6, v3, v21
	s_delay_alu instid0(VALU_DEP_1) | instskip(NEXT) | instid1(VALU_DEP_1)
	v_cndmask_b32_e64 v3, v6, v3, s23
	v_add_f32_e32 v6, v3, v27
	s_delay_alu instid0(VALU_DEP_1) | instskip(NEXT) | instid1(VALU_DEP_1)
	v_cndmask_b32_e64 v3, v6, v3, s22
	v_dual_add_f32 v6, v3, v25 :: v_dual_and_b32 v5, 1, v46
	s_delay_alu instid0(VALU_DEP_1) | instskip(SKIP_1) | instid1(VALU_DEP_2)
	v_cmp_eq_u32_e64 s21, 1, v5
	v_and_b32_e32 v5, 1, v47
	v_cndmask_b32_e64 v3, v6, v3, s21
	s_delay_alu instid0(VALU_DEP_2) | instskip(NEXT) | instid1(VALU_DEP_2)
	v_cmp_eq_u32_e64 s20, 1, v5
	v_dual_add_f32 v6, v3, v31 :: v_dual_and_b32 v5, 1, v48
	s_delay_alu instid0(VALU_DEP_1) | instskip(SKIP_1) | instid1(VALU_DEP_3)
	v_cmp_eq_u32_e64 s19, 1, v5
	v_and_b32_e32 v5, 1, v49
	v_cndmask_b32_e64 v3, v6, v3, s20
	s_delay_alu instid0(VALU_DEP_2) | instskip(NEXT) | instid1(VALU_DEP_2)
	v_cmp_eq_u32_e64 s18, 1, v5
	v_add_f32_e32 v6, v3, v29
	s_delay_alu instid0(VALU_DEP_1) | instskip(NEXT) | instid1(VALU_DEP_1)
	v_cndmask_b32_e64 v3, v6, v3, s19
	v_add_f32_e32 v6, v3, v35
	s_delay_alu instid0(VALU_DEP_1) | instskip(NEXT) | instid1(VALU_DEP_1)
	v_cndmask_b32_e64 v3, v6, v3, s18
	v_dual_add_f32 v6, v3, v33 :: v_dual_and_b32 v5, 1, v50
	s_delay_alu instid0(VALU_DEP_1) | instskip(SKIP_1) | instid1(VALU_DEP_2)
	v_cmp_eq_u32_e64 s17, 1, v5
	v_mbcnt_lo_u32_b32 v5, -1, 0
	v_cndmask_b32_e64 v3, v6, v3, s17
	v_and_b32_e32 v6, 1, v51
	s_delay_alu instid0(VALU_DEP_3) | instskip(NEXT) | instid1(VALU_DEP_3)
	v_xor_b32_e32 v8, 16, v5
	v_add_f32_e32 v7, v3, v39
	s_delay_alu instid0(VALU_DEP_3) | instskip(NEXT) | instid1(VALU_DEP_3)
	v_cmp_eq_u32_e64 s1, 1, v6
	v_cmp_gt_i32_e64 s0, 32, v8
	s_delay_alu instid0(VALU_DEP_2) | instskip(NEXT) | instid1(VALU_DEP_2)
	v_cndmask_b32_e64 v3, v7, v3, s1
	v_cndmask_b32_e64 v6, v5, v8, s0
	v_cmp_eq_u32_e64 s0, 1, v2
	s_delay_alu instid0(VALU_DEP_2) | instskip(NEXT) | instid1(VALU_DEP_1)
	v_dual_add_f32 v7, v3, v37 :: v_dual_lshlrev_b32 v6, 2, v6
	v_cndmask_b32_e64 v2, v7, v3, s0
	ds_bpermute_b32 v3, v6, v2
	v_xor_b32_e32 v6, 8, v5
	s_delay_alu instid0(VALU_DEP_1) | instskip(NEXT) | instid1(VALU_DEP_1)
	v_cmp_gt_i32_e64 s31, 32, v6
	v_cndmask_b32_e64 v6, v5, v6, s31
	s_delay_alu instid0(VALU_DEP_1) | instskip(SKIP_4) | instid1(VALU_DEP_1)
	v_lshlrev_b32_e32 v6, 2, v6
	s_waitcnt lgkmcnt(0)
	v_add_f32_e32 v2, v2, v3
	ds_bpermute_b32 v3, v6, v2
	v_xor_b32_e32 v6, 4, v5
	v_cmp_gt_i32_e64 s31, 32, v6
	s_delay_alu instid0(VALU_DEP_1) | instskip(NEXT) | instid1(VALU_DEP_1)
	v_cndmask_b32_e64 v6, v5, v6, s31
	v_lshlrev_b32_e32 v6, 2, v6
	s_waitcnt lgkmcnt(0)
	v_add_f32_e32 v2, v2, v3
	ds_bpermute_b32 v3, v6, v2
	v_xor_b32_e32 v6, 2, v5
	s_delay_alu instid0(VALU_DEP_1) | instskip(NEXT) | instid1(VALU_DEP_1)
	v_cmp_gt_i32_e64 s31, 32, v6
	v_cndmask_b32_e64 v6, v5, v6, s31
	s_delay_alu instid0(VALU_DEP_1) | instskip(SKIP_4) | instid1(VALU_DEP_1)
	v_lshlrev_b32_e32 v6, 2, v6
	s_waitcnt lgkmcnt(0)
	v_add_f32_e32 v2, v2, v3
	ds_bpermute_b32 v3, v6, v2
	v_xor_b32_e32 v6, 1, v5
	v_cmp_gt_i32_e64 s31, 32, v6
	s_delay_alu instid0(VALU_DEP_1) | instskip(SKIP_1) | instid1(VALU_DEP_1)
	v_cndmask_b32_e64 v5, v5, v6, s31
	s_waitcnt lgkmcnt(0)
	v_dual_add_f32 v2, v2, v3 :: v_dual_lshlrev_b32 v3, 2, v5
	ds_bpermute_b32 v3, v3, v2
	v_cmpx_lt_i32_e32 0, v11
	s_cbranch_execz .LBB809_50
; %bb.33:
	v_add_co_u32 v0, s31, s36, v0
	s_waitcnt lgkmcnt(0)
	v_add_f32_e32 v2, v2, v3
	v_add_co_ci_u32_e64 v1, s31, s37, v1, s31
	s_and_saveexec_b32 s31, vcc_lo
	s_cbranch_execnz .LBB809_51
; %bb.34:
	s_or_b32 exec_lo, exec_lo, s31
	s_and_saveexec_b32 s30, s2
	s_cbranch_execnz .LBB809_52
.LBB809_35:
	s_or_b32 exec_lo, exec_lo, s30
	s_and_saveexec_b32 s2, s3
	s_cbranch_execnz .LBB809_53
.LBB809_36:
	s_or_b32 exec_lo, exec_lo, s2
	s_and_saveexec_b32 s2, s4
	s_cbranch_execnz .LBB809_54
.LBB809_37:
	s_or_b32 exec_lo, exec_lo, s2
	s_and_saveexec_b32 s2, s5
	s_cbranch_execnz .LBB809_55
.LBB809_38:
	s_or_b32 exec_lo, exec_lo, s2
	s_and_saveexec_b32 s2, s6
	s_cbranch_execnz .LBB809_56
.LBB809_39:
	s_or_b32 exec_lo, exec_lo, s2
	s_and_saveexec_b32 s2, s7
	s_cbranch_execnz .LBB809_57
.LBB809_40:
	s_or_b32 exec_lo, exec_lo, s2
	s_and_saveexec_b32 s2, s8
	s_cbranch_execnz .LBB809_58
.LBB809_41:
	s_or_b32 exec_lo, exec_lo, s2
	s_and_saveexec_b32 s2, s9
	s_cbranch_execnz .LBB809_59
.LBB809_42:
	s_or_b32 exec_lo, exec_lo, s2
	s_and_saveexec_b32 s2, s10
	s_cbranch_execnz .LBB809_60
.LBB809_43:
	s_or_b32 exec_lo, exec_lo, s2
	s_and_saveexec_b32 s2, s11
	s_cbranch_execnz .LBB809_61
.LBB809_44:
	s_or_b32 exec_lo, exec_lo, s2
	s_and_saveexec_b32 s2, s12
	s_cbranch_execnz .LBB809_62
.LBB809_45:
	s_or_b32 exec_lo, exec_lo, s2
	s_and_saveexec_b32 s2, s13
	s_cbranch_execnz .LBB809_63
.LBB809_46:
	s_or_b32 exec_lo, exec_lo, s2
	s_and_saveexec_b32 s2, s14
	s_cbranch_execnz .LBB809_64
.LBB809_47:
	s_or_b32 exec_lo, exec_lo, s2
	s_and_saveexec_b32 s2, s15
	s_cbranch_execnz .LBB809_65
.LBB809_48:
	s_or_b32 exec_lo, exec_lo, s2
	s_delay_alu instid0(SALU_CYCLE_1)
	s_and_b32 exec_lo, exec_lo, s16
	s_cbranch_execz .LBB809_50
.LBB809_49:
	v_fma_f32 v2, -v2, v4, v37
	s_delay_alu instid0(VALU_DEP_1)
	v_cndmask_b32_e64 v2, v2, 0, s0
	global_store_b32 v[0:1], v2, off offset:1920
.LBB809_50:
	s_nop 0
	s_sendmsg sendmsg(MSG_DEALLOC_VGPRS)
	s_endpgm
.LBB809_51:
	s_delay_alu instid0(VALU_DEP_2) | instskip(NEXT) | instid1(VALU_DEP_1)
	v_fma_f32 v3, -v2, v12, v10
	v_cndmask_b32_e64 v3, v3, 0, s30
	global_store_b32 v[0:1], v3, off
	s_or_b32 exec_lo, exec_lo, s31
	s_and_saveexec_b32 s30, s2
	s_cbranch_execz .LBB809_35
.LBB809_52:
	v_fma_f32 v3, -v2, v14, v9
	s_delay_alu instid0(VALU_DEP_1)
	v_cndmask_b32_e64 v3, v3, 0, s29
	global_store_b32 v[0:1], v3, off offset:128
	s_or_b32 exec_lo, exec_lo, s30
	s_and_saveexec_b32 s2, s3
	s_cbranch_execz .LBB809_36
.LBB809_53:
	v_fma_f32 v3, -v2, v16, v15
	s_delay_alu instid0(VALU_DEP_1)
	v_cndmask_b32_e64 v3, v3, 0, s28
	global_store_b32 v[0:1], v3, off offset:256
	s_or_b32 exec_lo, exec_lo, s2
	s_and_saveexec_b32 s2, s4
	s_cbranch_execz .LBB809_37
.LBB809_54:
	v_fma_f32 v3, -v2, v18, v13
	s_delay_alu instid0(VALU_DEP_1)
	v_cndmask_b32_e64 v3, v3, 0, s27
	global_store_b32 v[0:1], v3, off offset:384
	s_or_b32 exec_lo, exec_lo, s2
	s_and_saveexec_b32 s2, s5
	s_cbranch_execz .LBB809_38
.LBB809_55:
	v_fma_f32 v3, -v2, v20, v19
	s_delay_alu instid0(VALU_DEP_1)
	v_cndmask_b32_e64 v3, v3, 0, s26
	global_store_b32 v[0:1], v3, off offset:512
	s_or_b32 exec_lo, exec_lo, s2
	s_and_saveexec_b32 s2, s6
	s_cbranch_execz .LBB809_39
.LBB809_56:
	v_fma_f32 v3, -v2, v22, v17
	s_delay_alu instid0(VALU_DEP_1)
	v_cndmask_b32_e64 v3, v3, 0, s25
	global_store_b32 v[0:1], v3, off offset:640
	s_or_b32 exec_lo, exec_lo, s2
	s_and_saveexec_b32 s2, s7
	s_cbranch_execz .LBB809_40
.LBB809_57:
	v_fma_f32 v3, -v2, v24, v23
	s_delay_alu instid0(VALU_DEP_1)
	v_cndmask_b32_e64 v3, v3, 0, s24
	global_store_b32 v[0:1], v3, off offset:768
	s_or_b32 exec_lo, exec_lo, s2
	s_and_saveexec_b32 s2, s8
	s_cbranch_execz .LBB809_41
.LBB809_58:
	v_fma_f32 v3, -v2, v26, v21
	s_delay_alu instid0(VALU_DEP_1)
	v_cndmask_b32_e64 v3, v3, 0, s23
	global_store_b32 v[0:1], v3, off offset:896
	s_or_b32 exec_lo, exec_lo, s2
	s_and_saveexec_b32 s2, s9
	s_cbranch_execz .LBB809_42
.LBB809_59:
	v_fma_f32 v3, -v2, v28, v27
	s_delay_alu instid0(VALU_DEP_1)
	v_cndmask_b32_e64 v3, v3, 0, s22
	global_store_b32 v[0:1], v3, off offset:1024
	s_or_b32 exec_lo, exec_lo, s2
	s_and_saveexec_b32 s2, s10
	s_cbranch_execz .LBB809_43
.LBB809_60:
	v_fma_f32 v3, -v2, v30, v25
	s_delay_alu instid0(VALU_DEP_1)
	v_cndmask_b32_e64 v3, v3, 0, s21
	global_store_b32 v[0:1], v3, off offset:1152
	s_or_b32 exec_lo, exec_lo, s2
	s_and_saveexec_b32 s2, s11
	s_cbranch_execz .LBB809_44
.LBB809_61:
	v_fma_f32 v3, -v2, v32, v31
	s_delay_alu instid0(VALU_DEP_1)
	v_cndmask_b32_e64 v3, v3, 0, s20
	global_store_b32 v[0:1], v3, off offset:1280
	s_or_b32 exec_lo, exec_lo, s2
	s_and_saveexec_b32 s2, s12
	s_cbranch_execz .LBB809_45
.LBB809_62:
	v_fma_f32 v3, -v2, v34, v29
	s_delay_alu instid0(VALU_DEP_1)
	v_cndmask_b32_e64 v3, v3, 0, s19
	global_store_b32 v[0:1], v3, off offset:1408
	s_or_b32 exec_lo, exec_lo, s2
	s_and_saveexec_b32 s2, s13
	s_cbranch_execz .LBB809_46
.LBB809_63:
	v_fma_f32 v3, -v2, v36, v35
	s_delay_alu instid0(VALU_DEP_1)
	v_cndmask_b32_e64 v3, v3, 0, s18
	global_store_b32 v[0:1], v3, off offset:1536
	s_or_b32 exec_lo, exec_lo, s2
	s_and_saveexec_b32 s2, s14
	s_cbranch_execz .LBB809_47
.LBB809_64:
	v_fma_f32 v3, -v2, v38, v33
	s_delay_alu instid0(VALU_DEP_1)
	v_cndmask_b32_e64 v3, v3, 0, s17
	global_store_b32 v[0:1], v3, off offset:1664
	s_or_b32 exec_lo, exec_lo, s2
	s_and_saveexec_b32 s2, s15
	s_cbranch_execz .LBB809_48
.LBB809_65:
	v_fma_f32 v3, -v2, v40, v39
	s_delay_alu instid0(VALU_DEP_1) | instskip(SKIP_2) | instid1(SALU_CYCLE_1)
	v_cndmask_b32_e64 v3, v3, 0, s1
	global_store_b32 v[0:1], v3, off offset:1792
	s_or_b32 exec_lo, exec_lo, s2
	s_and_b32 exec_lo, exec_lo, s16
	s_cbranch_execnz .LBB809_49
	s_branch .LBB809_50
	.section	.rodata,"a",@progbits
	.p2align	6, 0x0
	.amdhsa_kernel _ZN12_GLOBAL__N_121softmax_warp_backwardIfffLi9ELb0ELb1ELi32EEEvPT0_PKT_S5_iiiPKb
		.amdhsa_group_segment_fixed_size 0
		.amdhsa_private_segment_fixed_size 0
		.amdhsa_kernarg_size 304
		.amdhsa_user_sgpr_count 15
		.amdhsa_user_sgpr_dispatch_ptr 0
		.amdhsa_user_sgpr_queue_ptr 0
		.amdhsa_user_sgpr_kernarg_segment_ptr 1
		.amdhsa_user_sgpr_dispatch_id 0
		.amdhsa_user_sgpr_private_segment_size 0
		.amdhsa_wavefront_size32 1
		.amdhsa_uses_dynamic_stack 0
		.amdhsa_enable_private_segment 0
		.amdhsa_system_sgpr_workgroup_id_x 1
		.amdhsa_system_sgpr_workgroup_id_y 0
		.amdhsa_system_sgpr_workgroup_id_z 0
		.amdhsa_system_sgpr_workgroup_info 0
		.amdhsa_system_vgpr_workitem_id 1
		.amdhsa_next_free_vgpr 52
		.amdhsa_next_free_sgpr 40
		.amdhsa_reserve_vcc 1
		.amdhsa_float_round_mode_32 0
		.amdhsa_float_round_mode_16_64 0
		.amdhsa_float_denorm_mode_32 3
		.amdhsa_float_denorm_mode_16_64 3
		.amdhsa_dx10_clamp 1
		.amdhsa_ieee_mode 1
		.amdhsa_fp16_overflow 0
		.amdhsa_workgroup_processor_mode 1
		.amdhsa_memory_ordered 1
		.amdhsa_forward_progress 0
		.amdhsa_shared_vgpr_count 0
		.amdhsa_exception_fp_ieee_invalid_op 0
		.amdhsa_exception_fp_denorm_src 0
		.amdhsa_exception_fp_ieee_div_zero 0
		.amdhsa_exception_fp_ieee_overflow 0
		.amdhsa_exception_fp_ieee_underflow 0
		.amdhsa_exception_fp_ieee_inexact 0
		.amdhsa_exception_int_div_zero 0
	.end_amdhsa_kernel
	.section	.text._ZN12_GLOBAL__N_121softmax_warp_backwardIfffLi9ELb0ELb1ELi32EEEvPT0_PKT_S5_iiiPKb,"axG",@progbits,_ZN12_GLOBAL__N_121softmax_warp_backwardIfffLi9ELb0ELb1ELi32EEEvPT0_PKT_S5_iiiPKb,comdat
.Lfunc_end809:
	.size	_ZN12_GLOBAL__N_121softmax_warp_backwardIfffLi9ELb0ELb1ELi32EEEvPT0_PKT_S5_iiiPKb, .Lfunc_end809-_ZN12_GLOBAL__N_121softmax_warp_backwardIfffLi9ELb0ELb1ELi32EEEvPT0_PKT_S5_iiiPKb
                                        ; -- End function
	.section	.AMDGPU.csdata,"",@progbits
; Kernel info:
; codeLenInByte = 2900
; NumSgprs: 42
; NumVgprs: 52
; ScratchSize: 0
; MemoryBound: 0
; FloatMode: 240
; IeeeMode: 1
; LDSByteSize: 0 bytes/workgroup (compile time only)
; SGPRBlocks: 5
; VGPRBlocks: 6
; NumSGPRsForWavesPerEU: 42
; NumVGPRsForWavesPerEU: 52
; Occupancy: 16
; WaveLimiterHint : 0
; COMPUTE_PGM_RSRC2:SCRATCH_EN: 0
; COMPUTE_PGM_RSRC2:USER_SGPR: 15
; COMPUTE_PGM_RSRC2:TRAP_HANDLER: 0
; COMPUTE_PGM_RSRC2:TGID_X_EN: 1
; COMPUTE_PGM_RSRC2:TGID_Y_EN: 0
; COMPUTE_PGM_RSRC2:TGID_Z_EN: 0
; COMPUTE_PGM_RSRC2:TIDIG_COMP_CNT: 1
	.section	.text._ZN12_GLOBAL__N_121softmax_warp_backwardIfffLi10ELb0ELb1ELi64EEEvPT0_PKT_S5_iiiPKb,"axG",@progbits,_ZN12_GLOBAL__N_121softmax_warp_backwardIfffLi10ELb0ELb1ELi64EEEvPT0_PKT_S5_iiiPKb,comdat
	.globl	_ZN12_GLOBAL__N_121softmax_warp_backwardIfffLi10ELb0ELb1ELi64EEEvPT0_PKT_S5_iiiPKb ; -- Begin function _ZN12_GLOBAL__N_121softmax_warp_backwardIfffLi10ELb0ELb1ELi64EEEvPT0_PKT_S5_iiiPKb
	.p2align	8
	.type	_ZN12_GLOBAL__N_121softmax_warp_backwardIfffLi10ELb0ELb1ELi64EEEvPT0_PKT_S5_iiiPKb,@function
_ZN12_GLOBAL__N_121softmax_warp_backwardIfffLi10ELb0ELb1ELi64EEEvPT0_PKT_S5_iiiPKb: ; @_ZN12_GLOBAL__N_121softmax_warp_backwardIfffLi10ELb0ELb1ELi64EEEvPT0_PKT_S5_iiiPKb
; %bb.0:
	s_clause 0x1
	s_load_b32 s2, s[0:1], 0x3c
	s_load_b128 s[16:19], s[0:1], 0x18
	v_bfe_u32 v1, v0, 10, 10
	v_and_b32_e32 v40, 0x3ff, v0
	s_clause 0x1
	s_load_b128 s[36:39], s[0:1], 0x0
	s_load_b64 s[4:5], s[0:1], 0x10
	v_mov_b32_e32 v10, 0
	v_mov_b32_e32 v12, 0
	v_and_b32_e32 v8, 63, v40
	s_waitcnt lgkmcnt(0)
	s_lshr_b32 s2, s2, 16
	s_delay_alu instid0(VALU_DEP_1) | instskip(SKIP_1) | instid1(VALU_DEP_1)
	v_cmp_gt_i32_e32 vcc_lo, s18, v8
	v_mad_u64_u32 v[4:5], null, s15, s2, v[1:2]
	v_mad_u64_u32 v[2:3], null, v4, s17, v[8:9]
	v_sub_nc_u32_e32 v11, s16, v4
	v_mov_b32_e32 v9, 0
	s_delay_alu instid0(VALU_DEP_2) | instskip(NEXT) | instid1(VALU_DEP_4)
	v_cmp_lt_i32_e64 s17, 0, v11
	v_ashrrev_i32_e32 v3, 31, v2
	s_delay_alu instid0(VALU_DEP_2) | instskip(NEXT) | instid1(VALU_DEP_1)
	s_and_b32 s3, s17, vcc_lo
	v_lshlrev_b64 v[0:1], 2, v[2:3]
	s_delay_alu instid0(VALU_DEP_1) | instskip(NEXT) | instid1(VALU_DEP_1)
	v_add_co_u32 v4, s2, s38, v0
	v_add_co_ci_u32_e64 v5, s2, s39, v1, s2
	v_add_co_u32 v6, s2, s4, v0
	s_delay_alu instid0(VALU_DEP_1)
	v_add_co_ci_u32_e64 v7, s2, s5, v1, s2
	s_and_saveexec_b32 s2, s3
	s_cbranch_execz .LBB810_2
; %bb.1:
	global_load_b32 v10, v[4:5], off
	global_load_b32 v12, v[6:7], off
.LBB810_2:
	s_or_b32 exec_lo, exec_lo, s2
	v_or_b32_e32 v13, 64, v8
	v_mov_b32_e32 v14, 0
	s_delay_alu instid0(VALU_DEP_2) | instskip(NEXT) | instid1(VALU_DEP_1)
	v_cmp_gt_i32_e64 s2, s18, v13
	s_and_b32 s4, s17, s2
	s_delay_alu instid0(SALU_CYCLE_1)
	s_and_saveexec_b32 s3, s4
	s_cbranch_execz .LBB810_4
; %bb.3:
	global_load_b32 v9, v[4:5], off offset:256
	global_load_b32 v14, v[6:7], off offset:256
.LBB810_4:
	s_or_b32 exec_lo, exec_lo, s3
	v_or_b32_e32 v13, 0x80, v8
	v_dual_mov_b32 v15, 0 :: v_dual_mov_b32 v16, 0
	s_delay_alu instid0(VALU_DEP_2) | instskip(SKIP_1) | instid1(VALU_DEP_2)
	v_cmp_gt_i32_e64 s3, s18, v13
	v_mov_b32_e32 v13, 0
	s_and_b32 s5, s17, s3
	s_delay_alu instid0(SALU_CYCLE_1)
	s_and_saveexec_b32 s4, s5
	s_cbranch_execz .LBB810_6
; %bb.5:
	global_load_b32 v15, v[4:5], off offset:512
	global_load_b32 v16, v[6:7], off offset:512
.LBB810_6:
	s_or_b32 exec_lo, exec_lo, s4
	v_or_b32_e32 v17, 0xc0, v8
	v_mov_b32_e32 v18, 0
	s_delay_alu instid0(VALU_DEP_2) | instskip(NEXT) | instid1(VALU_DEP_1)
	v_cmp_gt_i32_e64 s4, s18, v17
	s_and_b32 s6, s17, s4
	s_delay_alu instid0(SALU_CYCLE_1)
	s_and_saveexec_b32 s5, s6
	s_cbranch_execz .LBB810_8
; %bb.7:
	global_load_b32 v13, v[4:5], off offset:768
	global_load_b32 v18, v[6:7], off offset:768
.LBB810_8:
	s_or_b32 exec_lo, exec_lo, s5
	v_or_b32_e32 v17, 0x100, v8
	v_dual_mov_b32 v19, 0 :: v_dual_mov_b32 v20, 0
	s_delay_alu instid0(VALU_DEP_2) | instskip(SKIP_1) | instid1(VALU_DEP_2)
	v_cmp_gt_i32_e64 s5, s18, v17
	v_mov_b32_e32 v17, 0
	s_and_b32 s7, s17, s5
	s_delay_alu instid0(SALU_CYCLE_1)
	s_and_saveexec_b32 s6, s7
	s_cbranch_execz .LBB810_10
; %bb.9:
	global_load_b32 v19, v[4:5], off offset:1024
	global_load_b32 v20, v[6:7], off offset:1024
.LBB810_10:
	;; [unrolled: 27-line block ×6, first 2 shown]
	s_or_b32 exec_lo, exec_lo, s14
	v_or_b32_e32 v37, 0x340, v8
	s_delay_alu instid0(VALU_DEP_1) | instskip(SKIP_1) | instid1(VALU_DEP_2)
	v_cmp_gt_i32_e64 s14, s18, v37
	v_mov_b32_e32 v37, 0
	s_and_b32 s16, s17, s14
	s_delay_alu instid0(SALU_CYCLE_1)
	s_and_saveexec_b32 s15, s16
	s_cbranch_execz .LBB810_28
; %bb.27:
	global_load_b32 v33, v[4:5], off offset:3328
	global_load_b32 v37, v[6:7], off offset:3328
.LBB810_28:
	s_or_b32 exec_lo, exec_lo, s15
	v_or_b32_e32 v8, 0x380, v8
	v_dual_mov_b32 v38, 0 :: v_dual_mov_b32 v39, 0
	s_delay_alu instid0(VALU_DEP_2) | instskip(SKIP_1) | instid1(VALU_DEP_2)
	v_cmp_gt_i32_e64 s15, s18, v8
	v_mov_b32_e32 v8, 0
	s_and_b32 s19, s17, s15
	s_delay_alu instid0(SALU_CYCLE_1)
	s_and_saveexec_b32 s16, s19
	s_cbranch_execz .LBB810_30
; %bb.29:
	global_load_b32 v38, v[4:5], off offset:3584
	global_load_b32 v39, v[6:7], off offset:3584
.LBB810_30:
	s_or_b32 exec_lo, exec_lo, s16
	v_or_b32_e32 v40, 0x3c0, v40
	s_delay_alu instid0(VALU_DEP_1) | instskip(SKIP_1) | instid1(VALU_DEP_2)
	v_cmp_gt_i32_e64 s16, s18, v40
	v_mov_b32_e32 v40, 0
	s_and_b32 s18, s17, s16
	s_delay_alu instid0(SALU_CYCLE_1)
	s_and_saveexec_b32 s17, s18
	s_cbranch_execz .LBB810_32
; %bb.31:
	global_load_b32 v8, v[4:5], off offset:3840
	global_load_b32 v40, v[6:7], off offset:3840
.LBB810_32:
	s_or_b32 exec_lo, exec_lo, s17
	s_load_b64 s[0:1], s[0:1], 0x28
	s_mov_b32 s33, exec_lo
	s_waitcnt lgkmcnt(0)
	v_add_co_u32 v2, s0, s0, v2
	s_delay_alu instid0(VALU_DEP_1)
	v_add_co_ci_u32_e64 v3, s0, s1, v3, s0
	s_clause 0xf
	global_load_u8 v4, v[2:3], off
	global_load_u8 v5, v[2:3], off offset:64
	global_load_u8 v6, v[2:3], off offset:128
	;; [unrolled: 1-line block ×15, first 2 shown]
	s_waitcnt vmcnt(15)
	v_dual_add_f32 v4, 0, v10 :: v_dual_and_b32 v3, 1, v4
	s_delay_alu instid0(VALU_DEP_1) | instskip(NEXT) | instid1(VALU_DEP_1)
	v_cmp_eq_u32_e64 s30, 1, v3
	v_cndmask_b32_e64 v3, v4, 0, s30
	s_waitcnt vmcnt(14)
	v_and_b32_e32 v4, 1, v5
	s_delay_alu instid0(VALU_DEP_2) | instskip(NEXT) | instid1(VALU_DEP_2)
	v_add_f32_e32 v5, v3, v9
	v_cmp_eq_u32_e64 s29, 1, v4
	s_waitcnt vmcnt(13)
	v_and_b32_e32 v4, 1, v6
	s_waitcnt vmcnt(0)
	v_and_b32_e32 v2, 1, v2
	v_cndmask_b32_e64 v3, v5, v3, s29
	s_delay_alu instid0(VALU_DEP_3) | instskip(NEXT) | instid1(VALU_DEP_2)
	v_cmp_eq_u32_e64 s28, 1, v4
	v_add_f32_e32 v5, v3, v15
	s_delay_alu instid0(VALU_DEP_1) | instskip(NEXT) | instid1(VALU_DEP_1)
	v_cndmask_b32_e64 v3, v5, v3, s28
	v_dual_add_f32 v5, v3, v13 :: v_dual_and_b32 v4, 1, v7
	s_delay_alu instid0(VALU_DEP_1) | instskip(NEXT) | instid1(VALU_DEP_1)
	v_cmp_eq_u32_e64 s27, 1, v4
	v_cndmask_b32_e64 v3, v5, v3, s27
	s_delay_alu instid0(VALU_DEP_1) | instskip(NEXT) | instid1(VALU_DEP_1)
	v_dual_add_f32 v5, v3, v19 :: v_dual_and_b32 v4, 1, v41
	v_cmp_eq_u32_e64 s26, 1, v4
	s_delay_alu instid0(VALU_DEP_1) | instskip(NEXT) | instid1(VALU_DEP_1)
	v_cndmask_b32_e64 v3, v5, v3, s26
	v_dual_add_f32 v5, v3, v17 :: v_dual_and_b32 v4, 1, v42
	s_delay_alu instid0(VALU_DEP_1) | instskip(SKIP_1) | instid1(VALU_DEP_2)
	v_cmp_eq_u32_e64 s25, 1, v4
	v_and_b32_e32 v4, 1, v43
	v_cndmask_b32_e64 v3, v5, v3, s25
	s_delay_alu instid0(VALU_DEP_2) | instskip(NEXT) | instid1(VALU_DEP_2)
	v_cmp_eq_u32_e64 s24, 1, v4
	v_dual_add_f32 v5, v3, v23 :: v_dual_and_b32 v4, 1, v44
	s_delay_alu instid0(VALU_DEP_1) | instskip(NEXT) | instid1(VALU_DEP_2)
	v_cmp_eq_u32_e64 s23, 1, v4
	v_cndmask_b32_e64 v3, v5, v3, s24
	s_delay_alu instid0(VALU_DEP_1) | instskip(NEXT) | instid1(VALU_DEP_1)
	v_add_f32_e32 v5, v3, v21
	v_cndmask_b32_e64 v3, v5, v3, s23
	s_delay_alu instid0(VALU_DEP_1) | instskip(NEXT) | instid1(VALU_DEP_1)
	v_dual_add_f32 v5, v3, v27 :: v_dual_and_b32 v4, 1, v45
	v_cmp_eq_u32_e64 s22, 1, v4
	s_delay_alu instid0(VALU_DEP_1) | instskip(NEXT) | instid1(VALU_DEP_1)
	v_cndmask_b32_e64 v3, v5, v3, s22
	v_dual_add_f32 v5, v3, v25 :: v_dual_and_b32 v4, 1, v46
	s_delay_alu instid0(VALU_DEP_1) | instskip(SKIP_1) | instid1(VALU_DEP_2)
	v_cmp_eq_u32_e64 s21, 1, v4
	v_and_b32_e32 v4, 1, v47
	v_cndmask_b32_e64 v3, v5, v3, s21
	s_delay_alu instid0(VALU_DEP_2) | instskip(NEXT) | instid1(VALU_DEP_2)
	v_cmp_eq_u32_e64 s20, 1, v4
	v_dual_add_f32 v5, v3, v31 :: v_dual_and_b32 v4, 1, v48
	s_delay_alu instid0(VALU_DEP_1) | instskip(NEXT) | instid1(VALU_DEP_2)
	v_cmp_eq_u32_e64 s19, 1, v4
	v_cndmask_b32_e64 v3, v5, v3, s20
	s_delay_alu instid0(VALU_DEP_1) | instskip(NEXT) | instid1(VALU_DEP_1)
	v_add_f32_e32 v5, v3, v29
	v_cndmask_b32_e64 v3, v5, v3, s19
	s_delay_alu instid0(VALU_DEP_1) | instskip(NEXT) | instid1(VALU_DEP_1)
	v_dual_add_f32 v5, v3, v35 :: v_dual_and_b32 v4, 1, v49
	v_cmp_eq_u32_e64 s18, 1, v4
	s_delay_alu instid0(VALU_DEP_1) | instskip(NEXT) | instid1(VALU_DEP_1)
	v_cndmask_b32_e64 v3, v5, v3, s18
	v_dual_add_f32 v5, v3, v33 :: v_dual_and_b32 v4, 1, v50
	s_delay_alu instid0(VALU_DEP_1) | instskip(SKIP_1) | instid1(VALU_DEP_2)
	v_cmp_eq_u32_e64 s17, 1, v4
	v_mbcnt_lo_u32_b32 v4, -1, 0
	v_cndmask_b32_e64 v3, v5, v3, s17
	v_and_b32_e32 v5, 1, v51
	s_delay_alu instid0(VALU_DEP_3) | instskip(NEXT) | instid1(VALU_DEP_3)
	v_or_b32_e32 v7, 32, v4
	v_add_f32_e32 v6, v3, v38
	s_delay_alu instid0(VALU_DEP_3) | instskip(NEXT) | instid1(VALU_DEP_3)
	v_cmp_eq_u32_e64 s1, 1, v5
	v_cmp_gt_i32_e64 s0, 64, v7
	s_delay_alu instid0(VALU_DEP_2) | instskip(NEXT) | instid1(VALU_DEP_2)
	v_cndmask_b32_e64 v3, v6, v3, s1
	v_cndmask_b32_e64 v5, v4, v7, s0
	v_cmp_eq_u32_e64 s0, 1, v2
	s_delay_alu instid0(VALU_DEP_2) | instskip(NEXT) | instid1(VALU_DEP_1)
	v_dual_add_f32 v6, v3, v8 :: v_dual_lshlrev_b32 v5, 2, v5
	v_cndmask_b32_e64 v2, v6, v3, s0
	ds_bpermute_b32 v3, v5, v2
	v_xor_b32_e32 v5, 16, v4
	s_delay_alu instid0(VALU_DEP_1) | instskip(NEXT) | instid1(VALU_DEP_1)
	v_cmp_gt_i32_e64 s31, 64, v5
	v_cndmask_b32_e64 v5, v4, v5, s31
	s_waitcnt lgkmcnt(0)
	s_delay_alu instid0(VALU_DEP_1) | instskip(SKIP_2) | instid1(VALU_DEP_1)
	v_dual_add_f32 v2, v2, v3 :: v_dual_lshlrev_b32 v5, 2, v5
	ds_bpermute_b32 v3, v5, v2
	v_xor_b32_e32 v5, 8, v4
	v_cmp_gt_i32_e64 s31, 64, v5
	s_delay_alu instid0(VALU_DEP_1) | instskip(SKIP_1) | instid1(VALU_DEP_1)
	v_cndmask_b32_e64 v5, v4, v5, s31
	s_waitcnt lgkmcnt(0)
	v_dual_add_f32 v2, v2, v3 :: v_dual_lshlrev_b32 v5, 2, v5
	ds_bpermute_b32 v3, v5, v2
	v_xor_b32_e32 v5, 4, v4
	s_delay_alu instid0(VALU_DEP_1) | instskip(NEXT) | instid1(VALU_DEP_1)
	v_cmp_gt_i32_e64 s31, 64, v5
	v_cndmask_b32_e64 v5, v4, v5, s31
	s_waitcnt lgkmcnt(0)
	s_delay_alu instid0(VALU_DEP_1) | instskip(SKIP_2) | instid1(VALU_DEP_1)
	v_dual_add_f32 v2, v2, v3 :: v_dual_lshlrev_b32 v5, 2, v5
	ds_bpermute_b32 v3, v5, v2
	v_xor_b32_e32 v5, 2, v4
	v_cmp_gt_i32_e64 s31, 64, v5
	s_delay_alu instid0(VALU_DEP_1) | instskip(SKIP_1) | instid1(VALU_DEP_1)
	v_cndmask_b32_e64 v5, v4, v5, s31
	s_waitcnt lgkmcnt(0)
	v_dual_add_f32 v2, v2, v3 :: v_dual_lshlrev_b32 v5, 2, v5
	ds_bpermute_b32 v3, v5, v2
	v_xor_b32_e32 v5, 1, v4
	s_delay_alu instid0(VALU_DEP_1) | instskip(NEXT) | instid1(VALU_DEP_1)
	v_cmp_gt_i32_e64 s31, 64, v5
	v_cndmask_b32_e64 v4, v4, v5, s31
	s_waitcnt lgkmcnt(0)
	s_delay_alu instid0(VALU_DEP_1)
	v_dual_add_f32 v2, v2, v3 :: v_dual_lshlrev_b32 v3, 2, v4
	ds_bpermute_b32 v3, v3, v2
	v_cmpx_lt_i32_e32 0, v11
	s_cbranch_execz .LBB810_50
; %bb.33:
	v_add_co_u32 v0, s31, s36, v0
	s_waitcnt lgkmcnt(0)
	v_add_f32_e32 v2, v2, v3
	v_add_co_ci_u32_e64 v1, s31, s37, v1, s31
	s_and_saveexec_b32 s31, vcc_lo
	s_cbranch_execnz .LBB810_51
; %bb.34:
	s_or_b32 exec_lo, exec_lo, s31
	s_and_saveexec_b32 s30, s2
	s_cbranch_execnz .LBB810_52
.LBB810_35:
	s_or_b32 exec_lo, exec_lo, s30
	s_and_saveexec_b32 s2, s3
	s_cbranch_execnz .LBB810_53
.LBB810_36:
	s_or_b32 exec_lo, exec_lo, s2
	s_and_saveexec_b32 s2, s4
	s_cbranch_execnz .LBB810_54
.LBB810_37:
	s_or_b32 exec_lo, exec_lo, s2
	s_and_saveexec_b32 s2, s5
	s_cbranch_execnz .LBB810_55
.LBB810_38:
	s_or_b32 exec_lo, exec_lo, s2
	s_and_saveexec_b32 s2, s6
	s_cbranch_execnz .LBB810_56
.LBB810_39:
	s_or_b32 exec_lo, exec_lo, s2
	s_and_saveexec_b32 s2, s7
	s_cbranch_execnz .LBB810_57
.LBB810_40:
	s_or_b32 exec_lo, exec_lo, s2
	s_and_saveexec_b32 s2, s8
	s_cbranch_execnz .LBB810_58
.LBB810_41:
	s_or_b32 exec_lo, exec_lo, s2
	s_and_saveexec_b32 s2, s9
	s_cbranch_execnz .LBB810_59
.LBB810_42:
	s_or_b32 exec_lo, exec_lo, s2
	s_and_saveexec_b32 s2, s10
	s_cbranch_execnz .LBB810_60
.LBB810_43:
	s_or_b32 exec_lo, exec_lo, s2
	s_and_saveexec_b32 s2, s11
	s_cbranch_execnz .LBB810_61
.LBB810_44:
	s_or_b32 exec_lo, exec_lo, s2
	s_and_saveexec_b32 s2, s12
	s_cbranch_execnz .LBB810_62
.LBB810_45:
	s_or_b32 exec_lo, exec_lo, s2
	s_and_saveexec_b32 s2, s13
	s_cbranch_execnz .LBB810_63
.LBB810_46:
	s_or_b32 exec_lo, exec_lo, s2
	s_and_saveexec_b32 s2, s14
	s_cbranch_execnz .LBB810_64
.LBB810_47:
	s_or_b32 exec_lo, exec_lo, s2
	s_and_saveexec_b32 s2, s15
	s_cbranch_execnz .LBB810_65
.LBB810_48:
	s_or_b32 exec_lo, exec_lo, s2
	s_delay_alu instid0(SALU_CYCLE_1)
	s_and_b32 exec_lo, exec_lo, s16
	s_cbranch_execz .LBB810_50
.LBB810_49:
	v_fma_f32 v2, -v2, v40, v8
	s_delay_alu instid0(VALU_DEP_1)
	v_cndmask_b32_e64 v2, v2, 0, s0
	global_store_b32 v[0:1], v2, off offset:3840
.LBB810_50:
	s_nop 0
	s_sendmsg sendmsg(MSG_DEALLOC_VGPRS)
	s_endpgm
.LBB810_51:
	s_delay_alu instid0(VALU_DEP_2) | instskip(NEXT) | instid1(VALU_DEP_1)
	v_fma_f32 v3, -v2, v12, v10
	v_cndmask_b32_e64 v3, v3, 0, s30
	global_store_b32 v[0:1], v3, off
	s_or_b32 exec_lo, exec_lo, s31
	s_and_saveexec_b32 s30, s2
	s_cbranch_execz .LBB810_35
.LBB810_52:
	v_fma_f32 v3, -v2, v14, v9
	s_delay_alu instid0(VALU_DEP_1)
	v_cndmask_b32_e64 v3, v3, 0, s29
	global_store_b32 v[0:1], v3, off offset:256
	s_or_b32 exec_lo, exec_lo, s30
	s_and_saveexec_b32 s2, s3
	s_cbranch_execz .LBB810_36
.LBB810_53:
	v_fma_f32 v3, -v2, v16, v15
	s_delay_alu instid0(VALU_DEP_1)
	v_cndmask_b32_e64 v3, v3, 0, s28
	global_store_b32 v[0:1], v3, off offset:512
	s_or_b32 exec_lo, exec_lo, s2
	s_and_saveexec_b32 s2, s4
	s_cbranch_execz .LBB810_37
.LBB810_54:
	v_fma_f32 v3, -v2, v18, v13
	s_delay_alu instid0(VALU_DEP_1)
	v_cndmask_b32_e64 v3, v3, 0, s27
	global_store_b32 v[0:1], v3, off offset:768
	s_or_b32 exec_lo, exec_lo, s2
	s_and_saveexec_b32 s2, s5
	s_cbranch_execz .LBB810_38
.LBB810_55:
	v_fma_f32 v3, -v2, v20, v19
	s_delay_alu instid0(VALU_DEP_1)
	v_cndmask_b32_e64 v3, v3, 0, s26
	global_store_b32 v[0:1], v3, off offset:1024
	s_or_b32 exec_lo, exec_lo, s2
	s_and_saveexec_b32 s2, s6
	s_cbranch_execz .LBB810_39
.LBB810_56:
	v_fma_f32 v3, -v2, v22, v17
	s_delay_alu instid0(VALU_DEP_1)
	v_cndmask_b32_e64 v3, v3, 0, s25
	global_store_b32 v[0:1], v3, off offset:1280
	s_or_b32 exec_lo, exec_lo, s2
	s_and_saveexec_b32 s2, s7
	s_cbranch_execz .LBB810_40
.LBB810_57:
	v_fma_f32 v3, -v2, v24, v23
	s_delay_alu instid0(VALU_DEP_1)
	v_cndmask_b32_e64 v3, v3, 0, s24
	global_store_b32 v[0:1], v3, off offset:1536
	s_or_b32 exec_lo, exec_lo, s2
	s_and_saveexec_b32 s2, s8
	s_cbranch_execz .LBB810_41
.LBB810_58:
	v_fma_f32 v3, -v2, v26, v21
	s_delay_alu instid0(VALU_DEP_1)
	v_cndmask_b32_e64 v3, v3, 0, s23
	global_store_b32 v[0:1], v3, off offset:1792
	s_or_b32 exec_lo, exec_lo, s2
	s_and_saveexec_b32 s2, s9
	s_cbranch_execz .LBB810_42
.LBB810_59:
	v_fma_f32 v3, -v2, v28, v27
	s_delay_alu instid0(VALU_DEP_1)
	v_cndmask_b32_e64 v3, v3, 0, s22
	global_store_b32 v[0:1], v3, off offset:2048
	s_or_b32 exec_lo, exec_lo, s2
	s_and_saveexec_b32 s2, s10
	s_cbranch_execz .LBB810_43
.LBB810_60:
	v_fma_f32 v3, -v2, v30, v25
	s_delay_alu instid0(VALU_DEP_1)
	v_cndmask_b32_e64 v3, v3, 0, s21
	global_store_b32 v[0:1], v3, off offset:2304
	s_or_b32 exec_lo, exec_lo, s2
	s_and_saveexec_b32 s2, s11
	s_cbranch_execz .LBB810_44
.LBB810_61:
	v_fma_f32 v3, -v2, v32, v31
	s_delay_alu instid0(VALU_DEP_1)
	v_cndmask_b32_e64 v3, v3, 0, s20
	global_store_b32 v[0:1], v3, off offset:2560
	s_or_b32 exec_lo, exec_lo, s2
	s_and_saveexec_b32 s2, s12
	s_cbranch_execz .LBB810_45
.LBB810_62:
	v_fma_f32 v3, -v2, v34, v29
	s_delay_alu instid0(VALU_DEP_1)
	v_cndmask_b32_e64 v3, v3, 0, s19
	global_store_b32 v[0:1], v3, off offset:2816
	s_or_b32 exec_lo, exec_lo, s2
	s_and_saveexec_b32 s2, s13
	s_cbranch_execz .LBB810_46
.LBB810_63:
	v_fma_f32 v3, -v2, v36, v35
	s_delay_alu instid0(VALU_DEP_1)
	v_cndmask_b32_e64 v3, v3, 0, s18
	global_store_b32 v[0:1], v3, off offset:3072
	s_or_b32 exec_lo, exec_lo, s2
	s_and_saveexec_b32 s2, s14
	s_cbranch_execz .LBB810_47
.LBB810_64:
	v_fma_f32 v3, -v2, v37, v33
	s_delay_alu instid0(VALU_DEP_1)
	v_cndmask_b32_e64 v3, v3, 0, s17
	global_store_b32 v[0:1], v3, off offset:3328
	s_or_b32 exec_lo, exec_lo, s2
	s_and_saveexec_b32 s2, s15
	s_cbranch_execz .LBB810_48
.LBB810_65:
	v_fma_f32 v3, -v2, v39, v38
	s_delay_alu instid0(VALU_DEP_1) | instskip(SKIP_2) | instid1(SALU_CYCLE_1)
	v_cndmask_b32_e64 v3, v3, 0, s1
	global_store_b32 v[0:1], v3, off offset:3584
	s_or_b32 exec_lo, exec_lo, s2
	s_and_b32 exec_lo, exec_lo, s16
	s_cbranch_execnz .LBB810_49
	s_branch .LBB810_50
	.section	.rodata,"a",@progbits
	.p2align	6, 0x0
	.amdhsa_kernel _ZN12_GLOBAL__N_121softmax_warp_backwardIfffLi10ELb0ELb1ELi64EEEvPT0_PKT_S5_iiiPKb
		.amdhsa_group_segment_fixed_size 0
		.amdhsa_private_segment_fixed_size 0
		.amdhsa_kernarg_size 304
		.amdhsa_user_sgpr_count 15
		.amdhsa_user_sgpr_dispatch_ptr 0
		.amdhsa_user_sgpr_queue_ptr 0
		.amdhsa_user_sgpr_kernarg_segment_ptr 1
		.amdhsa_user_sgpr_dispatch_id 0
		.amdhsa_user_sgpr_private_segment_size 0
		.amdhsa_wavefront_size32 1
		.amdhsa_uses_dynamic_stack 0
		.amdhsa_enable_private_segment 0
		.amdhsa_system_sgpr_workgroup_id_x 1
		.amdhsa_system_sgpr_workgroup_id_y 0
		.amdhsa_system_sgpr_workgroup_id_z 0
		.amdhsa_system_sgpr_workgroup_info 0
		.amdhsa_system_vgpr_workitem_id 1
		.amdhsa_next_free_vgpr 52
		.amdhsa_next_free_sgpr 40
		.amdhsa_reserve_vcc 1
		.amdhsa_float_round_mode_32 0
		.amdhsa_float_round_mode_16_64 0
		.amdhsa_float_denorm_mode_32 3
		.amdhsa_float_denorm_mode_16_64 3
		.amdhsa_dx10_clamp 1
		.amdhsa_ieee_mode 1
		.amdhsa_fp16_overflow 0
		.amdhsa_workgroup_processor_mode 1
		.amdhsa_memory_ordered 1
		.amdhsa_forward_progress 0
		.amdhsa_shared_vgpr_count 0
		.amdhsa_exception_fp_ieee_invalid_op 0
		.amdhsa_exception_fp_denorm_src 0
		.amdhsa_exception_fp_ieee_div_zero 0
		.amdhsa_exception_fp_ieee_overflow 0
		.amdhsa_exception_fp_ieee_underflow 0
		.amdhsa_exception_fp_ieee_inexact 0
		.amdhsa_exception_int_div_zero 0
	.end_amdhsa_kernel
	.section	.text._ZN12_GLOBAL__N_121softmax_warp_backwardIfffLi10ELb0ELb1ELi64EEEvPT0_PKT_S5_iiiPKb,"axG",@progbits,_ZN12_GLOBAL__N_121softmax_warp_backwardIfffLi10ELb0ELb1ELi64EEEvPT0_PKT_S5_iiiPKb,comdat
.Lfunc_end810:
	.size	_ZN12_GLOBAL__N_121softmax_warp_backwardIfffLi10ELb0ELb1ELi64EEEvPT0_PKT_S5_iiiPKb, .Lfunc_end810-_ZN12_GLOBAL__N_121softmax_warp_backwardIfffLi10ELb0ELb1ELi64EEEvPT0_PKT_S5_iiiPKb
                                        ; -- End function
	.section	.AMDGPU.csdata,"",@progbits
; Kernel info:
; codeLenInByte = 2964
; NumSgprs: 42
; NumVgprs: 52
; ScratchSize: 0
; MemoryBound: 0
; FloatMode: 240
; IeeeMode: 1
; LDSByteSize: 0 bytes/workgroup (compile time only)
; SGPRBlocks: 5
; VGPRBlocks: 6
; NumSGPRsForWavesPerEU: 42
; NumVGPRsForWavesPerEU: 52
; Occupancy: 16
; WaveLimiterHint : 0
; COMPUTE_PGM_RSRC2:SCRATCH_EN: 0
; COMPUTE_PGM_RSRC2:USER_SGPR: 15
; COMPUTE_PGM_RSRC2:TRAP_HANDLER: 0
; COMPUTE_PGM_RSRC2:TGID_X_EN: 1
; COMPUTE_PGM_RSRC2:TGID_Y_EN: 0
; COMPUTE_PGM_RSRC2:TGID_Z_EN: 0
; COMPUTE_PGM_RSRC2:TIDIG_COMP_CNT: 1
	.section	.text._ZN12_GLOBAL__N_121softmax_warp_backwardIfffLi10ELb0ELb1ELi32EEEvPT0_PKT_S5_iiiPKb,"axG",@progbits,_ZN12_GLOBAL__N_121softmax_warp_backwardIfffLi10ELb0ELb1ELi32EEEvPT0_PKT_S5_iiiPKb,comdat
	.globl	_ZN12_GLOBAL__N_121softmax_warp_backwardIfffLi10ELb0ELb1ELi32EEEvPT0_PKT_S5_iiiPKb ; -- Begin function _ZN12_GLOBAL__N_121softmax_warp_backwardIfffLi10ELb0ELb1ELi32EEEvPT0_PKT_S5_iiiPKb
	.p2align	8
	.type	_ZN12_GLOBAL__N_121softmax_warp_backwardIfffLi10ELb0ELb1ELi32EEEvPT0_PKT_S5_iiiPKb,@function
_ZN12_GLOBAL__N_121softmax_warp_backwardIfffLi10ELb0ELb1ELi32EEEvPT0_PKT_S5_iiiPKb: ; @_ZN12_GLOBAL__N_121softmax_warp_backwardIfffLi10ELb0ELb1ELi32EEEvPT0_PKT_S5_iiiPKb
; %bb.0:
	s_clause 0x1
	s_load_b32 s2, s[0:1], 0x3c
	s_load_b128 s[36:39], s[0:1], 0x18
	v_bfe_u32 v1, v0, 10, 10
	v_and_b32_e32 v72, 0x3ff, v0
	s_clause 0x1
	s_load_b128 s[68:71], s[0:1], 0x0
	s_load_b64 s[4:5], s[0:1], 0x10
	v_mov_b32_e32 v10, 0
	v_mov_b32_e32 v12, 0
	v_and_b32_e32 v8, 31, v72
	s_waitcnt lgkmcnt(0)
	s_lshr_b32 s2, s2, 16
	s_delay_alu instid0(VALU_DEP_1) | instskip(SKIP_1) | instid1(VALU_DEP_1)
	v_cmp_gt_i32_e32 vcc_lo, s38, v8
	v_mad_u64_u32 v[4:5], null, s15, s2, v[1:2]
	v_mad_u64_u32 v[2:3], null, v4, s37, v[8:9]
	v_sub_nc_u32_e32 v11, s36, v4
	v_mov_b32_e32 v9, 0
	s_delay_alu instid0(VALU_DEP_2) | instskip(NEXT) | instid1(VALU_DEP_4)
	v_cmp_lt_i32_e64 s34, 0, v11
	v_ashrrev_i32_e32 v3, 31, v2
	s_delay_alu instid0(VALU_DEP_2) | instskip(NEXT) | instid1(VALU_DEP_1)
	s_and_b32 s3, s34, vcc_lo
	v_lshlrev_b64 v[0:1], 2, v[2:3]
	s_delay_alu instid0(VALU_DEP_1) | instskip(NEXT) | instid1(VALU_DEP_1)
	v_add_co_u32 v4, s2, s70, v0
	v_add_co_ci_u32_e64 v5, s2, s71, v1, s2
	v_add_co_u32 v6, s2, s4, v0
	s_delay_alu instid0(VALU_DEP_1)
	v_add_co_ci_u32_e64 v7, s2, s5, v1, s2
	s_and_saveexec_b32 s2, s3
	s_cbranch_execz .LBB811_2
; %bb.1:
	global_load_b32 v10, v[4:5], off
	global_load_b32 v12, v[6:7], off
.LBB811_2:
	s_or_b32 exec_lo, exec_lo, s2
	v_or_b32_e32 v13, 32, v8
	v_mov_b32_e32 v14, 0
	s_delay_alu instid0(VALU_DEP_2) | instskip(NEXT) | instid1(VALU_DEP_1)
	v_cmp_gt_i32_e64 s2, s38, v13
	s_and_b32 s4, s34, s2
	s_delay_alu instid0(SALU_CYCLE_1)
	s_and_saveexec_b32 s3, s4
	s_cbranch_execz .LBB811_4
; %bb.3:
	global_load_b32 v9, v[4:5], off offset:128
	global_load_b32 v14, v[6:7], off offset:128
.LBB811_4:
	s_or_b32 exec_lo, exec_lo, s3
	v_or_b32_e32 v13, 64, v8
	v_dual_mov_b32 v15, 0 :: v_dual_mov_b32 v16, 0
	s_delay_alu instid0(VALU_DEP_2) | instskip(SKIP_1) | instid1(VALU_DEP_2)
	v_cmp_gt_i32_e64 s3, s38, v13
	v_mov_b32_e32 v13, 0
	s_and_b32 s5, s34, s3
	s_delay_alu instid0(SALU_CYCLE_1)
	s_and_saveexec_b32 s4, s5
	s_cbranch_execz .LBB811_6
; %bb.5:
	global_load_b32 v15, v[4:5], off offset:256
	global_load_b32 v16, v[6:7], off offset:256
.LBB811_6:
	s_or_b32 exec_lo, exec_lo, s4
	v_or_b32_e32 v17, 0x60, v8
	v_mov_b32_e32 v18, 0
	s_delay_alu instid0(VALU_DEP_2) | instskip(NEXT) | instid1(VALU_DEP_1)
	v_cmp_gt_i32_e64 s4, s38, v17
	s_and_b32 s6, s34, s4
	s_delay_alu instid0(SALU_CYCLE_1)
	s_and_saveexec_b32 s5, s6
	s_cbranch_execz .LBB811_8
; %bb.7:
	global_load_b32 v13, v[4:5], off offset:384
	global_load_b32 v18, v[6:7], off offset:384
.LBB811_8:
	s_or_b32 exec_lo, exec_lo, s5
	v_or_b32_e32 v17, 0x80, v8
	v_dual_mov_b32 v19, 0 :: v_dual_mov_b32 v20, 0
	s_delay_alu instid0(VALU_DEP_2) | instskip(SKIP_1) | instid1(VALU_DEP_2)
	v_cmp_gt_i32_e64 s5, s38, v17
	v_mov_b32_e32 v17, 0
	s_and_b32 s7, s34, s5
	s_delay_alu instid0(SALU_CYCLE_1)
	s_and_saveexec_b32 s6, s7
	s_cbranch_execz .LBB811_10
; %bb.9:
	global_load_b32 v19, v[4:5], off offset:512
	global_load_b32 v20, v[6:7], off offset:512
.LBB811_10:
	;; [unrolled: 27-line block ×14, first 2 shown]
	s_or_b32 exec_lo, exec_lo, s30
	v_or_b32_e32 v69, 0x3a0, v8
	s_delay_alu instid0(VALU_DEP_1) | instskip(SKIP_1) | instid1(VALU_DEP_2)
	v_cmp_gt_i32_e64 s30, s38, v69
	v_mov_b32_e32 v69, 0
	s_and_b32 s33, s34, s30
	s_delay_alu instid0(SALU_CYCLE_1)
	s_and_saveexec_b32 s31, s33
	s_cbranch_execz .LBB811_60
; %bb.59:
	global_load_b32 v65, v[4:5], off offset:3712
	global_load_b32 v69, v[6:7], off offset:3712
.LBB811_60:
	s_or_b32 exec_lo, exec_lo, s31
	v_or_b32_e32 v8, 0x3c0, v8
	v_dual_mov_b32 v70, 0 :: v_dual_mov_b32 v71, 0
	s_delay_alu instid0(VALU_DEP_2) | instskip(SKIP_1) | instid1(VALU_DEP_2)
	v_cmp_gt_i32_e64 s31, s38, v8
	v_mov_b32_e32 v8, 0
	s_and_b32 s35, s34, s31
	s_delay_alu instid0(SALU_CYCLE_1)
	s_and_saveexec_b32 s33, s35
	s_cbranch_execz .LBB811_62
; %bb.61:
	global_load_b32 v70, v[4:5], off offset:3840
	global_load_b32 v71, v[6:7], off offset:3840
.LBB811_62:
	s_or_b32 exec_lo, exec_lo, s33
	v_or_b32_e32 v72, 0x3e0, v72
	s_delay_alu instid0(VALU_DEP_1) | instskip(SKIP_1) | instid1(VALU_DEP_2)
	v_cmp_gt_i32_e64 s33, s38, v72
	v_mov_b32_e32 v72, 0
	s_and_b32 s35, s34, s33
	s_delay_alu instid0(SALU_CYCLE_1)
	s_and_saveexec_b32 s34, s35
	s_cbranch_execz .LBB811_64
; %bb.63:
	global_load_b32 v8, v[4:5], off offset:3968
	global_load_b32 v72, v[6:7], off offset:3968
.LBB811_64:
	s_or_b32 exec_lo, exec_lo, s34
	s_load_b64 s[0:1], s[0:1], 0x28
	s_mov_b32 s65, exec_lo
	s_waitcnt lgkmcnt(0)
	v_add_co_u32 v2, s0, s0, v2
	s_delay_alu instid0(VALU_DEP_1)
	v_add_co_ci_u32_e64 v3, s0, s1, v3, s0
	s_clause 0x1
	global_load_u8 v4, v[2:3], off
	global_load_u8 v5, v[2:3], off offset:32
	s_waitcnt vmcnt(1)
	v_and_b32_e32 v4, 1, v4
	s_waitcnt vmcnt(0)
	v_and_b32_e32 v5, 1, v5
	s_delay_alu instid0(VALU_DEP_2) | instskip(SKIP_1) | instid1(VALU_DEP_3)
	v_cmp_eq_u32_e64 s63, 1, v4
	v_add_f32_e32 v4, 0, v10
	v_cmp_eq_u32_e64 s62, 1, v5
	s_delay_alu instid0(VALU_DEP_2) | instskip(NEXT) | instid1(VALU_DEP_1)
	v_cndmask_b32_e64 v4, v4, 0, s63
	v_add_f32_e32 v5, v4, v9
	s_delay_alu instid0(VALU_DEP_1) | instskip(SKIP_3) | instid1(VALU_DEP_1)
	v_cndmask_b32_e64 v4, v5, v4, s62
	global_load_u8 v5, v[2:3], off offset:64
	s_waitcnt vmcnt(0)
	v_and_b32_e32 v5, 1, v5
	v_cmp_eq_u32_e64 s61, 1, v5
	v_add_f32_e32 v5, v4, v15
	s_delay_alu instid0(VALU_DEP_1) | instskip(SKIP_3) | instid1(VALU_DEP_1)
	v_cndmask_b32_e64 v4, v5, v4, s61
	global_load_u8 v5, v[2:3], off offset:96
	s_waitcnt vmcnt(0)
	v_and_b32_e32 v5, 1, v5
	v_cmp_eq_u32_e64 s60, 1, v5
	;; [unrolled: 7-line block ×28, first 2 shown]
	v_add_f32_e32 v5, v4, v65
	s_delay_alu instid0(VALU_DEP_1)
	v_cndmask_b32_e64 v4, v5, v4, s34
	s_clause 0x1
	global_load_u8 v5, v[2:3], off offset:960
	global_load_u8 v2, v[2:3], off offset:992
	v_mbcnt_lo_u32_b32 v3, -1, 0
	s_waitcnt vmcnt(1)
	v_and_b32_e32 v5, 1, v5
	s_waitcnt vmcnt(0)
	v_and_b32_e32 v2, 1, v2
	s_delay_alu instid0(VALU_DEP_2) | instskip(SKIP_1) | instid1(VALU_DEP_3)
	v_cmp_eq_u32_e64 s1, 1, v5
	v_add_f32_e32 v5, v4, v70
	v_cmp_eq_u32_e64 s0, 1, v2
	s_delay_alu instid0(VALU_DEP_2) | instskip(NEXT) | instid1(VALU_DEP_1)
	v_cndmask_b32_e64 v4, v5, v4, s1
	v_add_f32_e32 v2, v4, v8
	s_delay_alu instid0(VALU_DEP_1) | instskip(SKIP_1) | instid1(VALU_DEP_1)
	v_cndmask_b32_e64 v2, v2, v4, s0
	v_xor_b32_e32 v4, 16, v3
	v_cmp_gt_i32_e64 s64, 32, v4
	s_delay_alu instid0(VALU_DEP_1) | instskip(NEXT) | instid1(VALU_DEP_1)
	v_cndmask_b32_e64 v4, v3, v4, s64
	v_lshlrev_b32_e32 v4, 2, v4
	ds_bpermute_b32 v4, v4, v2
	s_waitcnt lgkmcnt(0)
	v_add_f32_e32 v2, v2, v4
	v_xor_b32_e32 v4, 8, v3
	s_delay_alu instid0(VALU_DEP_1) | instskip(NEXT) | instid1(VALU_DEP_1)
	v_cmp_gt_i32_e64 s64, 32, v4
	v_cndmask_b32_e64 v4, v3, v4, s64
	s_delay_alu instid0(VALU_DEP_1) | instskip(SKIP_4) | instid1(VALU_DEP_1)
	v_lshlrev_b32_e32 v4, 2, v4
	ds_bpermute_b32 v4, v4, v2
	s_waitcnt lgkmcnt(0)
	v_add_f32_e32 v2, v2, v4
	v_xor_b32_e32 v4, 4, v3
	v_cmp_gt_i32_e64 s64, 32, v4
	s_delay_alu instid0(VALU_DEP_1) | instskip(NEXT) | instid1(VALU_DEP_1)
	v_cndmask_b32_e64 v4, v3, v4, s64
	v_lshlrev_b32_e32 v4, 2, v4
	ds_bpermute_b32 v4, v4, v2
	s_waitcnt lgkmcnt(0)
	v_add_f32_e32 v2, v2, v4
	v_xor_b32_e32 v4, 2, v3
	s_delay_alu instid0(VALU_DEP_1) | instskip(NEXT) | instid1(VALU_DEP_1)
	v_cmp_gt_i32_e64 s64, 32, v4
	v_cndmask_b32_e64 v4, v3, v4, s64
	s_delay_alu instid0(VALU_DEP_1) | instskip(SKIP_4) | instid1(VALU_DEP_1)
	v_lshlrev_b32_e32 v4, 2, v4
	ds_bpermute_b32 v4, v4, v2
	s_waitcnt lgkmcnt(0)
	v_add_f32_e32 v2, v2, v4
	v_xor_b32_e32 v4, 1, v3
	v_cmp_gt_i32_e64 s64, 32, v4
	s_delay_alu instid0(VALU_DEP_1) | instskip(NEXT) | instid1(VALU_DEP_1)
	v_cndmask_b32_e64 v3, v3, v4, s64
	v_lshlrev_b32_e32 v3, 2, v3
	ds_bpermute_b32 v3, v3, v2
	v_cmpx_lt_i32_e32 0, v11
	s_cbranch_execz .LBB811_98
; %bb.65:
	v_add_co_u32 v0, s64, s68, v0
	s_waitcnt lgkmcnt(0)
	v_add_f32_e32 v2, v2, v3
	v_add_co_ci_u32_e64 v1, s64, s69, v1, s64
	s_and_saveexec_b32 s64, vcc_lo
	s_cbranch_execnz .LBB811_99
; %bb.66:
	s_or_b32 exec_lo, exec_lo, s64
	s_and_saveexec_b32 s63, s2
	s_cbranch_execnz .LBB811_100
.LBB811_67:
	s_or_b32 exec_lo, exec_lo, s63
	s_and_saveexec_b32 s2, s3
	s_cbranch_execnz .LBB811_101
.LBB811_68:
	s_or_b32 exec_lo, exec_lo, s2
	s_and_saveexec_b32 s2, s4
	s_cbranch_execnz .LBB811_102
.LBB811_69:
	s_or_b32 exec_lo, exec_lo, s2
	s_and_saveexec_b32 s2, s5
	s_cbranch_execnz .LBB811_103
.LBB811_70:
	s_or_b32 exec_lo, exec_lo, s2
	s_and_saveexec_b32 s2, s6
	s_cbranch_execnz .LBB811_104
.LBB811_71:
	s_or_b32 exec_lo, exec_lo, s2
	s_and_saveexec_b32 s2, s7
	s_cbranch_execnz .LBB811_105
.LBB811_72:
	s_or_b32 exec_lo, exec_lo, s2
	s_and_saveexec_b32 s2, s8
	s_cbranch_execnz .LBB811_106
.LBB811_73:
	s_or_b32 exec_lo, exec_lo, s2
	s_and_saveexec_b32 s2, s9
	s_cbranch_execnz .LBB811_107
.LBB811_74:
	s_or_b32 exec_lo, exec_lo, s2
	s_and_saveexec_b32 s2, s10
	s_cbranch_execnz .LBB811_108
.LBB811_75:
	s_or_b32 exec_lo, exec_lo, s2
	s_and_saveexec_b32 s2, s11
	s_cbranch_execnz .LBB811_109
.LBB811_76:
	s_or_b32 exec_lo, exec_lo, s2
	s_and_saveexec_b32 s2, s12
	s_cbranch_execnz .LBB811_110
.LBB811_77:
	s_or_b32 exec_lo, exec_lo, s2
	s_and_saveexec_b32 s2, s13
	s_cbranch_execnz .LBB811_111
.LBB811_78:
	s_or_b32 exec_lo, exec_lo, s2
	s_and_saveexec_b32 s2, s14
	s_cbranch_execnz .LBB811_112
.LBB811_79:
	s_or_b32 exec_lo, exec_lo, s2
	s_and_saveexec_b32 s2, s15
	s_cbranch_execnz .LBB811_113
.LBB811_80:
	s_or_b32 exec_lo, exec_lo, s2
	s_and_saveexec_b32 s2, s16
	s_cbranch_execnz .LBB811_114
.LBB811_81:
	s_or_b32 exec_lo, exec_lo, s2
	s_and_saveexec_b32 s2, s17
	s_cbranch_execnz .LBB811_115
.LBB811_82:
	s_or_b32 exec_lo, exec_lo, s2
	s_and_saveexec_b32 s2, s18
	s_cbranch_execnz .LBB811_116
.LBB811_83:
	s_or_b32 exec_lo, exec_lo, s2
	s_and_saveexec_b32 s2, s19
	s_cbranch_execnz .LBB811_117
.LBB811_84:
	s_or_b32 exec_lo, exec_lo, s2
	s_and_saveexec_b32 s2, s20
	s_cbranch_execnz .LBB811_118
.LBB811_85:
	s_or_b32 exec_lo, exec_lo, s2
	s_and_saveexec_b32 s2, s21
	s_cbranch_execnz .LBB811_119
.LBB811_86:
	s_or_b32 exec_lo, exec_lo, s2
	s_and_saveexec_b32 s2, s22
	s_cbranch_execnz .LBB811_120
.LBB811_87:
	s_or_b32 exec_lo, exec_lo, s2
	s_and_saveexec_b32 s2, s23
	s_cbranch_execnz .LBB811_121
.LBB811_88:
	s_or_b32 exec_lo, exec_lo, s2
	s_and_saveexec_b32 s2, s24
	s_cbranch_execnz .LBB811_122
.LBB811_89:
	s_or_b32 exec_lo, exec_lo, s2
	s_and_saveexec_b32 s2, s25
	s_cbranch_execnz .LBB811_123
.LBB811_90:
	s_or_b32 exec_lo, exec_lo, s2
	s_and_saveexec_b32 s2, s26
	s_cbranch_execnz .LBB811_124
.LBB811_91:
	s_or_b32 exec_lo, exec_lo, s2
	s_and_saveexec_b32 s2, s27
	s_cbranch_execnz .LBB811_125
.LBB811_92:
	s_or_b32 exec_lo, exec_lo, s2
	s_and_saveexec_b32 s2, s28
	s_cbranch_execnz .LBB811_126
.LBB811_93:
	s_or_b32 exec_lo, exec_lo, s2
	s_and_saveexec_b32 s2, s29
	s_cbranch_execnz .LBB811_127
.LBB811_94:
	s_or_b32 exec_lo, exec_lo, s2
	s_and_saveexec_b32 s2, s30
	s_cbranch_execnz .LBB811_128
.LBB811_95:
	s_or_b32 exec_lo, exec_lo, s2
	s_and_saveexec_b32 s2, s31
	s_cbranch_execnz .LBB811_129
.LBB811_96:
	s_or_b32 exec_lo, exec_lo, s2
	s_delay_alu instid0(SALU_CYCLE_1)
	s_and_b32 exec_lo, exec_lo, s33
	s_cbranch_execz .LBB811_98
.LBB811_97:
	v_fma_f32 v2, -v2, v72, v8
	s_delay_alu instid0(VALU_DEP_1)
	v_cndmask_b32_e64 v2, v2, 0, s0
	global_store_b32 v[0:1], v2, off offset:3968
.LBB811_98:
	s_nop 0
	s_sendmsg sendmsg(MSG_DEALLOC_VGPRS)
	s_endpgm
.LBB811_99:
	s_delay_alu instid0(VALU_DEP_2) | instskip(NEXT) | instid1(VALU_DEP_1)
	v_fma_f32 v3, -v2, v12, v10
	v_cndmask_b32_e64 v3, v3, 0, s63
	global_store_b32 v[0:1], v3, off
	s_or_b32 exec_lo, exec_lo, s64
	s_and_saveexec_b32 s63, s2
	s_cbranch_execz .LBB811_67
.LBB811_100:
	v_fma_f32 v3, -v2, v14, v9
	s_delay_alu instid0(VALU_DEP_1)
	v_cndmask_b32_e64 v3, v3, 0, s62
	global_store_b32 v[0:1], v3, off offset:128
	s_or_b32 exec_lo, exec_lo, s63
	s_and_saveexec_b32 s2, s3
	s_cbranch_execz .LBB811_68
.LBB811_101:
	v_fma_f32 v3, -v2, v16, v15
	s_delay_alu instid0(VALU_DEP_1)
	v_cndmask_b32_e64 v3, v3, 0, s61
	global_store_b32 v[0:1], v3, off offset:256
	s_or_b32 exec_lo, exec_lo, s2
	s_and_saveexec_b32 s2, s4
	s_cbranch_execz .LBB811_69
.LBB811_102:
	v_fma_f32 v3, -v2, v18, v13
	s_delay_alu instid0(VALU_DEP_1)
	v_cndmask_b32_e64 v3, v3, 0, s60
	global_store_b32 v[0:1], v3, off offset:384
	s_or_b32 exec_lo, exec_lo, s2
	s_and_saveexec_b32 s2, s5
	s_cbranch_execz .LBB811_70
.LBB811_103:
	v_fma_f32 v3, -v2, v20, v19
	s_delay_alu instid0(VALU_DEP_1)
	v_cndmask_b32_e64 v3, v3, 0, s59
	global_store_b32 v[0:1], v3, off offset:512
	s_or_b32 exec_lo, exec_lo, s2
	s_and_saveexec_b32 s2, s6
	s_cbranch_execz .LBB811_71
.LBB811_104:
	v_fma_f32 v3, -v2, v22, v17
	s_delay_alu instid0(VALU_DEP_1)
	v_cndmask_b32_e64 v3, v3, 0, s58
	global_store_b32 v[0:1], v3, off offset:640
	s_or_b32 exec_lo, exec_lo, s2
	s_and_saveexec_b32 s2, s7
	s_cbranch_execz .LBB811_72
.LBB811_105:
	v_fma_f32 v3, -v2, v24, v23
	s_delay_alu instid0(VALU_DEP_1)
	v_cndmask_b32_e64 v3, v3, 0, s57
	global_store_b32 v[0:1], v3, off offset:768
	s_or_b32 exec_lo, exec_lo, s2
	s_and_saveexec_b32 s2, s8
	s_cbranch_execz .LBB811_73
.LBB811_106:
	v_fma_f32 v3, -v2, v26, v21
	s_delay_alu instid0(VALU_DEP_1)
	v_cndmask_b32_e64 v3, v3, 0, s56
	global_store_b32 v[0:1], v3, off offset:896
	s_or_b32 exec_lo, exec_lo, s2
	s_and_saveexec_b32 s2, s9
	s_cbranch_execz .LBB811_74
.LBB811_107:
	v_fma_f32 v3, -v2, v28, v27
	s_delay_alu instid0(VALU_DEP_1)
	v_cndmask_b32_e64 v3, v3, 0, s55
	global_store_b32 v[0:1], v3, off offset:1024
	s_or_b32 exec_lo, exec_lo, s2
	s_and_saveexec_b32 s2, s10
	s_cbranch_execz .LBB811_75
.LBB811_108:
	v_fma_f32 v3, -v2, v30, v25
	s_delay_alu instid0(VALU_DEP_1)
	v_cndmask_b32_e64 v3, v3, 0, s54
	global_store_b32 v[0:1], v3, off offset:1152
	s_or_b32 exec_lo, exec_lo, s2
	s_and_saveexec_b32 s2, s11
	s_cbranch_execz .LBB811_76
.LBB811_109:
	v_fma_f32 v3, -v2, v32, v31
	s_delay_alu instid0(VALU_DEP_1)
	v_cndmask_b32_e64 v3, v3, 0, s53
	global_store_b32 v[0:1], v3, off offset:1280
	s_or_b32 exec_lo, exec_lo, s2
	s_and_saveexec_b32 s2, s12
	s_cbranch_execz .LBB811_77
.LBB811_110:
	v_fma_f32 v3, -v2, v34, v29
	s_delay_alu instid0(VALU_DEP_1)
	v_cndmask_b32_e64 v3, v3, 0, s52
	global_store_b32 v[0:1], v3, off offset:1408
	s_or_b32 exec_lo, exec_lo, s2
	s_and_saveexec_b32 s2, s13
	s_cbranch_execz .LBB811_78
.LBB811_111:
	v_fma_f32 v3, -v2, v36, v35
	s_delay_alu instid0(VALU_DEP_1)
	v_cndmask_b32_e64 v3, v3, 0, s51
	global_store_b32 v[0:1], v3, off offset:1536
	s_or_b32 exec_lo, exec_lo, s2
	s_and_saveexec_b32 s2, s14
	s_cbranch_execz .LBB811_79
.LBB811_112:
	v_fma_f32 v3, -v2, v38, v33
	s_delay_alu instid0(VALU_DEP_1)
	v_cndmask_b32_e64 v3, v3, 0, s50
	global_store_b32 v[0:1], v3, off offset:1664
	s_or_b32 exec_lo, exec_lo, s2
	s_and_saveexec_b32 s2, s15
	s_cbranch_execz .LBB811_80
.LBB811_113:
	v_fma_f32 v3, -v2, v40, v39
	s_delay_alu instid0(VALU_DEP_1)
	v_cndmask_b32_e64 v3, v3, 0, s49
	global_store_b32 v[0:1], v3, off offset:1792
	s_or_b32 exec_lo, exec_lo, s2
	s_and_saveexec_b32 s2, s16
	s_cbranch_execz .LBB811_81
.LBB811_114:
	v_fma_f32 v3, -v2, v42, v37
	s_delay_alu instid0(VALU_DEP_1)
	v_cndmask_b32_e64 v3, v3, 0, s48
	global_store_b32 v[0:1], v3, off offset:1920
	s_or_b32 exec_lo, exec_lo, s2
	s_and_saveexec_b32 s2, s17
	s_cbranch_execz .LBB811_82
.LBB811_115:
	v_fma_f32 v3, -v2, v44, v43
	s_delay_alu instid0(VALU_DEP_1)
	v_cndmask_b32_e64 v3, v3, 0, s47
	global_store_b32 v[0:1], v3, off offset:2048
	s_or_b32 exec_lo, exec_lo, s2
	s_and_saveexec_b32 s2, s18
	s_cbranch_execz .LBB811_83
.LBB811_116:
	v_fma_f32 v3, -v2, v46, v41
	s_delay_alu instid0(VALU_DEP_1)
	v_cndmask_b32_e64 v3, v3, 0, s46
	global_store_b32 v[0:1], v3, off offset:2176
	s_or_b32 exec_lo, exec_lo, s2
	s_and_saveexec_b32 s2, s19
	s_cbranch_execz .LBB811_84
.LBB811_117:
	v_fma_f32 v3, -v2, v48, v47
	s_delay_alu instid0(VALU_DEP_1)
	v_cndmask_b32_e64 v3, v3, 0, s45
	global_store_b32 v[0:1], v3, off offset:2304
	s_or_b32 exec_lo, exec_lo, s2
	s_and_saveexec_b32 s2, s20
	s_cbranch_execz .LBB811_85
.LBB811_118:
	v_fma_f32 v3, -v2, v50, v45
	s_delay_alu instid0(VALU_DEP_1)
	v_cndmask_b32_e64 v3, v3, 0, s44
	global_store_b32 v[0:1], v3, off offset:2432
	s_or_b32 exec_lo, exec_lo, s2
	s_and_saveexec_b32 s2, s21
	s_cbranch_execz .LBB811_86
.LBB811_119:
	v_fma_f32 v3, -v2, v52, v51
	s_delay_alu instid0(VALU_DEP_1)
	v_cndmask_b32_e64 v3, v3, 0, s43
	global_store_b32 v[0:1], v3, off offset:2560
	s_or_b32 exec_lo, exec_lo, s2
	s_and_saveexec_b32 s2, s22
	s_cbranch_execz .LBB811_87
.LBB811_120:
	v_fma_f32 v3, -v2, v54, v49
	s_delay_alu instid0(VALU_DEP_1)
	v_cndmask_b32_e64 v3, v3, 0, s42
	global_store_b32 v[0:1], v3, off offset:2688
	s_or_b32 exec_lo, exec_lo, s2
	s_and_saveexec_b32 s2, s23
	s_cbranch_execz .LBB811_88
.LBB811_121:
	v_fma_f32 v3, -v2, v56, v55
	s_delay_alu instid0(VALU_DEP_1)
	v_cndmask_b32_e64 v3, v3, 0, s41
	global_store_b32 v[0:1], v3, off offset:2816
	s_or_b32 exec_lo, exec_lo, s2
	s_and_saveexec_b32 s2, s24
	s_cbranch_execz .LBB811_89
.LBB811_122:
	v_fma_f32 v3, -v2, v58, v53
	s_delay_alu instid0(VALU_DEP_1)
	v_cndmask_b32_e64 v3, v3, 0, s40
	global_store_b32 v[0:1], v3, off offset:2944
	s_or_b32 exec_lo, exec_lo, s2
	s_and_saveexec_b32 s2, s25
	s_cbranch_execz .LBB811_90
.LBB811_123:
	v_fma_f32 v3, -v2, v60, v59
	s_delay_alu instid0(VALU_DEP_1)
	v_cndmask_b32_e64 v3, v3, 0, s39
	global_store_b32 v[0:1], v3, off offset:3072
	s_or_b32 exec_lo, exec_lo, s2
	s_and_saveexec_b32 s2, s26
	s_cbranch_execz .LBB811_91
.LBB811_124:
	v_fma_f32 v3, -v2, v62, v57
	s_delay_alu instid0(VALU_DEP_1)
	v_cndmask_b32_e64 v3, v3, 0, s38
	global_store_b32 v[0:1], v3, off offset:3200
	s_or_b32 exec_lo, exec_lo, s2
	s_and_saveexec_b32 s2, s27
	s_cbranch_execz .LBB811_92
.LBB811_125:
	v_fma_f32 v3, -v2, v64, v63
	s_delay_alu instid0(VALU_DEP_1)
	v_cndmask_b32_e64 v3, v3, 0, s37
	global_store_b32 v[0:1], v3, off offset:3328
	s_or_b32 exec_lo, exec_lo, s2
	s_and_saveexec_b32 s2, s28
	s_cbranch_execz .LBB811_93
.LBB811_126:
	v_fma_f32 v3, -v2, v66, v61
	s_delay_alu instid0(VALU_DEP_1)
	v_cndmask_b32_e64 v3, v3, 0, s36
	global_store_b32 v[0:1], v3, off offset:3456
	s_or_b32 exec_lo, exec_lo, s2
	s_and_saveexec_b32 s2, s29
	s_cbranch_execz .LBB811_94
.LBB811_127:
	v_fma_f32 v3, -v2, v68, v67
	s_delay_alu instid0(VALU_DEP_1)
	v_cndmask_b32_e64 v3, v3, 0, s35
	global_store_b32 v[0:1], v3, off offset:3584
	s_or_b32 exec_lo, exec_lo, s2
	s_and_saveexec_b32 s2, s30
	s_cbranch_execz .LBB811_95
.LBB811_128:
	v_fma_f32 v3, -v2, v69, v65
	s_delay_alu instid0(VALU_DEP_1)
	v_cndmask_b32_e64 v3, v3, 0, s34
	global_store_b32 v[0:1], v3, off offset:3712
	s_or_b32 exec_lo, exec_lo, s2
	s_and_saveexec_b32 s2, s31
	s_cbranch_execz .LBB811_96
.LBB811_129:
	v_fma_f32 v3, -v2, v71, v70
	s_delay_alu instid0(VALU_DEP_1) | instskip(SKIP_2) | instid1(SALU_CYCLE_1)
	v_cndmask_b32_e64 v3, v3, 0, s1
	global_store_b32 v[0:1], v3, off offset:3840
	s_or_b32 exec_lo, exec_lo, s2
	s_and_b32 exec_lo, exec_lo, s33
	s_cbranch_execnz .LBB811_97
	s_branch .LBB811_98
	.section	.rodata,"a",@progbits
	.p2align	6, 0x0
	.amdhsa_kernel _ZN12_GLOBAL__N_121softmax_warp_backwardIfffLi10ELb0ELb1ELi32EEEvPT0_PKT_S5_iiiPKb
		.amdhsa_group_segment_fixed_size 0
		.amdhsa_private_segment_fixed_size 0
		.amdhsa_kernarg_size 304
		.amdhsa_user_sgpr_count 15
		.amdhsa_user_sgpr_dispatch_ptr 0
		.amdhsa_user_sgpr_queue_ptr 0
		.amdhsa_user_sgpr_kernarg_segment_ptr 1
		.amdhsa_user_sgpr_dispatch_id 0
		.amdhsa_user_sgpr_private_segment_size 0
		.amdhsa_wavefront_size32 1
		.amdhsa_uses_dynamic_stack 0
		.amdhsa_enable_private_segment 0
		.amdhsa_system_sgpr_workgroup_id_x 1
		.amdhsa_system_sgpr_workgroup_id_y 0
		.amdhsa_system_sgpr_workgroup_id_z 0
		.amdhsa_system_sgpr_workgroup_info 0
		.amdhsa_system_vgpr_workitem_id 1
		.amdhsa_next_free_vgpr 73
		.amdhsa_next_free_sgpr 72
		.amdhsa_reserve_vcc 1
		.amdhsa_float_round_mode_32 0
		.amdhsa_float_round_mode_16_64 0
		.amdhsa_float_denorm_mode_32 3
		.amdhsa_float_denorm_mode_16_64 3
		.amdhsa_dx10_clamp 1
		.amdhsa_ieee_mode 1
		.amdhsa_fp16_overflow 0
		.amdhsa_workgroup_processor_mode 1
		.amdhsa_memory_ordered 1
		.amdhsa_forward_progress 0
		.amdhsa_shared_vgpr_count 0
		.amdhsa_exception_fp_ieee_invalid_op 0
		.amdhsa_exception_fp_denorm_src 0
		.amdhsa_exception_fp_ieee_div_zero 0
		.amdhsa_exception_fp_ieee_overflow 0
		.amdhsa_exception_fp_ieee_underflow 0
		.amdhsa_exception_fp_ieee_inexact 0
		.amdhsa_exception_int_div_zero 0
	.end_amdhsa_kernel
	.section	.text._ZN12_GLOBAL__N_121softmax_warp_backwardIfffLi10ELb0ELb1ELi32EEEvPT0_PKT_S5_iiiPKb,"axG",@progbits,_ZN12_GLOBAL__N_121softmax_warp_backwardIfffLi10ELb0ELb1ELi32EEEvPT0_PKT_S5_iiiPKb,comdat
.Lfunc_end811:
	.size	_ZN12_GLOBAL__N_121softmax_warp_backwardIfffLi10ELb0ELb1ELi32EEEvPT0_PKT_S5_iiiPKb, .Lfunc_end811-_ZN12_GLOBAL__N_121softmax_warp_backwardIfffLi10ELb0ELb1ELi32EEEvPT0_PKT_S5_iiiPKb
                                        ; -- End function
	.section	.AMDGPU.csdata,"",@progbits
; Kernel info:
; codeLenInByte = 5440
; NumSgprs: 74
; NumVgprs: 73
; ScratchSize: 0
; MemoryBound: 0
; FloatMode: 240
; IeeeMode: 1
; LDSByteSize: 0 bytes/workgroup (compile time only)
; SGPRBlocks: 9
; VGPRBlocks: 9
; NumSGPRsForWavesPerEU: 74
; NumVGPRsForWavesPerEU: 73
; Occupancy: 16
; WaveLimiterHint : 0
; COMPUTE_PGM_RSRC2:SCRATCH_EN: 0
; COMPUTE_PGM_RSRC2:USER_SGPR: 15
; COMPUTE_PGM_RSRC2:TRAP_HANDLER: 0
; COMPUTE_PGM_RSRC2:TGID_X_EN: 1
; COMPUTE_PGM_RSRC2:TGID_Y_EN: 0
; COMPUTE_PGM_RSRC2:TGID_Z_EN: 0
; COMPUTE_PGM_RSRC2:TIDIG_COMP_CNT: 1
	.section	.text._ZN12_GLOBAL__N_121softmax_warp_backwardIN3c104HalfES2_fLi0ELb0ELb1ELi64EEEvPT0_PKT_S7_iiiPKb,"axG",@progbits,_ZN12_GLOBAL__N_121softmax_warp_backwardIN3c104HalfES2_fLi0ELb0ELb1ELi64EEEvPT0_PKT_S7_iiiPKb,comdat
	.globl	_ZN12_GLOBAL__N_121softmax_warp_backwardIN3c104HalfES2_fLi0ELb0ELb1ELi64EEEvPT0_PKT_S7_iiiPKb ; -- Begin function _ZN12_GLOBAL__N_121softmax_warp_backwardIN3c104HalfES2_fLi0ELb0ELb1ELi64EEEvPT0_PKT_S7_iiiPKb
	.p2align	8
	.type	_ZN12_GLOBAL__N_121softmax_warp_backwardIN3c104HalfES2_fLi0ELb0ELb1ELi64EEEvPT0_PKT_S7_iiiPKb,@function
_ZN12_GLOBAL__N_121softmax_warp_backwardIN3c104HalfES2_fLi0ELb0ELb1ELi64EEEvPT0_PKT_S7_iiiPKb: ; @_ZN12_GLOBAL__N_121softmax_warp_backwardIN3c104HalfES2_fLi0ELb0ELb1ELi64EEEvPT0_PKT_S7_iiiPKb
; %bb.0:
	s_clause 0x1
	s_load_b32 s2, s[0:1], 0x3c
	s_load_b128 s[4:7], s[0:1], 0x18
	v_bfe_u32 v0, v0, 10, 10
	s_clause 0x1
	s_load_b128 s[8:11], s[0:1], 0x0
	s_load_b64 s[12:13], s[0:1], 0x10
	v_dual_mov_b32 v9, 0 :: v_dual_mov_b32 v12, 0
	v_mov_b32_e32 v11, 0
	s_waitcnt lgkmcnt(0)
	s_lshr_b32 s2, s2, 16
	s_cmp_gt_i32 s6, 0
	s_mul_i32 s15, s15, s2
	s_cselect_b32 s3, -1, 0
	v_add_lshl_u32 v0, s15, v0, 1
	s_delay_alu instid0(VALU_DEP_1) | instskip(SKIP_1) | instid1(VALU_DEP_1)
	v_mul_lo_u32 v2, v0, s5
	v_sub_nc_u32_e32 v8, s4, v0
	v_cmp_lt_i32_e32 vcc_lo, 0, v8
	s_delay_alu instid0(VALU_DEP_3) | instskip(SKIP_1) | instid1(VALU_DEP_1)
	v_ashrrev_i32_e32 v3, 31, v2
	s_and_b32 s4, s3, vcc_lo
	v_lshlrev_b64 v[0:1], 1, v[2:3]
	s_delay_alu instid0(VALU_DEP_1) | instskip(NEXT) | instid1(VALU_DEP_1)
	v_add_co_u32 v6, s2, s10, v0
	v_add_co_ci_u32_e64 v7, s2, s11, v1, s2
	v_add_co_u32 v4, s2, s12, v0
	s_delay_alu instid0(VALU_DEP_1)
	v_add_co_ci_u32_e64 v5, s2, s13, v1, s2
	s_and_saveexec_b32 s2, s4
	s_cbranch_execz .LBB812_2
; %bb.1:
	global_load_u16 v10, v[6:7], off
	global_load_u16 v12, v[4:5], off
	s_waitcnt vmcnt(1)
	v_cvt_f32_f16_e32 v11, v10
	s_waitcnt vmcnt(0)
	v_cvt_f32_f16_e32 v12, v12
.LBB812_2:
	s_or_b32 exec_lo, exec_lo, s2
	v_cmp_lt_i32_e64 s2, 1, v8
	v_mov_b32_e32 v10, 0
	s_mov_b32 s7, 0
	s_delay_alu instid0(VALU_DEP_2) | instskip(NEXT) | instid1(SALU_CYCLE_1)
	s_and_b32 s2, s3, s2
	s_and_saveexec_b32 s4, s2
	s_cbranch_execz .LBB812_4
; %bb.3:
	s_lshl_b64 s[10:11], s[6:7], 1
	s_delay_alu instid0(SALU_CYCLE_1) | instskip(NEXT) | instid1(VALU_DEP_1)
	v_add_co_u32 v6, s2, v6, s10
	v_add_co_ci_u32_e64 v7, s2, s11, v7, s2
	v_add_co_u32 v4, s2, v4, s10
	s_delay_alu instid0(VALU_DEP_1)
	v_add_co_ci_u32_e64 v5, s2, s11, v5, s2
	global_load_u16 v6, v[6:7], off
	global_load_u16 v4, v[4:5], off
	s_waitcnt vmcnt(1)
	v_cvt_f32_f16_e32 v9, v6
	s_waitcnt vmcnt(0)
	v_cvt_f32_f16_e32 v10, v4
.LBB812_4:
	s_or_b32 exec_lo, exec_lo, s4
	s_and_saveexec_b32 s2, vcc_lo
	s_cbranch_execz .LBB812_17
; %bb.5:
	s_load_b64 s[0:1], s[0:1], 0x28
	v_add_f32_e32 v7, 0, v9
	s_waitcnt lgkmcnt(0)
	v_add_co_u32 v2, vcc_lo, s0, v2
	v_add_co_ci_u32_e32 v3, vcc_lo, s1, v3, vcc_lo
	s_ashr_i32 s0, s6, 31
	s_delay_alu instid0(VALU_DEP_2) | instskip(NEXT) | instid1(VALU_DEP_2)
	v_add_co_u32 v4, vcc_lo, v2, s6
	v_add_co_ci_u32_e32 v5, vcc_lo, s0, v3, vcc_lo
	s_clause 0x1
	global_load_u8 v2, v[2:3], off
	global_load_u8 v4, v[4:5], off
	v_add_f32_e32 v5, 0, v11
	v_add_co_u32 v0, vcc_lo, s8, v0
	v_cndmask_b32_e64 v3, 0, 1, s3
	v_add_co_ci_u32_e32 v1, vcc_lo, s9, v1, vcc_lo
	s_and_not1_b32 vcc_lo, exec_lo, s3
	s_waitcnt vmcnt(1)
	v_and_b32_e32 v2, 1, v2
	s_waitcnt vmcnt(0)
	v_and_b32_e32 v6, 1, v4
	s_delay_alu instid0(VALU_DEP_2) | instskip(NEXT) | instid1(VALU_DEP_2)
	v_cmp_eq_u32_e64 s1, 1, v2
	v_cmp_eq_u32_e64 s0, 1, v6
	s_delay_alu instid0(VALU_DEP_2) | instskip(NEXT) | instid1(VALU_DEP_2)
	v_cndmask_b32_e64 v4, v5, 0, s1
	v_cndmask_b32_e64 v2, v7, 0, s0
	s_cbranch_vccnz .LBB812_11
; %bb.6:
	s_xor_b32 s1, s1, -1
	s_delay_alu instid0(SALU_CYCLE_1) | instskip(NEXT) | instid1(SALU_CYCLE_1)
	s_and_saveexec_b32 s2, s1
	s_xor_b32 s1, exec_lo, s2
	s_cbranch_execz .LBB812_8
; %bb.7:
	v_fma_mixlo_f16 v4, -v4, v12, v11
	global_store_b16 v[0:1], v4, off
.LBB812_8:
	s_and_not1_saveexec_b32 s1, s1
	s_cbranch_execz .LBB812_10
; %bb.9:
	v_mov_b32_e32 v4, 0
	global_store_b16 v[0:1], v4, off
.LBB812_10:
	s_or_b32 exec_lo, exec_lo, s1
.LBB812_11:
	v_cmp_ne_u32_e32 vcc_lo, 1, v8
	s_and_b32 exec_lo, exec_lo, vcc_lo
	s_cbranch_execz .LBB812_17
; %bb.12:
	v_cmp_ne_u32_e32 vcc_lo, 1, v3
	s_cbranch_vccnz .LBB812_17
; %bb.13:
	s_lshl_b64 s[2:3], s[6:7], 1
	s_xor_b32 s0, s0, -1
	v_add_co_u32 v0, vcc_lo, v0, s2
	v_add_co_ci_u32_e32 v1, vcc_lo, s3, v1, vcc_lo
	s_and_saveexec_b32 s1, s0
	s_delay_alu instid0(SALU_CYCLE_1)
	s_xor_b32 s0, exec_lo, s1
	s_cbranch_execz .LBB812_15
; %bb.14:
	v_fma_mixlo_f16 v2, -v2, v10, v9
	global_store_b16 v[0:1], v2, off
                                        ; implicit-def: $vgpr0_vgpr1
.LBB812_15:
	s_and_not1_saveexec_b32 s0, s0
	s_cbranch_execz .LBB812_17
; %bb.16:
	v_mov_b32_e32 v2, 0
	global_store_b16 v[0:1], v2, off
.LBB812_17:
	s_nop 0
	s_sendmsg sendmsg(MSG_DEALLOC_VGPRS)
	s_endpgm
	.section	.rodata,"a",@progbits
	.p2align	6, 0x0
	.amdhsa_kernel _ZN12_GLOBAL__N_121softmax_warp_backwardIN3c104HalfES2_fLi0ELb0ELb1ELi64EEEvPT0_PKT_S7_iiiPKb
		.amdhsa_group_segment_fixed_size 0
		.amdhsa_private_segment_fixed_size 0
		.amdhsa_kernarg_size 304
		.amdhsa_user_sgpr_count 15
		.amdhsa_user_sgpr_dispatch_ptr 0
		.amdhsa_user_sgpr_queue_ptr 0
		.amdhsa_user_sgpr_kernarg_segment_ptr 1
		.amdhsa_user_sgpr_dispatch_id 0
		.amdhsa_user_sgpr_private_segment_size 0
		.amdhsa_wavefront_size32 1
		.amdhsa_uses_dynamic_stack 0
		.amdhsa_enable_private_segment 0
		.amdhsa_system_sgpr_workgroup_id_x 1
		.amdhsa_system_sgpr_workgroup_id_y 0
		.amdhsa_system_sgpr_workgroup_id_z 0
		.amdhsa_system_sgpr_workgroup_info 0
		.amdhsa_system_vgpr_workitem_id 1
		.amdhsa_next_free_vgpr 13
		.amdhsa_next_free_sgpr 16
		.amdhsa_reserve_vcc 1
		.amdhsa_float_round_mode_32 0
		.amdhsa_float_round_mode_16_64 0
		.amdhsa_float_denorm_mode_32 3
		.amdhsa_float_denorm_mode_16_64 3
		.amdhsa_dx10_clamp 1
		.amdhsa_ieee_mode 1
		.amdhsa_fp16_overflow 0
		.amdhsa_workgroup_processor_mode 1
		.amdhsa_memory_ordered 1
		.amdhsa_forward_progress 0
		.amdhsa_shared_vgpr_count 0
		.amdhsa_exception_fp_ieee_invalid_op 0
		.amdhsa_exception_fp_denorm_src 0
		.amdhsa_exception_fp_ieee_div_zero 0
		.amdhsa_exception_fp_ieee_overflow 0
		.amdhsa_exception_fp_ieee_underflow 0
		.amdhsa_exception_fp_ieee_inexact 0
		.amdhsa_exception_int_div_zero 0
	.end_amdhsa_kernel
	.section	.text._ZN12_GLOBAL__N_121softmax_warp_backwardIN3c104HalfES2_fLi0ELb0ELb1ELi64EEEvPT0_PKT_S7_iiiPKb,"axG",@progbits,_ZN12_GLOBAL__N_121softmax_warp_backwardIN3c104HalfES2_fLi0ELb0ELb1ELi64EEEvPT0_PKT_S7_iiiPKb,comdat
.Lfunc_end812:
	.size	_ZN12_GLOBAL__N_121softmax_warp_backwardIN3c104HalfES2_fLi0ELb0ELb1ELi64EEEvPT0_PKT_S7_iiiPKb, .Lfunc_end812-_ZN12_GLOBAL__N_121softmax_warp_backwardIN3c104HalfES2_fLi0ELb0ELb1ELi64EEEvPT0_PKT_S7_iiiPKb
                                        ; -- End function
	.section	.AMDGPU.csdata,"",@progbits
; Kernel info:
; codeLenInByte = 652
; NumSgprs: 18
; NumVgprs: 13
; ScratchSize: 0
; MemoryBound: 0
; FloatMode: 240
; IeeeMode: 1
; LDSByteSize: 0 bytes/workgroup (compile time only)
; SGPRBlocks: 2
; VGPRBlocks: 1
; NumSGPRsForWavesPerEU: 18
; NumVGPRsForWavesPerEU: 13
; Occupancy: 16
; WaveLimiterHint : 0
; COMPUTE_PGM_RSRC2:SCRATCH_EN: 0
; COMPUTE_PGM_RSRC2:USER_SGPR: 15
; COMPUTE_PGM_RSRC2:TRAP_HANDLER: 0
; COMPUTE_PGM_RSRC2:TGID_X_EN: 1
; COMPUTE_PGM_RSRC2:TGID_Y_EN: 0
; COMPUTE_PGM_RSRC2:TGID_Z_EN: 0
; COMPUTE_PGM_RSRC2:TIDIG_COMP_CNT: 1
	.section	.text._ZN12_GLOBAL__N_121softmax_warp_backwardIN3c104HalfES2_fLi0ELb0ELb1ELi32EEEvPT0_PKT_S7_iiiPKb,"axG",@progbits,_ZN12_GLOBAL__N_121softmax_warp_backwardIN3c104HalfES2_fLi0ELb0ELb1ELi32EEEvPT0_PKT_S7_iiiPKb,comdat
	.globl	_ZN12_GLOBAL__N_121softmax_warp_backwardIN3c104HalfES2_fLi0ELb0ELb1ELi32EEEvPT0_PKT_S7_iiiPKb ; -- Begin function _ZN12_GLOBAL__N_121softmax_warp_backwardIN3c104HalfES2_fLi0ELb0ELb1ELi32EEEvPT0_PKT_S7_iiiPKb
	.p2align	8
	.type	_ZN12_GLOBAL__N_121softmax_warp_backwardIN3c104HalfES2_fLi0ELb0ELb1ELi32EEEvPT0_PKT_S7_iiiPKb,@function
_ZN12_GLOBAL__N_121softmax_warp_backwardIN3c104HalfES2_fLi0ELb0ELb1ELi32EEEvPT0_PKT_S7_iiiPKb: ; @_ZN12_GLOBAL__N_121softmax_warp_backwardIN3c104HalfES2_fLi0ELb0ELb1ELi32EEEvPT0_PKT_S7_iiiPKb
; %bb.0:
	s_clause 0x1
	s_load_b32 s2, s[0:1], 0x3c
	s_load_b128 s[4:7], s[0:1], 0x18
	v_bfe_u32 v0, v0, 10, 10
	s_clause 0x1
	s_load_b128 s[8:11], s[0:1], 0x0
	s_load_b64 s[12:13], s[0:1], 0x10
	v_dual_mov_b32 v9, 0 :: v_dual_mov_b32 v12, 0
	v_mov_b32_e32 v11, 0
	s_waitcnt lgkmcnt(0)
	s_lshr_b32 s2, s2, 16
	s_cmp_gt_i32 s6, 0
	s_mul_i32 s15, s15, s2
	s_cselect_b32 s3, -1, 0
	v_add_lshl_u32 v0, s15, v0, 1
	s_delay_alu instid0(VALU_DEP_1) | instskip(SKIP_1) | instid1(VALU_DEP_1)
	v_mul_lo_u32 v2, v0, s5
	v_sub_nc_u32_e32 v8, s4, v0
	v_cmp_lt_i32_e32 vcc_lo, 0, v8
	s_delay_alu instid0(VALU_DEP_3) | instskip(SKIP_1) | instid1(VALU_DEP_1)
	v_ashrrev_i32_e32 v3, 31, v2
	s_and_b32 s4, s3, vcc_lo
	v_lshlrev_b64 v[0:1], 1, v[2:3]
	s_delay_alu instid0(VALU_DEP_1) | instskip(NEXT) | instid1(VALU_DEP_1)
	v_add_co_u32 v6, s2, s10, v0
	v_add_co_ci_u32_e64 v7, s2, s11, v1, s2
	v_add_co_u32 v4, s2, s12, v0
	s_delay_alu instid0(VALU_DEP_1)
	v_add_co_ci_u32_e64 v5, s2, s13, v1, s2
	s_and_saveexec_b32 s2, s4
	s_cbranch_execz .LBB813_2
; %bb.1:
	global_load_u16 v10, v[6:7], off
	global_load_u16 v12, v[4:5], off
	s_waitcnt vmcnt(1)
	v_cvt_f32_f16_e32 v11, v10
	s_waitcnt vmcnt(0)
	v_cvt_f32_f16_e32 v12, v12
.LBB813_2:
	s_or_b32 exec_lo, exec_lo, s2
	v_cmp_lt_i32_e64 s2, 1, v8
	v_mov_b32_e32 v10, 0
	s_mov_b32 s7, 0
	s_delay_alu instid0(VALU_DEP_2) | instskip(NEXT) | instid1(SALU_CYCLE_1)
	s_and_b32 s2, s3, s2
	s_and_saveexec_b32 s4, s2
	s_cbranch_execz .LBB813_4
; %bb.3:
	s_lshl_b64 s[10:11], s[6:7], 1
	s_delay_alu instid0(SALU_CYCLE_1) | instskip(NEXT) | instid1(VALU_DEP_1)
	v_add_co_u32 v6, s2, v6, s10
	v_add_co_ci_u32_e64 v7, s2, s11, v7, s2
	v_add_co_u32 v4, s2, v4, s10
	s_delay_alu instid0(VALU_DEP_1)
	v_add_co_ci_u32_e64 v5, s2, s11, v5, s2
	global_load_u16 v6, v[6:7], off
	global_load_u16 v4, v[4:5], off
	s_waitcnt vmcnt(1)
	v_cvt_f32_f16_e32 v9, v6
	s_waitcnt vmcnt(0)
	v_cvt_f32_f16_e32 v10, v4
.LBB813_4:
	s_or_b32 exec_lo, exec_lo, s4
	s_and_saveexec_b32 s2, vcc_lo
	s_cbranch_execz .LBB813_17
; %bb.5:
	s_load_b64 s[0:1], s[0:1], 0x28
	v_add_f32_e32 v7, 0, v9
	s_waitcnt lgkmcnt(0)
	v_add_co_u32 v2, vcc_lo, s0, v2
	v_add_co_ci_u32_e32 v3, vcc_lo, s1, v3, vcc_lo
	s_ashr_i32 s0, s6, 31
	s_delay_alu instid0(VALU_DEP_2) | instskip(NEXT) | instid1(VALU_DEP_2)
	v_add_co_u32 v4, vcc_lo, v2, s6
	v_add_co_ci_u32_e32 v5, vcc_lo, s0, v3, vcc_lo
	s_clause 0x1
	global_load_u8 v2, v[2:3], off
	global_load_u8 v4, v[4:5], off
	v_add_f32_e32 v5, 0, v11
	v_add_co_u32 v0, vcc_lo, s8, v0
	v_cndmask_b32_e64 v3, 0, 1, s3
	v_add_co_ci_u32_e32 v1, vcc_lo, s9, v1, vcc_lo
	s_and_not1_b32 vcc_lo, exec_lo, s3
	s_waitcnt vmcnt(1)
	v_and_b32_e32 v2, 1, v2
	s_waitcnt vmcnt(0)
	v_and_b32_e32 v6, 1, v4
	s_delay_alu instid0(VALU_DEP_2) | instskip(NEXT) | instid1(VALU_DEP_2)
	v_cmp_eq_u32_e64 s1, 1, v2
	v_cmp_eq_u32_e64 s0, 1, v6
	s_delay_alu instid0(VALU_DEP_2) | instskip(NEXT) | instid1(VALU_DEP_2)
	v_cndmask_b32_e64 v4, v5, 0, s1
	v_cndmask_b32_e64 v2, v7, 0, s0
	s_cbranch_vccnz .LBB813_11
; %bb.6:
	s_xor_b32 s1, s1, -1
	s_delay_alu instid0(SALU_CYCLE_1) | instskip(NEXT) | instid1(SALU_CYCLE_1)
	s_and_saveexec_b32 s2, s1
	s_xor_b32 s1, exec_lo, s2
	s_cbranch_execz .LBB813_8
; %bb.7:
	v_fma_mixlo_f16 v4, -v4, v12, v11
	global_store_b16 v[0:1], v4, off
.LBB813_8:
	s_and_not1_saveexec_b32 s1, s1
	s_cbranch_execz .LBB813_10
; %bb.9:
	v_mov_b32_e32 v4, 0
	global_store_b16 v[0:1], v4, off
.LBB813_10:
	s_or_b32 exec_lo, exec_lo, s1
.LBB813_11:
	v_cmp_ne_u32_e32 vcc_lo, 1, v8
	s_and_b32 exec_lo, exec_lo, vcc_lo
	s_cbranch_execz .LBB813_17
; %bb.12:
	v_cmp_ne_u32_e32 vcc_lo, 1, v3
	s_cbranch_vccnz .LBB813_17
; %bb.13:
	s_lshl_b64 s[2:3], s[6:7], 1
	s_xor_b32 s0, s0, -1
	v_add_co_u32 v0, vcc_lo, v0, s2
	v_add_co_ci_u32_e32 v1, vcc_lo, s3, v1, vcc_lo
	s_and_saveexec_b32 s1, s0
	s_delay_alu instid0(SALU_CYCLE_1)
	s_xor_b32 s0, exec_lo, s1
	s_cbranch_execz .LBB813_15
; %bb.14:
	v_fma_mixlo_f16 v2, -v2, v10, v9
	global_store_b16 v[0:1], v2, off
                                        ; implicit-def: $vgpr0_vgpr1
.LBB813_15:
	s_and_not1_saveexec_b32 s0, s0
	s_cbranch_execz .LBB813_17
; %bb.16:
	v_mov_b32_e32 v2, 0
	global_store_b16 v[0:1], v2, off
.LBB813_17:
	s_nop 0
	s_sendmsg sendmsg(MSG_DEALLOC_VGPRS)
	s_endpgm
	.section	.rodata,"a",@progbits
	.p2align	6, 0x0
	.amdhsa_kernel _ZN12_GLOBAL__N_121softmax_warp_backwardIN3c104HalfES2_fLi0ELb0ELb1ELi32EEEvPT0_PKT_S7_iiiPKb
		.amdhsa_group_segment_fixed_size 0
		.amdhsa_private_segment_fixed_size 0
		.amdhsa_kernarg_size 304
		.amdhsa_user_sgpr_count 15
		.amdhsa_user_sgpr_dispatch_ptr 0
		.amdhsa_user_sgpr_queue_ptr 0
		.amdhsa_user_sgpr_kernarg_segment_ptr 1
		.amdhsa_user_sgpr_dispatch_id 0
		.amdhsa_user_sgpr_private_segment_size 0
		.amdhsa_wavefront_size32 1
		.amdhsa_uses_dynamic_stack 0
		.amdhsa_enable_private_segment 0
		.amdhsa_system_sgpr_workgroup_id_x 1
		.amdhsa_system_sgpr_workgroup_id_y 0
		.amdhsa_system_sgpr_workgroup_id_z 0
		.amdhsa_system_sgpr_workgroup_info 0
		.amdhsa_system_vgpr_workitem_id 1
		.amdhsa_next_free_vgpr 13
		.amdhsa_next_free_sgpr 16
		.amdhsa_reserve_vcc 1
		.amdhsa_float_round_mode_32 0
		.amdhsa_float_round_mode_16_64 0
		.amdhsa_float_denorm_mode_32 3
		.amdhsa_float_denorm_mode_16_64 3
		.amdhsa_dx10_clamp 1
		.amdhsa_ieee_mode 1
		.amdhsa_fp16_overflow 0
		.amdhsa_workgroup_processor_mode 1
		.amdhsa_memory_ordered 1
		.amdhsa_forward_progress 0
		.amdhsa_shared_vgpr_count 0
		.amdhsa_exception_fp_ieee_invalid_op 0
		.amdhsa_exception_fp_denorm_src 0
		.amdhsa_exception_fp_ieee_div_zero 0
		.amdhsa_exception_fp_ieee_overflow 0
		.amdhsa_exception_fp_ieee_underflow 0
		.amdhsa_exception_fp_ieee_inexact 0
		.amdhsa_exception_int_div_zero 0
	.end_amdhsa_kernel
	.section	.text._ZN12_GLOBAL__N_121softmax_warp_backwardIN3c104HalfES2_fLi0ELb0ELb1ELi32EEEvPT0_PKT_S7_iiiPKb,"axG",@progbits,_ZN12_GLOBAL__N_121softmax_warp_backwardIN3c104HalfES2_fLi0ELb0ELb1ELi32EEEvPT0_PKT_S7_iiiPKb,comdat
.Lfunc_end813:
	.size	_ZN12_GLOBAL__N_121softmax_warp_backwardIN3c104HalfES2_fLi0ELb0ELb1ELi32EEEvPT0_PKT_S7_iiiPKb, .Lfunc_end813-_ZN12_GLOBAL__N_121softmax_warp_backwardIN3c104HalfES2_fLi0ELb0ELb1ELi32EEEvPT0_PKT_S7_iiiPKb
                                        ; -- End function
	.section	.AMDGPU.csdata,"",@progbits
; Kernel info:
; codeLenInByte = 652
; NumSgprs: 18
; NumVgprs: 13
; ScratchSize: 0
; MemoryBound: 0
; FloatMode: 240
; IeeeMode: 1
; LDSByteSize: 0 bytes/workgroup (compile time only)
; SGPRBlocks: 2
; VGPRBlocks: 1
; NumSGPRsForWavesPerEU: 18
; NumVGPRsForWavesPerEU: 13
; Occupancy: 16
; WaveLimiterHint : 0
; COMPUTE_PGM_RSRC2:SCRATCH_EN: 0
; COMPUTE_PGM_RSRC2:USER_SGPR: 15
; COMPUTE_PGM_RSRC2:TRAP_HANDLER: 0
; COMPUTE_PGM_RSRC2:TGID_X_EN: 1
; COMPUTE_PGM_RSRC2:TGID_Y_EN: 0
; COMPUTE_PGM_RSRC2:TGID_Z_EN: 0
; COMPUTE_PGM_RSRC2:TIDIG_COMP_CNT: 1
	.section	.text._ZN12_GLOBAL__N_121softmax_warp_backwardIN3c104HalfES2_fLi1ELb0ELb1ELi64EEEvPT0_PKT_S7_iiiPKb,"axG",@progbits,_ZN12_GLOBAL__N_121softmax_warp_backwardIN3c104HalfES2_fLi1ELb0ELb1ELi64EEEvPT0_PKT_S7_iiiPKb,comdat
	.globl	_ZN12_GLOBAL__N_121softmax_warp_backwardIN3c104HalfES2_fLi1ELb0ELb1ELi64EEEvPT0_PKT_S7_iiiPKb ; -- Begin function _ZN12_GLOBAL__N_121softmax_warp_backwardIN3c104HalfES2_fLi1ELb0ELb1ELi64EEEvPT0_PKT_S7_iiiPKb
	.p2align	8
	.type	_ZN12_GLOBAL__N_121softmax_warp_backwardIN3c104HalfES2_fLi1ELb0ELb1ELi64EEEvPT0_PKT_S7_iiiPKb,@function
_ZN12_GLOBAL__N_121softmax_warp_backwardIN3c104HalfES2_fLi1ELb0ELb1ELi64EEEvPT0_PKT_S7_iiiPKb: ; @_ZN12_GLOBAL__N_121softmax_warp_backwardIN3c104HalfES2_fLi1ELb0ELb1ELi64EEEvPT0_PKT_S7_iiiPKb
; %bb.0:
	s_clause 0x1
	s_load_b32 s2, s[0:1], 0x3c
	s_load_b128 s[4:7], s[0:1], 0x18
	v_bfe_u32 v1, v0, 10, 10
	v_dual_mov_b32 v11, 0 :: v_dual_and_b32 v4, 1, v0
	s_clause 0x1
	s_load_b128 s[8:11], s[0:1], 0x0
	s_load_b64 s[12:13], s[0:1], 0x10
	v_mov_b32_e32 v8, 0
	v_mov_b32_e32 v12, 0
	s_waitcnt lgkmcnt(0)
	s_lshr_b32 s2, s2, 16
	v_cmp_gt_i32_e32 vcc_lo, s6, v4
	s_mul_i32 s15, s15, s2
	s_delay_alu instid0(SALU_CYCLE_1) | instskip(NEXT) | instid1(VALU_DEP_1)
	v_add_lshl_u32 v1, s15, v1, 1
	v_mul_lo_u32 v2, v1, s5
	v_sub_nc_u32_e32 v9, s4, v1
	s_delay_alu instid0(VALU_DEP_1) | instskip(NEXT) | instid1(VALU_DEP_3)
	v_cmp_lt_i32_e64 s2, 0, v9
	v_or_b32_e32 v2, v2, v4
	s_delay_alu instid0(VALU_DEP_2) | instskip(NEXT) | instid1(VALU_DEP_1)
	s_and_b32 s4, vcc_lo, s2
	v_ashrrev_i32_e32 v3, 31, v2
	s_delay_alu instid0(VALU_DEP_1) | instskip(NEXT) | instid1(VALU_DEP_1)
	v_lshlrev_b64 v[0:1], 1, v[2:3]
	v_add_co_u32 v6, s3, s10, v0
	s_delay_alu instid0(VALU_DEP_1) | instskip(SKIP_1) | instid1(VALU_DEP_1)
	v_add_co_ci_u32_e64 v7, s3, s11, v1, s3
	v_add_co_u32 v4, s3, s12, v0
	v_add_co_ci_u32_e64 v5, s3, s13, v1, s3
	s_and_saveexec_b32 s3, s4
	s_cbranch_execz .LBB814_2
; %bb.1:
	global_load_u16 v10, v[6:7], off
	global_load_u16 v12, v[4:5], off
	s_waitcnt vmcnt(1)
	v_cvt_f32_f16_e32 v11, v10
	s_waitcnt vmcnt(0)
	v_cvt_f32_f16_e32 v12, v12
.LBB814_2:
	s_or_b32 exec_lo, exec_lo, s3
	v_cmp_lt_i32_e64 s3, 1, v9
	v_mov_b32_e32 v10, 0
	s_mov_b32 s7, 0
	s_delay_alu instid0(VALU_DEP_2) | instskip(NEXT) | instid1(SALU_CYCLE_1)
	s_and_b32 s3, vcc_lo, s3
	s_and_saveexec_b32 s4, s3
	s_cbranch_execz .LBB814_4
; %bb.3:
	s_lshl_b64 s[10:11], s[6:7], 1
	s_delay_alu instid0(SALU_CYCLE_1) | instskip(NEXT) | instid1(VALU_DEP_1)
	v_add_co_u32 v6, s3, v6, s10
	v_add_co_ci_u32_e64 v7, s3, s11, v7, s3
	v_add_co_u32 v4, s3, v4, s10
	s_delay_alu instid0(VALU_DEP_1)
	v_add_co_ci_u32_e64 v5, s3, s11, v5, s3
	global_load_u16 v6, v[6:7], off
	global_load_u16 v4, v[4:5], off
	s_waitcnt vmcnt(1)
	v_cvt_f32_f16_e32 v8, v6
	s_waitcnt vmcnt(0)
	v_cvt_f32_f16_e32 v10, v4
.LBB814_4:
	s_or_b32 exec_lo, exec_lo, s4
	s_load_b64 s[0:1], s[0:1], 0x28
	s_waitcnt lgkmcnt(0)
	v_add_co_u32 v2, s0, s0, v2
	s_delay_alu instid0(VALU_DEP_1) | instskip(SKIP_1) | instid1(VALU_DEP_2)
	v_add_co_ci_u32_e64 v3, s0, s1, v3, s0
	s_ashr_i32 s1, s6, 31
	v_add_co_u32 v4, s0, v2, s6
	s_delay_alu instid0(VALU_DEP_1) | instskip(SKIP_4) | instid1(VALU_DEP_1)
	v_add_co_ci_u32_e64 v5, s0, s1, v3, s0
	s_clause 0x1
	global_load_u8 v2, v[2:3], off
	global_load_u8 v3, v[4:5], off
	v_mbcnt_lo_u32_b32 v4, -1, 0
	v_and_b32_e32 v5, 30, v4
	v_xor_b32_e32 v6, 1, v4
	s_delay_alu instid0(VALU_DEP_2) | instskip(NEXT) | instid1(VALU_DEP_1)
	v_add_nc_u32_e32 v5, 2, v5
	v_cmp_lt_i32_e64 s0, v6, v5
	v_add_f32_e32 v5, 0, v11
	s_delay_alu instid0(VALU_DEP_2) | instskip(SKIP_1) | instid1(VALU_DEP_2)
	v_cndmask_b32_e64 v4, v4, v6, s0
	v_add_f32_e32 v6, 0, v8
	v_lshlrev_b32_e32 v7, 2, v4
	s_waitcnt vmcnt(1)
	v_and_b32_e32 v2, 1, v2
	s_waitcnt vmcnt(0)
	v_and_b32_e32 v3, 1, v3
	s_delay_alu instid0(VALU_DEP_2) | instskip(NEXT) | instid1(VALU_DEP_2)
	v_cmp_eq_u32_e64 s1, 1, v2
	v_cmp_eq_u32_e64 s0, 1, v3
	s_delay_alu instid0(VALU_DEP_2) | instskip(NEXT) | instid1(VALU_DEP_2)
	v_cndmask_b32_e64 v4, v5, 0, s1
	v_cndmask_b32_e64 v2, v6, 0, s0
	ds_bpermute_b32 v5, v7, v4
	ds_bpermute_b32 v3, v7, v2
	s_and_saveexec_b32 s3, s2
	s_cbranch_execz .LBB814_16
; %bb.5:
	v_add_co_u32 v0, s2, s8, v0
	s_delay_alu instid0(VALU_DEP_1)
	v_add_co_ci_u32_e64 v1, s2, s9, v1, s2
	s_and_saveexec_b32 s2, vcc_lo
	s_cbranch_execz .LBB814_10
; %bb.6:
	s_xor_b32 s1, s1, -1
	s_delay_alu instid0(SALU_CYCLE_1) | instskip(NEXT) | instid1(SALU_CYCLE_1)
	s_and_saveexec_b32 s3, s1
	s_xor_b32 s1, exec_lo, s3
	s_cbranch_execz .LBB814_8
; %bb.7:
	s_waitcnt lgkmcnt(1)
	v_add_f32_e32 v4, v4, v5
	s_delay_alu instid0(VALU_DEP_1)
	v_fma_mixlo_f16 v4, -v4, v12, v11
	global_store_b16 v[0:1], v4, off
.LBB814_8:
	s_and_not1_saveexec_b32 s1, s1
	s_cbranch_execz .LBB814_10
; %bb.9:
	v_mov_b32_e32 v4, 0
	global_store_b16 v[0:1], v4, off
.LBB814_10:
	s_or_b32 exec_lo, exec_lo, s2
	v_cmp_ne_u32_e64 s1, 1, v9
	s_delay_alu instid0(VALU_DEP_1)
	s_and_b32 exec_lo, exec_lo, s1
	s_cbranch_execz .LBB814_16
; %bb.11:
	s_and_b32 exec_lo, exec_lo, vcc_lo
	s_cbranch_execz .LBB814_16
; %bb.12:
	s_lshl_b64 s[2:3], s[6:7], 1
	s_xor_b32 s0, s0, -1
	v_add_co_u32 v0, vcc_lo, v0, s2
	v_add_co_ci_u32_e32 v1, vcc_lo, s3, v1, vcc_lo
	s_and_saveexec_b32 s1, s0
	s_delay_alu instid0(SALU_CYCLE_1)
	s_xor_b32 s0, exec_lo, s1
	s_cbranch_execz .LBB814_14
; %bb.13:
	s_waitcnt lgkmcnt(0)
	v_add_f32_e32 v2, v2, v3
	s_delay_alu instid0(VALU_DEP_1)
	v_fma_mixlo_f16 v2, -v2, v10, v8
	global_store_b16 v[0:1], v2, off
                                        ; implicit-def: $vgpr0_vgpr1
.LBB814_14:
	s_and_not1_saveexec_b32 s0, s0
	s_cbranch_execz .LBB814_16
; %bb.15:
	v_mov_b32_e32 v2, 0
	global_store_b16 v[0:1], v2, off
.LBB814_16:
	s_nop 0
	s_sendmsg sendmsg(MSG_DEALLOC_VGPRS)
	s_endpgm
	.section	.rodata,"a",@progbits
	.p2align	6, 0x0
	.amdhsa_kernel _ZN12_GLOBAL__N_121softmax_warp_backwardIN3c104HalfES2_fLi1ELb0ELb1ELi64EEEvPT0_PKT_S7_iiiPKb
		.amdhsa_group_segment_fixed_size 0
		.amdhsa_private_segment_fixed_size 0
		.amdhsa_kernarg_size 304
		.amdhsa_user_sgpr_count 15
		.amdhsa_user_sgpr_dispatch_ptr 0
		.amdhsa_user_sgpr_queue_ptr 0
		.amdhsa_user_sgpr_kernarg_segment_ptr 1
		.amdhsa_user_sgpr_dispatch_id 0
		.amdhsa_user_sgpr_private_segment_size 0
		.amdhsa_wavefront_size32 1
		.amdhsa_uses_dynamic_stack 0
		.amdhsa_enable_private_segment 0
		.amdhsa_system_sgpr_workgroup_id_x 1
		.amdhsa_system_sgpr_workgroup_id_y 0
		.amdhsa_system_sgpr_workgroup_id_z 0
		.amdhsa_system_sgpr_workgroup_info 0
		.amdhsa_system_vgpr_workitem_id 1
		.amdhsa_next_free_vgpr 13
		.amdhsa_next_free_sgpr 16
		.amdhsa_reserve_vcc 1
		.amdhsa_float_round_mode_32 0
		.amdhsa_float_round_mode_16_64 0
		.amdhsa_float_denorm_mode_32 3
		.amdhsa_float_denorm_mode_16_64 3
		.amdhsa_dx10_clamp 1
		.amdhsa_ieee_mode 1
		.amdhsa_fp16_overflow 0
		.amdhsa_workgroup_processor_mode 1
		.amdhsa_memory_ordered 1
		.amdhsa_forward_progress 0
		.amdhsa_shared_vgpr_count 0
		.amdhsa_exception_fp_ieee_invalid_op 0
		.amdhsa_exception_fp_denorm_src 0
		.amdhsa_exception_fp_ieee_div_zero 0
		.amdhsa_exception_fp_ieee_overflow 0
		.amdhsa_exception_fp_ieee_underflow 0
		.amdhsa_exception_fp_ieee_inexact 0
		.amdhsa_exception_int_div_zero 0
	.end_amdhsa_kernel
	.section	.text._ZN12_GLOBAL__N_121softmax_warp_backwardIN3c104HalfES2_fLi1ELb0ELb1ELi64EEEvPT0_PKT_S7_iiiPKb,"axG",@progbits,_ZN12_GLOBAL__N_121softmax_warp_backwardIN3c104HalfES2_fLi1ELb0ELb1ELi64EEEvPT0_PKT_S7_iiiPKb,comdat
.Lfunc_end814:
	.size	_ZN12_GLOBAL__N_121softmax_warp_backwardIN3c104HalfES2_fLi1ELb0ELb1ELi64EEEvPT0_PKT_S7_iiiPKb, .Lfunc_end814-_ZN12_GLOBAL__N_121softmax_warp_backwardIN3c104HalfES2_fLi1ELb0ELb1ELi64EEEvPT0_PKT_S7_iiiPKb
                                        ; -- End function
	.section	.AMDGPU.csdata,"",@progbits
; Kernel info:
; codeLenInByte = 772
; NumSgprs: 18
; NumVgprs: 13
; ScratchSize: 0
; MemoryBound: 0
; FloatMode: 240
; IeeeMode: 1
; LDSByteSize: 0 bytes/workgroup (compile time only)
; SGPRBlocks: 2
; VGPRBlocks: 1
; NumSGPRsForWavesPerEU: 18
; NumVGPRsForWavesPerEU: 13
; Occupancy: 16
; WaveLimiterHint : 0
; COMPUTE_PGM_RSRC2:SCRATCH_EN: 0
; COMPUTE_PGM_RSRC2:USER_SGPR: 15
; COMPUTE_PGM_RSRC2:TRAP_HANDLER: 0
; COMPUTE_PGM_RSRC2:TGID_X_EN: 1
; COMPUTE_PGM_RSRC2:TGID_Y_EN: 0
; COMPUTE_PGM_RSRC2:TGID_Z_EN: 0
; COMPUTE_PGM_RSRC2:TIDIG_COMP_CNT: 1
	.section	.text._ZN12_GLOBAL__N_121softmax_warp_backwardIN3c104HalfES2_fLi1ELb0ELb1ELi32EEEvPT0_PKT_S7_iiiPKb,"axG",@progbits,_ZN12_GLOBAL__N_121softmax_warp_backwardIN3c104HalfES2_fLi1ELb0ELb1ELi32EEEvPT0_PKT_S7_iiiPKb,comdat
	.globl	_ZN12_GLOBAL__N_121softmax_warp_backwardIN3c104HalfES2_fLi1ELb0ELb1ELi32EEEvPT0_PKT_S7_iiiPKb ; -- Begin function _ZN12_GLOBAL__N_121softmax_warp_backwardIN3c104HalfES2_fLi1ELb0ELb1ELi32EEEvPT0_PKT_S7_iiiPKb
	.p2align	8
	.type	_ZN12_GLOBAL__N_121softmax_warp_backwardIN3c104HalfES2_fLi1ELb0ELb1ELi32EEEvPT0_PKT_S7_iiiPKb,@function
_ZN12_GLOBAL__N_121softmax_warp_backwardIN3c104HalfES2_fLi1ELb0ELb1ELi32EEEvPT0_PKT_S7_iiiPKb: ; @_ZN12_GLOBAL__N_121softmax_warp_backwardIN3c104HalfES2_fLi1ELb0ELb1ELi32EEEvPT0_PKT_S7_iiiPKb
; %bb.0:
	s_clause 0x1
	s_load_b32 s2, s[0:1], 0x3c
	s_load_b128 s[4:7], s[0:1], 0x18
	v_bfe_u32 v1, v0, 10, 10
	v_dual_mov_b32 v11, 0 :: v_dual_and_b32 v4, 1, v0
	s_clause 0x1
	s_load_b128 s[8:11], s[0:1], 0x0
	s_load_b64 s[12:13], s[0:1], 0x10
	v_mov_b32_e32 v8, 0
	v_mov_b32_e32 v12, 0
	s_waitcnt lgkmcnt(0)
	s_lshr_b32 s2, s2, 16
	v_cmp_gt_i32_e32 vcc_lo, s6, v4
	s_mul_i32 s15, s15, s2
	s_delay_alu instid0(SALU_CYCLE_1) | instskip(NEXT) | instid1(VALU_DEP_1)
	v_add_lshl_u32 v1, s15, v1, 1
	v_mul_lo_u32 v2, v1, s5
	v_sub_nc_u32_e32 v9, s4, v1
	s_delay_alu instid0(VALU_DEP_1) | instskip(NEXT) | instid1(VALU_DEP_3)
	v_cmp_lt_i32_e64 s2, 0, v9
	v_or_b32_e32 v2, v2, v4
	s_delay_alu instid0(VALU_DEP_2) | instskip(NEXT) | instid1(VALU_DEP_1)
	s_and_b32 s4, vcc_lo, s2
	v_ashrrev_i32_e32 v3, 31, v2
	s_delay_alu instid0(VALU_DEP_1) | instskip(NEXT) | instid1(VALU_DEP_1)
	v_lshlrev_b64 v[0:1], 1, v[2:3]
	v_add_co_u32 v6, s3, s10, v0
	s_delay_alu instid0(VALU_DEP_1) | instskip(SKIP_1) | instid1(VALU_DEP_1)
	v_add_co_ci_u32_e64 v7, s3, s11, v1, s3
	v_add_co_u32 v4, s3, s12, v0
	v_add_co_ci_u32_e64 v5, s3, s13, v1, s3
	s_and_saveexec_b32 s3, s4
	s_cbranch_execz .LBB815_2
; %bb.1:
	global_load_u16 v10, v[6:7], off
	global_load_u16 v12, v[4:5], off
	s_waitcnt vmcnt(1)
	v_cvt_f32_f16_e32 v11, v10
	s_waitcnt vmcnt(0)
	v_cvt_f32_f16_e32 v12, v12
.LBB815_2:
	s_or_b32 exec_lo, exec_lo, s3
	v_cmp_lt_i32_e64 s3, 1, v9
	v_mov_b32_e32 v10, 0
	s_mov_b32 s7, 0
	s_delay_alu instid0(VALU_DEP_2) | instskip(NEXT) | instid1(SALU_CYCLE_1)
	s_and_b32 s3, vcc_lo, s3
	s_and_saveexec_b32 s4, s3
	s_cbranch_execz .LBB815_4
; %bb.3:
	s_lshl_b64 s[10:11], s[6:7], 1
	s_delay_alu instid0(SALU_CYCLE_1) | instskip(NEXT) | instid1(VALU_DEP_1)
	v_add_co_u32 v6, s3, v6, s10
	v_add_co_ci_u32_e64 v7, s3, s11, v7, s3
	v_add_co_u32 v4, s3, v4, s10
	s_delay_alu instid0(VALU_DEP_1)
	v_add_co_ci_u32_e64 v5, s3, s11, v5, s3
	global_load_u16 v6, v[6:7], off
	global_load_u16 v4, v[4:5], off
	s_waitcnt vmcnt(1)
	v_cvt_f32_f16_e32 v8, v6
	s_waitcnt vmcnt(0)
	v_cvt_f32_f16_e32 v10, v4
.LBB815_4:
	s_or_b32 exec_lo, exec_lo, s4
	s_load_b64 s[0:1], s[0:1], 0x28
	s_waitcnt lgkmcnt(0)
	v_add_co_u32 v2, s0, s0, v2
	s_delay_alu instid0(VALU_DEP_1) | instskip(SKIP_1) | instid1(VALU_DEP_2)
	v_add_co_ci_u32_e64 v3, s0, s1, v3, s0
	s_ashr_i32 s1, s6, 31
	v_add_co_u32 v4, s0, v2, s6
	s_delay_alu instid0(VALU_DEP_1) | instskip(SKIP_4) | instid1(VALU_DEP_1)
	v_add_co_ci_u32_e64 v5, s0, s1, v3, s0
	s_clause 0x1
	global_load_u8 v2, v[2:3], off
	global_load_u8 v3, v[4:5], off
	v_mbcnt_lo_u32_b32 v4, -1, 0
	v_and_b32_e32 v5, 30, v4
	v_xor_b32_e32 v6, 1, v4
	s_delay_alu instid0(VALU_DEP_2) | instskip(NEXT) | instid1(VALU_DEP_1)
	v_add_nc_u32_e32 v5, 2, v5
	v_cmp_lt_i32_e64 s0, v6, v5
	v_add_f32_e32 v5, 0, v11
	s_delay_alu instid0(VALU_DEP_2) | instskip(SKIP_1) | instid1(VALU_DEP_2)
	v_cndmask_b32_e64 v4, v4, v6, s0
	v_add_f32_e32 v6, 0, v8
	v_lshlrev_b32_e32 v7, 2, v4
	s_waitcnt vmcnt(1)
	v_and_b32_e32 v2, 1, v2
	s_waitcnt vmcnt(0)
	v_and_b32_e32 v3, 1, v3
	s_delay_alu instid0(VALU_DEP_2) | instskip(NEXT) | instid1(VALU_DEP_2)
	v_cmp_eq_u32_e64 s1, 1, v2
	v_cmp_eq_u32_e64 s0, 1, v3
	s_delay_alu instid0(VALU_DEP_2) | instskip(NEXT) | instid1(VALU_DEP_2)
	v_cndmask_b32_e64 v4, v5, 0, s1
	v_cndmask_b32_e64 v2, v6, 0, s0
	ds_bpermute_b32 v5, v7, v4
	ds_bpermute_b32 v3, v7, v2
	s_and_saveexec_b32 s3, s2
	s_cbranch_execz .LBB815_16
; %bb.5:
	v_add_co_u32 v0, s2, s8, v0
	s_delay_alu instid0(VALU_DEP_1)
	v_add_co_ci_u32_e64 v1, s2, s9, v1, s2
	s_and_saveexec_b32 s2, vcc_lo
	s_cbranch_execz .LBB815_10
; %bb.6:
	s_xor_b32 s1, s1, -1
	s_delay_alu instid0(SALU_CYCLE_1) | instskip(NEXT) | instid1(SALU_CYCLE_1)
	s_and_saveexec_b32 s3, s1
	s_xor_b32 s1, exec_lo, s3
	s_cbranch_execz .LBB815_8
; %bb.7:
	s_waitcnt lgkmcnt(1)
	v_add_f32_e32 v4, v4, v5
	s_delay_alu instid0(VALU_DEP_1)
	v_fma_mixlo_f16 v4, -v4, v12, v11
	global_store_b16 v[0:1], v4, off
.LBB815_8:
	s_and_not1_saveexec_b32 s1, s1
	s_cbranch_execz .LBB815_10
; %bb.9:
	v_mov_b32_e32 v4, 0
	global_store_b16 v[0:1], v4, off
.LBB815_10:
	s_or_b32 exec_lo, exec_lo, s2
	v_cmp_ne_u32_e64 s1, 1, v9
	s_delay_alu instid0(VALU_DEP_1)
	s_and_b32 exec_lo, exec_lo, s1
	s_cbranch_execz .LBB815_16
; %bb.11:
	s_and_b32 exec_lo, exec_lo, vcc_lo
	s_cbranch_execz .LBB815_16
; %bb.12:
	s_lshl_b64 s[2:3], s[6:7], 1
	s_xor_b32 s0, s0, -1
	v_add_co_u32 v0, vcc_lo, v0, s2
	v_add_co_ci_u32_e32 v1, vcc_lo, s3, v1, vcc_lo
	s_and_saveexec_b32 s1, s0
	s_delay_alu instid0(SALU_CYCLE_1)
	s_xor_b32 s0, exec_lo, s1
	s_cbranch_execz .LBB815_14
; %bb.13:
	s_waitcnt lgkmcnt(0)
	v_add_f32_e32 v2, v2, v3
	s_delay_alu instid0(VALU_DEP_1)
	v_fma_mixlo_f16 v2, -v2, v10, v8
	global_store_b16 v[0:1], v2, off
                                        ; implicit-def: $vgpr0_vgpr1
.LBB815_14:
	s_and_not1_saveexec_b32 s0, s0
	s_cbranch_execz .LBB815_16
; %bb.15:
	v_mov_b32_e32 v2, 0
	global_store_b16 v[0:1], v2, off
.LBB815_16:
	s_nop 0
	s_sendmsg sendmsg(MSG_DEALLOC_VGPRS)
	s_endpgm
	.section	.rodata,"a",@progbits
	.p2align	6, 0x0
	.amdhsa_kernel _ZN12_GLOBAL__N_121softmax_warp_backwardIN3c104HalfES2_fLi1ELb0ELb1ELi32EEEvPT0_PKT_S7_iiiPKb
		.amdhsa_group_segment_fixed_size 0
		.amdhsa_private_segment_fixed_size 0
		.amdhsa_kernarg_size 304
		.amdhsa_user_sgpr_count 15
		.amdhsa_user_sgpr_dispatch_ptr 0
		.amdhsa_user_sgpr_queue_ptr 0
		.amdhsa_user_sgpr_kernarg_segment_ptr 1
		.amdhsa_user_sgpr_dispatch_id 0
		.amdhsa_user_sgpr_private_segment_size 0
		.amdhsa_wavefront_size32 1
		.amdhsa_uses_dynamic_stack 0
		.amdhsa_enable_private_segment 0
		.amdhsa_system_sgpr_workgroup_id_x 1
		.amdhsa_system_sgpr_workgroup_id_y 0
		.amdhsa_system_sgpr_workgroup_id_z 0
		.amdhsa_system_sgpr_workgroup_info 0
		.amdhsa_system_vgpr_workitem_id 1
		.amdhsa_next_free_vgpr 13
		.amdhsa_next_free_sgpr 16
		.amdhsa_reserve_vcc 1
		.amdhsa_float_round_mode_32 0
		.amdhsa_float_round_mode_16_64 0
		.amdhsa_float_denorm_mode_32 3
		.amdhsa_float_denorm_mode_16_64 3
		.amdhsa_dx10_clamp 1
		.amdhsa_ieee_mode 1
		.amdhsa_fp16_overflow 0
		.amdhsa_workgroup_processor_mode 1
		.amdhsa_memory_ordered 1
		.amdhsa_forward_progress 0
		.amdhsa_shared_vgpr_count 0
		.amdhsa_exception_fp_ieee_invalid_op 0
		.amdhsa_exception_fp_denorm_src 0
		.amdhsa_exception_fp_ieee_div_zero 0
		.amdhsa_exception_fp_ieee_overflow 0
		.amdhsa_exception_fp_ieee_underflow 0
		.amdhsa_exception_fp_ieee_inexact 0
		.amdhsa_exception_int_div_zero 0
	.end_amdhsa_kernel
	.section	.text._ZN12_GLOBAL__N_121softmax_warp_backwardIN3c104HalfES2_fLi1ELb0ELb1ELi32EEEvPT0_PKT_S7_iiiPKb,"axG",@progbits,_ZN12_GLOBAL__N_121softmax_warp_backwardIN3c104HalfES2_fLi1ELb0ELb1ELi32EEEvPT0_PKT_S7_iiiPKb,comdat
.Lfunc_end815:
	.size	_ZN12_GLOBAL__N_121softmax_warp_backwardIN3c104HalfES2_fLi1ELb0ELb1ELi32EEEvPT0_PKT_S7_iiiPKb, .Lfunc_end815-_ZN12_GLOBAL__N_121softmax_warp_backwardIN3c104HalfES2_fLi1ELb0ELb1ELi32EEEvPT0_PKT_S7_iiiPKb
                                        ; -- End function
	.section	.AMDGPU.csdata,"",@progbits
; Kernel info:
; codeLenInByte = 772
; NumSgprs: 18
; NumVgprs: 13
; ScratchSize: 0
; MemoryBound: 0
; FloatMode: 240
; IeeeMode: 1
; LDSByteSize: 0 bytes/workgroup (compile time only)
; SGPRBlocks: 2
; VGPRBlocks: 1
; NumSGPRsForWavesPerEU: 18
; NumVGPRsForWavesPerEU: 13
; Occupancy: 16
; WaveLimiterHint : 0
; COMPUTE_PGM_RSRC2:SCRATCH_EN: 0
; COMPUTE_PGM_RSRC2:USER_SGPR: 15
; COMPUTE_PGM_RSRC2:TRAP_HANDLER: 0
; COMPUTE_PGM_RSRC2:TGID_X_EN: 1
; COMPUTE_PGM_RSRC2:TGID_Y_EN: 0
; COMPUTE_PGM_RSRC2:TGID_Z_EN: 0
; COMPUTE_PGM_RSRC2:TIDIG_COMP_CNT: 1
	.section	.text._ZN12_GLOBAL__N_121softmax_warp_backwardIN3c104HalfES2_fLi2ELb0ELb1ELi64EEEvPT0_PKT_S7_iiiPKb,"axG",@progbits,_ZN12_GLOBAL__N_121softmax_warp_backwardIN3c104HalfES2_fLi2ELb0ELb1ELi64EEEvPT0_PKT_S7_iiiPKb,comdat
	.globl	_ZN12_GLOBAL__N_121softmax_warp_backwardIN3c104HalfES2_fLi2ELb0ELb1ELi64EEEvPT0_PKT_S7_iiiPKb ; -- Begin function _ZN12_GLOBAL__N_121softmax_warp_backwardIN3c104HalfES2_fLi2ELb0ELb1ELi64EEEvPT0_PKT_S7_iiiPKb
	.p2align	8
	.type	_ZN12_GLOBAL__N_121softmax_warp_backwardIN3c104HalfES2_fLi2ELb0ELb1ELi64EEEvPT0_PKT_S7_iiiPKb,@function
_ZN12_GLOBAL__N_121softmax_warp_backwardIN3c104HalfES2_fLi2ELb0ELb1ELi64EEEvPT0_PKT_S7_iiiPKb: ; @_ZN12_GLOBAL__N_121softmax_warp_backwardIN3c104HalfES2_fLi2ELb0ELb1ELi64EEEvPT0_PKT_S7_iiiPKb
; %bb.0:
	s_clause 0x1
	s_load_b32 s2, s[0:1], 0x3c
	s_load_b128 s[4:7], s[0:1], 0x18
	v_bfe_u32 v1, v0, 10, 10
	v_dual_mov_b32 v11, 0 :: v_dual_and_b32 v4, 3, v0
	s_clause 0x1
	s_load_b128 s[8:11], s[0:1], 0x0
	s_load_b64 s[12:13], s[0:1], 0x10
	v_mov_b32_e32 v8, 0
	v_mov_b32_e32 v12, 0
	s_waitcnt lgkmcnt(0)
	s_lshr_b32 s2, s2, 16
	v_cmp_gt_i32_e32 vcc_lo, s6, v4
	s_mul_i32 s15, s15, s2
	s_delay_alu instid0(SALU_CYCLE_1) | instskip(NEXT) | instid1(VALU_DEP_1)
	v_add_lshl_u32 v0, s15, v1, 1
	v_mad_u64_u32 v[2:3], null, v0, s5, v[4:5]
	v_sub_nc_u32_e32 v9, s4, v0
	s_delay_alu instid0(VALU_DEP_1) | instskip(NEXT) | instid1(VALU_DEP_3)
	v_cmp_lt_i32_e64 s2, 0, v9
	v_ashrrev_i32_e32 v3, 31, v2
	s_delay_alu instid0(VALU_DEP_2) | instskip(NEXT) | instid1(VALU_DEP_1)
	s_and_b32 s4, vcc_lo, s2
	v_lshlrev_b64 v[0:1], 1, v[2:3]
	s_delay_alu instid0(VALU_DEP_1) | instskip(NEXT) | instid1(VALU_DEP_1)
	v_add_co_u32 v6, s3, s10, v0
	v_add_co_ci_u32_e64 v7, s3, s11, v1, s3
	v_add_co_u32 v4, s3, s12, v0
	s_delay_alu instid0(VALU_DEP_1)
	v_add_co_ci_u32_e64 v5, s3, s13, v1, s3
	s_and_saveexec_b32 s3, s4
	s_cbranch_execz .LBB816_2
; %bb.1:
	global_load_u16 v10, v[6:7], off
	global_load_u16 v12, v[4:5], off
	s_waitcnt vmcnt(1)
	v_cvt_f32_f16_e32 v11, v10
	s_waitcnt vmcnt(0)
	v_cvt_f32_f16_e32 v12, v12
.LBB816_2:
	s_or_b32 exec_lo, exec_lo, s3
	v_cmp_lt_i32_e64 s3, 1, v9
	v_mov_b32_e32 v10, 0
	s_mov_b32 s7, 0
	s_delay_alu instid0(VALU_DEP_2) | instskip(NEXT) | instid1(SALU_CYCLE_1)
	s_and_b32 s3, vcc_lo, s3
	s_and_saveexec_b32 s4, s3
	s_cbranch_execz .LBB816_4
; %bb.3:
	s_lshl_b64 s[10:11], s[6:7], 1
	s_delay_alu instid0(SALU_CYCLE_1) | instskip(NEXT) | instid1(VALU_DEP_1)
	v_add_co_u32 v6, s3, v6, s10
	v_add_co_ci_u32_e64 v7, s3, s11, v7, s3
	v_add_co_u32 v4, s3, v4, s10
	s_delay_alu instid0(VALU_DEP_1)
	v_add_co_ci_u32_e64 v5, s3, s11, v5, s3
	global_load_u16 v6, v[6:7], off
	global_load_u16 v4, v[4:5], off
	s_waitcnt vmcnt(1)
	v_cvt_f32_f16_e32 v8, v6
	s_waitcnt vmcnt(0)
	v_cvt_f32_f16_e32 v10, v4
.LBB816_4:
	s_or_b32 exec_lo, exec_lo, s4
	s_load_b64 s[0:1], s[0:1], 0x28
	v_add_f32_e32 v7, 0, v11
	s_waitcnt lgkmcnt(0)
	v_add_co_u32 v2, s0, s0, v2
	s_delay_alu instid0(VALU_DEP_1) | instskip(SKIP_1) | instid1(VALU_DEP_2)
	v_add_co_ci_u32_e64 v3, s0, s1, v3, s0
	s_ashr_i32 s1, s6, 31
	v_add_co_u32 v4, s0, v2, s6
	s_delay_alu instid0(VALU_DEP_1) | instskip(SKIP_4) | instid1(VALU_DEP_1)
	v_add_co_ci_u32_e64 v5, s0, s1, v3, s0
	s_clause 0x1
	global_load_u8 v2, v[2:3], off
	global_load_u8 v3, v[4:5], off
	v_mbcnt_lo_u32_b32 v4, -1, 0
	v_xor_b32_e32 v6, 2, v4
	s_waitcnt vmcnt(1)
	v_and_b32_e32 v2, 1, v2
	s_waitcnt vmcnt(0)
	v_and_b32_e32 v3, 1, v3
	s_delay_alu instid0(VALU_DEP_2) | instskip(NEXT) | instid1(VALU_DEP_1)
	v_cmp_eq_u32_e64 s1, 1, v2
	v_cndmask_b32_e64 v2, v7, 0, s1
	v_and_b32_e32 v5, 28, v4
	s_delay_alu instid0(VALU_DEP_1) | instskip(NEXT) | instid1(VALU_DEP_1)
	v_add_nc_u32_e32 v5, 4, v5
	v_cmp_lt_i32_e64 s0, v6, v5
	s_delay_alu instid0(VALU_DEP_1) | instskip(SKIP_2) | instid1(VALU_DEP_3)
	v_cndmask_b32_e64 v6, v4, v6, s0
	v_add_f32_e32 v13, 0, v8
	v_cmp_eq_u32_e64 s0, 1, v3
	v_lshlrev_b32_e32 v6, 2, v6
	s_delay_alu instid0(VALU_DEP_2) | instskip(SKIP_4) | instid1(VALU_DEP_1)
	v_cndmask_b32_e64 v3, v13, 0, s0
	v_xor_b32_e32 v13, 1, v4
	ds_bpermute_b32 v7, v6, v2
	ds_bpermute_b32 v6, v6, v3
	v_cmp_lt_i32_e64 s3, v13, v5
	v_cndmask_b32_e64 v5, v4, v13, s3
	s_waitcnt lgkmcnt(1)
	s_delay_alu instid0(VALU_DEP_1)
	v_dual_add_f32 v4, v2, v7 :: v_dual_lshlrev_b32 v7, 2, v5
	s_waitcnt lgkmcnt(0)
	v_add_f32_e32 v2, v3, v6
	ds_bpermute_b32 v5, v7, v4
	ds_bpermute_b32 v3, v7, v2
	s_and_saveexec_b32 s3, s2
	s_cbranch_execz .LBB816_16
; %bb.5:
	v_add_co_u32 v0, s2, s8, v0
	s_delay_alu instid0(VALU_DEP_1)
	v_add_co_ci_u32_e64 v1, s2, s9, v1, s2
	s_and_saveexec_b32 s2, vcc_lo
	s_cbranch_execz .LBB816_10
; %bb.6:
	s_xor_b32 s1, s1, -1
	s_delay_alu instid0(SALU_CYCLE_1) | instskip(NEXT) | instid1(SALU_CYCLE_1)
	s_and_saveexec_b32 s3, s1
	s_xor_b32 s1, exec_lo, s3
	s_cbranch_execz .LBB816_8
; %bb.7:
	s_waitcnt lgkmcnt(1)
	v_add_f32_e32 v4, v4, v5
	s_delay_alu instid0(VALU_DEP_1)
	v_fma_mixlo_f16 v4, -v4, v12, v11
	global_store_b16 v[0:1], v4, off
.LBB816_8:
	s_and_not1_saveexec_b32 s1, s1
	s_cbranch_execz .LBB816_10
; %bb.9:
	v_mov_b32_e32 v4, 0
	global_store_b16 v[0:1], v4, off
.LBB816_10:
	s_or_b32 exec_lo, exec_lo, s2
	v_cmp_ne_u32_e64 s1, 1, v9
	s_delay_alu instid0(VALU_DEP_1)
	s_and_b32 exec_lo, exec_lo, s1
	s_cbranch_execz .LBB816_16
; %bb.11:
	s_and_b32 exec_lo, exec_lo, vcc_lo
	s_cbranch_execz .LBB816_16
; %bb.12:
	s_lshl_b64 s[2:3], s[6:7], 1
	s_xor_b32 s0, s0, -1
	v_add_co_u32 v0, vcc_lo, v0, s2
	v_add_co_ci_u32_e32 v1, vcc_lo, s3, v1, vcc_lo
	s_and_saveexec_b32 s1, s0
	s_delay_alu instid0(SALU_CYCLE_1)
	s_xor_b32 s0, exec_lo, s1
	s_cbranch_execz .LBB816_14
; %bb.13:
	s_waitcnt lgkmcnt(0)
	v_add_f32_e32 v2, v2, v3
	s_delay_alu instid0(VALU_DEP_1)
	v_fma_mixlo_f16 v2, -v2, v10, v8
	global_store_b16 v[0:1], v2, off
                                        ; implicit-def: $vgpr0_vgpr1
.LBB816_14:
	s_and_not1_saveexec_b32 s0, s0
	s_cbranch_execz .LBB816_16
; %bb.15:
	v_mov_b32_e32 v2, 0
	global_store_b16 v[0:1], v2, off
.LBB816_16:
	s_nop 0
	s_sendmsg sendmsg(MSG_DEALLOC_VGPRS)
	s_endpgm
	.section	.rodata,"a",@progbits
	.p2align	6, 0x0
	.amdhsa_kernel _ZN12_GLOBAL__N_121softmax_warp_backwardIN3c104HalfES2_fLi2ELb0ELb1ELi64EEEvPT0_PKT_S7_iiiPKb
		.amdhsa_group_segment_fixed_size 0
		.amdhsa_private_segment_fixed_size 0
		.amdhsa_kernarg_size 304
		.amdhsa_user_sgpr_count 15
		.amdhsa_user_sgpr_dispatch_ptr 0
		.amdhsa_user_sgpr_queue_ptr 0
		.amdhsa_user_sgpr_kernarg_segment_ptr 1
		.amdhsa_user_sgpr_dispatch_id 0
		.amdhsa_user_sgpr_private_segment_size 0
		.amdhsa_wavefront_size32 1
		.amdhsa_uses_dynamic_stack 0
		.amdhsa_enable_private_segment 0
		.amdhsa_system_sgpr_workgroup_id_x 1
		.amdhsa_system_sgpr_workgroup_id_y 0
		.amdhsa_system_sgpr_workgroup_id_z 0
		.amdhsa_system_sgpr_workgroup_info 0
		.amdhsa_system_vgpr_workitem_id 1
		.amdhsa_next_free_vgpr 14
		.amdhsa_next_free_sgpr 16
		.amdhsa_reserve_vcc 1
		.amdhsa_float_round_mode_32 0
		.amdhsa_float_round_mode_16_64 0
		.amdhsa_float_denorm_mode_32 3
		.amdhsa_float_denorm_mode_16_64 3
		.amdhsa_dx10_clamp 1
		.amdhsa_ieee_mode 1
		.amdhsa_fp16_overflow 0
		.amdhsa_workgroup_processor_mode 1
		.amdhsa_memory_ordered 1
		.amdhsa_forward_progress 0
		.amdhsa_shared_vgpr_count 0
		.amdhsa_exception_fp_ieee_invalid_op 0
		.amdhsa_exception_fp_denorm_src 0
		.amdhsa_exception_fp_ieee_div_zero 0
		.amdhsa_exception_fp_ieee_overflow 0
		.amdhsa_exception_fp_ieee_underflow 0
		.amdhsa_exception_fp_ieee_inexact 0
		.amdhsa_exception_int_div_zero 0
	.end_amdhsa_kernel
	.section	.text._ZN12_GLOBAL__N_121softmax_warp_backwardIN3c104HalfES2_fLi2ELb0ELb1ELi64EEEvPT0_PKT_S7_iiiPKb,"axG",@progbits,_ZN12_GLOBAL__N_121softmax_warp_backwardIN3c104HalfES2_fLi2ELb0ELb1ELi64EEEvPT0_PKT_S7_iiiPKb,comdat
.Lfunc_end816:
	.size	_ZN12_GLOBAL__N_121softmax_warp_backwardIN3c104HalfES2_fLi2ELb0ELb1ELi64EEEvPT0_PKT_S7_iiiPKb, .Lfunc_end816-_ZN12_GLOBAL__N_121softmax_warp_backwardIN3c104HalfES2_fLi2ELb0ELb1ELi64EEEvPT0_PKT_S7_iiiPKb
                                        ; -- End function
	.section	.AMDGPU.csdata,"",@progbits
; Kernel info:
; codeLenInByte = 828
; NumSgprs: 18
; NumVgprs: 14
; ScratchSize: 0
; MemoryBound: 0
; FloatMode: 240
; IeeeMode: 1
; LDSByteSize: 0 bytes/workgroup (compile time only)
; SGPRBlocks: 2
; VGPRBlocks: 1
; NumSGPRsForWavesPerEU: 18
; NumVGPRsForWavesPerEU: 14
; Occupancy: 16
; WaveLimiterHint : 0
; COMPUTE_PGM_RSRC2:SCRATCH_EN: 0
; COMPUTE_PGM_RSRC2:USER_SGPR: 15
; COMPUTE_PGM_RSRC2:TRAP_HANDLER: 0
; COMPUTE_PGM_RSRC2:TGID_X_EN: 1
; COMPUTE_PGM_RSRC2:TGID_Y_EN: 0
; COMPUTE_PGM_RSRC2:TGID_Z_EN: 0
; COMPUTE_PGM_RSRC2:TIDIG_COMP_CNT: 1
	.section	.text._ZN12_GLOBAL__N_121softmax_warp_backwardIN3c104HalfES2_fLi2ELb0ELb1ELi32EEEvPT0_PKT_S7_iiiPKb,"axG",@progbits,_ZN12_GLOBAL__N_121softmax_warp_backwardIN3c104HalfES2_fLi2ELb0ELb1ELi32EEEvPT0_PKT_S7_iiiPKb,comdat
	.globl	_ZN12_GLOBAL__N_121softmax_warp_backwardIN3c104HalfES2_fLi2ELb0ELb1ELi32EEEvPT0_PKT_S7_iiiPKb ; -- Begin function _ZN12_GLOBAL__N_121softmax_warp_backwardIN3c104HalfES2_fLi2ELb0ELb1ELi32EEEvPT0_PKT_S7_iiiPKb
	.p2align	8
	.type	_ZN12_GLOBAL__N_121softmax_warp_backwardIN3c104HalfES2_fLi2ELb0ELb1ELi32EEEvPT0_PKT_S7_iiiPKb,@function
_ZN12_GLOBAL__N_121softmax_warp_backwardIN3c104HalfES2_fLi2ELb0ELb1ELi32EEEvPT0_PKT_S7_iiiPKb: ; @_ZN12_GLOBAL__N_121softmax_warp_backwardIN3c104HalfES2_fLi2ELb0ELb1ELi32EEEvPT0_PKT_S7_iiiPKb
; %bb.0:
	s_clause 0x1
	s_load_b32 s2, s[0:1], 0x3c
	s_load_b128 s[4:7], s[0:1], 0x18
	v_bfe_u32 v1, v0, 10, 10
	v_dual_mov_b32 v11, 0 :: v_dual_and_b32 v4, 3, v0
	s_clause 0x1
	s_load_b128 s[8:11], s[0:1], 0x0
	s_load_b64 s[12:13], s[0:1], 0x10
	v_mov_b32_e32 v8, 0
	v_mov_b32_e32 v12, 0
	s_waitcnt lgkmcnt(0)
	s_lshr_b32 s2, s2, 16
	v_cmp_gt_i32_e32 vcc_lo, s6, v4
	s_mul_i32 s15, s15, s2
	s_delay_alu instid0(SALU_CYCLE_1) | instskip(NEXT) | instid1(VALU_DEP_1)
	v_add_lshl_u32 v0, s15, v1, 1
	v_mad_u64_u32 v[2:3], null, v0, s5, v[4:5]
	v_sub_nc_u32_e32 v9, s4, v0
	s_delay_alu instid0(VALU_DEP_1) | instskip(NEXT) | instid1(VALU_DEP_3)
	v_cmp_lt_i32_e64 s2, 0, v9
	v_ashrrev_i32_e32 v3, 31, v2
	s_delay_alu instid0(VALU_DEP_2) | instskip(NEXT) | instid1(VALU_DEP_1)
	s_and_b32 s4, vcc_lo, s2
	v_lshlrev_b64 v[0:1], 1, v[2:3]
	s_delay_alu instid0(VALU_DEP_1) | instskip(NEXT) | instid1(VALU_DEP_1)
	v_add_co_u32 v6, s3, s10, v0
	v_add_co_ci_u32_e64 v7, s3, s11, v1, s3
	v_add_co_u32 v4, s3, s12, v0
	s_delay_alu instid0(VALU_DEP_1)
	v_add_co_ci_u32_e64 v5, s3, s13, v1, s3
	s_and_saveexec_b32 s3, s4
	s_cbranch_execz .LBB817_2
; %bb.1:
	global_load_u16 v10, v[6:7], off
	global_load_u16 v12, v[4:5], off
	s_waitcnt vmcnt(1)
	v_cvt_f32_f16_e32 v11, v10
	s_waitcnt vmcnt(0)
	v_cvt_f32_f16_e32 v12, v12
.LBB817_2:
	s_or_b32 exec_lo, exec_lo, s3
	v_cmp_lt_i32_e64 s3, 1, v9
	v_mov_b32_e32 v10, 0
	s_mov_b32 s7, 0
	s_delay_alu instid0(VALU_DEP_2) | instskip(NEXT) | instid1(SALU_CYCLE_1)
	s_and_b32 s3, vcc_lo, s3
	s_and_saveexec_b32 s4, s3
	s_cbranch_execz .LBB817_4
; %bb.3:
	s_lshl_b64 s[10:11], s[6:7], 1
	s_delay_alu instid0(SALU_CYCLE_1) | instskip(NEXT) | instid1(VALU_DEP_1)
	v_add_co_u32 v6, s3, v6, s10
	v_add_co_ci_u32_e64 v7, s3, s11, v7, s3
	v_add_co_u32 v4, s3, v4, s10
	s_delay_alu instid0(VALU_DEP_1)
	v_add_co_ci_u32_e64 v5, s3, s11, v5, s3
	global_load_u16 v6, v[6:7], off
	global_load_u16 v4, v[4:5], off
	s_waitcnt vmcnt(1)
	v_cvt_f32_f16_e32 v8, v6
	s_waitcnt vmcnt(0)
	v_cvt_f32_f16_e32 v10, v4
.LBB817_4:
	s_or_b32 exec_lo, exec_lo, s4
	s_load_b64 s[0:1], s[0:1], 0x28
	v_add_f32_e32 v7, 0, v11
	s_waitcnt lgkmcnt(0)
	v_add_co_u32 v2, s0, s0, v2
	s_delay_alu instid0(VALU_DEP_1) | instskip(SKIP_1) | instid1(VALU_DEP_2)
	v_add_co_ci_u32_e64 v3, s0, s1, v3, s0
	s_ashr_i32 s1, s6, 31
	v_add_co_u32 v4, s0, v2, s6
	s_delay_alu instid0(VALU_DEP_1) | instskip(SKIP_4) | instid1(VALU_DEP_1)
	v_add_co_ci_u32_e64 v5, s0, s1, v3, s0
	s_clause 0x1
	global_load_u8 v2, v[2:3], off
	global_load_u8 v3, v[4:5], off
	v_mbcnt_lo_u32_b32 v4, -1, 0
	v_xor_b32_e32 v6, 2, v4
	s_waitcnt vmcnt(1)
	v_and_b32_e32 v2, 1, v2
	s_waitcnt vmcnt(0)
	v_and_b32_e32 v3, 1, v3
	s_delay_alu instid0(VALU_DEP_2) | instskip(NEXT) | instid1(VALU_DEP_1)
	v_cmp_eq_u32_e64 s1, 1, v2
	v_cndmask_b32_e64 v2, v7, 0, s1
	v_and_b32_e32 v5, 28, v4
	s_delay_alu instid0(VALU_DEP_1) | instskip(NEXT) | instid1(VALU_DEP_1)
	v_add_nc_u32_e32 v5, 4, v5
	v_cmp_lt_i32_e64 s0, v6, v5
	s_delay_alu instid0(VALU_DEP_1) | instskip(SKIP_2) | instid1(VALU_DEP_3)
	v_cndmask_b32_e64 v6, v4, v6, s0
	v_add_f32_e32 v13, 0, v8
	v_cmp_eq_u32_e64 s0, 1, v3
	v_lshlrev_b32_e32 v6, 2, v6
	s_delay_alu instid0(VALU_DEP_2) | instskip(SKIP_4) | instid1(VALU_DEP_1)
	v_cndmask_b32_e64 v3, v13, 0, s0
	v_xor_b32_e32 v13, 1, v4
	ds_bpermute_b32 v7, v6, v2
	ds_bpermute_b32 v6, v6, v3
	v_cmp_lt_i32_e64 s3, v13, v5
	v_cndmask_b32_e64 v5, v4, v13, s3
	s_waitcnt lgkmcnt(1)
	s_delay_alu instid0(VALU_DEP_1)
	v_dual_add_f32 v4, v2, v7 :: v_dual_lshlrev_b32 v7, 2, v5
	s_waitcnt lgkmcnt(0)
	v_add_f32_e32 v2, v3, v6
	ds_bpermute_b32 v5, v7, v4
	ds_bpermute_b32 v3, v7, v2
	s_and_saveexec_b32 s3, s2
	s_cbranch_execz .LBB817_16
; %bb.5:
	v_add_co_u32 v0, s2, s8, v0
	s_delay_alu instid0(VALU_DEP_1)
	v_add_co_ci_u32_e64 v1, s2, s9, v1, s2
	s_and_saveexec_b32 s2, vcc_lo
	s_cbranch_execz .LBB817_10
; %bb.6:
	s_xor_b32 s1, s1, -1
	s_delay_alu instid0(SALU_CYCLE_1) | instskip(NEXT) | instid1(SALU_CYCLE_1)
	s_and_saveexec_b32 s3, s1
	s_xor_b32 s1, exec_lo, s3
	s_cbranch_execz .LBB817_8
; %bb.7:
	s_waitcnt lgkmcnt(1)
	v_add_f32_e32 v4, v4, v5
	s_delay_alu instid0(VALU_DEP_1)
	v_fma_mixlo_f16 v4, -v4, v12, v11
	global_store_b16 v[0:1], v4, off
.LBB817_8:
	s_and_not1_saveexec_b32 s1, s1
	s_cbranch_execz .LBB817_10
; %bb.9:
	v_mov_b32_e32 v4, 0
	global_store_b16 v[0:1], v4, off
.LBB817_10:
	s_or_b32 exec_lo, exec_lo, s2
	v_cmp_ne_u32_e64 s1, 1, v9
	s_delay_alu instid0(VALU_DEP_1)
	s_and_b32 exec_lo, exec_lo, s1
	s_cbranch_execz .LBB817_16
; %bb.11:
	s_and_b32 exec_lo, exec_lo, vcc_lo
	s_cbranch_execz .LBB817_16
; %bb.12:
	s_lshl_b64 s[2:3], s[6:7], 1
	s_xor_b32 s0, s0, -1
	v_add_co_u32 v0, vcc_lo, v0, s2
	v_add_co_ci_u32_e32 v1, vcc_lo, s3, v1, vcc_lo
	s_and_saveexec_b32 s1, s0
	s_delay_alu instid0(SALU_CYCLE_1)
	s_xor_b32 s0, exec_lo, s1
	s_cbranch_execz .LBB817_14
; %bb.13:
	s_waitcnt lgkmcnt(0)
	v_add_f32_e32 v2, v2, v3
	s_delay_alu instid0(VALU_DEP_1)
	v_fma_mixlo_f16 v2, -v2, v10, v8
	global_store_b16 v[0:1], v2, off
                                        ; implicit-def: $vgpr0_vgpr1
.LBB817_14:
	s_and_not1_saveexec_b32 s0, s0
	s_cbranch_execz .LBB817_16
; %bb.15:
	v_mov_b32_e32 v2, 0
	global_store_b16 v[0:1], v2, off
.LBB817_16:
	s_nop 0
	s_sendmsg sendmsg(MSG_DEALLOC_VGPRS)
	s_endpgm
	.section	.rodata,"a",@progbits
	.p2align	6, 0x0
	.amdhsa_kernel _ZN12_GLOBAL__N_121softmax_warp_backwardIN3c104HalfES2_fLi2ELb0ELb1ELi32EEEvPT0_PKT_S7_iiiPKb
		.amdhsa_group_segment_fixed_size 0
		.amdhsa_private_segment_fixed_size 0
		.amdhsa_kernarg_size 304
		.amdhsa_user_sgpr_count 15
		.amdhsa_user_sgpr_dispatch_ptr 0
		.amdhsa_user_sgpr_queue_ptr 0
		.amdhsa_user_sgpr_kernarg_segment_ptr 1
		.amdhsa_user_sgpr_dispatch_id 0
		.amdhsa_user_sgpr_private_segment_size 0
		.amdhsa_wavefront_size32 1
		.amdhsa_uses_dynamic_stack 0
		.amdhsa_enable_private_segment 0
		.amdhsa_system_sgpr_workgroup_id_x 1
		.amdhsa_system_sgpr_workgroup_id_y 0
		.amdhsa_system_sgpr_workgroup_id_z 0
		.amdhsa_system_sgpr_workgroup_info 0
		.amdhsa_system_vgpr_workitem_id 1
		.amdhsa_next_free_vgpr 14
		.amdhsa_next_free_sgpr 16
		.amdhsa_reserve_vcc 1
		.amdhsa_float_round_mode_32 0
		.amdhsa_float_round_mode_16_64 0
		.amdhsa_float_denorm_mode_32 3
		.amdhsa_float_denorm_mode_16_64 3
		.amdhsa_dx10_clamp 1
		.amdhsa_ieee_mode 1
		.amdhsa_fp16_overflow 0
		.amdhsa_workgroup_processor_mode 1
		.amdhsa_memory_ordered 1
		.amdhsa_forward_progress 0
		.amdhsa_shared_vgpr_count 0
		.amdhsa_exception_fp_ieee_invalid_op 0
		.amdhsa_exception_fp_denorm_src 0
		.amdhsa_exception_fp_ieee_div_zero 0
		.amdhsa_exception_fp_ieee_overflow 0
		.amdhsa_exception_fp_ieee_underflow 0
		.amdhsa_exception_fp_ieee_inexact 0
		.amdhsa_exception_int_div_zero 0
	.end_amdhsa_kernel
	.section	.text._ZN12_GLOBAL__N_121softmax_warp_backwardIN3c104HalfES2_fLi2ELb0ELb1ELi32EEEvPT0_PKT_S7_iiiPKb,"axG",@progbits,_ZN12_GLOBAL__N_121softmax_warp_backwardIN3c104HalfES2_fLi2ELb0ELb1ELi32EEEvPT0_PKT_S7_iiiPKb,comdat
.Lfunc_end817:
	.size	_ZN12_GLOBAL__N_121softmax_warp_backwardIN3c104HalfES2_fLi2ELb0ELb1ELi32EEEvPT0_PKT_S7_iiiPKb, .Lfunc_end817-_ZN12_GLOBAL__N_121softmax_warp_backwardIN3c104HalfES2_fLi2ELb0ELb1ELi32EEEvPT0_PKT_S7_iiiPKb
                                        ; -- End function
	.section	.AMDGPU.csdata,"",@progbits
; Kernel info:
; codeLenInByte = 828
; NumSgprs: 18
; NumVgprs: 14
; ScratchSize: 0
; MemoryBound: 0
; FloatMode: 240
; IeeeMode: 1
; LDSByteSize: 0 bytes/workgroup (compile time only)
; SGPRBlocks: 2
; VGPRBlocks: 1
; NumSGPRsForWavesPerEU: 18
; NumVGPRsForWavesPerEU: 14
; Occupancy: 16
; WaveLimiterHint : 0
; COMPUTE_PGM_RSRC2:SCRATCH_EN: 0
; COMPUTE_PGM_RSRC2:USER_SGPR: 15
; COMPUTE_PGM_RSRC2:TRAP_HANDLER: 0
; COMPUTE_PGM_RSRC2:TGID_X_EN: 1
; COMPUTE_PGM_RSRC2:TGID_Y_EN: 0
; COMPUTE_PGM_RSRC2:TGID_Z_EN: 0
; COMPUTE_PGM_RSRC2:TIDIG_COMP_CNT: 1
	.section	.text._ZN12_GLOBAL__N_121softmax_warp_backwardIN3c104HalfES2_fLi3ELb0ELb1ELi64EEEvPT0_PKT_S7_iiiPKb,"axG",@progbits,_ZN12_GLOBAL__N_121softmax_warp_backwardIN3c104HalfES2_fLi3ELb0ELb1ELi64EEEvPT0_PKT_S7_iiiPKb,comdat
	.globl	_ZN12_GLOBAL__N_121softmax_warp_backwardIN3c104HalfES2_fLi3ELb0ELb1ELi64EEEvPT0_PKT_S7_iiiPKb ; -- Begin function _ZN12_GLOBAL__N_121softmax_warp_backwardIN3c104HalfES2_fLi3ELb0ELb1ELi64EEEvPT0_PKT_S7_iiiPKb
	.p2align	8
	.type	_ZN12_GLOBAL__N_121softmax_warp_backwardIN3c104HalfES2_fLi3ELb0ELb1ELi64EEEvPT0_PKT_S7_iiiPKb,@function
_ZN12_GLOBAL__N_121softmax_warp_backwardIN3c104HalfES2_fLi3ELb0ELb1ELi64EEEvPT0_PKT_S7_iiiPKb: ; @_ZN12_GLOBAL__N_121softmax_warp_backwardIN3c104HalfES2_fLi3ELb0ELb1ELi64EEEvPT0_PKT_S7_iiiPKb
; %bb.0:
	s_clause 0x1
	s_load_b32 s2, s[0:1], 0x3c
	s_load_b128 s[4:7], s[0:1], 0x18
	v_bfe_u32 v1, v0, 10, 10
	v_dual_mov_b32 v11, 0 :: v_dual_and_b32 v4, 7, v0
	s_clause 0x1
	s_load_b128 s[8:11], s[0:1], 0x0
	s_load_b64 s[12:13], s[0:1], 0x10
	v_mov_b32_e32 v8, 0
	v_mov_b32_e32 v12, 0
	s_waitcnt lgkmcnt(0)
	s_lshr_b32 s2, s2, 16
	v_cmp_gt_i32_e32 vcc_lo, s6, v4
	s_mul_i32 s15, s15, s2
	s_delay_alu instid0(SALU_CYCLE_1) | instskip(NEXT) | instid1(VALU_DEP_1)
	v_add_lshl_u32 v0, s15, v1, 1
	v_mad_u64_u32 v[2:3], null, v0, s5, v[4:5]
	v_sub_nc_u32_e32 v9, s4, v0
	s_delay_alu instid0(VALU_DEP_1) | instskip(NEXT) | instid1(VALU_DEP_3)
	v_cmp_lt_i32_e64 s2, 0, v9
	v_ashrrev_i32_e32 v3, 31, v2
	s_delay_alu instid0(VALU_DEP_2) | instskip(NEXT) | instid1(VALU_DEP_1)
	s_and_b32 s4, vcc_lo, s2
	v_lshlrev_b64 v[0:1], 1, v[2:3]
	s_delay_alu instid0(VALU_DEP_1) | instskip(NEXT) | instid1(VALU_DEP_1)
	v_add_co_u32 v6, s3, s10, v0
	v_add_co_ci_u32_e64 v7, s3, s11, v1, s3
	v_add_co_u32 v4, s3, s12, v0
	s_delay_alu instid0(VALU_DEP_1)
	v_add_co_ci_u32_e64 v5, s3, s13, v1, s3
	s_and_saveexec_b32 s3, s4
	s_cbranch_execz .LBB818_2
; %bb.1:
	global_load_u16 v10, v[6:7], off
	global_load_u16 v12, v[4:5], off
	s_waitcnt vmcnt(1)
	v_cvt_f32_f16_e32 v11, v10
	s_waitcnt vmcnt(0)
	v_cvt_f32_f16_e32 v12, v12
.LBB818_2:
	s_or_b32 exec_lo, exec_lo, s3
	v_cmp_lt_i32_e64 s3, 1, v9
	v_mov_b32_e32 v10, 0
	s_mov_b32 s7, 0
	s_delay_alu instid0(VALU_DEP_2) | instskip(NEXT) | instid1(SALU_CYCLE_1)
	s_and_b32 s3, vcc_lo, s3
	s_and_saveexec_b32 s4, s3
	s_cbranch_execz .LBB818_4
; %bb.3:
	s_lshl_b64 s[10:11], s[6:7], 1
	s_delay_alu instid0(SALU_CYCLE_1) | instskip(NEXT) | instid1(VALU_DEP_1)
	v_add_co_u32 v6, s3, v6, s10
	v_add_co_ci_u32_e64 v7, s3, s11, v7, s3
	v_add_co_u32 v4, s3, v4, s10
	s_delay_alu instid0(VALU_DEP_1)
	v_add_co_ci_u32_e64 v5, s3, s11, v5, s3
	global_load_u16 v6, v[6:7], off
	global_load_u16 v4, v[4:5], off
	s_waitcnt vmcnt(1)
	v_cvt_f32_f16_e32 v8, v6
	s_waitcnt vmcnt(0)
	v_cvt_f32_f16_e32 v10, v4
.LBB818_4:
	s_or_b32 exec_lo, exec_lo, s4
	s_load_b64 s[0:1], s[0:1], 0x28
	v_add_f32_e32 v7, 0, v11
	s_waitcnt lgkmcnt(0)
	v_add_co_u32 v2, s0, s0, v2
	s_delay_alu instid0(VALU_DEP_1) | instskip(SKIP_1) | instid1(VALU_DEP_2)
	v_add_co_ci_u32_e64 v3, s0, s1, v3, s0
	s_ashr_i32 s1, s6, 31
	v_add_co_u32 v4, s0, v2, s6
	s_delay_alu instid0(VALU_DEP_1) | instskip(SKIP_4) | instid1(VALU_DEP_1)
	v_add_co_ci_u32_e64 v5, s0, s1, v3, s0
	s_clause 0x1
	global_load_u8 v2, v[2:3], off
	global_load_u8 v3, v[4:5], off
	v_mbcnt_lo_u32_b32 v4, -1, 0
	v_xor_b32_e32 v6, 4, v4
	s_waitcnt vmcnt(1)
	v_and_b32_e32 v2, 1, v2
	s_waitcnt vmcnt(0)
	v_and_b32_e32 v3, 1, v3
	s_delay_alu instid0(VALU_DEP_2) | instskip(NEXT) | instid1(VALU_DEP_1)
	v_cmp_eq_u32_e64 s1, 1, v2
	v_cndmask_b32_e64 v2, v7, 0, s1
	v_and_b32_e32 v5, 24, v4
	s_delay_alu instid0(VALU_DEP_1) | instskip(NEXT) | instid1(VALU_DEP_1)
	v_add_nc_u32_e32 v5, 8, v5
	v_cmp_lt_i32_e64 s0, v6, v5
	s_delay_alu instid0(VALU_DEP_1) | instskip(SKIP_2) | instid1(VALU_DEP_3)
	v_cndmask_b32_e64 v6, v4, v6, s0
	v_add_f32_e32 v13, 0, v8
	v_cmp_eq_u32_e64 s0, 1, v3
	v_lshlrev_b32_e32 v6, 2, v6
	s_delay_alu instid0(VALU_DEP_2) | instskip(SKIP_4) | instid1(VALU_DEP_1)
	v_cndmask_b32_e64 v3, v13, 0, s0
	v_xor_b32_e32 v13, 2, v4
	ds_bpermute_b32 v7, v6, v2
	ds_bpermute_b32 v6, v6, v3
	v_cmp_lt_i32_e64 s3, v13, v5
	v_cndmask_b32_e64 v13, v4, v13, s3
	s_waitcnt lgkmcnt(1)
	s_delay_alu instid0(VALU_DEP_1) | instskip(SKIP_1) | instid1(VALU_DEP_1)
	v_dual_add_f32 v2, v2, v7 :: v_dual_lshlrev_b32 v7, 2, v13
	v_xor_b32_e32 v13, 1, v4
	v_cmp_lt_i32_e64 s3, v13, v5
	s_delay_alu instid0(VALU_DEP_1)
	v_cndmask_b32_e64 v5, v4, v13, s3
	s_waitcnt lgkmcnt(0)
	v_add_f32_e32 v3, v3, v6
	ds_bpermute_b32 v6, v7, v2
	s_waitcnt lgkmcnt(0)
	v_add_f32_e32 v4, v2, v6
	v_lshlrev_b32_e32 v6, 2, v5
	ds_bpermute_b32 v7, v7, v3
	ds_bpermute_b32 v5, v6, v4
	s_waitcnt lgkmcnt(1)
	v_add_f32_e32 v2, v3, v7
	ds_bpermute_b32 v3, v6, v2
	s_and_saveexec_b32 s3, s2
	s_cbranch_execz .LBB818_16
; %bb.5:
	v_add_co_u32 v0, s2, s8, v0
	s_delay_alu instid0(VALU_DEP_1)
	v_add_co_ci_u32_e64 v1, s2, s9, v1, s2
	s_and_saveexec_b32 s2, vcc_lo
	s_cbranch_execz .LBB818_10
; %bb.6:
	s_xor_b32 s1, s1, -1
	s_delay_alu instid0(SALU_CYCLE_1) | instskip(NEXT) | instid1(SALU_CYCLE_1)
	s_and_saveexec_b32 s3, s1
	s_xor_b32 s1, exec_lo, s3
	s_cbranch_execz .LBB818_8
; %bb.7:
	s_waitcnt lgkmcnt(1)
	v_add_f32_e32 v4, v4, v5
	s_delay_alu instid0(VALU_DEP_1)
	v_fma_mixlo_f16 v4, -v4, v12, v11
	global_store_b16 v[0:1], v4, off
.LBB818_8:
	s_and_not1_saveexec_b32 s1, s1
	s_cbranch_execz .LBB818_10
; %bb.9:
	v_mov_b32_e32 v4, 0
	global_store_b16 v[0:1], v4, off
.LBB818_10:
	s_or_b32 exec_lo, exec_lo, s2
	v_cmp_ne_u32_e64 s1, 1, v9
	s_delay_alu instid0(VALU_DEP_1)
	s_and_b32 exec_lo, exec_lo, s1
	s_cbranch_execz .LBB818_16
; %bb.11:
	s_and_b32 exec_lo, exec_lo, vcc_lo
	s_cbranch_execz .LBB818_16
; %bb.12:
	s_lshl_b64 s[2:3], s[6:7], 1
	s_xor_b32 s0, s0, -1
	v_add_co_u32 v0, vcc_lo, v0, s2
	v_add_co_ci_u32_e32 v1, vcc_lo, s3, v1, vcc_lo
	s_and_saveexec_b32 s1, s0
	s_delay_alu instid0(SALU_CYCLE_1)
	s_xor_b32 s0, exec_lo, s1
	s_cbranch_execz .LBB818_14
; %bb.13:
	s_waitcnt lgkmcnt(0)
	v_add_f32_e32 v2, v2, v3
	s_delay_alu instid0(VALU_DEP_1)
	v_fma_mixlo_f16 v2, -v2, v10, v8
	global_store_b16 v[0:1], v2, off
                                        ; implicit-def: $vgpr0_vgpr1
.LBB818_14:
	s_and_not1_saveexec_b32 s0, s0
	s_cbranch_execz .LBB818_16
; %bb.15:
	v_mov_b32_e32 v2, 0
	global_store_b16 v[0:1], v2, off
.LBB818_16:
	s_nop 0
	s_sendmsg sendmsg(MSG_DEALLOC_VGPRS)
	s_endpgm
	.section	.rodata,"a",@progbits
	.p2align	6, 0x0
	.amdhsa_kernel _ZN12_GLOBAL__N_121softmax_warp_backwardIN3c104HalfES2_fLi3ELb0ELb1ELi64EEEvPT0_PKT_S7_iiiPKb
		.amdhsa_group_segment_fixed_size 0
		.amdhsa_private_segment_fixed_size 0
		.amdhsa_kernarg_size 304
		.amdhsa_user_sgpr_count 15
		.amdhsa_user_sgpr_dispatch_ptr 0
		.amdhsa_user_sgpr_queue_ptr 0
		.amdhsa_user_sgpr_kernarg_segment_ptr 1
		.amdhsa_user_sgpr_dispatch_id 0
		.amdhsa_user_sgpr_private_segment_size 0
		.amdhsa_wavefront_size32 1
		.amdhsa_uses_dynamic_stack 0
		.amdhsa_enable_private_segment 0
		.amdhsa_system_sgpr_workgroup_id_x 1
		.amdhsa_system_sgpr_workgroup_id_y 0
		.amdhsa_system_sgpr_workgroup_id_z 0
		.amdhsa_system_sgpr_workgroup_info 0
		.amdhsa_system_vgpr_workitem_id 1
		.amdhsa_next_free_vgpr 14
		.amdhsa_next_free_sgpr 16
		.amdhsa_reserve_vcc 1
		.amdhsa_float_round_mode_32 0
		.amdhsa_float_round_mode_16_64 0
		.amdhsa_float_denorm_mode_32 3
		.amdhsa_float_denorm_mode_16_64 3
		.amdhsa_dx10_clamp 1
		.amdhsa_ieee_mode 1
		.amdhsa_fp16_overflow 0
		.amdhsa_workgroup_processor_mode 1
		.amdhsa_memory_ordered 1
		.amdhsa_forward_progress 0
		.amdhsa_shared_vgpr_count 0
		.amdhsa_exception_fp_ieee_invalid_op 0
		.amdhsa_exception_fp_denorm_src 0
		.amdhsa_exception_fp_ieee_div_zero 0
		.amdhsa_exception_fp_ieee_overflow 0
		.amdhsa_exception_fp_ieee_underflow 0
		.amdhsa_exception_fp_ieee_inexact 0
		.amdhsa_exception_int_div_zero 0
	.end_amdhsa_kernel
	.section	.text._ZN12_GLOBAL__N_121softmax_warp_backwardIN3c104HalfES2_fLi3ELb0ELb1ELi64EEEvPT0_PKT_S7_iiiPKb,"axG",@progbits,_ZN12_GLOBAL__N_121softmax_warp_backwardIN3c104HalfES2_fLi3ELb0ELb1ELi64EEEvPT0_PKT_S7_iiiPKb,comdat
.Lfunc_end818:
	.size	_ZN12_GLOBAL__N_121softmax_warp_backwardIN3c104HalfES2_fLi3ELb0ELb1ELi64EEEvPT0_PKT_S7_iiiPKb, .Lfunc_end818-_ZN12_GLOBAL__N_121softmax_warp_backwardIN3c104HalfES2_fLi3ELb0ELb1ELi64EEEvPT0_PKT_S7_iiiPKb
                                        ; -- End function
	.section	.AMDGPU.csdata,"",@progbits
; Kernel info:
; codeLenInByte = 888
; NumSgprs: 18
; NumVgprs: 14
; ScratchSize: 0
; MemoryBound: 0
; FloatMode: 240
; IeeeMode: 1
; LDSByteSize: 0 bytes/workgroup (compile time only)
; SGPRBlocks: 2
; VGPRBlocks: 1
; NumSGPRsForWavesPerEU: 18
; NumVGPRsForWavesPerEU: 14
; Occupancy: 16
; WaveLimiterHint : 0
; COMPUTE_PGM_RSRC2:SCRATCH_EN: 0
; COMPUTE_PGM_RSRC2:USER_SGPR: 15
; COMPUTE_PGM_RSRC2:TRAP_HANDLER: 0
; COMPUTE_PGM_RSRC2:TGID_X_EN: 1
; COMPUTE_PGM_RSRC2:TGID_Y_EN: 0
; COMPUTE_PGM_RSRC2:TGID_Z_EN: 0
; COMPUTE_PGM_RSRC2:TIDIG_COMP_CNT: 1
	.section	.text._ZN12_GLOBAL__N_121softmax_warp_backwardIN3c104HalfES2_fLi3ELb0ELb1ELi32EEEvPT0_PKT_S7_iiiPKb,"axG",@progbits,_ZN12_GLOBAL__N_121softmax_warp_backwardIN3c104HalfES2_fLi3ELb0ELb1ELi32EEEvPT0_PKT_S7_iiiPKb,comdat
	.globl	_ZN12_GLOBAL__N_121softmax_warp_backwardIN3c104HalfES2_fLi3ELb0ELb1ELi32EEEvPT0_PKT_S7_iiiPKb ; -- Begin function _ZN12_GLOBAL__N_121softmax_warp_backwardIN3c104HalfES2_fLi3ELb0ELb1ELi32EEEvPT0_PKT_S7_iiiPKb
	.p2align	8
	.type	_ZN12_GLOBAL__N_121softmax_warp_backwardIN3c104HalfES2_fLi3ELb0ELb1ELi32EEEvPT0_PKT_S7_iiiPKb,@function
_ZN12_GLOBAL__N_121softmax_warp_backwardIN3c104HalfES2_fLi3ELb0ELb1ELi32EEEvPT0_PKT_S7_iiiPKb: ; @_ZN12_GLOBAL__N_121softmax_warp_backwardIN3c104HalfES2_fLi3ELb0ELb1ELi32EEEvPT0_PKT_S7_iiiPKb
; %bb.0:
	s_clause 0x1
	s_load_b32 s2, s[0:1], 0x3c
	s_load_b128 s[4:7], s[0:1], 0x18
	v_bfe_u32 v1, v0, 10, 10
	v_dual_mov_b32 v11, 0 :: v_dual_and_b32 v4, 7, v0
	s_clause 0x1
	s_load_b128 s[8:11], s[0:1], 0x0
	s_load_b64 s[12:13], s[0:1], 0x10
	v_mov_b32_e32 v8, 0
	v_mov_b32_e32 v12, 0
	s_waitcnt lgkmcnt(0)
	s_lshr_b32 s2, s2, 16
	v_cmp_gt_i32_e32 vcc_lo, s6, v4
	s_mul_i32 s15, s15, s2
	s_delay_alu instid0(SALU_CYCLE_1) | instskip(NEXT) | instid1(VALU_DEP_1)
	v_add_lshl_u32 v0, s15, v1, 1
	v_mad_u64_u32 v[2:3], null, v0, s5, v[4:5]
	v_sub_nc_u32_e32 v9, s4, v0
	s_delay_alu instid0(VALU_DEP_1) | instskip(NEXT) | instid1(VALU_DEP_3)
	v_cmp_lt_i32_e64 s2, 0, v9
	v_ashrrev_i32_e32 v3, 31, v2
	s_delay_alu instid0(VALU_DEP_2) | instskip(NEXT) | instid1(VALU_DEP_1)
	s_and_b32 s4, vcc_lo, s2
	v_lshlrev_b64 v[0:1], 1, v[2:3]
	s_delay_alu instid0(VALU_DEP_1) | instskip(NEXT) | instid1(VALU_DEP_1)
	v_add_co_u32 v6, s3, s10, v0
	v_add_co_ci_u32_e64 v7, s3, s11, v1, s3
	v_add_co_u32 v4, s3, s12, v0
	s_delay_alu instid0(VALU_DEP_1)
	v_add_co_ci_u32_e64 v5, s3, s13, v1, s3
	s_and_saveexec_b32 s3, s4
	s_cbranch_execz .LBB819_2
; %bb.1:
	global_load_u16 v10, v[6:7], off
	global_load_u16 v12, v[4:5], off
	s_waitcnt vmcnt(1)
	v_cvt_f32_f16_e32 v11, v10
	s_waitcnt vmcnt(0)
	v_cvt_f32_f16_e32 v12, v12
.LBB819_2:
	s_or_b32 exec_lo, exec_lo, s3
	v_cmp_lt_i32_e64 s3, 1, v9
	v_mov_b32_e32 v10, 0
	s_mov_b32 s7, 0
	s_delay_alu instid0(VALU_DEP_2) | instskip(NEXT) | instid1(SALU_CYCLE_1)
	s_and_b32 s3, vcc_lo, s3
	s_and_saveexec_b32 s4, s3
	s_cbranch_execz .LBB819_4
; %bb.3:
	s_lshl_b64 s[10:11], s[6:7], 1
	s_delay_alu instid0(SALU_CYCLE_1) | instskip(NEXT) | instid1(VALU_DEP_1)
	v_add_co_u32 v6, s3, v6, s10
	v_add_co_ci_u32_e64 v7, s3, s11, v7, s3
	v_add_co_u32 v4, s3, v4, s10
	s_delay_alu instid0(VALU_DEP_1)
	v_add_co_ci_u32_e64 v5, s3, s11, v5, s3
	global_load_u16 v6, v[6:7], off
	global_load_u16 v4, v[4:5], off
	s_waitcnt vmcnt(1)
	v_cvt_f32_f16_e32 v8, v6
	s_waitcnt vmcnt(0)
	v_cvt_f32_f16_e32 v10, v4
.LBB819_4:
	s_or_b32 exec_lo, exec_lo, s4
	s_load_b64 s[0:1], s[0:1], 0x28
	v_add_f32_e32 v7, 0, v11
	s_waitcnt lgkmcnt(0)
	v_add_co_u32 v2, s0, s0, v2
	s_delay_alu instid0(VALU_DEP_1) | instskip(SKIP_1) | instid1(VALU_DEP_2)
	v_add_co_ci_u32_e64 v3, s0, s1, v3, s0
	s_ashr_i32 s1, s6, 31
	v_add_co_u32 v4, s0, v2, s6
	s_delay_alu instid0(VALU_DEP_1) | instskip(SKIP_4) | instid1(VALU_DEP_1)
	v_add_co_ci_u32_e64 v5, s0, s1, v3, s0
	s_clause 0x1
	global_load_u8 v2, v[2:3], off
	global_load_u8 v3, v[4:5], off
	v_mbcnt_lo_u32_b32 v4, -1, 0
	v_xor_b32_e32 v6, 4, v4
	s_waitcnt vmcnt(1)
	v_and_b32_e32 v2, 1, v2
	s_waitcnt vmcnt(0)
	v_and_b32_e32 v3, 1, v3
	s_delay_alu instid0(VALU_DEP_2) | instskip(NEXT) | instid1(VALU_DEP_1)
	v_cmp_eq_u32_e64 s1, 1, v2
	v_cndmask_b32_e64 v2, v7, 0, s1
	v_and_b32_e32 v5, 24, v4
	s_delay_alu instid0(VALU_DEP_1) | instskip(NEXT) | instid1(VALU_DEP_1)
	v_add_nc_u32_e32 v5, 8, v5
	v_cmp_lt_i32_e64 s0, v6, v5
	s_delay_alu instid0(VALU_DEP_1) | instskip(SKIP_2) | instid1(VALU_DEP_3)
	v_cndmask_b32_e64 v6, v4, v6, s0
	v_add_f32_e32 v13, 0, v8
	v_cmp_eq_u32_e64 s0, 1, v3
	v_lshlrev_b32_e32 v6, 2, v6
	s_delay_alu instid0(VALU_DEP_2) | instskip(SKIP_4) | instid1(VALU_DEP_1)
	v_cndmask_b32_e64 v3, v13, 0, s0
	v_xor_b32_e32 v13, 2, v4
	ds_bpermute_b32 v7, v6, v2
	ds_bpermute_b32 v6, v6, v3
	v_cmp_lt_i32_e64 s3, v13, v5
	v_cndmask_b32_e64 v13, v4, v13, s3
	s_waitcnt lgkmcnt(1)
	s_delay_alu instid0(VALU_DEP_1) | instskip(SKIP_1) | instid1(VALU_DEP_1)
	v_dual_add_f32 v2, v2, v7 :: v_dual_lshlrev_b32 v7, 2, v13
	v_xor_b32_e32 v13, 1, v4
	v_cmp_lt_i32_e64 s3, v13, v5
	s_delay_alu instid0(VALU_DEP_1)
	v_cndmask_b32_e64 v5, v4, v13, s3
	s_waitcnt lgkmcnt(0)
	v_add_f32_e32 v3, v3, v6
	ds_bpermute_b32 v6, v7, v2
	s_waitcnt lgkmcnt(0)
	v_add_f32_e32 v4, v2, v6
	v_lshlrev_b32_e32 v6, 2, v5
	ds_bpermute_b32 v7, v7, v3
	ds_bpermute_b32 v5, v6, v4
	s_waitcnt lgkmcnt(1)
	v_add_f32_e32 v2, v3, v7
	ds_bpermute_b32 v3, v6, v2
	s_and_saveexec_b32 s3, s2
	s_cbranch_execz .LBB819_16
; %bb.5:
	v_add_co_u32 v0, s2, s8, v0
	s_delay_alu instid0(VALU_DEP_1)
	v_add_co_ci_u32_e64 v1, s2, s9, v1, s2
	s_and_saveexec_b32 s2, vcc_lo
	s_cbranch_execz .LBB819_10
; %bb.6:
	s_xor_b32 s1, s1, -1
	s_delay_alu instid0(SALU_CYCLE_1) | instskip(NEXT) | instid1(SALU_CYCLE_1)
	s_and_saveexec_b32 s3, s1
	s_xor_b32 s1, exec_lo, s3
	s_cbranch_execz .LBB819_8
; %bb.7:
	s_waitcnt lgkmcnt(1)
	v_add_f32_e32 v4, v4, v5
	s_delay_alu instid0(VALU_DEP_1)
	v_fma_mixlo_f16 v4, -v4, v12, v11
	global_store_b16 v[0:1], v4, off
.LBB819_8:
	s_and_not1_saveexec_b32 s1, s1
	s_cbranch_execz .LBB819_10
; %bb.9:
	v_mov_b32_e32 v4, 0
	global_store_b16 v[0:1], v4, off
.LBB819_10:
	s_or_b32 exec_lo, exec_lo, s2
	v_cmp_ne_u32_e64 s1, 1, v9
	s_delay_alu instid0(VALU_DEP_1)
	s_and_b32 exec_lo, exec_lo, s1
	s_cbranch_execz .LBB819_16
; %bb.11:
	s_and_b32 exec_lo, exec_lo, vcc_lo
	s_cbranch_execz .LBB819_16
; %bb.12:
	s_lshl_b64 s[2:3], s[6:7], 1
	s_xor_b32 s0, s0, -1
	v_add_co_u32 v0, vcc_lo, v0, s2
	v_add_co_ci_u32_e32 v1, vcc_lo, s3, v1, vcc_lo
	s_and_saveexec_b32 s1, s0
	s_delay_alu instid0(SALU_CYCLE_1)
	s_xor_b32 s0, exec_lo, s1
	s_cbranch_execz .LBB819_14
; %bb.13:
	s_waitcnt lgkmcnt(0)
	v_add_f32_e32 v2, v2, v3
	s_delay_alu instid0(VALU_DEP_1)
	v_fma_mixlo_f16 v2, -v2, v10, v8
	global_store_b16 v[0:1], v2, off
                                        ; implicit-def: $vgpr0_vgpr1
.LBB819_14:
	s_and_not1_saveexec_b32 s0, s0
	s_cbranch_execz .LBB819_16
; %bb.15:
	v_mov_b32_e32 v2, 0
	global_store_b16 v[0:1], v2, off
.LBB819_16:
	s_nop 0
	s_sendmsg sendmsg(MSG_DEALLOC_VGPRS)
	s_endpgm
	.section	.rodata,"a",@progbits
	.p2align	6, 0x0
	.amdhsa_kernel _ZN12_GLOBAL__N_121softmax_warp_backwardIN3c104HalfES2_fLi3ELb0ELb1ELi32EEEvPT0_PKT_S7_iiiPKb
		.amdhsa_group_segment_fixed_size 0
		.amdhsa_private_segment_fixed_size 0
		.amdhsa_kernarg_size 304
		.amdhsa_user_sgpr_count 15
		.amdhsa_user_sgpr_dispatch_ptr 0
		.amdhsa_user_sgpr_queue_ptr 0
		.amdhsa_user_sgpr_kernarg_segment_ptr 1
		.amdhsa_user_sgpr_dispatch_id 0
		.amdhsa_user_sgpr_private_segment_size 0
		.amdhsa_wavefront_size32 1
		.amdhsa_uses_dynamic_stack 0
		.amdhsa_enable_private_segment 0
		.amdhsa_system_sgpr_workgroup_id_x 1
		.amdhsa_system_sgpr_workgroup_id_y 0
		.amdhsa_system_sgpr_workgroup_id_z 0
		.amdhsa_system_sgpr_workgroup_info 0
		.amdhsa_system_vgpr_workitem_id 1
		.amdhsa_next_free_vgpr 14
		.amdhsa_next_free_sgpr 16
		.amdhsa_reserve_vcc 1
		.amdhsa_float_round_mode_32 0
		.amdhsa_float_round_mode_16_64 0
		.amdhsa_float_denorm_mode_32 3
		.amdhsa_float_denorm_mode_16_64 3
		.amdhsa_dx10_clamp 1
		.amdhsa_ieee_mode 1
		.amdhsa_fp16_overflow 0
		.amdhsa_workgroup_processor_mode 1
		.amdhsa_memory_ordered 1
		.amdhsa_forward_progress 0
		.amdhsa_shared_vgpr_count 0
		.amdhsa_exception_fp_ieee_invalid_op 0
		.amdhsa_exception_fp_denorm_src 0
		.amdhsa_exception_fp_ieee_div_zero 0
		.amdhsa_exception_fp_ieee_overflow 0
		.amdhsa_exception_fp_ieee_underflow 0
		.amdhsa_exception_fp_ieee_inexact 0
		.amdhsa_exception_int_div_zero 0
	.end_amdhsa_kernel
	.section	.text._ZN12_GLOBAL__N_121softmax_warp_backwardIN3c104HalfES2_fLi3ELb0ELb1ELi32EEEvPT0_PKT_S7_iiiPKb,"axG",@progbits,_ZN12_GLOBAL__N_121softmax_warp_backwardIN3c104HalfES2_fLi3ELb0ELb1ELi32EEEvPT0_PKT_S7_iiiPKb,comdat
.Lfunc_end819:
	.size	_ZN12_GLOBAL__N_121softmax_warp_backwardIN3c104HalfES2_fLi3ELb0ELb1ELi32EEEvPT0_PKT_S7_iiiPKb, .Lfunc_end819-_ZN12_GLOBAL__N_121softmax_warp_backwardIN3c104HalfES2_fLi3ELb0ELb1ELi32EEEvPT0_PKT_S7_iiiPKb
                                        ; -- End function
	.section	.AMDGPU.csdata,"",@progbits
; Kernel info:
; codeLenInByte = 888
; NumSgprs: 18
; NumVgprs: 14
; ScratchSize: 0
; MemoryBound: 0
; FloatMode: 240
; IeeeMode: 1
; LDSByteSize: 0 bytes/workgroup (compile time only)
; SGPRBlocks: 2
; VGPRBlocks: 1
; NumSGPRsForWavesPerEU: 18
; NumVGPRsForWavesPerEU: 14
; Occupancy: 16
; WaveLimiterHint : 0
; COMPUTE_PGM_RSRC2:SCRATCH_EN: 0
; COMPUTE_PGM_RSRC2:USER_SGPR: 15
; COMPUTE_PGM_RSRC2:TRAP_HANDLER: 0
; COMPUTE_PGM_RSRC2:TGID_X_EN: 1
; COMPUTE_PGM_RSRC2:TGID_Y_EN: 0
; COMPUTE_PGM_RSRC2:TGID_Z_EN: 0
; COMPUTE_PGM_RSRC2:TIDIG_COMP_CNT: 1
	.section	.text._ZN12_GLOBAL__N_121softmax_warp_backwardIN3c104HalfES2_fLi4ELb0ELb1ELi64EEEvPT0_PKT_S7_iiiPKb,"axG",@progbits,_ZN12_GLOBAL__N_121softmax_warp_backwardIN3c104HalfES2_fLi4ELb0ELb1ELi64EEEvPT0_PKT_S7_iiiPKb,comdat
	.globl	_ZN12_GLOBAL__N_121softmax_warp_backwardIN3c104HalfES2_fLi4ELb0ELb1ELi64EEEvPT0_PKT_S7_iiiPKb ; -- Begin function _ZN12_GLOBAL__N_121softmax_warp_backwardIN3c104HalfES2_fLi4ELb0ELb1ELi64EEEvPT0_PKT_S7_iiiPKb
	.p2align	8
	.type	_ZN12_GLOBAL__N_121softmax_warp_backwardIN3c104HalfES2_fLi4ELb0ELb1ELi64EEEvPT0_PKT_S7_iiiPKb,@function
_ZN12_GLOBAL__N_121softmax_warp_backwardIN3c104HalfES2_fLi4ELb0ELb1ELi64EEEvPT0_PKT_S7_iiiPKb: ; @_ZN12_GLOBAL__N_121softmax_warp_backwardIN3c104HalfES2_fLi4ELb0ELb1ELi64EEEvPT0_PKT_S7_iiiPKb
; %bb.0:
	s_clause 0x1
	s_load_b32 s2, s[0:1], 0x3c
	s_load_b128 s[4:7], s[0:1], 0x18
	v_bfe_u32 v1, v0, 10, 10
	v_dual_mov_b32 v11, 0 :: v_dual_and_b32 v4, 15, v0
	s_clause 0x1
	s_load_b128 s[8:11], s[0:1], 0x0
	s_load_b64 s[12:13], s[0:1], 0x10
	v_mov_b32_e32 v8, 0
	v_mov_b32_e32 v12, 0
	s_waitcnt lgkmcnt(0)
	s_lshr_b32 s2, s2, 16
	v_cmp_gt_i32_e32 vcc_lo, s6, v4
	s_mul_i32 s15, s15, s2
	s_delay_alu instid0(SALU_CYCLE_1) | instskip(NEXT) | instid1(VALU_DEP_1)
	v_add_lshl_u32 v0, s15, v1, 1
	v_mad_u64_u32 v[2:3], null, v0, s5, v[4:5]
	v_sub_nc_u32_e32 v9, s4, v0
	s_delay_alu instid0(VALU_DEP_1) | instskip(NEXT) | instid1(VALU_DEP_3)
	v_cmp_lt_i32_e64 s2, 0, v9
	v_ashrrev_i32_e32 v3, 31, v2
	s_delay_alu instid0(VALU_DEP_2) | instskip(NEXT) | instid1(VALU_DEP_1)
	s_and_b32 s4, vcc_lo, s2
	v_lshlrev_b64 v[0:1], 1, v[2:3]
	s_delay_alu instid0(VALU_DEP_1) | instskip(NEXT) | instid1(VALU_DEP_1)
	v_add_co_u32 v6, s3, s10, v0
	v_add_co_ci_u32_e64 v7, s3, s11, v1, s3
	v_add_co_u32 v4, s3, s12, v0
	s_delay_alu instid0(VALU_DEP_1)
	v_add_co_ci_u32_e64 v5, s3, s13, v1, s3
	s_and_saveexec_b32 s3, s4
	s_cbranch_execz .LBB820_2
; %bb.1:
	global_load_u16 v10, v[6:7], off
	global_load_u16 v12, v[4:5], off
	s_waitcnt vmcnt(1)
	v_cvt_f32_f16_e32 v11, v10
	s_waitcnt vmcnt(0)
	v_cvt_f32_f16_e32 v12, v12
.LBB820_2:
	s_or_b32 exec_lo, exec_lo, s3
	v_cmp_lt_i32_e64 s3, 1, v9
	v_mov_b32_e32 v10, 0
	s_mov_b32 s7, 0
	s_delay_alu instid0(VALU_DEP_2) | instskip(NEXT) | instid1(SALU_CYCLE_1)
	s_and_b32 s3, vcc_lo, s3
	s_and_saveexec_b32 s4, s3
	s_cbranch_execz .LBB820_4
; %bb.3:
	s_lshl_b64 s[10:11], s[6:7], 1
	s_delay_alu instid0(SALU_CYCLE_1) | instskip(NEXT) | instid1(VALU_DEP_1)
	v_add_co_u32 v6, s3, v6, s10
	v_add_co_ci_u32_e64 v7, s3, s11, v7, s3
	v_add_co_u32 v4, s3, v4, s10
	s_delay_alu instid0(VALU_DEP_1)
	v_add_co_ci_u32_e64 v5, s3, s11, v5, s3
	global_load_u16 v6, v[6:7], off
	global_load_u16 v4, v[4:5], off
	s_waitcnt vmcnt(1)
	v_cvt_f32_f16_e32 v8, v6
	s_waitcnt vmcnt(0)
	v_cvt_f32_f16_e32 v10, v4
.LBB820_4:
	s_or_b32 exec_lo, exec_lo, s4
	s_load_b64 s[0:1], s[0:1], 0x28
	v_add_f32_e32 v7, 0, v11
	s_waitcnt lgkmcnt(0)
	v_add_co_u32 v2, s0, s0, v2
	s_delay_alu instid0(VALU_DEP_1) | instskip(SKIP_1) | instid1(VALU_DEP_2)
	v_add_co_ci_u32_e64 v3, s0, s1, v3, s0
	s_ashr_i32 s1, s6, 31
	v_add_co_u32 v4, s0, v2, s6
	s_delay_alu instid0(VALU_DEP_1) | instskip(SKIP_4) | instid1(VALU_DEP_1)
	v_add_co_ci_u32_e64 v5, s0, s1, v3, s0
	s_clause 0x1
	global_load_u8 v2, v[2:3], off
	global_load_u8 v3, v[4:5], off
	v_mbcnt_lo_u32_b32 v4, -1, 0
	v_xor_b32_e32 v6, 8, v4
	s_waitcnt vmcnt(1)
	v_and_b32_e32 v2, 1, v2
	s_waitcnt vmcnt(0)
	v_and_b32_e32 v3, 1, v3
	s_delay_alu instid0(VALU_DEP_2) | instskip(NEXT) | instid1(VALU_DEP_1)
	v_cmp_eq_u32_e64 s1, 1, v2
	v_cndmask_b32_e64 v2, v7, 0, s1
	v_and_b32_e32 v5, 16, v4
	s_delay_alu instid0(VALU_DEP_1) | instskip(NEXT) | instid1(VALU_DEP_1)
	v_add_nc_u32_e32 v5, 16, v5
	v_cmp_lt_i32_e64 s0, v6, v5
	s_delay_alu instid0(VALU_DEP_1) | instskip(SKIP_2) | instid1(VALU_DEP_3)
	v_cndmask_b32_e64 v6, v4, v6, s0
	v_add_f32_e32 v13, 0, v8
	v_cmp_eq_u32_e64 s0, 1, v3
	v_lshlrev_b32_e32 v6, 2, v6
	s_delay_alu instid0(VALU_DEP_2) | instskip(SKIP_4) | instid1(VALU_DEP_1)
	v_cndmask_b32_e64 v3, v13, 0, s0
	v_xor_b32_e32 v13, 4, v4
	ds_bpermute_b32 v7, v6, v2
	ds_bpermute_b32 v6, v6, v3
	v_cmp_lt_i32_e64 s3, v13, v5
	v_cndmask_b32_e64 v13, v4, v13, s3
	s_waitcnt lgkmcnt(1)
	s_delay_alu instid0(VALU_DEP_1)
	v_dual_add_f32 v2, v2, v7 :: v_dual_lshlrev_b32 v7, 2, v13
	s_waitcnt lgkmcnt(0)
	v_add_f32_e32 v3, v3, v6
	v_xor_b32_e32 v13, 2, v4
	ds_bpermute_b32 v6, v7, v2
	s_waitcnt lgkmcnt(0)
	v_add_f32_e32 v2, v2, v6
	v_cmp_lt_i32_e64 s3, v13, v5
	s_delay_alu instid0(VALU_DEP_1) | instskip(NEXT) | instid1(VALU_DEP_1)
	v_cndmask_b32_e64 v13, v4, v13, s3
	v_lshlrev_b32_e32 v6, 2, v13
	ds_bpermute_b32 v7, v7, v3
	v_xor_b32_e32 v13, 1, v4
	s_delay_alu instid0(VALU_DEP_1) | instskip(NEXT) | instid1(VALU_DEP_1)
	v_cmp_lt_i32_e64 s3, v13, v5
	v_cndmask_b32_e64 v5, v4, v13, s3
	s_waitcnt lgkmcnt(0)
	v_add_f32_e32 v3, v3, v7
	ds_bpermute_b32 v7, v6, v2
	ds_bpermute_b32 v6, v6, v3
	s_waitcnt lgkmcnt(1)
	v_dual_add_f32 v4, v2, v7 :: v_dual_lshlrev_b32 v7, 2, v5
	s_waitcnt lgkmcnt(0)
	v_add_f32_e32 v2, v3, v6
	ds_bpermute_b32 v5, v7, v4
	ds_bpermute_b32 v3, v7, v2
	s_and_saveexec_b32 s3, s2
	s_cbranch_execz .LBB820_16
; %bb.5:
	v_add_co_u32 v0, s2, s8, v0
	s_delay_alu instid0(VALU_DEP_1)
	v_add_co_ci_u32_e64 v1, s2, s9, v1, s2
	s_and_saveexec_b32 s2, vcc_lo
	s_cbranch_execz .LBB820_10
; %bb.6:
	s_xor_b32 s1, s1, -1
	s_delay_alu instid0(SALU_CYCLE_1) | instskip(NEXT) | instid1(SALU_CYCLE_1)
	s_and_saveexec_b32 s3, s1
	s_xor_b32 s1, exec_lo, s3
	s_cbranch_execz .LBB820_8
; %bb.7:
	s_waitcnt lgkmcnt(1)
	v_add_f32_e32 v4, v4, v5
	s_delay_alu instid0(VALU_DEP_1)
	v_fma_mixlo_f16 v4, -v4, v12, v11
	global_store_b16 v[0:1], v4, off
.LBB820_8:
	s_and_not1_saveexec_b32 s1, s1
	s_cbranch_execz .LBB820_10
; %bb.9:
	v_mov_b32_e32 v4, 0
	global_store_b16 v[0:1], v4, off
.LBB820_10:
	s_or_b32 exec_lo, exec_lo, s2
	v_cmp_ne_u32_e64 s1, 1, v9
	s_delay_alu instid0(VALU_DEP_1)
	s_and_b32 exec_lo, exec_lo, s1
	s_cbranch_execz .LBB820_16
; %bb.11:
	s_and_b32 exec_lo, exec_lo, vcc_lo
	s_cbranch_execz .LBB820_16
; %bb.12:
	s_lshl_b64 s[2:3], s[6:7], 1
	s_xor_b32 s0, s0, -1
	v_add_co_u32 v0, vcc_lo, v0, s2
	v_add_co_ci_u32_e32 v1, vcc_lo, s3, v1, vcc_lo
	s_and_saveexec_b32 s1, s0
	s_delay_alu instid0(SALU_CYCLE_1)
	s_xor_b32 s0, exec_lo, s1
	s_cbranch_execz .LBB820_14
; %bb.13:
	s_waitcnt lgkmcnt(0)
	v_add_f32_e32 v2, v2, v3
	s_delay_alu instid0(VALU_DEP_1)
	v_fma_mixlo_f16 v2, -v2, v10, v8
	global_store_b16 v[0:1], v2, off
                                        ; implicit-def: $vgpr0_vgpr1
.LBB820_14:
	s_and_not1_saveexec_b32 s0, s0
	s_cbranch_execz .LBB820_16
; %bb.15:
	v_mov_b32_e32 v2, 0
	global_store_b16 v[0:1], v2, off
.LBB820_16:
	s_nop 0
	s_sendmsg sendmsg(MSG_DEALLOC_VGPRS)
	s_endpgm
	.section	.rodata,"a",@progbits
	.p2align	6, 0x0
	.amdhsa_kernel _ZN12_GLOBAL__N_121softmax_warp_backwardIN3c104HalfES2_fLi4ELb0ELb1ELi64EEEvPT0_PKT_S7_iiiPKb
		.amdhsa_group_segment_fixed_size 0
		.amdhsa_private_segment_fixed_size 0
		.amdhsa_kernarg_size 304
		.amdhsa_user_sgpr_count 15
		.amdhsa_user_sgpr_dispatch_ptr 0
		.amdhsa_user_sgpr_queue_ptr 0
		.amdhsa_user_sgpr_kernarg_segment_ptr 1
		.amdhsa_user_sgpr_dispatch_id 0
		.amdhsa_user_sgpr_private_segment_size 0
		.amdhsa_wavefront_size32 1
		.amdhsa_uses_dynamic_stack 0
		.amdhsa_enable_private_segment 0
		.amdhsa_system_sgpr_workgroup_id_x 1
		.amdhsa_system_sgpr_workgroup_id_y 0
		.amdhsa_system_sgpr_workgroup_id_z 0
		.amdhsa_system_sgpr_workgroup_info 0
		.amdhsa_system_vgpr_workitem_id 1
		.amdhsa_next_free_vgpr 14
		.amdhsa_next_free_sgpr 16
		.amdhsa_reserve_vcc 1
		.amdhsa_float_round_mode_32 0
		.amdhsa_float_round_mode_16_64 0
		.amdhsa_float_denorm_mode_32 3
		.amdhsa_float_denorm_mode_16_64 3
		.amdhsa_dx10_clamp 1
		.amdhsa_ieee_mode 1
		.amdhsa_fp16_overflow 0
		.amdhsa_workgroup_processor_mode 1
		.amdhsa_memory_ordered 1
		.amdhsa_forward_progress 0
		.amdhsa_shared_vgpr_count 0
		.amdhsa_exception_fp_ieee_invalid_op 0
		.amdhsa_exception_fp_denorm_src 0
		.amdhsa_exception_fp_ieee_div_zero 0
		.amdhsa_exception_fp_ieee_overflow 0
		.amdhsa_exception_fp_ieee_underflow 0
		.amdhsa_exception_fp_ieee_inexact 0
		.amdhsa_exception_int_div_zero 0
	.end_amdhsa_kernel
	.section	.text._ZN12_GLOBAL__N_121softmax_warp_backwardIN3c104HalfES2_fLi4ELb0ELb1ELi64EEEvPT0_PKT_S7_iiiPKb,"axG",@progbits,_ZN12_GLOBAL__N_121softmax_warp_backwardIN3c104HalfES2_fLi4ELb0ELb1ELi64EEEvPT0_PKT_S7_iiiPKb,comdat
.Lfunc_end820:
	.size	_ZN12_GLOBAL__N_121softmax_warp_backwardIN3c104HalfES2_fLi4ELb0ELb1ELi64EEEvPT0_PKT_S7_iiiPKb, .Lfunc_end820-_ZN12_GLOBAL__N_121softmax_warp_backwardIN3c104HalfES2_fLi4ELb0ELb1ELi64EEEvPT0_PKT_S7_iiiPKb
                                        ; -- End function
	.section	.AMDGPU.csdata,"",@progbits
; Kernel info:
; codeLenInByte = 948
; NumSgprs: 18
; NumVgprs: 14
; ScratchSize: 0
; MemoryBound: 0
; FloatMode: 240
; IeeeMode: 1
; LDSByteSize: 0 bytes/workgroup (compile time only)
; SGPRBlocks: 2
; VGPRBlocks: 1
; NumSGPRsForWavesPerEU: 18
; NumVGPRsForWavesPerEU: 14
; Occupancy: 16
; WaveLimiterHint : 0
; COMPUTE_PGM_RSRC2:SCRATCH_EN: 0
; COMPUTE_PGM_RSRC2:USER_SGPR: 15
; COMPUTE_PGM_RSRC2:TRAP_HANDLER: 0
; COMPUTE_PGM_RSRC2:TGID_X_EN: 1
; COMPUTE_PGM_RSRC2:TGID_Y_EN: 0
; COMPUTE_PGM_RSRC2:TGID_Z_EN: 0
; COMPUTE_PGM_RSRC2:TIDIG_COMP_CNT: 1
	.section	.text._ZN12_GLOBAL__N_121softmax_warp_backwardIN3c104HalfES2_fLi4ELb0ELb1ELi32EEEvPT0_PKT_S7_iiiPKb,"axG",@progbits,_ZN12_GLOBAL__N_121softmax_warp_backwardIN3c104HalfES2_fLi4ELb0ELb1ELi32EEEvPT0_PKT_S7_iiiPKb,comdat
	.globl	_ZN12_GLOBAL__N_121softmax_warp_backwardIN3c104HalfES2_fLi4ELb0ELb1ELi32EEEvPT0_PKT_S7_iiiPKb ; -- Begin function _ZN12_GLOBAL__N_121softmax_warp_backwardIN3c104HalfES2_fLi4ELb0ELb1ELi32EEEvPT0_PKT_S7_iiiPKb
	.p2align	8
	.type	_ZN12_GLOBAL__N_121softmax_warp_backwardIN3c104HalfES2_fLi4ELb0ELb1ELi32EEEvPT0_PKT_S7_iiiPKb,@function
_ZN12_GLOBAL__N_121softmax_warp_backwardIN3c104HalfES2_fLi4ELb0ELb1ELi32EEEvPT0_PKT_S7_iiiPKb: ; @_ZN12_GLOBAL__N_121softmax_warp_backwardIN3c104HalfES2_fLi4ELb0ELb1ELi32EEEvPT0_PKT_S7_iiiPKb
; %bb.0:
	s_clause 0x1
	s_load_b32 s2, s[0:1], 0x3c
	s_load_b128 s[4:7], s[0:1], 0x18
	v_bfe_u32 v1, v0, 10, 10
	v_dual_mov_b32 v11, 0 :: v_dual_and_b32 v4, 15, v0
	s_clause 0x1
	s_load_b128 s[8:11], s[0:1], 0x0
	s_load_b64 s[12:13], s[0:1], 0x10
	v_mov_b32_e32 v8, 0
	v_mov_b32_e32 v12, 0
	s_waitcnt lgkmcnt(0)
	s_lshr_b32 s2, s2, 16
	v_cmp_gt_i32_e32 vcc_lo, s6, v4
	s_mul_i32 s15, s15, s2
	s_delay_alu instid0(SALU_CYCLE_1) | instskip(NEXT) | instid1(VALU_DEP_1)
	v_add_lshl_u32 v0, s15, v1, 1
	v_mad_u64_u32 v[2:3], null, v0, s5, v[4:5]
	v_sub_nc_u32_e32 v9, s4, v0
	s_delay_alu instid0(VALU_DEP_1) | instskip(NEXT) | instid1(VALU_DEP_3)
	v_cmp_lt_i32_e64 s2, 0, v9
	v_ashrrev_i32_e32 v3, 31, v2
	s_delay_alu instid0(VALU_DEP_2) | instskip(NEXT) | instid1(VALU_DEP_1)
	s_and_b32 s4, vcc_lo, s2
	v_lshlrev_b64 v[0:1], 1, v[2:3]
	s_delay_alu instid0(VALU_DEP_1) | instskip(NEXT) | instid1(VALU_DEP_1)
	v_add_co_u32 v6, s3, s10, v0
	v_add_co_ci_u32_e64 v7, s3, s11, v1, s3
	v_add_co_u32 v4, s3, s12, v0
	s_delay_alu instid0(VALU_DEP_1)
	v_add_co_ci_u32_e64 v5, s3, s13, v1, s3
	s_and_saveexec_b32 s3, s4
	s_cbranch_execz .LBB821_2
; %bb.1:
	global_load_u16 v10, v[6:7], off
	global_load_u16 v12, v[4:5], off
	s_waitcnt vmcnt(1)
	v_cvt_f32_f16_e32 v11, v10
	s_waitcnt vmcnt(0)
	v_cvt_f32_f16_e32 v12, v12
.LBB821_2:
	s_or_b32 exec_lo, exec_lo, s3
	v_cmp_lt_i32_e64 s3, 1, v9
	v_mov_b32_e32 v10, 0
	s_mov_b32 s7, 0
	s_delay_alu instid0(VALU_DEP_2) | instskip(NEXT) | instid1(SALU_CYCLE_1)
	s_and_b32 s3, vcc_lo, s3
	s_and_saveexec_b32 s4, s3
	s_cbranch_execz .LBB821_4
; %bb.3:
	s_lshl_b64 s[10:11], s[6:7], 1
	s_delay_alu instid0(SALU_CYCLE_1) | instskip(NEXT) | instid1(VALU_DEP_1)
	v_add_co_u32 v6, s3, v6, s10
	v_add_co_ci_u32_e64 v7, s3, s11, v7, s3
	v_add_co_u32 v4, s3, v4, s10
	s_delay_alu instid0(VALU_DEP_1)
	v_add_co_ci_u32_e64 v5, s3, s11, v5, s3
	global_load_u16 v6, v[6:7], off
	global_load_u16 v4, v[4:5], off
	s_waitcnt vmcnt(1)
	v_cvt_f32_f16_e32 v8, v6
	s_waitcnt vmcnt(0)
	v_cvt_f32_f16_e32 v10, v4
.LBB821_4:
	s_or_b32 exec_lo, exec_lo, s4
	s_load_b64 s[0:1], s[0:1], 0x28
	v_add_f32_e32 v7, 0, v11
	s_waitcnt lgkmcnt(0)
	v_add_co_u32 v2, s0, s0, v2
	s_delay_alu instid0(VALU_DEP_1) | instskip(SKIP_1) | instid1(VALU_DEP_2)
	v_add_co_ci_u32_e64 v3, s0, s1, v3, s0
	s_ashr_i32 s1, s6, 31
	v_add_co_u32 v4, s0, v2, s6
	s_delay_alu instid0(VALU_DEP_1) | instskip(SKIP_4) | instid1(VALU_DEP_1)
	v_add_co_ci_u32_e64 v5, s0, s1, v3, s0
	s_clause 0x1
	global_load_u8 v2, v[2:3], off
	global_load_u8 v3, v[4:5], off
	v_mbcnt_lo_u32_b32 v4, -1, 0
	v_xor_b32_e32 v6, 8, v4
	s_waitcnt vmcnt(1)
	v_and_b32_e32 v2, 1, v2
	s_waitcnt vmcnt(0)
	v_and_b32_e32 v3, 1, v3
	s_delay_alu instid0(VALU_DEP_2) | instskip(NEXT) | instid1(VALU_DEP_1)
	v_cmp_eq_u32_e64 s1, 1, v2
	v_cndmask_b32_e64 v2, v7, 0, s1
	v_and_b32_e32 v5, 16, v4
	s_delay_alu instid0(VALU_DEP_1) | instskip(NEXT) | instid1(VALU_DEP_1)
	v_add_nc_u32_e32 v5, 16, v5
	v_cmp_lt_i32_e64 s0, v6, v5
	s_delay_alu instid0(VALU_DEP_1) | instskip(SKIP_2) | instid1(VALU_DEP_3)
	v_cndmask_b32_e64 v6, v4, v6, s0
	v_add_f32_e32 v13, 0, v8
	v_cmp_eq_u32_e64 s0, 1, v3
	v_lshlrev_b32_e32 v6, 2, v6
	s_delay_alu instid0(VALU_DEP_2) | instskip(SKIP_4) | instid1(VALU_DEP_1)
	v_cndmask_b32_e64 v3, v13, 0, s0
	v_xor_b32_e32 v13, 4, v4
	ds_bpermute_b32 v7, v6, v2
	ds_bpermute_b32 v6, v6, v3
	v_cmp_lt_i32_e64 s3, v13, v5
	v_cndmask_b32_e64 v13, v4, v13, s3
	s_waitcnt lgkmcnt(1)
	s_delay_alu instid0(VALU_DEP_1)
	v_dual_add_f32 v2, v2, v7 :: v_dual_lshlrev_b32 v7, 2, v13
	s_waitcnt lgkmcnt(0)
	v_add_f32_e32 v3, v3, v6
	v_xor_b32_e32 v13, 2, v4
	ds_bpermute_b32 v6, v7, v2
	s_waitcnt lgkmcnt(0)
	v_add_f32_e32 v2, v2, v6
	v_cmp_lt_i32_e64 s3, v13, v5
	s_delay_alu instid0(VALU_DEP_1) | instskip(NEXT) | instid1(VALU_DEP_1)
	v_cndmask_b32_e64 v13, v4, v13, s3
	v_lshlrev_b32_e32 v6, 2, v13
	ds_bpermute_b32 v7, v7, v3
	v_xor_b32_e32 v13, 1, v4
	s_delay_alu instid0(VALU_DEP_1) | instskip(NEXT) | instid1(VALU_DEP_1)
	v_cmp_lt_i32_e64 s3, v13, v5
	v_cndmask_b32_e64 v5, v4, v13, s3
	s_waitcnt lgkmcnt(0)
	v_add_f32_e32 v3, v3, v7
	ds_bpermute_b32 v7, v6, v2
	ds_bpermute_b32 v6, v6, v3
	s_waitcnt lgkmcnt(1)
	v_dual_add_f32 v4, v2, v7 :: v_dual_lshlrev_b32 v7, 2, v5
	s_waitcnt lgkmcnt(0)
	v_add_f32_e32 v2, v3, v6
	ds_bpermute_b32 v5, v7, v4
	ds_bpermute_b32 v3, v7, v2
	s_and_saveexec_b32 s3, s2
	s_cbranch_execz .LBB821_16
; %bb.5:
	v_add_co_u32 v0, s2, s8, v0
	s_delay_alu instid0(VALU_DEP_1)
	v_add_co_ci_u32_e64 v1, s2, s9, v1, s2
	s_and_saveexec_b32 s2, vcc_lo
	s_cbranch_execz .LBB821_10
; %bb.6:
	s_xor_b32 s1, s1, -1
	s_delay_alu instid0(SALU_CYCLE_1) | instskip(NEXT) | instid1(SALU_CYCLE_1)
	s_and_saveexec_b32 s3, s1
	s_xor_b32 s1, exec_lo, s3
	s_cbranch_execz .LBB821_8
; %bb.7:
	s_waitcnt lgkmcnt(1)
	v_add_f32_e32 v4, v4, v5
	s_delay_alu instid0(VALU_DEP_1)
	v_fma_mixlo_f16 v4, -v4, v12, v11
	global_store_b16 v[0:1], v4, off
.LBB821_8:
	s_and_not1_saveexec_b32 s1, s1
	s_cbranch_execz .LBB821_10
; %bb.9:
	v_mov_b32_e32 v4, 0
	global_store_b16 v[0:1], v4, off
.LBB821_10:
	s_or_b32 exec_lo, exec_lo, s2
	v_cmp_ne_u32_e64 s1, 1, v9
	s_delay_alu instid0(VALU_DEP_1)
	s_and_b32 exec_lo, exec_lo, s1
	s_cbranch_execz .LBB821_16
; %bb.11:
	s_and_b32 exec_lo, exec_lo, vcc_lo
	s_cbranch_execz .LBB821_16
; %bb.12:
	s_lshl_b64 s[2:3], s[6:7], 1
	s_xor_b32 s0, s0, -1
	v_add_co_u32 v0, vcc_lo, v0, s2
	v_add_co_ci_u32_e32 v1, vcc_lo, s3, v1, vcc_lo
	s_and_saveexec_b32 s1, s0
	s_delay_alu instid0(SALU_CYCLE_1)
	s_xor_b32 s0, exec_lo, s1
	s_cbranch_execz .LBB821_14
; %bb.13:
	s_waitcnt lgkmcnt(0)
	v_add_f32_e32 v2, v2, v3
	s_delay_alu instid0(VALU_DEP_1)
	v_fma_mixlo_f16 v2, -v2, v10, v8
	global_store_b16 v[0:1], v2, off
                                        ; implicit-def: $vgpr0_vgpr1
.LBB821_14:
	s_and_not1_saveexec_b32 s0, s0
	s_cbranch_execz .LBB821_16
; %bb.15:
	v_mov_b32_e32 v2, 0
	global_store_b16 v[0:1], v2, off
.LBB821_16:
	s_nop 0
	s_sendmsg sendmsg(MSG_DEALLOC_VGPRS)
	s_endpgm
	.section	.rodata,"a",@progbits
	.p2align	6, 0x0
	.amdhsa_kernel _ZN12_GLOBAL__N_121softmax_warp_backwardIN3c104HalfES2_fLi4ELb0ELb1ELi32EEEvPT0_PKT_S7_iiiPKb
		.amdhsa_group_segment_fixed_size 0
		.amdhsa_private_segment_fixed_size 0
		.amdhsa_kernarg_size 304
		.amdhsa_user_sgpr_count 15
		.amdhsa_user_sgpr_dispatch_ptr 0
		.amdhsa_user_sgpr_queue_ptr 0
		.amdhsa_user_sgpr_kernarg_segment_ptr 1
		.amdhsa_user_sgpr_dispatch_id 0
		.amdhsa_user_sgpr_private_segment_size 0
		.amdhsa_wavefront_size32 1
		.amdhsa_uses_dynamic_stack 0
		.amdhsa_enable_private_segment 0
		.amdhsa_system_sgpr_workgroup_id_x 1
		.amdhsa_system_sgpr_workgroup_id_y 0
		.amdhsa_system_sgpr_workgroup_id_z 0
		.amdhsa_system_sgpr_workgroup_info 0
		.amdhsa_system_vgpr_workitem_id 1
		.amdhsa_next_free_vgpr 14
		.amdhsa_next_free_sgpr 16
		.amdhsa_reserve_vcc 1
		.amdhsa_float_round_mode_32 0
		.amdhsa_float_round_mode_16_64 0
		.amdhsa_float_denorm_mode_32 3
		.amdhsa_float_denorm_mode_16_64 3
		.amdhsa_dx10_clamp 1
		.amdhsa_ieee_mode 1
		.amdhsa_fp16_overflow 0
		.amdhsa_workgroup_processor_mode 1
		.amdhsa_memory_ordered 1
		.amdhsa_forward_progress 0
		.amdhsa_shared_vgpr_count 0
		.amdhsa_exception_fp_ieee_invalid_op 0
		.amdhsa_exception_fp_denorm_src 0
		.amdhsa_exception_fp_ieee_div_zero 0
		.amdhsa_exception_fp_ieee_overflow 0
		.amdhsa_exception_fp_ieee_underflow 0
		.amdhsa_exception_fp_ieee_inexact 0
		.amdhsa_exception_int_div_zero 0
	.end_amdhsa_kernel
	.section	.text._ZN12_GLOBAL__N_121softmax_warp_backwardIN3c104HalfES2_fLi4ELb0ELb1ELi32EEEvPT0_PKT_S7_iiiPKb,"axG",@progbits,_ZN12_GLOBAL__N_121softmax_warp_backwardIN3c104HalfES2_fLi4ELb0ELb1ELi32EEEvPT0_PKT_S7_iiiPKb,comdat
.Lfunc_end821:
	.size	_ZN12_GLOBAL__N_121softmax_warp_backwardIN3c104HalfES2_fLi4ELb0ELb1ELi32EEEvPT0_PKT_S7_iiiPKb, .Lfunc_end821-_ZN12_GLOBAL__N_121softmax_warp_backwardIN3c104HalfES2_fLi4ELb0ELb1ELi32EEEvPT0_PKT_S7_iiiPKb
                                        ; -- End function
	.section	.AMDGPU.csdata,"",@progbits
; Kernel info:
; codeLenInByte = 948
; NumSgprs: 18
; NumVgprs: 14
; ScratchSize: 0
; MemoryBound: 0
; FloatMode: 240
; IeeeMode: 1
; LDSByteSize: 0 bytes/workgroup (compile time only)
; SGPRBlocks: 2
; VGPRBlocks: 1
; NumSGPRsForWavesPerEU: 18
; NumVGPRsForWavesPerEU: 14
; Occupancy: 16
; WaveLimiterHint : 0
; COMPUTE_PGM_RSRC2:SCRATCH_EN: 0
; COMPUTE_PGM_RSRC2:USER_SGPR: 15
; COMPUTE_PGM_RSRC2:TRAP_HANDLER: 0
; COMPUTE_PGM_RSRC2:TGID_X_EN: 1
; COMPUTE_PGM_RSRC2:TGID_Y_EN: 0
; COMPUTE_PGM_RSRC2:TGID_Z_EN: 0
; COMPUTE_PGM_RSRC2:TIDIG_COMP_CNT: 1
	.section	.text._ZN12_GLOBAL__N_121softmax_warp_backwardIN3c104HalfES2_fLi5ELb0ELb1ELi64EEEvPT0_PKT_S7_iiiPKb,"axG",@progbits,_ZN12_GLOBAL__N_121softmax_warp_backwardIN3c104HalfES2_fLi5ELb0ELb1ELi64EEEvPT0_PKT_S7_iiiPKb,comdat
	.globl	_ZN12_GLOBAL__N_121softmax_warp_backwardIN3c104HalfES2_fLi5ELb0ELb1ELi64EEEvPT0_PKT_S7_iiiPKb ; -- Begin function _ZN12_GLOBAL__N_121softmax_warp_backwardIN3c104HalfES2_fLi5ELb0ELb1ELi64EEEvPT0_PKT_S7_iiiPKb
	.p2align	8
	.type	_ZN12_GLOBAL__N_121softmax_warp_backwardIN3c104HalfES2_fLi5ELb0ELb1ELi64EEEvPT0_PKT_S7_iiiPKb,@function
_ZN12_GLOBAL__N_121softmax_warp_backwardIN3c104HalfES2_fLi5ELb0ELb1ELi64EEEvPT0_PKT_S7_iiiPKb: ; @_ZN12_GLOBAL__N_121softmax_warp_backwardIN3c104HalfES2_fLi5ELb0ELb1ELi64EEEvPT0_PKT_S7_iiiPKb
; %bb.0:
	s_clause 0x1
	s_load_b32 s2, s[0:1], 0x3c
	s_load_b128 s[4:7], s[0:1], 0x18
	v_bfe_u32 v1, v0, 10, 10
	v_dual_mov_b32 v11, 0 :: v_dual_and_b32 v4, 31, v0
	s_clause 0x1
	s_load_b128 s[8:11], s[0:1], 0x0
	s_load_b64 s[12:13], s[0:1], 0x10
	v_mov_b32_e32 v8, 0
	v_mov_b32_e32 v12, 0
	s_waitcnt lgkmcnt(0)
	s_lshr_b32 s2, s2, 16
	v_cmp_gt_i32_e32 vcc_lo, s6, v4
	s_mul_i32 s15, s15, s2
	s_delay_alu instid0(SALU_CYCLE_1) | instskip(NEXT) | instid1(VALU_DEP_1)
	v_add_lshl_u32 v0, s15, v1, 1
	v_mad_u64_u32 v[2:3], null, v0, s5, v[4:5]
	v_sub_nc_u32_e32 v9, s4, v0
	s_delay_alu instid0(VALU_DEP_1) | instskip(NEXT) | instid1(VALU_DEP_3)
	v_cmp_lt_i32_e64 s2, 0, v9
	v_ashrrev_i32_e32 v3, 31, v2
	s_delay_alu instid0(VALU_DEP_2) | instskip(NEXT) | instid1(VALU_DEP_1)
	s_and_b32 s4, vcc_lo, s2
	v_lshlrev_b64 v[0:1], 1, v[2:3]
	s_delay_alu instid0(VALU_DEP_1) | instskip(NEXT) | instid1(VALU_DEP_1)
	v_add_co_u32 v6, s3, s10, v0
	v_add_co_ci_u32_e64 v7, s3, s11, v1, s3
	v_add_co_u32 v4, s3, s12, v0
	s_delay_alu instid0(VALU_DEP_1)
	v_add_co_ci_u32_e64 v5, s3, s13, v1, s3
	s_and_saveexec_b32 s3, s4
	s_cbranch_execz .LBB822_2
; %bb.1:
	global_load_u16 v10, v[6:7], off
	global_load_u16 v12, v[4:5], off
	s_waitcnt vmcnt(1)
	v_cvt_f32_f16_e32 v11, v10
	s_waitcnt vmcnt(0)
	v_cvt_f32_f16_e32 v12, v12
.LBB822_2:
	s_or_b32 exec_lo, exec_lo, s3
	v_cmp_lt_i32_e64 s3, 1, v9
	v_mov_b32_e32 v10, 0
	s_mov_b32 s7, 0
	s_delay_alu instid0(VALU_DEP_2) | instskip(NEXT) | instid1(SALU_CYCLE_1)
	s_and_b32 s3, vcc_lo, s3
	s_and_saveexec_b32 s4, s3
	s_cbranch_execz .LBB822_4
; %bb.3:
	s_lshl_b64 s[10:11], s[6:7], 1
	s_delay_alu instid0(SALU_CYCLE_1) | instskip(NEXT) | instid1(VALU_DEP_1)
	v_add_co_u32 v6, s3, v6, s10
	v_add_co_ci_u32_e64 v7, s3, s11, v7, s3
	v_add_co_u32 v4, s3, v4, s10
	s_delay_alu instid0(VALU_DEP_1)
	v_add_co_ci_u32_e64 v5, s3, s11, v5, s3
	global_load_u16 v6, v[6:7], off
	global_load_u16 v4, v[4:5], off
	s_waitcnt vmcnt(1)
	v_cvt_f32_f16_e32 v8, v6
	s_waitcnt vmcnt(0)
	v_cvt_f32_f16_e32 v10, v4
.LBB822_4:
	s_or_b32 exec_lo, exec_lo, s4
	s_load_b64 s[0:1], s[0:1], 0x28
	v_add_f32_e32 v7, 0, v8
	s_waitcnt lgkmcnt(0)
	v_add_co_u32 v2, s0, s0, v2
	s_delay_alu instid0(VALU_DEP_1) | instskip(SKIP_1) | instid1(VALU_DEP_2)
	v_add_co_ci_u32_e64 v3, s0, s1, v3, s0
	s_ashr_i32 s1, s6, 31
	v_add_co_u32 v4, s0, v2, s6
	s_delay_alu instid0(VALU_DEP_1) | instskip(SKIP_4) | instid1(VALU_DEP_1)
	v_add_co_ci_u32_e64 v5, s0, s1, v3, s0
	s_clause 0x1
	global_load_u8 v2, v[2:3], off
	global_load_u8 v3, v[4:5], off
	v_mbcnt_lo_u32_b32 v4, -1, 0
	v_xor_b32_e32 v5, 16, v4
	s_delay_alu instid0(VALU_DEP_1) | instskip(NEXT) | instid1(VALU_DEP_1)
	v_cmp_gt_i32_e64 s0, 32, v5
	v_cndmask_b32_e64 v5, v4, v5, s0
	s_delay_alu instid0(VALU_DEP_1) | instskip(SKIP_2) | instid1(VALU_DEP_1)
	v_dual_add_f32 v6, 0, v11 :: v_dual_lshlrev_b32 v5, 2, v5
	s_waitcnt vmcnt(1)
	v_and_b32_e32 v2, 1, v2
	v_cmp_eq_u32_e64 s1, 1, v2
	s_delay_alu instid0(VALU_DEP_1) | instskip(SKIP_3) | instid1(VALU_DEP_1)
	v_cndmask_b32_e64 v2, v6, 0, s1
	ds_bpermute_b32 v6, v5, v2
	s_waitcnt vmcnt(0) lgkmcnt(0)
	v_dual_add_f32 v2, v2, v6 :: v_dual_and_b32 v3, 1, v3
	v_cmp_eq_u32_e64 s0, 1, v3
	s_delay_alu instid0(VALU_DEP_1) | instskip(SKIP_3) | instid1(VALU_DEP_1)
	v_cndmask_b32_e64 v3, v7, 0, s0
	v_xor_b32_e32 v7, 8, v4
	ds_bpermute_b32 v5, v5, v3
	v_cmp_gt_i32_e64 s3, 32, v7
	v_cndmask_b32_e64 v7, v4, v7, s3
	s_delay_alu instid0(VALU_DEP_1) | instskip(SKIP_1) | instid1(VALU_DEP_1)
	v_lshlrev_b32_e32 v6, 2, v7
	v_xor_b32_e32 v7, 4, v4
	v_cmp_gt_i32_e64 s3, 32, v7
	s_waitcnt lgkmcnt(0)
	v_add_f32_e32 v3, v3, v5
	ds_bpermute_b32 v5, v6, v2
	v_cndmask_b32_e64 v7, v4, v7, s3
	ds_bpermute_b32 v6, v6, v3
	s_waitcnt lgkmcnt(1)
	v_dual_add_f32 v2, v2, v5 :: v_dual_lshlrev_b32 v5, 2, v7
	v_xor_b32_e32 v7, 2, v4
	s_delay_alu instid0(VALU_DEP_1) | instskip(NEXT) | instid1(VALU_DEP_1)
	v_cmp_gt_i32_e64 s3, 32, v7
	v_cndmask_b32_e64 v7, v4, v7, s3
	s_waitcnt lgkmcnt(0)
	v_add_f32_e32 v3, v3, v6
	ds_bpermute_b32 v6, v5, v2
	s_waitcnt lgkmcnt(0)
	v_add_f32_e32 v2, v2, v6
	v_lshlrev_b32_e32 v6, 2, v7
	ds_bpermute_b32 v5, v5, v3
	v_xor_b32_e32 v7, 1, v4
	s_delay_alu instid0(VALU_DEP_1) | instskip(NEXT) | instid1(VALU_DEP_1)
	v_cmp_gt_i32_e64 s3, 32, v7
	v_cndmask_b32_e64 v7, v4, v7, s3
	s_delay_alu instid0(VALU_DEP_1)
	v_lshlrev_b32_e32 v7, 2, v7
	s_waitcnt lgkmcnt(0)
	v_add_f32_e32 v3, v3, v5
	ds_bpermute_b32 v5, v6, v2
	ds_bpermute_b32 v6, v6, v3
	s_waitcnt lgkmcnt(1)
	v_add_f32_e32 v4, v2, v5
	s_waitcnt lgkmcnt(0)
	v_add_f32_e32 v2, v3, v6
	ds_bpermute_b32 v5, v7, v4
	ds_bpermute_b32 v3, v7, v2
	s_and_saveexec_b32 s3, s2
	s_cbranch_execz .LBB822_16
; %bb.5:
	v_add_co_u32 v0, s2, s8, v0
	s_delay_alu instid0(VALU_DEP_1)
	v_add_co_ci_u32_e64 v1, s2, s9, v1, s2
	s_and_saveexec_b32 s2, vcc_lo
	s_cbranch_execz .LBB822_10
; %bb.6:
	s_xor_b32 s1, s1, -1
	s_delay_alu instid0(SALU_CYCLE_1) | instskip(NEXT) | instid1(SALU_CYCLE_1)
	s_and_saveexec_b32 s3, s1
	s_xor_b32 s1, exec_lo, s3
	s_cbranch_execz .LBB822_8
; %bb.7:
	s_waitcnt lgkmcnt(1)
	v_add_f32_e32 v4, v4, v5
	s_delay_alu instid0(VALU_DEP_1)
	v_fma_mixlo_f16 v4, -v4, v12, v11
	global_store_b16 v[0:1], v4, off
.LBB822_8:
	s_and_not1_saveexec_b32 s1, s1
	s_cbranch_execz .LBB822_10
; %bb.9:
	v_mov_b32_e32 v4, 0
	global_store_b16 v[0:1], v4, off
.LBB822_10:
	s_or_b32 exec_lo, exec_lo, s2
	v_cmp_ne_u32_e64 s1, 1, v9
	s_delay_alu instid0(VALU_DEP_1)
	s_and_b32 exec_lo, exec_lo, s1
	s_cbranch_execz .LBB822_16
; %bb.11:
	s_and_b32 exec_lo, exec_lo, vcc_lo
	s_cbranch_execz .LBB822_16
; %bb.12:
	s_lshl_b64 s[2:3], s[6:7], 1
	s_xor_b32 s0, s0, -1
	v_add_co_u32 v0, vcc_lo, v0, s2
	v_add_co_ci_u32_e32 v1, vcc_lo, s3, v1, vcc_lo
	s_and_saveexec_b32 s1, s0
	s_delay_alu instid0(SALU_CYCLE_1)
	s_xor_b32 s0, exec_lo, s1
	s_cbranch_execz .LBB822_14
; %bb.13:
	s_waitcnt lgkmcnt(0)
	v_add_f32_e32 v2, v2, v3
	s_delay_alu instid0(VALU_DEP_1)
	v_fma_mixlo_f16 v2, -v2, v10, v8
	global_store_b16 v[0:1], v2, off
                                        ; implicit-def: $vgpr0_vgpr1
.LBB822_14:
	s_and_not1_saveexec_b32 s0, s0
	s_cbranch_execz .LBB822_16
; %bb.15:
	v_mov_b32_e32 v2, 0
	global_store_b16 v[0:1], v2, off
.LBB822_16:
	s_nop 0
	s_sendmsg sendmsg(MSG_DEALLOC_VGPRS)
	s_endpgm
	.section	.rodata,"a",@progbits
	.p2align	6, 0x0
	.amdhsa_kernel _ZN12_GLOBAL__N_121softmax_warp_backwardIN3c104HalfES2_fLi5ELb0ELb1ELi64EEEvPT0_PKT_S7_iiiPKb
		.amdhsa_group_segment_fixed_size 0
		.amdhsa_private_segment_fixed_size 0
		.amdhsa_kernarg_size 304
		.amdhsa_user_sgpr_count 15
		.amdhsa_user_sgpr_dispatch_ptr 0
		.amdhsa_user_sgpr_queue_ptr 0
		.amdhsa_user_sgpr_kernarg_segment_ptr 1
		.amdhsa_user_sgpr_dispatch_id 0
		.amdhsa_user_sgpr_private_segment_size 0
		.amdhsa_wavefront_size32 1
		.amdhsa_uses_dynamic_stack 0
		.amdhsa_enable_private_segment 0
		.amdhsa_system_sgpr_workgroup_id_x 1
		.amdhsa_system_sgpr_workgroup_id_y 0
		.amdhsa_system_sgpr_workgroup_id_z 0
		.amdhsa_system_sgpr_workgroup_info 0
		.amdhsa_system_vgpr_workitem_id 1
		.amdhsa_next_free_vgpr 13
		.amdhsa_next_free_sgpr 16
		.amdhsa_reserve_vcc 1
		.amdhsa_float_round_mode_32 0
		.amdhsa_float_round_mode_16_64 0
		.amdhsa_float_denorm_mode_32 3
		.amdhsa_float_denorm_mode_16_64 3
		.amdhsa_dx10_clamp 1
		.amdhsa_ieee_mode 1
		.amdhsa_fp16_overflow 0
		.amdhsa_workgroup_processor_mode 1
		.amdhsa_memory_ordered 1
		.amdhsa_forward_progress 0
		.amdhsa_shared_vgpr_count 0
		.amdhsa_exception_fp_ieee_invalid_op 0
		.amdhsa_exception_fp_denorm_src 0
		.amdhsa_exception_fp_ieee_div_zero 0
		.amdhsa_exception_fp_ieee_overflow 0
		.amdhsa_exception_fp_ieee_underflow 0
		.amdhsa_exception_fp_ieee_inexact 0
		.amdhsa_exception_int_div_zero 0
	.end_amdhsa_kernel
	.section	.text._ZN12_GLOBAL__N_121softmax_warp_backwardIN3c104HalfES2_fLi5ELb0ELb1ELi64EEEvPT0_PKT_S7_iiiPKb,"axG",@progbits,_ZN12_GLOBAL__N_121softmax_warp_backwardIN3c104HalfES2_fLi5ELb0ELb1ELi64EEEvPT0_PKT_S7_iiiPKb,comdat
.Lfunc_end822:
	.size	_ZN12_GLOBAL__N_121softmax_warp_backwardIN3c104HalfES2_fLi5ELb0ELb1ELi64EEEvPT0_PKT_S7_iiiPKb, .Lfunc_end822-_ZN12_GLOBAL__N_121softmax_warp_backwardIN3c104HalfES2_fLi5ELb0ELb1ELi64EEEvPT0_PKT_S7_iiiPKb
                                        ; -- End function
	.section	.AMDGPU.csdata,"",@progbits
; Kernel info:
; codeLenInByte = 996
; NumSgprs: 18
; NumVgprs: 13
; ScratchSize: 0
; MemoryBound: 0
; FloatMode: 240
; IeeeMode: 1
; LDSByteSize: 0 bytes/workgroup (compile time only)
; SGPRBlocks: 2
; VGPRBlocks: 1
; NumSGPRsForWavesPerEU: 18
; NumVGPRsForWavesPerEU: 13
; Occupancy: 16
; WaveLimiterHint : 0
; COMPUTE_PGM_RSRC2:SCRATCH_EN: 0
; COMPUTE_PGM_RSRC2:USER_SGPR: 15
; COMPUTE_PGM_RSRC2:TRAP_HANDLER: 0
; COMPUTE_PGM_RSRC2:TGID_X_EN: 1
; COMPUTE_PGM_RSRC2:TGID_Y_EN: 0
; COMPUTE_PGM_RSRC2:TGID_Z_EN: 0
; COMPUTE_PGM_RSRC2:TIDIG_COMP_CNT: 1
	.section	.text._ZN12_GLOBAL__N_121softmax_warp_backwardIN3c104HalfES2_fLi5ELb0ELb1ELi32EEEvPT0_PKT_S7_iiiPKb,"axG",@progbits,_ZN12_GLOBAL__N_121softmax_warp_backwardIN3c104HalfES2_fLi5ELb0ELb1ELi32EEEvPT0_PKT_S7_iiiPKb,comdat
	.globl	_ZN12_GLOBAL__N_121softmax_warp_backwardIN3c104HalfES2_fLi5ELb0ELb1ELi32EEEvPT0_PKT_S7_iiiPKb ; -- Begin function _ZN12_GLOBAL__N_121softmax_warp_backwardIN3c104HalfES2_fLi5ELb0ELb1ELi32EEEvPT0_PKT_S7_iiiPKb
	.p2align	8
	.type	_ZN12_GLOBAL__N_121softmax_warp_backwardIN3c104HalfES2_fLi5ELb0ELb1ELi32EEEvPT0_PKT_S7_iiiPKb,@function
_ZN12_GLOBAL__N_121softmax_warp_backwardIN3c104HalfES2_fLi5ELb0ELb1ELi32EEEvPT0_PKT_S7_iiiPKb: ; @_ZN12_GLOBAL__N_121softmax_warp_backwardIN3c104HalfES2_fLi5ELb0ELb1ELi32EEEvPT0_PKT_S7_iiiPKb
; %bb.0:
	s_clause 0x1
	s_load_b32 s2, s[0:1], 0x3c
	s_load_b128 s[4:7], s[0:1], 0x18
	v_bfe_u32 v1, v0, 10, 10
	v_dual_mov_b32 v11, 0 :: v_dual_and_b32 v4, 31, v0
	s_clause 0x1
	s_load_b128 s[8:11], s[0:1], 0x0
	s_load_b64 s[12:13], s[0:1], 0x10
	v_mov_b32_e32 v8, 0
	v_mov_b32_e32 v12, 0
	s_waitcnt lgkmcnt(0)
	s_lshr_b32 s2, s2, 16
	v_cmp_gt_i32_e32 vcc_lo, s6, v4
	s_mul_i32 s15, s15, s2
	s_delay_alu instid0(SALU_CYCLE_1) | instskip(NEXT) | instid1(VALU_DEP_1)
	v_add_lshl_u32 v0, s15, v1, 1
	v_mad_u64_u32 v[2:3], null, v0, s5, v[4:5]
	v_sub_nc_u32_e32 v9, s4, v0
	s_delay_alu instid0(VALU_DEP_1) | instskip(NEXT) | instid1(VALU_DEP_3)
	v_cmp_lt_i32_e64 s2, 0, v9
	v_ashrrev_i32_e32 v3, 31, v2
	s_delay_alu instid0(VALU_DEP_2) | instskip(NEXT) | instid1(VALU_DEP_1)
	s_and_b32 s4, vcc_lo, s2
	v_lshlrev_b64 v[0:1], 1, v[2:3]
	s_delay_alu instid0(VALU_DEP_1) | instskip(NEXT) | instid1(VALU_DEP_1)
	v_add_co_u32 v6, s3, s10, v0
	v_add_co_ci_u32_e64 v7, s3, s11, v1, s3
	v_add_co_u32 v4, s3, s12, v0
	s_delay_alu instid0(VALU_DEP_1)
	v_add_co_ci_u32_e64 v5, s3, s13, v1, s3
	s_and_saveexec_b32 s3, s4
	s_cbranch_execz .LBB823_2
; %bb.1:
	global_load_u16 v10, v[6:7], off
	global_load_u16 v12, v[4:5], off
	s_waitcnt vmcnt(1)
	v_cvt_f32_f16_e32 v11, v10
	s_waitcnt vmcnt(0)
	v_cvt_f32_f16_e32 v12, v12
.LBB823_2:
	s_or_b32 exec_lo, exec_lo, s3
	v_cmp_lt_i32_e64 s3, 1, v9
	v_mov_b32_e32 v10, 0
	s_mov_b32 s7, 0
	s_delay_alu instid0(VALU_DEP_2) | instskip(NEXT) | instid1(SALU_CYCLE_1)
	s_and_b32 s3, vcc_lo, s3
	s_and_saveexec_b32 s4, s3
	s_cbranch_execz .LBB823_4
; %bb.3:
	s_lshl_b64 s[10:11], s[6:7], 1
	s_delay_alu instid0(SALU_CYCLE_1) | instskip(NEXT) | instid1(VALU_DEP_1)
	v_add_co_u32 v6, s3, v6, s10
	v_add_co_ci_u32_e64 v7, s3, s11, v7, s3
	v_add_co_u32 v4, s3, v4, s10
	s_delay_alu instid0(VALU_DEP_1)
	v_add_co_ci_u32_e64 v5, s3, s11, v5, s3
	global_load_u16 v6, v[6:7], off
	global_load_u16 v4, v[4:5], off
	s_waitcnt vmcnt(1)
	v_cvt_f32_f16_e32 v8, v6
	s_waitcnt vmcnt(0)
	v_cvt_f32_f16_e32 v10, v4
.LBB823_4:
	s_or_b32 exec_lo, exec_lo, s4
	s_load_b64 s[0:1], s[0:1], 0x28
	v_add_f32_e32 v7, 0, v8
	s_waitcnt lgkmcnt(0)
	v_add_co_u32 v2, s0, s0, v2
	s_delay_alu instid0(VALU_DEP_1) | instskip(SKIP_1) | instid1(VALU_DEP_2)
	v_add_co_ci_u32_e64 v3, s0, s1, v3, s0
	s_ashr_i32 s1, s6, 31
	v_add_co_u32 v4, s0, v2, s6
	s_delay_alu instid0(VALU_DEP_1) | instskip(SKIP_4) | instid1(VALU_DEP_1)
	v_add_co_ci_u32_e64 v5, s0, s1, v3, s0
	s_clause 0x1
	global_load_u8 v2, v[2:3], off
	global_load_u8 v3, v[4:5], off
	v_mbcnt_lo_u32_b32 v4, -1, 0
	v_xor_b32_e32 v5, 16, v4
	s_delay_alu instid0(VALU_DEP_1) | instskip(NEXT) | instid1(VALU_DEP_1)
	v_cmp_gt_i32_e64 s0, 32, v5
	v_cndmask_b32_e64 v5, v4, v5, s0
	s_delay_alu instid0(VALU_DEP_1) | instskip(SKIP_2) | instid1(VALU_DEP_1)
	v_dual_add_f32 v6, 0, v11 :: v_dual_lshlrev_b32 v5, 2, v5
	s_waitcnt vmcnt(1)
	v_and_b32_e32 v2, 1, v2
	v_cmp_eq_u32_e64 s1, 1, v2
	s_delay_alu instid0(VALU_DEP_1) | instskip(SKIP_3) | instid1(VALU_DEP_1)
	v_cndmask_b32_e64 v2, v6, 0, s1
	ds_bpermute_b32 v6, v5, v2
	s_waitcnt vmcnt(0) lgkmcnt(0)
	v_dual_add_f32 v2, v2, v6 :: v_dual_and_b32 v3, 1, v3
	v_cmp_eq_u32_e64 s0, 1, v3
	s_delay_alu instid0(VALU_DEP_1) | instskip(SKIP_3) | instid1(VALU_DEP_1)
	v_cndmask_b32_e64 v3, v7, 0, s0
	v_xor_b32_e32 v7, 8, v4
	ds_bpermute_b32 v5, v5, v3
	v_cmp_gt_i32_e64 s3, 32, v7
	v_cndmask_b32_e64 v7, v4, v7, s3
	s_delay_alu instid0(VALU_DEP_1) | instskip(SKIP_1) | instid1(VALU_DEP_1)
	v_lshlrev_b32_e32 v6, 2, v7
	v_xor_b32_e32 v7, 4, v4
	v_cmp_gt_i32_e64 s3, 32, v7
	s_waitcnt lgkmcnt(0)
	v_add_f32_e32 v3, v3, v5
	ds_bpermute_b32 v5, v6, v2
	v_cndmask_b32_e64 v7, v4, v7, s3
	ds_bpermute_b32 v6, v6, v3
	s_waitcnt lgkmcnt(1)
	v_dual_add_f32 v2, v2, v5 :: v_dual_lshlrev_b32 v5, 2, v7
	v_xor_b32_e32 v7, 2, v4
	s_delay_alu instid0(VALU_DEP_1) | instskip(NEXT) | instid1(VALU_DEP_1)
	v_cmp_gt_i32_e64 s3, 32, v7
	v_cndmask_b32_e64 v7, v4, v7, s3
	s_waitcnt lgkmcnt(0)
	v_add_f32_e32 v3, v3, v6
	ds_bpermute_b32 v6, v5, v2
	s_waitcnt lgkmcnt(0)
	v_add_f32_e32 v2, v2, v6
	v_lshlrev_b32_e32 v6, 2, v7
	ds_bpermute_b32 v5, v5, v3
	v_xor_b32_e32 v7, 1, v4
	s_delay_alu instid0(VALU_DEP_1) | instskip(NEXT) | instid1(VALU_DEP_1)
	v_cmp_gt_i32_e64 s3, 32, v7
	v_cndmask_b32_e64 v7, v4, v7, s3
	s_delay_alu instid0(VALU_DEP_1)
	v_lshlrev_b32_e32 v7, 2, v7
	s_waitcnt lgkmcnt(0)
	v_add_f32_e32 v3, v3, v5
	ds_bpermute_b32 v5, v6, v2
	ds_bpermute_b32 v6, v6, v3
	s_waitcnt lgkmcnt(1)
	v_add_f32_e32 v4, v2, v5
	s_waitcnt lgkmcnt(0)
	v_add_f32_e32 v2, v3, v6
	ds_bpermute_b32 v5, v7, v4
	ds_bpermute_b32 v3, v7, v2
	s_and_saveexec_b32 s3, s2
	s_cbranch_execz .LBB823_16
; %bb.5:
	v_add_co_u32 v0, s2, s8, v0
	s_delay_alu instid0(VALU_DEP_1)
	v_add_co_ci_u32_e64 v1, s2, s9, v1, s2
	s_and_saveexec_b32 s2, vcc_lo
	s_cbranch_execz .LBB823_10
; %bb.6:
	s_xor_b32 s1, s1, -1
	s_delay_alu instid0(SALU_CYCLE_1) | instskip(NEXT) | instid1(SALU_CYCLE_1)
	s_and_saveexec_b32 s3, s1
	s_xor_b32 s1, exec_lo, s3
	s_cbranch_execz .LBB823_8
; %bb.7:
	s_waitcnt lgkmcnt(1)
	v_add_f32_e32 v4, v4, v5
	s_delay_alu instid0(VALU_DEP_1)
	v_fma_mixlo_f16 v4, -v4, v12, v11
	global_store_b16 v[0:1], v4, off
.LBB823_8:
	s_and_not1_saveexec_b32 s1, s1
	s_cbranch_execz .LBB823_10
; %bb.9:
	v_mov_b32_e32 v4, 0
	global_store_b16 v[0:1], v4, off
.LBB823_10:
	s_or_b32 exec_lo, exec_lo, s2
	v_cmp_ne_u32_e64 s1, 1, v9
	s_delay_alu instid0(VALU_DEP_1)
	s_and_b32 exec_lo, exec_lo, s1
	s_cbranch_execz .LBB823_16
; %bb.11:
	s_and_b32 exec_lo, exec_lo, vcc_lo
	s_cbranch_execz .LBB823_16
; %bb.12:
	s_lshl_b64 s[2:3], s[6:7], 1
	s_xor_b32 s0, s0, -1
	v_add_co_u32 v0, vcc_lo, v0, s2
	v_add_co_ci_u32_e32 v1, vcc_lo, s3, v1, vcc_lo
	s_and_saveexec_b32 s1, s0
	s_delay_alu instid0(SALU_CYCLE_1)
	s_xor_b32 s0, exec_lo, s1
	s_cbranch_execz .LBB823_14
; %bb.13:
	s_waitcnt lgkmcnt(0)
	v_add_f32_e32 v2, v2, v3
	s_delay_alu instid0(VALU_DEP_1)
	v_fma_mixlo_f16 v2, -v2, v10, v8
	global_store_b16 v[0:1], v2, off
                                        ; implicit-def: $vgpr0_vgpr1
.LBB823_14:
	s_and_not1_saveexec_b32 s0, s0
	s_cbranch_execz .LBB823_16
; %bb.15:
	v_mov_b32_e32 v2, 0
	global_store_b16 v[0:1], v2, off
.LBB823_16:
	s_nop 0
	s_sendmsg sendmsg(MSG_DEALLOC_VGPRS)
	s_endpgm
	.section	.rodata,"a",@progbits
	.p2align	6, 0x0
	.amdhsa_kernel _ZN12_GLOBAL__N_121softmax_warp_backwardIN3c104HalfES2_fLi5ELb0ELb1ELi32EEEvPT0_PKT_S7_iiiPKb
		.amdhsa_group_segment_fixed_size 0
		.amdhsa_private_segment_fixed_size 0
		.amdhsa_kernarg_size 304
		.amdhsa_user_sgpr_count 15
		.amdhsa_user_sgpr_dispatch_ptr 0
		.amdhsa_user_sgpr_queue_ptr 0
		.amdhsa_user_sgpr_kernarg_segment_ptr 1
		.amdhsa_user_sgpr_dispatch_id 0
		.amdhsa_user_sgpr_private_segment_size 0
		.amdhsa_wavefront_size32 1
		.amdhsa_uses_dynamic_stack 0
		.amdhsa_enable_private_segment 0
		.amdhsa_system_sgpr_workgroup_id_x 1
		.amdhsa_system_sgpr_workgroup_id_y 0
		.amdhsa_system_sgpr_workgroup_id_z 0
		.amdhsa_system_sgpr_workgroup_info 0
		.amdhsa_system_vgpr_workitem_id 1
		.amdhsa_next_free_vgpr 13
		.amdhsa_next_free_sgpr 16
		.amdhsa_reserve_vcc 1
		.amdhsa_float_round_mode_32 0
		.amdhsa_float_round_mode_16_64 0
		.amdhsa_float_denorm_mode_32 3
		.amdhsa_float_denorm_mode_16_64 3
		.amdhsa_dx10_clamp 1
		.amdhsa_ieee_mode 1
		.amdhsa_fp16_overflow 0
		.amdhsa_workgroup_processor_mode 1
		.amdhsa_memory_ordered 1
		.amdhsa_forward_progress 0
		.amdhsa_shared_vgpr_count 0
		.amdhsa_exception_fp_ieee_invalid_op 0
		.amdhsa_exception_fp_denorm_src 0
		.amdhsa_exception_fp_ieee_div_zero 0
		.amdhsa_exception_fp_ieee_overflow 0
		.amdhsa_exception_fp_ieee_underflow 0
		.amdhsa_exception_fp_ieee_inexact 0
		.amdhsa_exception_int_div_zero 0
	.end_amdhsa_kernel
	.section	.text._ZN12_GLOBAL__N_121softmax_warp_backwardIN3c104HalfES2_fLi5ELb0ELb1ELi32EEEvPT0_PKT_S7_iiiPKb,"axG",@progbits,_ZN12_GLOBAL__N_121softmax_warp_backwardIN3c104HalfES2_fLi5ELb0ELb1ELi32EEEvPT0_PKT_S7_iiiPKb,comdat
.Lfunc_end823:
	.size	_ZN12_GLOBAL__N_121softmax_warp_backwardIN3c104HalfES2_fLi5ELb0ELb1ELi32EEEvPT0_PKT_S7_iiiPKb, .Lfunc_end823-_ZN12_GLOBAL__N_121softmax_warp_backwardIN3c104HalfES2_fLi5ELb0ELb1ELi32EEEvPT0_PKT_S7_iiiPKb
                                        ; -- End function
	.section	.AMDGPU.csdata,"",@progbits
; Kernel info:
; codeLenInByte = 996
; NumSgprs: 18
; NumVgprs: 13
; ScratchSize: 0
; MemoryBound: 0
; FloatMode: 240
; IeeeMode: 1
; LDSByteSize: 0 bytes/workgroup (compile time only)
; SGPRBlocks: 2
; VGPRBlocks: 1
; NumSGPRsForWavesPerEU: 18
; NumVGPRsForWavesPerEU: 13
; Occupancy: 16
; WaveLimiterHint : 0
; COMPUTE_PGM_RSRC2:SCRATCH_EN: 0
; COMPUTE_PGM_RSRC2:USER_SGPR: 15
; COMPUTE_PGM_RSRC2:TRAP_HANDLER: 0
; COMPUTE_PGM_RSRC2:TGID_X_EN: 1
; COMPUTE_PGM_RSRC2:TGID_Y_EN: 0
; COMPUTE_PGM_RSRC2:TGID_Z_EN: 0
; COMPUTE_PGM_RSRC2:TIDIG_COMP_CNT: 1
	.section	.text._ZN12_GLOBAL__N_121softmax_warp_backwardIN3c104HalfES2_fLi6ELb0ELb1ELi64EEEvPT0_PKT_S7_iiiPKb,"axG",@progbits,_ZN12_GLOBAL__N_121softmax_warp_backwardIN3c104HalfES2_fLi6ELb0ELb1ELi64EEEvPT0_PKT_S7_iiiPKb,comdat
	.globl	_ZN12_GLOBAL__N_121softmax_warp_backwardIN3c104HalfES2_fLi6ELb0ELb1ELi64EEEvPT0_PKT_S7_iiiPKb ; -- Begin function _ZN12_GLOBAL__N_121softmax_warp_backwardIN3c104HalfES2_fLi6ELb0ELb1ELi64EEEvPT0_PKT_S7_iiiPKb
	.p2align	8
	.type	_ZN12_GLOBAL__N_121softmax_warp_backwardIN3c104HalfES2_fLi6ELb0ELb1ELi64EEEvPT0_PKT_S7_iiiPKb,@function
_ZN12_GLOBAL__N_121softmax_warp_backwardIN3c104HalfES2_fLi6ELb0ELb1ELi64EEEvPT0_PKT_S7_iiiPKb: ; @_ZN12_GLOBAL__N_121softmax_warp_backwardIN3c104HalfES2_fLi6ELb0ELb1ELi64EEEvPT0_PKT_S7_iiiPKb
; %bb.0:
	s_clause 0x1
	s_load_b32 s2, s[0:1], 0x3c
	s_load_b128 s[4:7], s[0:1], 0x18
	v_bfe_u32 v1, v0, 10, 10
	v_dual_mov_b32 v11, 0 :: v_dual_and_b32 v4, 63, v0
	s_clause 0x1
	s_load_b128 s[8:11], s[0:1], 0x0
	s_load_b64 s[12:13], s[0:1], 0x10
	v_mov_b32_e32 v8, 0
	v_mov_b32_e32 v12, 0
	s_waitcnt lgkmcnt(0)
	s_lshr_b32 s2, s2, 16
	v_cmp_gt_i32_e32 vcc_lo, s6, v4
	s_mul_i32 s15, s15, s2
	s_delay_alu instid0(SALU_CYCLE_1) | instskip(NEXT) | instid1(VALU_DEP_1)
	v_add_lshl_u32 v0, s15, v1, 1
	v_mad_u64_u32 v[2:3], null, v0, s5, v[4:5]
	v_sub_nc_u32_e32 v9, s4, v0
	s_delay_alu instid0(VALU_DEP_1) | instskip(NEXT) | instid1(VALU_DEP_3)
	v_cmp_lt_i32_e64 s2, 0, v9
	v_ashrrev_i32_e32 v3, 31, v2
	s_delay_alu instid0(VALU_DEP_2) | instskip(NEXT) | instid1(VALU_DEP_1)
	s_and_b32 s4, vcc_lo, s2
	v_lshlrev_b64 v[0:1], 1, v[2:3]
	s_delay_alu instid0(VALU_DEP_1) | instskip(NEXT) | instid1(VALU_DEP_1)
	v_add_co_u32 v6, s3, s10, v0
	v_add_co_ci_u32_e64 v7, s3, s11, v1, s3
	v_add_co_u32 v4, s3, s12, v0
	s_delay_alu instid0(VALU_DEP_1)
	v_add_co_ci_u32_e64 v5, s3, s13, v1, s3
	s_and_saveexec_b32 s3, s4
	s_cbranch_execz .LBB824_2
; %bb.1:
	global_load_u16 v10, v[6:7], off
	global_load_u16 v12, v[4:5], off
	s_waitcnt vmcnt(1)
	v_cvt_f32_f16_e32 v11, v10
	s_waitcnt vmcnt(0)
	v_cvt_f32_f16_e32 v12, v12
.LBB824_2:
	s_or_b32 exec_lo, exec_lo, s3
	v_cmp_lt_i32_e64 s3, 1, v9
	v_mov_b32_e32 v10, 0
	s_mov_b32 s7, 0
	s_delay_alu instid0(VALU_DEP_2) | instskip(NEXT) | instid1(SALU_CYCLE_1)
	s_and_b32 s3, vcc_lo, s3
	s_and_saveexec_b32 s4, s3
	s_cbranch_execz .LBB824_4
; %bb.3:
	s_lshl_b64 s[10:11], s[6:7], 1
	s_delay_alu instid0(SALU_CYCLE_1) | instskip(NEXT) | instid1(VALU_DEP_1)
	v_add_co_u32 v6, s3, v6, s10
	v_add_co_ci_u32_e64 v7, s3, s11, v7, s3
	v_add_co_u32 v4, s3, v4, s10
	s_delay_alu instid0(VALU_DEP_1)
	v_add_co_ci_u32_e64 v5, s3, s11, v5, s3
	global_load_u16 v6, v[6:7], off
	global_load_u16 v4, v[4:5], off
	s_waitcnt vmcnt(1)
	v_cvt_f32_f16_e32 v8, v6
	s_waitcnt vmcnt(0)
	v_cvt_f32_f16_e32 v10, v4
.LBB824_4:
	s_or_b32 exec_lo, exec_lo, s4
	s_load_b64 s[0:1], s[0:1], 0x28
	v_add_f32_e32 v7, 0, v8
	s_waitcnt lgkmcnt(0)
	v_add_co_u32 v2, s0, s0, v2
	s_delay_alu instid0(VALU_DEP_1) | instskip(SKIP_1) | instid1(VALU_DEP_2)
	v_add_co_ci_u32_e64 v3, s0, s1, v3, s0
	s_ashr_i32 s1, s6, 31
	v_add_co_u32 v4, s0, v2, s6
	s_delay_alu instid0(VALU_DEP_1) | instskip(SKIP_4) | instid1(VALU_DEP_1)
	v_add_co_ci_u32_e64 v5, s0, s1, v3, s0
	s_clause 0x1
	global_load_u8 v2, v[2:3], off
	global_load_u8 v3, v[4:5], off
	v_mbcnt_lo_u32_b32 v4, -1, 0
	v_or_b32_e32 v5, 32, v4
	s_delay_alu instid0(VALU_DEP_1) | instskip(NEXT) | instid1(VALU_DEP_1)
	v_cmp_gt_i32_e64 s0, 64, v5
	v_cndmask_b32_e64 v5, v4, v5, s0
	s_delay_alu instid0(VALU_DEP_1) | instskip(SKIP_2) | instid1(VALU_DEP_1)
	v_dual_add_f32 v6, 0, v11 :: v_dual_lshlrev_b32 v5, 2, v5
	s_waitcnt vmcnt(1)
	v_and_b32_e32 v2, 1, v2
	v_cmp_eq_u32_e64 s1, 1, v2
	s_delay_alu instid0(VALU_DEP_1) | instskip(SKIP_3) | instid1(VALU_DEP_1)
	v_cndmask_b32_e64 v2, v6, 0, s1
	ds_bpermute_b32 v6, v5, v2
	s_waitcnt vmcnt(0) lgkmcnt(0)
	v_dual_add_f32 v2, v2, v6 :: v_dual_and_b32 v3, 1, v3
	v_cmp_eq_u32_e64 s0, 1, v3
	s_delay_alu instid0(VALU_DEP_1) | instskip(SKIP_3) | instid1(VALU_DEP_1)
	v_cndmask_b32_e64 v3, v7, 0, s0
	v_xor_b32_e32 v7, 16, v4
	ds_bpermute_b32 v5, v5, v3
	v_cmp_gt_i32_e64 s3, 64, v7
	v_cndmask_b32_e64 v7, v4, v7, s3
	s_delay_alu instid0(VALU_DEP_1)
	v_lshlrev_b32_e32 v7, 2, v7
	s_waitcnt lgkmcnt(0)
	v_add_f32_e32 v3, v3, v5
	ds_bpermute_b32 v5, v7, v2
	s_waitcnt lgkmcnt(0)
	v_add_f32_e32 v2, v2, v5
	ds_bpermute_b32 v6, v7, v3
	v_xor_b32_e32 v7, 8, v4
	s_delay_alu instid0(VALU_DEP_1) | instskip(NEXT) | instid1(VALU_DEP_1)
	v_cmp_gt_i32_e64 s3, 64, v7
	v_cndmask_b32_e64 v7, v4, v7, s3
	s_delay_alu instid0(VALU_DEP_1) | instskip(SKIP_1) | instid1(VALU_DEP_1)
	v_lshlrev_b32_e32 v5, 2, v7
	v_xor_b32_e32 v7, 4, v4
	v_cmp_gt_i32_e64 s3, 64, v7
	s_delay_alu instid0(VALU_DEP_1)
	v_cndmask_b32_e64 v7, v4, v7, s3
	s_waitcnt lgkmcnt(0)
	v_add_f32_e32 v3, v3, v6
	ds_bpermute_b32 v6, v5, v2
	s_waitcnt lgkmcnt(0)
	v_add_f32_e32 v2, v2, v6
	v_lshlrev_b32_e32 v6, 2, v7
	ds_bpermute_b32 v5, v5, v3
	v_xor_b32_e32 v7, 2, v4
	s_delay_alu instid0(VALU_DEP_1) | instskip(NEXT) | instid1(VALU_DEP_1)
	v_cmp_gt_i32_e64 s3, 64, v7
	v_cndmask_b32_e64 v7, v4, v7, s3
	s_waitcnt lgkmcnt(0)
	v_add_f32_e32 v3, v3, v5
	ds_bpermute_b32 v5, v6, v2
	ds_bpermute_b32 v6, v6, v3
	s_waitcnt lgkmcnt(1)
	v_dual_add_f32 v2, v2, v5 :: v_dual_lshlrev_b32 v5, 2, v7
	v_xor_b32_e32 v7, 1, v4
	s_waitcnt lgkmcnt(0)
	v_add_f32_e32 v3, v3, v6
	ds_bpermute_b32 v6, v5, v2
	v_cmp_gt_i32_e64 s3, 64, v7
	ds_bpermute_b32 v5, v5, v3
	v_cndmask_b32_e64 v7, v4, v7, s3
	s_waitcnt lgkmcnt(1)
	v_add_f32_e32 v4, v2, v6
	s_delay_alu instid0(VALU_DEP_2)
	v_lshlrev_b32_e32 v6, 2, v7
	s_waitcnt lgkmcnt(0)
	v_add_f32_e32 v2, v3, v5
	ds_bpermute_b32 v5, v6, v4
	ds_bpermute_b32 v3, v6, v2
	s_and_saveexec_b32 s3, s2
	s_cbranch_execz .LBB824_16
; %bb.5:
	v_add_co_u32 v0, s2, s8, v0
	s_delay_alu instid0(VALU_DEP_1)
	v_add_co_ci_u32_e64 v1, s2, s9, v1, s2
	s_and_saveexec_b32 s2, vcc_lo
	s_cbranch_execz .LBB824_10
; %bb.6:
	s_xor_b32 s1, s1, -1
	s_delay_alu instid0(SALU_CYCLE_1) | instskip(NEXT) | instid1(SALU_CYCLE_1)
	s_and_saveexec_b32 s3, s1
	s_xor_b32 s1, exec_lo, s3
	s_cbranch_execz .LBB824_8
; %bb.7:
	s_waitcnt lgkmcnt(1)
	v_add_f32_e32 v4, v4, v5
	s_delay_alu instid0(VALU_DEP_1)
	v_fma_mixlo_f16 v4, -v4, v12, v11
	global_store_b16 v[0:1], v4, off
.LBB824_8:
	s_and_not1_saveexec_b32 s1, s1
	s_cbranch_execz .LBB824_10
; %bb.9:
	v_mov_b32_e32 v4, 0
	global_store_b16 v[0:1], v4, off
.LBB824_10:
	s_or_b32 exec_lo, exec_lo, s2
	v_cmp_ne_u32_e64 s1, 1, v9
	s_delay_alu instid0(VALU_DEP_1)
	s_and_b32 exec_lo, exec_lo, s1
	s_cbranch_execz .LBB824_16
; %bb.11:
	s_and_b32 exec_lo, exec_lo, vcc_lo
	s_cbranch_execz .LBB824_16
; %bb.12:
	s_lshl_b64 s[2:3], s[6:7], 1
	s_xor_b32 s0, s0, -1
	v_add_co_u32 v0, vcc_lo, v0, s2
	v_add_co_ci_u32_e32 v1, vcc_lo, s3, v1, vcc_lo
	s_and_saveexec_b32 s1, s0
	s_delay_alu instid0(SALU_CYCLE_1)
	s_xor_b32 s0, exec_lo, s1
	s_cbranch_execz .LBB824_14
; %bb.13:
	s_waitcnt lgkmcnt(0)
	v_add_f32_e32 v2, v2, v3
	s_delay_alu instid0(VALU_DEP_1)
	v_fma_mixlo_f16 v2, -v2, v10, v8
	global_store_b16 v[0:1], v2, off
                                        ; implicit-def: $vgpr0_vgpr1
.LBB824_14:
	s_and_not1_saveexec_b32 s0, s0
	s_cbranch_execz .LBB824_16
; %bb.15:
	v_mov_b32_e32 v2, 0
	global_store_b16 v[0:1], v2, off
.LBB824_16:
	s_nop 0
	s_sendmsg sendmsg(MSG_DEALLOC_VGPRS)
	s_endpgm
	.section	.rodata,"a",@progbits
	.p2align	6, 0x0
	.amdhsa_kernel _ZN12_GLOBAL__N_121softmax_warp_backwardIN3c104HalfES2_fLi6ELb0ELb1ELi64EEEvPT0_PKT_S7_iiiPKb
		.amdhsa_group_segment_fixed_size 0
		.amdhsa_private_segment_fixed_size 0
		.amdhsa_kernarg_size 304
		.amdhsa_user_sgpr_count 15
		.amdhsa_user_sgpr_dispatch_ptr 0
		.amdhsa_user_sgpr_queue_ptr 0
		.amdhsa_user_sgpr_kernarg_segment_ptr 1
		.amdhsa_user_sgpr_dispatch_id 0
		.amdhsa_user_sgpr_private_segment_size 0
		.amdhsa_wavefront_size32 1
		.amdhsa_uses_dynamic_stack 0
		.amdhsa_enable_private_segment 0
		.amdhsa_system_sgpr_workgroup_id_x 1
		.amdhsa_system_sgpr_workgroup_id_y 0
		.amdhsa_system_sgpr_workgroup_id_z 0
		.amdhsa_system_sgpr_workgroup_info 0
		.amdhsa_system_vgpr_workitem_id 1
		.amdhsa_next_free_vgpr 13
		.amdhsa_next_free_sgpr 16
		.amdhsa_reserve_vcc 1
		.amdhsa_float_round_mode_32 0
		.amdhsa_float_round_mode_16_64 0
		.amdhsa_float_denorm_mode_32 3
		.amdhsa_float_denorm_mode_16_64 3
		.amdhsa_dx10_clamp 1
		.amdhsa_ieee_mode 1
		.amdhsa_fp16_overflow 0
		.amdhsa_workgroup_processor_mode 1
		.amdhsa_memory_ordered 1
		.amdhsa_forward_progress 0
		.amdhsa_shared_vgpr_count 0
		.amdhsa_exception_fp_ieee_invalid_op 0
		.amdhsa_exception_fp_denorm_src 0
		.amdhsa_exception_fp_ieee_div_zero 0
		.amdhsa_exception_fp_ieee_overflow 0
		.amdhsa_exception_fp_ieee_underflow 0
		.amdhsa_exception_fp_ieee_inexact 0
		.amdhsa_exception_int_div_zero 0
	.end_amdhsa_kernel
	.section	.text._ZN12_GLOBAL__N_121softmax_warp_backwardIN3c104HalfES2_fLi6ELb0ELb1ELi64EEEvPT0_PKT_S7_iiiPKb,"axG",@progbits,_ZN12_GLOBAL__N_121softmax_warp_backwardIN3c104HalfES2_fLi6ELb0ELb1ELi64EEEvPT0_PKT_S7_iiiPKb,comdat
.Lfunc_end824:
	.size	_ZN12_GLOBAL__N_121softmax_warp_backwardIN3c104HalfES2_fLi6ELb0ELb1ELi64EEEvPT0_PKT_S7_iiiPKb, .Lfunc_end824-_ZN12_GLOBAL__N_121softmax_warp_backwardIN3c104HalfES2_fLi6ELb0ELb1ELi64EEEvPT0_PKT_S7_iiiPKb
                                        ; -- End function
	.section	.AMDGPU.csdata,"",@progbits
; Kernel info:
; codeLenInByte = 1060
; NumSgprs: 18
; NumVgprs: 13
; ScratchSize: 0
; MemoryBound: 0
; FloatMode: 240
; IeeeMode: 1
; LDSByteSize: 0 bytes/workgroup (compile time only)
; SGPRBlocks: 2
; VGPRBlocks: 1
; NumSGPRsForWavesPerEU: 18
; NumVGPRsForWavesPerEU: 13
; Occupancy: 16
; WaveLimiterHint : 0
; COMPUTE_PGM_RSRC2:SCRATCH_EN: 0
; COMPUTE_PGM_RSRC2:USER_SGPR: 15
; COMPUTE_PGM_RSRC2:TRAP_HANDLER: 0
; COMPUTE_PGM_RSRC2:TGID_X_EN: 1
; COMPUTE_PGM_RSRC2:TGID_Y_EN: 0
; COMPUTE_PGM_RSRC2:TGID_Z_EN: 0
; COMPUTE_PGM_RSRC2:TIDIG_COMP_CNT: 1
	.section	.text._ZN12_GLOBAL__N_121softmax_warp_backwardIN3c104HalfES2_fLi6ELb0ELb1ELi32EEEvPT0_PKT_S7_iiiPKb,"axG",@progbits,_ZN12_GLOBAL__N_121softmax_warp_backwardIN3c104HalfES2_fLi6ELb0ELb1ELi32EEEvPT0_PKT_S7_iiiPKb,comdat
	.globl	_ZN12_GLOBAL__N_121softmax_warp_backwardIN3c104HalfES2_fLi6ELb0ELb1ELi32EEEvPT0_PKT_S7_iiiPKb ; -- Begin function _ZN12_GLOBAL__N_121softmax_warp_backwardIN3c104HalfES2_fLi6ELb0ELb1ELi32EEEvPT0_PKT_S7_iiiPKb
	.p2align	8
	.type	_ZN12_GLOBAL__N_121softmax_warp_backwardIN3c104HalfES2_fLi6ELb0ELb1ELi32EEEvPT0_PKT_S7_iiiPKb,@function
_ZN12_GLOBAL__N_121softmax_warp_backwardIN3c104HalfES2_fLi6ELb0ELb1ELi32EEEvPT0_PKT_S7_iiiPKb: ; @_ZN12_GLOBAL__N_121softmax_warp_backwardIN3c104HalfES2_fLi6ELb0ELb1ELi32EEEvPT0_PKT_S7_iiiPKb
; %bb.0:
	s_clause 0x1
	s_load_b32 s2, s[0:1], 0x3c
	s_load_b128 s[8:11], s[0:1], 0x18
	v_bfe_u32 v1, v0, 10, 10
	v_and_b32_e32 v8, 31, v0
	v_mov_b32_e32 v10, 0
	v_mov_b32_e32 v14, 0
	;; [unrolled: 1-line block ×3, first 2 shown]
	s_load_b64 s[4:5], s[0:1], 0x10
	s_waitcnt lgkmcnt(0)
	s_lshr_b32 s2, s2, 16
	s_delay_alu instid0(SALU_CYCLE_1) | instskip(SKIP_3) | instid1(VALU_DEP_1)
	s_mul_i32 s15, s15, s2
	v_cmp_gt_i32_e64 s2, s10, v8
	v_add_lshl_u32 v0, s15, v1, 1
	s_load_b128 s[12:15], s[0:1], 0x0
	v_mad_u64_u32 v[2:3], null, v0, s9, v[8:9]
	v_sub_nc_u32_e32 v9, s8, v0
	s_delay_alu instid0(VALU_DEP_1) | instskip(NEXT) | instid1(VALU_DEP_3)
	v_cmp_lt_i32_e64 s3, 0, v9
	v_ashrrev_i32_e32 v3, 31, v2
	s_delay_alu instid0(VALU_DEP_1) | instskip(SKIP_1) | instid1(VALU_DEP_1)
	v_lshlrev_b64 v[0:1], 1, v[2:3]
	s_waitcnt lgkmcnt(0)
	v_add_co_u32 v6, vcc_lo, s14, v0
	s_delay_alu instid0(VALU_DEP_2) | instskip(SKIP_3) | instid1(SALU_CYCLE_1)
	v_add_co_ci_u32_e32 v7, vcc_lo, s15, v1, vcc_lo
	v_add_co_u32 v4, vcc_lo, s4, v0
	v_add_co_ci_u32_e32 v5, vcc_lo, s5, v1, vcc_lo
	s_and_b32 s5, s3, s2
	s_and_saveexec_b32 s4, s5
	s_cbranch_execz .LBB825_2
; %bb.1:
	global_load_u16 v11, v[6:7], off
	global_load_u16 v12, v[4:5], off
	s_waitcnt vmcnt(1)
	v_cvt_f32_f16_e32 v14, v11
	s_waitcnt vmcnt(0)
	v_cvt_f32_f16_e32 v16, v12
.LBB825_2:
	s_or_b32 exec_lo, exec_lo, s4
	v_or_b32_e32 v8, 32, v8
	v_mov_b32_e32 v15, 0
	s_delay_alu instid0(VALU_DEP_2) | instskip(SKIP_1) | instid1(SALU_CYCLE_1)
	v_cmp_gt_i32_e32 vcc_lo, s10, v8
	s_and_b32 s5, s3, vcc_lo
	s_and_saveexec_b32 s4, s5
	s_cbranch_execz .LBB825_4
; %bb.3:
	global_load_u16 v8, v[6:7], off offset:64
	global_load_u16 v11, v[4:5], off offset:64
	s_waitcnt vmcnt(1)
	v_cvt_f32_f16_e32 v10, v8
	s_waitcnt vmcnt(0)
	v_cvt_f32_f16_e32 v15, v11
.LBB825_4:
	s_or_b32 exec_lo, exec_lo, s4
	v_cmp_lt_i32_e64 s4, 1, v9
	v_dual_mov_b32 v8, 0 :: v_dual_mov_b32 v11, 0
	v_mov_b32_e32 v12, 0
	s_mov_b32 s11, 0
	s_delay_alu instid0(VALU_DEP_3) | instskip(NEXT) | instid1(SALU_CYCLE_1)
	s_and_b32 s5, s4, s2
	s_and_saveexec_b32 s6, s5
	s_cbranch_execz .LBB825_6
; %bb.5:
	s_lshl_b64 s[8:9], s[10:11], 1
	s_delay_alu instid0(SALU_CYCLE_1) | instskip(NEXT) | instid1(VALU_DEP_1)
	v_add_co_u32 v11, s5, v6, s8
	v_add_co_ci_u32_e64 v12, s5, s9, v7, s5
	v_add_co_u32 v17, s5, v4, s8
	s_delay_alu instid0(VALU_DEP_1)
	v_add_co_ci_u32_e64 v18, s5, s9, v5, s5
	global_load_u16 v11, v[11:12], off
	global_load_u16 v12, v[17:18], off
	s_waitcnt vmcnt(1)
	v_cvt_f32_f16_e32 v11, v11
	s_waitcnt vmcnt(0)
	v_cvt_f32_f16_e32 v12, v12
.LBB825_6:
	s_or_b32 exec_lo, exec_lo, s6
	v_mov_b32_e32 v13, 0
	s_and_b32 s4, s4, vcc_lo
	s_delay_alu instid0(SALU_CYCLE_1)
	s_and_saveexec_b32 s5, s4
	s_cbranch_execz .LBB825_8
; %bb.7:
	s_lshl_b64 s[6:7], s[10:11], 1
	s_delay_alu instid0(SALU_CYCLE_1) | instskip(NEXT) | instid1(VALU_DEP_1)
	v_add_co_u32 v6, s4, v6, s6
	v_add_co_ci_u32_e64 v7, s4, s7, v7, s4
	v_add_co_u32 v4, s4, v4, s6
	s_delay_alu instid0(VALU_DEP_1)
	v_add_co_ci_u32_e64 v5, s4, s7, v5, s4
	global_load_u16 v6, v[6:7], off offset:64
	global_load_u16 v4, v[4:5], off offset:64
	s_waitcnt vmcnt(1)
	v_cvt_f32_f16_e32 v8, v6
	s_waitcnt vmcnt(0)
	v_cvt_f32_f16_e32 v13, v4
.LBB825_8:
	s_or_b32 exec_lo, exec_lo, s5
	s_load_b64 s[0:1], s[0:1], 0x28
	v_add_f32_e32 v18, 0, v11
	s_waitcnt lgkmcnt(0)
	v_add_co_u32 v2, s0, s0, v2
	s_delay_alu instid0(VALU_DEP_1) | instskip(SKIP_1) | instid1(VALU_DEP_2)
	v_add_co_ci_u32_e64 v3, s0, s1, v3, s0
	s_ashr_i32 s1, s10, 31
	v_add_co_u32 v4, s0, v2, s10
	s_delay_alu instid0(VALU_DEP_1)
	v_add_co_ci_u32_e64 v5, s0, s1, v3, s0
	s_clause 0x3
	global_load_u8 v6, v[2:3], off
	global_load_u8 v7, v[4:5], off
	global_load_u8 v2, v[2:3], off offset:32
	global_load_u8 v3, v[4:5], off offset:32
	v_mbcnt_lo_u32_b32 v4, -1, 0
	s_delay_alu instid0(VALU_DEP_1) | instskip(NEXT) | instid1(VALU_DEP_1)
	v_xor_b32_e32 v17, 16, v4
	v_cmp_gt_i32_e64 s0, 32, v17
	s_waitcnt vmcnt(3)
	v_and_b32_e32 v5, 1, v6
	s_waitcnt vmcnt(2)
	v_dual_add_f32 v6, 0, v14 :: v_dual_and_b32 v7, 1, v7
	s_waitcnt vmcnt(1)
	v_and_b32_e32 v2, 1, v2
	v_cmp_eq_u32_e64 s5, 1, v5
	s_delay_alu instid0(VALU_DEP_3) | instskip(NEXT) | instid1(VALU_DEP_3)
	v_cmp_eq_u32_e64 s1, 1, v7
	v_cmp_eq_u32_e64 s4, 1, v2
	s_delay_alu instid0(VALU_DEP_3) | instskip(SKIP_1) | instid1(VALU_DEP_4)
	v_cndmask_b32_e64 v5, v6, 0, s5
	v_cndmask_b32_e64 v6, v4, v17, s0
	v_cndmask_b32_e64 v7, v18, 0, s1
	s_delay_alu instid0(VALU_DEP_3) | instskip(NEXT) | instid1(VALU_DEP_3)
	v_add_f32_e32 v17, v5, v10
	v_lshlrev_b32_e32 v6, 2, v6
	s_delay_alu instid0(VALU_DEP_3) | instskip(NEXT) | instid1(VALU_DEP_3)
	v_add_f32_e32 v18, v7, v8
	v_cndmask_b32_e64 v2, v17, v5, s4
	ds_bpermute_b32 v5, v6, v2
	s_waitcnt vmcnt(0) lgkmcnt(0)
	v_dual_add_f32 v2, v2, v5 :: v_dual_and_b32 v3, 1, v3
	s_delay_alu instid0(VALU_DEP_1) | instskip(NEXT) | instid1(VALU_DEP_1)
	v_cmp_eq_u32_e64 s0, 1, v3
	v_cndmask_b32_e64 v3, v18, v7, s0
	v_xor_b32_e32 v7, 8, v4
	ds_bpermute_b32 v6, v6, v3
	v_cmp_gt_i32_e64 s6, 32, v7
	s_delay_alu instid0(VALU_DEP_1) | instskip(NEXT) | instid1(VALU_DEP_1)
	v_cndmask_b32_e64 v7, v4, v7, s6
	v_lshlrev_b32_e32 v5, 2, v7
	v_xor_b32_e32 v7, 4, v4
	s_delay_alu instid0(VALU_DEP_1) | instskip(NEXT) | instid1(VALU_DEP_1)
	v_cmp_gt_i32_e64 s6, 32, v7
	v_cndmask_b32_e64 v7, v4, v7, s6
	s_waitcnt lgkmcnt(0)
	v_add_f32_e32 v3, v3, v6
	ds_bpermute_b32 v6, v5, v2
	s_waitcnt lgkmcnt(0)
	v_add_f32_e32 v2, v2, v6
	v_lshlrev_b32_e32 v6, 2, v7
	ds_bpermute_b32 v5, v5, v3
	v_xor_b32_e32 v7, 2, v4
	s_delay_alu instid0(VALU_DEP_1) | instskip(NEXT) | instid1(VALU_DEP_1)
	v_cmp_gt_i32_e64 s6, 32, v7
	v_cndmask_b32_e64 v7, v4, v7, s6
	s_waitcnt lgkmcnt(0)
	v_add_f32_e32 v3, v3, v5
	ds_bpermute_b32 v5, v6, v2
	ds_bpermute_b32 v6, v6, v3
	s_waitcnt lgkmcnt(1)
	v_dual_add_f32 v2, v2, v5 :: v_dual_lshlrev_b32 v5, 2, v7
	v_xor_b32_e32 v7, 1, v4
	s_delay_alu instid0(VALU_DEP_1) | instskip(NEXT) | instid1(VALU_DEP_1)
	v_cmp_gt_i32_e64 s6, 32, v7
	v_cndmask_b32_e64 v7, v4, v7, s6
	s_waitcnt lgkmcnt(0)
	v_add_f32_e32 v3, v3, v6
	ds_bpermute_b32 v6, v5, v2
	s_waitcnt lgkmcnt(0)
	v_add_f32_e32 v4, v2, v6
	v_lshlrev_b32_e32 v6, 2, v7
	ds_bpermute_b32 v5, v5, v3
	s_waitcnt lgkmcnt(0)
	v_add_f32_e32 v2, v3, v5
	ds_bpermute_b32 v5, v6, v4
	ds_bpermute_b32 v3, v6, v2
	s_and_saveexec_b32 s6, s3
	s_cbranch_execz .LBB825_30
; %bb.9:
	v_add_co_u32 v0, s3, s12, v0
	s_waitcnt lgkmcnt(1)
	v_add_f32_e32 v4, v4, v5
	v_add_co_ci_u32_e64 v1, s3, s13, v1, s3
	s_and_saveexec_b32 s3, s2
	s_cbranch_execz .LBB825_14
; %bb.10:
	s_xor_b32 s5, s5, -1
	s_delay_alu instid0(SALU_CYCLE_1) | instskip(NEXT) | instid1(SALU_CYCLE_1)
	s_and_saveexec_b32 s6, s5
	s_xor_b32 s5, exec_lo, s6
	s_cbranch_execz .LBB825_12
; %bb.11:
	v_fma_mixlo_f16 v5, -v4, v16, v14
	global_store_b16 v[0:1], v5, off
.LBB825_12:
	s_and_not1_saveexec_b32 s5, s5
	s_cbranch_execz .LBB825_14
; %bb.13:
	v_mov_b32_e32 v5, 0
	global_store_b16 v[0:1], v5, off
.LBB825_14:
	s_or_b32 exec_lo, exec_lo, s3
	s_and_saveexec_b32 s3, vcc_lo
	s_cbranch_execz .LBB825_19
; %bb.15:
	s_xor_b32 s4, s4, -1
	s_delay_alu instid0(SALU_CYCLE_1) | instskip(NEXT) | instid1(SALU_CYCLE_1)
	s_and_saveexec_b32 s5, s4
	s_xor_b32 s4, exec_lo, s5
	s_cbranch_execz .LBB825_17
; %bb.16:
	v_fma_mixlo_f16 v4, -v4, v15, v10
	global_store_b16 v[0:1], v4, off offset:64
.LBB825_17:
	s_and_not1_saveexec_b32 s4, s4
	s_cbranch_execz .LBB825_19
; %bb.18:
	v_mov_b32_e32 v4, 0
	global_store_b16 v[0:1], v4, off offset:64
.LBB825_19:
	s_or_b32 exec_lo, exec_lo, s3
	v_cmp_ne_u32_e64 s3, 1, v9
	s_delay_alu instid0(VALU_DEP_1)
	s_and_b32 exec_lo, exec_lo, s3
	s_cbranch_execz .LBB825_30
; %bb.20:
	s_lshl_b64 s[4:5], s[10:11], 1
	s_waitcnt lgkmcnt(0)
	v_add_f32_e32 v2, v2, v3
	v_add_co_u32 v0, s3, v0, s4
	s_delay_alu instid0(VALU_DEP_1)
	v_add_co_ci_u32_e64 v1, s3, s5, v1, s3
	s_and_saveexec_b32 s3, s2
	s_cbranch_execz .LBB825_25
; %bb.21:
	s_xor_b32 s1, s1, -1
	s_delay_alu instid0(SALU_CYCLE_1) | instskip(NEXT) | instid1(SALU_CYCLE_1)
	s_and_saveexec_b32 s2, s1
	s_xor_b32 s1, exec_lo, s2
	s_cbranch_execz .LBB825_23
; %bb.22:
	v_fma_mixlo_f16 v3, -v2, v12, v11
	global_store_b16 v[0:1], v3, off
.LBB825_23:
	s_and_not1_saveexec_b32 s1, s1
	s_cbranch_execz .LBB825_25
; %bb.24:
	v_mov_b32_e32 v3, 0
	global_store_b16 v[0:1], v3, off
.LBB825_25:
	s_or_b32 exec_lo, exec_lo, s3
	s_delay_alu instid0(SALU_CYCLE_1)
	s_and_b32 exec_lo, exec_lo, vcc_lo
	s_cbranch_execz .LBB825_30
; %bb.26:
	s_xor_b32 s0, s0, -1
	s_delay_alu instid0(SALU_CYCLE_1) | instskip(NEXT) | instid1(SALU_CYCLE_1)
	s_and_saveexec_b32 s1, s0
	s_xor_b32 s0, exec_lo, s1
	s_cbranch_execz .LBB825_28
; %bb.27:
	v_fma_mixlo_f16 v2, -v2, v13, v8
	global_store_b16 v[0:1], v2, off offset:64
                                        ; implicit-def: $vgpr0_vgpr1
.LBB825_28:
	s_and_not1_saveexec_b32 s0, s0
	s_cbranch_execz .LBB825_30
; %bb.29:
	v_mov_b32_e32 v2, 0
	global_store_b16 v[0:1], v2, off offset:64
.LBB825_30:
	s_nop 0
	s_sendmsg sendmsg(MSG_DEALLOC_VGPRS)
	s_endpgm
	.section	.rodata,"a",@progbits
	.p2align	6, 0x0
	.amdhsa_kernel _ZN12_GLOBAL__N_121softmax_warp_backwardIN3c104HalfES2_fLi6ELb0ELb1ELi32EEEvPT0_PKT_S7_iiiPKb
		.amdhsa_group_segment_fixed_size 0
		.amdhsa_private_segment_fixed_size 0
		.amdhsa_kernarg_size 304
		.amdhsa_user_sgpr_count 15
		.amdhsa_user_sgpr_dispatch_ptr 0
		.amdhsa_user_sgpr_queue_ptr 0
		.amdhsa_user_sgpr_kernarg_segment_ptr 1
		.amdhsa_user_sgpr_dispatch_id 0
		.amdhsa_user_sgpr_private_segment_size 0
		.amdhsa_wavefront_size32 1
		.amdhsa_uses_dynamic_stack 0
		.amdhsa_enable_private_segment 0
		.amdhsa_system_sgpr_workgroup_id_x 1
		.amdhsa_system_sgpr_workgroup_id_y 0
		.amdhsa_system_sgpr_workgroup_id_z 0
		.amdhsa_system_sgpr_workgroup_info 0
		.amdhsa_system_vgpr_workitem_id 1
		.amdhsa_next_free_vgpr 19
		.amdhsa_next_free_sgpr 16
		.amdhsa_reserve_vcc 1
		.amdhsa_float_round_mode_32 0
		.amdhsa_float_round_mode_16_64 0
		.amdhsa_float_denorm_mode_32 3
		.amdhsa_float_denorm_mode_16_64 3
		.amdhsa_dx10_clamp 1
		.amdhsa_ieee_mode 1
		.amdhsa_fp16_overflow 0
		.amdhsa_workgroup_processor_mode 1
		.amdhsa_memory_ordered 1
		.amdhsa_forward_progress 0
		.amdhsa_shared_vgpr_count 0
		.amdhsa_exception_fp_ieee_invalid_op 0
		.amdhsa_exception_fp_denorm_src 0
		.amdhsa_exception_fp_ieee_div_zero 0
		.amdhsa_exception_fp_ieee_overflow 0
		.amdhsa_exception_fp_ieee_underflow 0
		.amdhsa_exception_fp_ieee_inexact 0
		.amdhsa_exception_int_div_zero 0
	.end_amdhsa_kernel
	.section	.text._ZN12_GLOBAL__N_121softmax_warp_backwardIN3c104HalfES2_fLi6ELb0ELb1ELi32EEEvPT0_PKT_S7_iiiPKb,"axG",@progbits,_ZN12_GLOBAL__N_121softmax_warp_backwardIN3c104HalfES2_fLi6ELb0ELb1ELi32EEEvPT0_PKT_S7_iiiPKb,comdat
.Lfunc_end825:
	.size	_ZN12_GLOBAL__N_121softmax_warp_backwardIN3c104HalfES2_fLi6ELb0ELb1ELi32EEEvPT0_PKT_S7_iiiPKb, .Lfunc_end825-_ZN12_GLOBAL__N_121softmax_warp_backwardIN3c104HalfES2_fLi6ELb0ELb1ELi32EEEvPT0_PKT_S7_iiiPKb
                                        ; -- End function
	.section	.AMDGPU.csdata,"",@progbits
; Kernel info:
; codeLenInByte = 1376
; NumSgprs: 18
; NumVgprs: 19
; ScratchSize: 0
; MemoryBound: 0
; FloatMode: 240
; IeeeMode: 1
; LDSByteSize: 0 bytes/workgroup (compile time only)
; SGPRBlocks: 2
; VGPRBlocks: 2
; NumSGPRsForWavesPerEU: 18
; NumVGPRsForWavesPerEU: 19
; Occupancy: 16
; WaveLimiterHint : 0
; COMPUTE_PGM_RSRC2:SCRATCH_EN: 0
; COMPUTE_PGM_RSRC2:USER_SGPR: 15
; COMPUTE_PGM_RSRC2:TRAP_HANDLER: 0
; COMPUTE_PGM_RSRC2:TGID_X_EN: 1
; COMPUTE_PGM_RSRC2:TGID_Y_EN: 0
; COMPUTE_PGM_RSRC2:TGID_Z_EN: 0
; COMPUTE_PGM_RSRC2:TIDIG_COMP_CNT: 1
	.section	.text._ZN12_GLOBAL__N_121softmax_warp_backwardIN3c104HalfES2_fLi7ELb0ELb1ELi64EEEvPT0_PKT_S7_iiiPKb,"axG",@progbits,_ZN12_GLOBAL__N_121softmax_warp_backwardIN3c104HalfES2_fLi7ELb0ELb1ELi64EEEvPT0_PKT_S7_iiiPKb,comdat
	.globl	_ZN12_GLOBAL__N_121softmax_warp_backwardIN3c104HalfES2_fLi7ELb0ELb1ELi64EEEvPT0_PKT_S7_iiiPKb ; -- Begin function _ZN12_GLOBAL__N_121softmax_warp_backwardIN3c104HalfES2_fLi7ELb0ELb1ELi64EEEvPT0_PKT_S7_iiiPKb
	.p2align	8
	.type	_ZN12_GLOBAL__N_121softmax_warp_backwardIN3c104HalfES2_fLi7ELb0ELb1ELi64EEEvPT0_PKT_S7_iiiPKb,@function
_ZN12_GLOBAL__N_121softmax_warp_backwardIN3c104HalfES2_fLi7ELb0ELb1ELi64EEEvPT0_PKT_S7_iiiPKb: ; @_ZN12_GLOBAL__N_121softmax_warp_backwardIN3c104HalfES2_fLi7ELb0ELb1ELi64EEEvPT0_PKT_S7_iiiPKb
; %bb.0:
	s_clause 0x1
	s_load_b32 s2, s[0:1], 0x3c
	s_load_b128 s[8:11], s[0:1], 0x18
	v_bfe_u32 v1, v0, 10, 10
	v_and_b32_e32 v8, 63, v0
	v_mov_b32_e32 v10, 0
	v_mov_b32_e32 v14, 0
	;; [unrolled: 1-line block ×3, first 2 shown]
	s_load_b64 s[4:5], s[0:1], 0x10
	s_waitcnt lgkmcnt(0)
	s_lshr_b32 s2, s2, 16
	s_delay_alu instid0(SALU_CYCLE_1) | instskip(SKIP_3) | instid1(VALU_DEP_1)
	s_mul_i32 s15, s15, s2
	v_cmp_gt_i32_e64 s2, s10, v8
	v_add_lshl_u32 v0, s15, v1, 1
	s_load_b128 s[12:15], s[0:1], 0x0
	v_mad_u64_u32 v[2:3], null, v0, s9, v[8:9]
	v_sub_nc_u32_e32 v9, s8, v0
	s_delay_alu instid0(VALU_DEP_1) | instskip(NEXT) | instid1(VALU_DEP_3)
	v_cmp_lt_i32_e64 s3, 0, v9
	v_ashrrev_i32_e32 v3, 31, v2
	s_delay_alu instid0(VALU_DEP_1) | instskip(SKIP_1) | instid1(VALU_DEP_1)
	v_lshlrev_b64 v[0:1], 1, v[2:3]
	s_waitcnt lgkmcnt(0)
	v_add_co_u32 v6, vcc_lo, s14, v0
	s_delay_alu instid0(VALU_DEP_2) | instskip(SKIP_3) | instid1(SALU_CYCLE_1)
	v_add_co_ci_u32_e32 v7, vcc_lo, s15, v1, vcc_lo
	v_add_co_u32 v4, vcc_lo, s4, v0
	v_add_co_ci_u32_e32 v5, vcc_lo, s5, v1, vcc_lo
	s_and_b32 s5, s3, s2
	s_and_saveexec_b32 s4, s5
	s_cbranch_execz .LBB826_2
; %bb.1:
	global_load_u16 v11, v[6:7], off
	global_load_u16 v12, v[4:5], off
	s_waitcnt vmcnt(1)
	v_cvt_f32_f16_e32 v14, v11
	s_waitcnt vmcnt(0)
	v_cvt_f32_f16_e32 v16, v12
.LBB826_2:
	s_or_b32 exec_lo, exec_lo, s4
	v_or_b32_e32 v8, 64, v8
	v_mov_b32_e32 v15, 0
	s_delay_alu instid0(VALU_DEP_2) | instskip(SKIP_1) | instid1(SALU_CYCLE_1)
	v_cmp_gt_i32_e32 vcc_lo, s10, v8
	s_and_b32 s5, s3, vcc_lo
	s_and_saveexec_b32 s4, s5
	s_cbranch_execz .LBB826_4
; %bb.3:
	global_load_u16 v8, v[6:7], off offset:128
	global_load_u16 v11, v[4:5], off offset:128
	s_waitcnt vmcnt(1)
	v_cvt_f32_f16_e32 v10, v8
	s_waitcnt vmcnt(0)
	v_cvt_f32_f16_e32 v15, v11
.LBB826_4:
	s_or_b32 exec_lo, exec_lo, s4
	v_cmp_lt_i32_e64 s4, 1, v9
	v_dual_mov_b32 v8, 0 :: v_dual_mov_b32 v11, 0
	v_mov_b32_e32 v12, 0
	s_mov_b32 s11, 0
	s_delay_alu instid0(VALU_DEP_3) | instskip(NEXT) | instid1(SALU_CYCLE_1)
	s_and_b32 s5, s4, s2
	s_and_saveexec_b32 s6, s5
	s_cbranch_execz .LBB826_6
; %bb.5:
	s_lshl_b64 s[8:9], s[10:11], 1
	s_delay_alu instid0(SALU_CYCLE_1) | instskip(NEXT) | instid1(VALU_DEP_1)
	v_add_co_u32 v11, s5, v6, s8
	v_add_co_ci_u32_e64 v12, s5, s9, v7, s5
	v_add_co_u32 v17, s5, v4, s8
	s_delay_alu instid0(VALU_DEP_1)
	v_add_co_ci_u32_e64 v18, s5, s9, v5, s5
	global_load_u16 v11, v[11:12], off
	global_load_u16 v12, v[17:18], off
	s_waitcnt vmcnt(1)
	v_cvt_f32_f16_e32 v11, v11
	s_waitcnt vmcnt(0)
	v_cvt_f32_f16_e32 v12, v12
.LBB826_6:
	s_or_b32 exec_lo, exec_lo, s6
	v_mov_b32_e32 v13, 0
	s_and_b32 s4, s4, vcc_lo
	s_delay_alu instid0(SALU_CYCLE_1)
	s_and_saveexec_b32 s5, s4
	s_cbranch_execz .LBB826_8
; %bb.7:
	s_lshl_b64 s[6:7], s[10:11], 1
	s_delay_alu instid0(SALU_CYCLE_1) | instskip(NEXT) | instid1(VALU_DEP_1)
	v_add_co_u32 v6, s4, v6, s6
	v_add_co_ci_u32_e64 v7, s4, s7, v7, s4
	v_add_co_u32 v4, s4, v4, s6
	s_delay_alu instid0(VALU_DEP_1)
	v_add_co_ci_u32_e64 v5, s4, s7, v5, s4
	global_load_u16 v6, v[6:7], off offset:128
	global_load_u16 v4, v[4:5], off offset:128
	s_waitcnt vmcnt(1)
	v_cvt_f32_f16_e32 v8, v6
	s_waitcnt vmcnt(0)
	v_cvt_f32_f16_e32 v13, v4
.LBB826_8:
	s_or_b32 exec_lo, exec_lo, s5
	s_load_b64 s[0:1], s[0:1], 0x28
	v_add_f32_e32 v18, 0, v11
	s_waitcnt lgkmcnt(0)
	v_add_co_u32 v2, s0, s0, v2
	s_delay_alu instid0(VALU_DEP_1) | instskip(SKIP_1) | instid1(VALU_DEP_2)
	v_add_co_ci_u32_e64 v3, s0, s1, v3, s0
	s_ashr_i32 s1, s10, 31
	v_add_co_u32 v4, s0, v2, s10
	s_delay_alu instid0(VALU_DEP_1)
	v_add_co_ci_u32_e64 v5, s0, s1, v3, s0
	s_clause 0x3
	global_load_u8 v6, v[2:3], off
	global_load_u8 v7, v[4:5], off
	global_load_u8 v2, v[2:3], off offset:64
	global_load_u8 v3, v[4:5], off offset:64
	v_mbcnt_lo_u32_b32 v4, -1, 0
	s_delay_alu instid0(VALU_DEP_1) | instskip(NEXT) | instid1(VALU_DEP_1)
	v_or_b32_e32 v17, 32, v4
	v_cmp_gt_i32_e64 s0, 64, v17
	s_waitcnt vmcnt(3)
	v_and_b32_e32 v5, 1, v6
	s_waitcnt vmcnt(2)
	v_dual_add_f32 v6, 0, v14 :: v_dual_and_b32 v7, 1, v7
	s_waitcnt vmcnt(1)
	v_and_b32_e32 v2, 1, v2
	v_cmp_eq_u32_e64 s5, 1, v5
	s_delay_alu instid0(VALU_DEP_3) | instskip(NEXT) | instid1(VALU_DEP_3)
	v_cmp_eq_u32_e64 s1, 1, v7
	v_cmp_eq_u32_e64 s4, 1, v2
	s_delay_alu instid0(VALU_DEP_3) | instskip(SKIP_1) | instid1(VALU_DEP_4)
	v_cndmask_b32_e64 v5, v6, 0, s5
	v_cndmask_b32_e64 v6, v4, v17, s0
	;; [unrolled: 1-line block ×3, first 2 shown]
	s_delay_alu instid0(VALU_DEP_3) | instskip(NEXT) | instid1(VALU_DEP_3)
	v_add_f32_e32 v17, v5, v10
	v_lshlrev_b32_e32 v6, 2, v6
	s_delay_alu instid0(VALU_DEP_3) | instskip(NEXT) | instid1(VALU_DEP_3)
	v_add_f32_e32 v18, v7, v8
	v_cndmask_b32_e64 v2, v17, v5, s4
	ds_bpermute_b32 v5, v6, v2
	s_waitcnt vmcnt(0) lgkmcnt(0)
	v_dual_add_f32 v2, v2, v5 :: v_dual_and_b32 v3, 1, v3
	s_delay_alu instid0(VALU_DEP_1) | instskip(NEXT) | instid1(VALU_DEP_1)
	v_cmp_eq_u32_e64 s0, 1, v3
	v_cndmask_b32_e64 v3, v18, v7, s0
	v_xor_b32_e32 v7, 16, v4
	ds_bpermute_b32 v6, v6, v3
	v_cmp_gt_i32_e64 s6, 64, v7
	s_delay_alu instid0(VALU_DEP_1) | instskip(NEXT) | instid1(VALU_DEP_1)
	v_cndmask_b32_e64 v7, v4, v7, s6
	v_lshlrev_b32_e32 v7, 2, v7
	ds_bpermute_b32 v5, v7, v2
	s_waitcnt lgkmcnt(0)
	v_dual_add_f32 v3, v3, v6 :: v_dual_add_f32 v2, v2, v5
	ds_bpermute_b32 v6, v7, v3
	v_xor_b32_e32 v7, 8, v4
	s_delay_alu instid0(VALU_DEP_1) | instskip(NEXT) | instid1(VALU_DEP_1)
	v_cmp_gt_i32_e64 s6, 64, v7
	v_cndmask_b32_e64 v7, v4, v7, s6
	s_delay_alu instid0(VALU_DEP_1)
	v_lshlrev_b32_e32 v5, 2, v7
	v_xor_b32_e32 v7, 4, v4
	s_waitcnt lgkmcnt(0)
	v_add_f32_e32 v3, v3, v6
	ds_bpermute_b32 v6, v5, v2
	v_cmp_gt_i32_e64 s6, 64, v7
	s_delay_alu instid0(VALU_DEP_1)
	v_cndmask_b32_e64 v7, v4, v7, s6
	s_waitcnt lgkmcnt(0)
	v_add_f32_e32 v2, v2, v6
	ds_bpermute_b32 v5, v5, v3
	v_lshlrev_b32_e32 v6, 2, v7
	v_xor_b32_e32 v7, 2, v4
	s_delay_alu instid0(VALU_DEP_1) | instskip(NEXT) | instid1(VALU_DEP_1)
	v_cmp_gt_i32_e64 s6, 64, v7
	v_cndmask_b32_e64 v7, v4, v7, s6
	s_waitcnt lgkmcnt(0)
	v_add_f32_e32 v3, v3, v5
	ds_bpermute_b32 v5, v6, v2
	ds_bpermute_b32 v6, v6, v3
	s_waitcnt lgkmcnt(1)
	v_dual_add_f32 v2, v2, v5 :: v_dual_lshlrev_b32 v5, 2, v7
	v_xor_b32_e32 v7, 1, v4
	s_delay_alu instid0(VALU_DEP_1) | instskip(NEXT) | instid1(VALU_DEP_1)
	v_cmp_gt_i32_e64 s6, 64, v7
	v_cndmask_b32_e64 v7, v4, v7, s6
	s_waitcnt lgkmcnt(0)
	v_add_f32_e32 v3, v3, v6
	ds_bpermute_b32 v6, v5, v2
	s_waitcnt lgkmcnt(0)
	v_add_f32_e32 v4, v2, v6
	v_lshlrev_b32_e32 v6, 2, v7
	ds_bpermute_b32 v5, v5, v3
	s_waitcnt lgkmcnt(0)
	v_add_f32_e32 v2, v3, v5
	ds_bpermute_b32 v5, v6, v4
	ds_bpermute_b32 v3, v6, v2
	s_and_saveexec_b32 s6, s3
	s_cbranch_execz .LBB826_30
; %bb.9:
	v_add_co_u32 v0, s3, s12, v0
	s_waitcnt lgkmcnt(1)
	v_add_f32_e32 v4, v4, v5
	v_add_co_ci_u32_e64 v1, s3, s13, v1, s3
	s_and_saveexec_b32 s3, s2
	s_cbranch_execz .LBB826_14
; %bb.10:
	s_xor_b32 s5, s5, -1
	s_delay_alu instid0(SALU_CYCLE_1) | instskip(NEXT) | instid1(SALU_CYCLE_1)
	s_and_saveexec_b32 s6, s5
	s_xor_b32 s5, exec_lo, s6
	s_cbranch_execz .LBB826_12
; %bb.11:
	v_fma_mixlo_f16 v5, -v4, v16, v14
	global_store_b16 v[0:1], v5, off
.LBB826_12:
	s_and_not1_saveexec_b32 s5, s5
	s_cbranch_execz .LBB826_14
; %bb.13:
	v_mov_b32_e32 v5, 0
	global_store_b16 v[0:1], v5, off
.LBB826_14:
	s_or_b32 exec_lo, exec_lo, s3
	s_and_saveexec_b32 s3, vcc_lo
	s_cbranch_execz .LBB826_19
; %bb.15:
	s_xor_b32 s4, s4, -1
	s_delay_alu instid0(SALU_CYCLE_1) | instskip(NEXT) | instid1(SALU_CYCLE_1)
	s_and_saveexec_b32 s5, s4
	s_xor_b32 s4, exec_lo, s5
	s_cbranch_execz .LBB826_17
; %bb.16:
	v_fma_mixlo_f16 v4, -v4, v15, v10
	global_store_b16 v[0:1], v4, off offset:128
.LBB826_17:
	s_and_not1_saveexec_b32 s4, s4
	s_cbranch_execz .LBB826_19
; %bb.18:
	v_mov_b32_e32 v4, 0
	global_store_b16 v[0:1], v4, off offset:128
.LBB826_19:
	s_or_b32 exec_lo, exec_lo, s3
	v_cmp_ne_u32_e64 s3, 1, v9
	s_delay_alu instid0(VALU_DEP_1)
	s_and_b32 exec_lo, exec_lo, s3
	s_cbranch_execz .LBB826_30
; %bb.20:
	s_lshl_b64 s[4:5], s[10:11], 1
	s_waitcnt lgkmcnt(0)
	v_add_f32_e32 v2, v2, v3
	v_add_co_u32 v0, s3, v0, s4
	s_delay_alu instid0(VALU_DEP_1)
	v_add_co_ci_u32_e64 v1, s3, s5, v1, s3
	s_and_saveexec_b32 s3, s2
	s_cbranch_execz .LBB826_25
; %bb.21:
	s_xor_b32 s1, s1, -1
	s_delay_alu instid0(SALU_CYCLE_1) | instskip(NEXT) | instid1(SALU_CYCLE_1)
	s_and_saveexec_b32 s2, s1
	s_xor_b32 s1, exec_lo, s2
	s_cbranch_execz .LBB826_23
; %bb.22:
	v_fma_mixlo_f16 v3, -v2, v12, v11
	global_store_b16 v[0:1], v3, off
.LBB826_23:
	s_and_not1_saveexec_b32 s1, s1
	s_cbranch_execz .LBB826_25
; %bb.24:
	v_mov_b32_e32 v3, 0
	global_store_b16 v[0:1], v3, off
.LBB826_25:
	s_or_b32 exec_lo, exec_lo, s3
	s_delay_alu instid0(SALU_CYCLE_1)
	s_and_b32 exec_lo, exec_lo, vcc_lo
	s_cbranch_execz .LBB826_30
; %bb.26:
	s_xor_b32 s0, s0, -1
	s_delay_alu instid0(SALU_CYCLE_1) | instskip(NEXT) | instid1(SALU_CYCLE_1)
	s_and_saveexec_b32 s1, s0
	s_xor_b32 s0, exec_lo, s1
	s_cbranch_execz .LBB826_28
; %bb.27:
	v_fma_mixlo_f16 v2, -v2, v13, v8
	global_store_b16 v[0:1], v2, off offset:128
                                        ; implicit-def: $vgpr0_vgpr1
.LBB826_28:
	s_and_not1_saveexec_b32 s0, s0
	s_cbranch_execz .LBB826_30
; %bb.29:
	v_mov_b32_e32 v2, 0
	global_store_b16 v[0:1], v2, off offset:128
.LBB826_30:
	s_nop 0
	s_sendmsg sendmsg(MSG_DEALLOC_VGPRS)
	s_endpgm
	.section	.rodata,"a",@progbits
	.p2align	6, 0x0
	.amdhsa_kernel _ZN12_GLOBAL__N_121softmax_warp_backwardIN3c104HalfES2_fLi7ELb0ELb1ELi64EEEvPT0_PKT_S7_iiiPKb
		.amdhsa_group_segment_fixed_size 0
		.amdhsa_private_segment_fixed_size 0
		.amdhsa_kernarg_size 304
		.amdhsa_user_sgpr_count 15
		.amdhsa_user_sgpr_dispatch_ptr 0
		.amdhsa_user_sgpr_queue_ptr 0
		.amdhsa_user_sgpr_kernarg_segment_ptr 1
		.amdhsa_user_sgpr_dispatch_id 0
		.amdhsa_user_sgpr_private_segment_size 0
		.amdhsa_wavefront_size32 1
		.amdhsa_uses_dynamic_stack 0
		.amdhsa_enable_private_segment 0
		.amdhsa_system_sgpr_workgroup_id_x 1
		.amdhsa_system_sgpr_workgroup_id_y 0
		.amdhsa_system_sgpr_workgroup_id_z 0
		.amdhsa_system_sgpr_workgroup_info 0
		.amdhsa_system_vgpr_workitem_id 1
		.amdhsa_next_free_vgpr 19
		.amdhsa_next_free_sgpr 16
		.amdhsa_reserve_vcc 1
		.amdhsa_float_round_mode_32 0
		.amdhsa_float_round_mode_16_64 0
		.amdhsa_float_denorm_mode_32 3
		.amdhsa_float_denorm_mode_16_64 3
		.amdhsa_dx10_clamp 1
		.amdhsa_ieee_mode 1
		.amdhsa_fp16_overflow 0
		.amdhsa_workgroup_processor_mode 1
		.amdhsa_memory_ordered 1
		.amdhsa_forward_progress 0
		.amdhsa_shared_vgpr_count 0
		.amdhsa_exception_fp_ieee_invalid_op 0
		.amdhsa_exception_fp_denorm_src 0
		.amdhsa_exception_fp_ieee_div_zero 0
		.amdhsa_exception_fp_ieee_overflow 0
		.amdhsa_exception_fp_ieee_underflow 0
		.amdhsa_exception_fp_ieee_inexact 0
		.amdhsa_exception_int_div_zero 0
	.end_amdhsa_kernel
	.section	.text._ZN12_GLOBAL__N_121softmax_warp_backwardIN3c104HalfES2_fLi7ELb0ELb1ELi64EEEvPT0_PKT_S7_iiiPKb,"axG",@progbits,_ZN12_GLOBAL__N_121softmax_warp_backwardIN3c104HalfES2_fLi7ELb0ELb1ELi64EEEvPT0_PKT_S7_iiiPKb,comdat
.Lfunc_end826:
	.size	_ZN12_GLOBAL__N_121softmax_warp_backwardIN3c104HalfES2_fLi7ELb0ELb1ELi64EEEvPT0_PKT_S7_iiiPKb, .Lfunc_end826-_ZN12_GLOBAL__N_121softmax_warp_backwardIN3c104HalfES2_fLi7ELb0ELb1ELi64EEEvPT0_PKT_S7_iiiPKb
                                        ; -- End function
	.section	.AMDGPU.csdata,"",@progbits
; Kernel info:
; codeLenInByte = 1436
; NumSgprs: 18
; NumVgprs: 19
; ScratchSize: 0
; MemoryBound: 0
; FloatMode: 240
; IeeeMode: 1
; LDSByteSize: 0 bytes/workgroup (compile time only)
; SGPRBlocks: 2
; VGPRBlocks: 2
; NumSGPRsForWavesPerEU: 18
; NumVGPRsForWavesPerEU: 19
; Occupancy: 16
; WaveLimiterHint : 0
; COMPUTE_PGM_RSRC2:SCRATCH_EN: 0
; COMPUTE_PGM_RSRC2:USER_SGPR: 15
; COMPUTE_PGM_RSRC2:TRAP_HANDLER: 0
; COMPUTE_PGM_RSRC2:TGID_X_EN: 1
; COMPUTE_PGM_RSRC2:TGID_Y_EN: 0
; COMPUTE_PGM_RSRC2:TGID_Z_EN: 0
; COMPUTE_PGM_RSRC2:TIDIG_COMP_CNT: 1
	.section	.text._ZN12_GLOBAL__N_121softmax_warp_backwardIN3c104HalfES2_fLi7ELb0ELb1ELi32EEEvPT0_PKT_S7_iiiPKb,"axG",@progbits,_ZN12_GLOBAL__N_121softmax_warp_backwardIN3c104HalfES2_fLi7ELb0ELb1ELi32EEEvPT0_PKT_S7_iiiPKb,comdat
	.globl	_ZN12_GLOBAL__N_121softmax_warp_backwardIN3c104HalfES2_fLi7ELb0ELb1ELi32EEEvPT0_PKT_S7_iiiPKb ; -- Begin function _ZN12_GLOBAL__N_121softmax_warp_backwardIN3c104HalfES2_fLi7ELb0ELb1ELi32EEEvPT0_PKT_S7_iiiPKb
	.p2align	8
	.type	_ZN12_GLOBAL__N_121softmax_warp_backwardIN3c104HalfES2_fLi7ELb0ELb1ELi32EEEvPT0_PKT_S7_iiiPKb,@function
_ZN12_GLOBAL__N_121softmax_warp_backwardIN3c104HalfES2_fLi7ELb0ELb1ELi32EEEvPT0_PKT_S7_iiiPKb: ; @_ZN12_GLOBAL__N_121softmax_warp_backwardIN3c104HalfES2_fLi7ELb0ELb1ELi32EEEvPT0_PKT_S7_iiiPKb
; %bb.0:
	s_clause 0x1
	s_load_b32 s2, s[0:1], 0x3c
	s_load_b128 s[8:11], s[0:1], 0x18
	v_bfe_u32 v1, v0, 10, 10
	v_and_b32_e32 v8, 31, v0
	v_mov_b32_e32 v12, 0
	v_mov_b32_e32 v22, 0
	;; [unrolled: 1-line block ×3, first 2 shown]
	s_waitcnt lgkmcnt(0)
	s_lshr_b32 s2, s2, 16
	v_cmp_gt_i32_e64 s4, s10, v8
	s_mul_i32 s15, s15, s2
	s_load_b64 s[2:3], s[0:1], 0x10
	v_add_lshl_u32 v0, s15, v1, 1
	s_load_b128 s[12:15], s[0:1], 0x0
	s_delay_alu instid0(VALU_DEP_1) | instskip(SKIP_1) | instid1(VALU_DEP_1)
	v_mad_u64_u32 v[2:3], null, v0, s9, v[8:9]
	v_sub_nc_u32_e32 v9, s8, v0
	v_cmp_lt_i32_e64 s5, 0, v9
	s_delay_alu instid0(VALU_DEP_3) | instskip(NEXT) | instid1(VALU_DEP_1)
	v_ashrrev_i32_e32 v3, 31, v2
	v_lshlrev_b64 v[0:1], 1, v[2:3]
	s_waitcnt lgkmcnt(0)
	s_delay_alu instid0(VALU_DEP_1) | instskip(NEXT) | instid1(VALU_DEP_2)
	v_add_co_u32 v6, vcc_lo, s14, v0
	v_add_co_ci_u32_e32 v7, vcc_lo, s15, v1, vcc_lo
	v_add_co_u32 v4, vcc_lo, s2, v0
	v_add_co_ci_u32_e32 v5, vcc_lo, s3, v1, vcc_lo
	s_and_b32 s3, s5, s4
	s_delay_alu instid0(SALU_CYCLE_1)
	s_and_saveexec_b32 s2, s3
	s_cbranch_execz .LBB827_2
; %bb.1:
	global_load_u16 v10, v[6:7], off
	global_load_u16 v11, v[4:5], off
	s_waitcnt vmcnt(1)
	v_cvt_f32_f16_e32 v22, v10
	s_waitcnt vmcnt(0)
	v_cvt_f32_f16_e32 v24, v11
.LBB827_2:
	s_or_b32 exec_lo, exec_lo, s2
	v_or_b32_e32 v10, 32, v8
	v_mov_b32_e32 v23, 0
	s_delay_alu instid0(VALU_DEP_2) | instskip(NEXT) | instid1(VALU_DEP_1)
	v_cmp_gt_i32_e64 s3, s10, v10
	s_and_b32 s6, s5, s3
	s_delay_alu instid0(SALU_CYCLE_1)
	s_and_saveexec_b32 s2, s6
	s_cbranch_execz .LBB827_4
; %bb.3:
	global_load_u16 v10, v[6:7], off offset:64
	global_load_u16 v11, v[4:5], off offset:64
	s_waitcnt vmcnt(1)
	v_cvt_f32_f16_e32 v12, v10
	s_waitcnt vmcnt(0)
	v_cvt_f32_f16_e32 v23, v11
.LBB827_4:
	s_or_b32 exec_lo, exec_lo, s2
	v_or_b32_e32 v10, 64, v8
	v_mov_b32_e32 v18, 0
	v_mov_b32_e32 v20, 0
	s_delay_alu instid0(VALU_DEP_3) | instskip(SKIP_1) | instid1(VALU_DEP_2)
	v_cmp_gt_i32_e64 s2, s10, v10
	v_mov_b32_e32 v10, 0
	s_and_b32 s7, s5, s2
	s_delay_alu instid0(SALU_CYCLE_1)
	s_and_saveexec_b32 s6, s7
	s_cbranch_execz .LBB827_6
; %bb.5:
	global_load_u16 v11, v[6:7], off offset:128
	global_load_u16 v13, v[4:5], off offset:128
	s_waitcnt vmcnt(1)
	v_cvt_f32_f16_e32 v18, v11
	s_waitcnt vmcnt(0)
	v_cvt_f32_f16_e32 v20, v13
.LBB827_6:
	s_or_b32 exec_lo, exec_lo, s6
	v_or_b32_e32 v8, 0x60, v8
	v_mov_b32_e32 v16, 0
	s_delay_alu instid0(VALU_DEP_2) | instskip(SKIP_1) | instid1(SALU_CYCLE_1)
	v_cmp_gt_i32_e32 vcc_lo, s10, v8
	s_and_b32 s7, s5, vcc_lo
	s_and_saveexec_b32 s6, s7
	s_cbranch_execz .LBB827_8
; %bb.7:
	global_load_u16 v8, v[6:7], off offset:192
	global_load_u16 v11, v[4:5], off offset:192
	s_waitcnt vmcnt(1)
	v_cvt_f32_f16_e32 v10, v8
	s_waitcnt vmcnt(0)
	v_cvt_f32_f16_e32 v16, v11
.LBB827_8:
	s_or_b32 exec_lo, exec_lo, s6
	v_cmp_lt_i32_e64 s6, 1, v9
	v_dual_mov_b32 v8, 0 :: v_dual_mov_b32 v13, 0
	v_mov_b32_e32 v14, 0
	s_mov_b32 s11, 0
	s_delay_alu instid0(VALU_DEP_3) | instskip(NEXT) | instid1(SALU_CYCLE_1)
	s_and_b32 s7, s6, s4
	s_and_saveexec_b32 s8, s7
	s_cbranch_execz .LBB827_10
; %bb.9:
	s_lshl_b64 s[14:15], s[10:11], 1
	s_delay_alu instid0(SALU_CYCLE_1) | instskip(NEXT) | instid1(VALU_DEP_1)
	v_add_co_u32 v13, s7, v6, s14
	v_add_co_ci_u32_e64 v14, s7, s15, v7, s7
	v_add_co_u32 v25, s7, v4, s14
	s_delay_alu instid0(VALU_DEP_1)
	v_add_co_ci_u32_e64 v26, s7, s15, v5, s7
	global_load_u16 v11, v[13:14], off
	global_load_u16 v14, v[25:26], off
	s_waitcnt vmcnt(1)
	v_cvt_f32_f16_e32 v13, v11
	s_waitcnt vmcnt(0)
	v_cvt_f32_f16_e32 v14, v14
.LBB827_10:
	s_or_b32 exec_lo, exec_lo, s8
	v_mov_b32_e32 v15, 0
	s_and_b32 s7, s6, s3
	s_delay_alu instid0(SALU_CYCLE_1)
	s_and_saveexec_b32 s8, s7
	s_cbranch_execz .LBB827_12
; %bb.11:
	s_lshl_b64 s[14:15], s[10:11], 1
	s_delay_alu instid0(SALU_CYCLE_1) | instskip(NEXT) | instid1(VALU_DEP_1)
	v_add_co_u32 v25, s7, v6, s14
	v_add_co_ci_u32_e64 v26, s7, s15, v7, s7
	v_add_co_u32 v27, s7, v4, s14
	s_delay_alu instid0(VALU_DEP_1)
	v_add_co_ci_u32_e64 v28, s7, s15, v5, s7
	global_load_u16 v8, v[25:26], off offset:64
	global_load_u16 v11, v[27:28], off offset:64
	s_waitcnt vmcnt(1)
	v_cvt_f32_f16_e32 v8, v8
	s_waitcnt vmcnt(0)
	v_cvt_f32_f16_e32 v15, v11
.LBB827_12:
	s_or_b32 exec_lo, exec_lo, s8
	v_mov_b32_e32 v11, 0
	v_mov_b32_e32 v17, 0
	;; [unrolled: 1-line block ×3, first 2 shown]
	s_and_b32 s7, s6, s2
	s_delay_alu instid0(SALU_CYCLE_1)
	s_and_saveexec_b32 s8, s7
	s_cbranch_execz .LBB827_14
; %bb.13:
	s_lshl_b64 s[14:15], s[10:11], 1
	s_delay_alu instid0(SALU_CYCLE_1) | instskip(NEXT) | instid1(VALU_DEP_1)
	v_add_co_u32 v25, s7, v6, s14
	v_add_co_ci_u32_e64 v26, s7, s15, v7, s7
	v_add_co_u32 v27, s7, v4, s14
	s_delay_alu instid0(VALU_DEP_1)
	v_add_co_ci_u32_e64 v28, s7, s15, v5, s7
	global_load_u16 v17, v[25:26], off offset:128
	global_load_u16 v19, v[27:28], off offset:128
	s_waitcnt vmcnt(1)
	v_cvt_f32_f16_e32 v17, v17
	s_waitcnt vmcnt(0)
	v_cvt_f32_f16_e32 v19, v19
.LBB827_14:
	s_or_b32 exec_lo, exec_lo, s8
	v_mov_b32_e32 v21, 0
	s_and_b32 s6, s6, vcc_lo
	s_delay_alu instid0(SALU_CYCLE_1)
	s_and_saveexec_b32 s7, s6
	s_cbranch_execz .LBB827_16
; %bb.15:
	s_lshl_b64 s[8:9], s[10:11], 1
	s_delay_alu instid0(SALU_CYCLE_1) | instskip(NEXT) | instid1(VALU_DEP_1)
	v_add_co_u32 v6, s6, v6, s8
	v_add_co_ci_u32_e64 v7, s6, s9, v7, s6
	v_add_co_u32 v4, s6, v4, s8
	s_delay_alu instid0(VALU_DEP_1)
	v_add_co_ci_u32_e64 v5, s6, s9, v5, s6
	global_load_u16 v6, v[6:7], off offset:192
	global_load_u16 v4, v[4:5], off offset:192
	s_waitcnt vmcnt(1)
	v_cvt_f32_f16_e32 v11, v6
	s_waitcnt vmcnt(0)
	v_cvt_f32_f16_e32 v21, v4
.LBB827_16:
	s_or_b32 exec_lo, exec_lo, s7
	s_load_b64 s[0:1], s[0:1], 0x28
	s_ashr_i32 s11, s10, 31
	v_add_f32_e32 v30, 0, v13
	s_waitcnt lgkmcnt(0)
	v_add_co_u32 v2, s0, s0, v2
	s_delay_alu instid0(VALU_DEP_1) | instskip(NEXT) | instid1(VALU_DEP_2)
	v_add_co_ci_u32_e64 v3, s0, s1, v3, s0
	v_add_co_u32 v4, s0, v2, s10
	s_delay_alu instid0(VALU_DEP_1)
	v_add_co_ci_u32_e64 v5, s0, s11, v3, s0
	s_clause 0x7
	global_load_u8 v6, v[2:3], off
	global_load_u8 v7, v[4:5], off
	global_load_u8 v25, v[2:3], off offset:32
	global_load_u8 v26, v[4:5], off offset:32
	;; [unrolled: 1-line block ×6, first 2 shown]
	s_waitcnt vmcnt(7)
	v_and_b32_e32 v5, 1, v6
	s_waitcnt vmcnt(6)
	v_dual_add_f32 v6, 0, v22 :: v_dual_and_b32 v7, 1, v7
	s_waitcnt vmcnt(4)
	v_and_b32_e32 v26, 1, v26
	v_cmp_eq_u32_e64 s8, 1, v5
	s_delay_alu instid0(VALU_DEP_3)
	v_cmp_eq_u32_e64 s7, 1, v7
	s_waitcnt vmcnt(0)
	v_and_b32_e32 v4, 1, v4
	v_cmp_eq_u32_e64 s6, 1, v26
	v_cndmask_b32_e64 v5, v6, 0, s8
	v_cndmask_b32_e64 v6, v30, 0, s7
	v_and_b32_e32 v7, 1, v25
	s_delay_alu instid0(VALU_DEP_3) | instskip(NEXT) | instid1(VALU_DEP_3)
	v_add_f32_e32 v25, v5, v12
	v_add_f32_e32 v30, v6, v8
	s_delay_alu instid0(VALU_DEP_3) | instskip(SKIP_1) | instid1(VALU_DEP_3)
	v_cmp_eq_u32_e64 s0, 1, v7
	v_mbcnt_lo_u32_b32 v7, -1, 0
	v_cndmask_b32_e64 v6, v30, v6, s6
	s_delay_alu instid0(VALU_DEP_3) | instskip(SKIP_1) | instid1(VALU_DEP_4)
	v_cndmask_b32_e64 v5, v25, v5, s0
	v_and_b32_e32 v25, 1, v27
	v_xor_b32_e32 v27, 16, v7
	s_delay_alu instid0(VALU_DEP_3) | instskip(NEXT) | instid1(VALU_DEP_3)
	v_add_f32_e32 v26, v5, v18
	v_cmp_eq_u32_e64 s0, 1, v25
	s_delay_alu instid0(VALU_DEP_1) | instskip(NEXT) | instid1(VALU_DEP_4)
	v_cndmask_b32_e64 v5, v26, v5, s0
	v_cmp_gt_i32_e64 s0, 32, v27
	v_and_b32_e32 v26, 1, v29
	v_and_b32_e32 v28, 1, v28
	s_delay_alu instid0(VALU_DEP_3) | instskip(SKIP_1) | instid1(VALU_DEP_4)
	v_cndmask_b32_e64 v25, v7, v27, s0
	v_add_f32_e32 v27, v5, v10
	v_cmp_eq_u32_e64 s0, 1, v26
	s_delay_alu instid0(VALU_DEP_4) | instskip(SKIP_1) | instid1(VALU_DEP_3)
	v_cmp_eq_u32_e64 s1, 1, v28
	v_xor_b32_e32 v26, 8, v7
	v_cndmask_b32_e64 v5, v27, v5, s0
	v_add_f32_e32 v30, v6, v17
	v_cmp_eq_u32_e64 s0, 1, v4
	s_delay_alu instid0(VALU_DEP_4) | instskip(NEXT) | instid1(VALU_DEP_3)
	v_cmp_gt_i32_e64 s9, 32, v26
	v_cndmask_b32_e64 v6, v30, v6, s1
	v_lshlrev_b32_e32 v25, 2, v25
	s_delay_alu instid0(VALU_DEP_3) | instskip(NEXT) | instid1(VALU_DEP_3)
	v_cndmask_b32_e64 v26, v7, v26, s9
	v_add_f32_e32 v28, v6, v11
	s_delay_alu instid0(VALU_DEP_1)
	v_cndmask_b32_e64 v4, v28, v6, s0
	ds_bpermute_b32 v6, v25, v5
	ds_bpermute_b32 v25, v25, v4
	s_waitcnt lgkmcnt(1)
	v_add_f32_e32 v5, v5, v6
	v_lshlrev_b32_e32 v6, 2, v26
	v_xor_b32_e32 v26, 4, v7
	s_delay_alu instid0(VALU_DEP_1) | instskip(NEXT) | instid1(VALU_DEP_1)
	v_cmp_gt_i32_e64 s9, 32, v26
	v_cndmask_b32_e64 v26, v7, v26, s9
	s_waitcnt lgkmcnt(0)
	v_add_f32_e32 v4, v4, v25
	ds_bpermute_b32 v25, v6, v5
	s_waitcnt lgkmcnt(0)
	v_add_f32_e32 v5, v5, v25
	v_lshlrev_b32_e32 v25, 2, v26
	ds_bpermute_b32 v6, v6, v4
	v_xor_b32_e32 v26, 2, v7
	s_delay_alu instid0(VALU_DEP_1) | instskip(NEXT) | instid1(VALU_DEP_1)
	v_cmp_gt_i32_e64 s9, 32, v26
	v_cndmask_b32_e64 v26, v7, v26, s9
	s_waitcnt lgkmcnt(0)
	v_add_f32_e32 v4, v4, v6
	ds_bpermute_b32 v6, v25, v5
	ds_bpermute_b32 v25, v25, v4
	s_waitcnt lgkmcnt(1)
	v_add_f32_e32 v5, v5, v6
	v_lshlrev_b32_e32 v6, 2, v26
	s_waitcnt lgkmcnt(0)
	v_add_f32_e32 v4, v4, v25
	ds_bpermute_b32 v25, v6, v5
	ds_bpermute_b32 v26, v6, v4
	v_xor_b32_e32 v6, 1, v7
	s_delay_alu instid0(VALU_DEP_1) | instskip(NEXT) | instid1(VALU_DEP_1)
	v_cmp_gt_i32_e64 s9, 32, v6
	v_cndmask_b32_e64 v7, v7, v6, s9
	s_waitcnt lgkmcnt(1)
	s_delay_alu instid0(VALU_DEP_1)
	v_dual_add_f32 v6, v5, v25 :: v_dual_lshlrev_b32 v5, 2, v7
	s_waitcnt lgkmcnt(0)
	v_add_f32_e32 v4, v4, v26
	ds_bpermute_b32 v7, v5, v6
	ds_bpermute_b32 v5, v5, v4
	s_and_saveexec_b32 s9, s5
	s_cbranch_execz .LBB827_58
; %bb.17:
	v_add_co_u32 v0, s5, s12, v0
	s_waitcnt lgkmcnt(1)
	v_add_f32_e32 v6, v6, v7
	v_add_co_ci_u32_e64 v1, s5, s13, v1, s5
	s_and_saveexec_b32 s5, s4
	s_cbranch_execz .LBB827_22
; %bb.18:
	s_xor_b32 s8, s8, -1
	s_delay_alu instid0(SALU_CYCLE_1) | instskip(NEXT) | instid1(SALU_CYCLE_1)
	s_and_saveexec_b32 s9, s8
	s_xor_b32 s8, exec_lo, s9
	s_cbranch_execz .LBB827_20
; %bb.19:
	v_fma_mixlo_f16 v7, -v6, v24, v22
	global_store_b16 v[0:1], v7, off
.LBB827_20:
	s_and_not1_saveexec_b32 s8, s8
	s_cbranch_execz .LBB827_22
; %bb.21:
	v_mov_b32_e32 v7, 0
	global_store_b16 v[0:1], v7, off
.LBB827_22:
	s_or_b32 exec_lo, exec_lo, s5
	s_and_saveexec_b32 s8, s3
	s_cbranch_execz .LBB827_27
; %bb.23:
	global_load_u8 v7, v[2:3], off offset:32
	s_waitcnt vmcnt(0)
	v_and_b32_e32 v7, 1, v7
	s_delay_alu instid0(VALU_DEP_1) | instskip(NEXT) | instid1(VALU_DEP_1)
	v_cmp_eq_u32_e64 s5, 1, v7
	s_xor_b32 s5, s5, -1
	s_delay_alu instid0(SALU_CYCLE_1) | instskip(NEXT) | instid1(SALU_CYCLE_1)
	s_and_saveexec_b32 s9, s5
	s_xor_b32 s5, exec_lo, s9
	s_cbranch_execz .LBB827_25
; %bb.24:
	v_fma_mixlo_f16 v7, -v6, v23, v12
	global_store_b16 v[0:1], v7, off offset:64
.LBB827_25:
	s_and_not1_saveexec_b32 s5, s5
	s_cbranch_execz .LBB827_27
; %bb.26:
	v_mov_b32_e32 v7, 0
	global_store_b16 v[0:1], v7, off offset:64
.LBB827_27:
	s_or_b32 exec_lo, exec_lo, s8
	s_and_saveexec_b32 s8, s2
	s_cbranch_execz .LBB827_32
; %bb.28:
	global_load_u8 v7, v[2:3], off offset:64
	s_waitcnt vmcnt(0)
	v_and_b32_e32 v7, 1, v7
	s_delay_alu instid0(VALU_DEP_1) | instskip(NEXT) | instid1(VALU_DEP_1)
	v_cmp_eq_u32_e64 s5, 1, v7
	s_xor_b32 s5, s5, -1
	s_delay_alu instid0(SALU_CYCLE_1) | instskip(NEXT) | instid1(SALU_CYCLE_1)
	s_and_saveexec_b32 s9, s5
	s_xor_b32 s5, exec_lo, s9
	s_cbranch_execz .LBB827_30
; %bb.29:
	v_fma_mixlo_f16 v7, -v6, v20, v18
	global_store_b16 v[0:1], v7, off offset:128
.LBB827_30:
	s_and_not1_saveexec_b32 s5, s5
	s_cbranch_execz .LBB827_32
; %bb.31:
	v_mov_b32_e32 v7, 0
	global_store_b16 v[0:1], v7, off offset:128
.LBB827_32:
	s_or_b32 exec_lo, exec_lo, s8
	s_and_saveexec_b32 s8, vcc_lo
	s_cbranch_execz .LBB827_37
; %bb.33:
	global_load_u8 v2, v[2:3], off offset:96
	s_waitcnt vmcnt(0)
	v_and_b32_e32 v2, 1, v2
	s_delay_alu instid0(VALU_DEP_1) | instskip(NEXT) | instid1(VALU_DEP_1)
	v_cmp_eq_u32_e64 s5, 1, v2
	s_xor_b32 s5, s5, -1
	s_delay_alu instid0(SALU_CYCLE_1) | instskip(NEXT) | instid1(SALU_CYCLE_1)
	s_and_saveexec_b32 s9, s5
	s_xor_b32 s5, exec_lo, s9
	s_cbranch_execz .LBB827_35
; %bb.34:
	v_fma_mixlo_f16 v2, -v6, v16, v10
	global_store_b16 v[0:1], v2, off offset:192
.LBB827_35:
	s_and_not1_saveexec_b32 s5, s5
	s_cbranch_execz .LBB827_37
; %bb.36:
	v_mov_b32_e32 v2, 0
	global_store_b16 v[0:1], v2, off offset:192
.LBB827_37:
	s_or_b32 exec_lo, exec_lo, s8
	v_cmp_ne_u32_e64 s5, 1, v9
	s_delay_alu instid0(VALU_DEP_1)
	s_and_b32 exec_lo, exec_lo, s5
	s_cbranch_execz .LBB827_58
; %bb.38:
	s_lshl_b64 s[8:9], s[10:11], 1
	s_waitcnt lgkmcnt(0)
	v_add_f32_e32 v2, v4, v5
	v_add_co_u32 v0, s5, v0, s8
	s_delay_alu instid0(VALU_DEP_1)
	v_add_co_ci_u32_e64 v1, s5, s9, v1, s5
	s_and_saveexec_b32 s5, s4
	s_cbranch_execz .LBB827_43
; %bb.39:
	s_xor_b32 s4, s7, -1
	s_delay_alu instid0(SALU_CYCLE_1) | instskip(NEXT) | instid1(SALU_CYCLE_1)
	s_and_saveexec_b32 s7, s4
	s_xor_b32 s4, exec_lo, s7
	s_cbranch_execz .LBB827_41
; %bb.40:
	v_fma_mixlo_f16 v3, -v2, v14, v13
	global_store_b16 v[0:1], v3, off
.LBB827_41:
	s_and_not1_saveexec_b32 s4, s4
	s_cbranch_execz .LBB827_43
; %bb.42:
	v_mov_b32_e32 v3, 0
	global_store_b16 v[0:1], v3, off
.LBB827_43:
	s_or_b32 exec_lo, exec_lo, s5
	s_and_saveexec_b32 s4, s3
	s_cbranch_execz .LBB827_48
; %bb.44:
	s_xor_b32 s3, s6, -1
	s_delay_alu instid0(SALU_CYCLE_1) | instskip(NEXT) | instid1(SALU_CYCLE_1)
	s_and_saveexec_b32 s5, s3
	s_xor_b32 s3, exec_lo, s5
	s_cbranch_execz .LBB827_46
; %bb.45:
	v_fma_mixlo_f16 v3, -v2, v15, v8
	global_store_b16 v[0:1], v3, off offset:64
.LBB827_46:
	s_and_not1_saveexec_b32 s3, s3
	s_cbranch_execz .LBB827_48
; %bb.47:
	v_mov_b32_e32 v3, 0
	global_store_b16 v[0:1], v3, off offset:64
.LBB827_48:
	s_or_b32 exec_lo, exec_lo, s4
	s_and_saveexec_b32 s3, s2
	s_cbranch_execz .LBB827_53
; %bb.49:
	s_xor_b32 s1, s1, -1
	s_delay_alu instid0(SALU_CYCLE_1) | instskip(NEXT) | instid1(SALU_CYCLE_1)
	s_and_saveexec_b32 s2, s1
	s_xor_b32 s1, exec_lo, s2
	s_cbranch_execz .LBB827_51
; %bb.50:
	v_fma_mixlo_f16 v3, -v2, v19, v17
	global_store_b16 v[0:1], v3, off offset:128
.LBB827_51:
	s_and_not1_saveexec_b32 s1, s1
	s_cbranch_execz .LBB827_53
; %bb.52:
	v_mov_b32_e32 v3, 0
	global_store_b16 v[0:1], v3, off offset:128
.LBB827_53:
	s_or_b32 exec_lo, exec_lo, s3
	s_delay_alu instid0(SALU_CYCLE_1)
	s_and_b32 exec_lo, exec_lo, vcc_lo
	s_cbranch_execz .LBB827_58
; %bb.54:
	s_xor_b32 s0, s0, -1
	s_delay_alu instid0(SALU_CYCLE_1) | instskip(NEXT) | instid1(SALU_CYCLE_1)
	s_and_saveexec_b32 s1, s0
	s_xor_b32 s0, exec_lo, s1
	s_cbranch_execz .LBB827_56
; %bb.55:
	v_fma_mixlo_f16 v2, -v2, v21, v11
	global_store_b16 v[0:1], v2, off offset:192
                                        ; implicit-def: $vgpr0_vgpr1
.LBB827_56:
	s_and_not1_saveexec_b32 s0, s0
	s_cbranch_execz .LBB827_58
; %bb.57:
	v_mov_b32_e32 v2, 0
	global_store_b16 v[0:1], v2, off offset:192
.LBB827_58:
	s_nop 0
	s_sendmsg sendmsg(MSG_DEALLOC_VGPRS)
	s_endpgm
	.section	.rodata,"a",@progbits
	.p2align	6, 0x0
	.amdhsa_kernel _ZN12_GLOBAL__N_121softmax_warp_backwardIN3c104HalfES2_fLi7ELb0ELb1ELi32EEEvPT0_PKT_S7_iiiPKb
		.amdhsa_group_segment_fixed_size 0
		.amdhsa_private_segment_fixed_size 0
		.amdhsa_kernarg_size 304
		.amdhsa_user_sgpr_count 15
		.amdhsa_user_sgpr_dispatch_ptr 0
		.amdhsa_user_sgpr_queue_ptr 0
		.amdhsa_user_sgpr_kernarg_segment_ptr 1
		.amdhsa_user_sgpr_dispatch_id 0
		.amdhsa_user_sgpr_private_segment_size 0
		.amdhsa_wavefront_size32 1
		.amdhsa_uses_dynamic_stack 0
		.amdhsa_enable_private_segment 0
		.amdhsa_system_sgpr_workgroup_id_x 1
		.amdhsa_system_sgpr_workgroup_id_y 0
		.amdhsa_system_sgpr_workgroup_id_z 0
		.amdhsa_system_sgpr_workgroup_info 0
		.amdhsa_system_vgpr_workitem_id 1
		.amdhsa_next_free_vgpr 31
		.amdhsa_next_free_sgpr 16
		.amdhsa_reserve_vcc 1
		.amdhsa_float_round_mode_32 0
		.amdhsa_float_round_mode_16_64 0
		.amdhsa_float_denorm_mode_32 3
		.amdhsa_float_denorm_mode_16_64 3
		.amdhsa_dx10_clamp 1
		.amdhsa_ieee_mode 1
		.amdhsa_fp16_overflow 0
		.amdhsa_workgroup_processor_mode 1
		.amdhsa_memory_ordered 1
		.amdhsa_forward_progress 0
		.amdhsa_shared_vgpr_count 0
		.amdhsa_exception_fp_ieee_invalid_op 0
		.amdhsa_exception_fp_denorm_src 0
		.amdhsa_exception_fp_ieee_div_zero 0
		.amdhsa_exception_fp_ieee_overflow 0
		.amdhsa_exception_fp_ieee_underflow 0
		.amdhsa_exception_fp_ieee_inexact 0
		.amdhsa_exception_int_div_zero 0
	.end_amdhsa_kernel
	.section	.text._ZN12_GLOBAL__N_121softmax_warp_backwardIN3c104HalfES2_fLi7ELb0ELb1ELi32EEEvPT0_PKT_S7_iiiPKb,"axG",@progbits,_ZN12_GLOBAL__N_121softmax_warp_backwardIN3c104HalfES2_fLi7ELb0ELb1ELi32EEEvPT0_PKT_S7_iiiPKb,comdat
.Lfunc_end827:
	.size	_ZN12_GLOBAL__N_121softmax_warp_backwardIN3c104HalfES2_fLi7ELb0ELb1ELi32EEEvPT0_PKT_S7_iiiPKb, .Lfunc_end827-_ZN12_GLOBAL__N_121softmax_warp_backwardIN3c104HalfES2_fLi7ELb0ELb1ELi32EEEvPT0_PKT_S7_iiiPKb
                                        ; -- End function
	.section	.AMDGPU.csdata,"",@progbits
; Kernel info:
; codeLenInByte = 2248
; NumSgprs: 18
; NumVgprs: 31
; ScratchSize: 0
; MemoryBound: 0
; FloatMode: 240
; IeeeMode: 1
; LDSByteSize: 0 bytes/workgroup (compile time only)
; SGPRBlocks: 2
; VGPRBlocks: 3
; NumSGPRsForWavesPerEU: 18
; NumVGPRsForWavesPerEU: 31
; Occupancy: 16
; WaveLimiterHint : 0
; COMPUTE_PGM_RSRC2:SCRATCH_EN: 0
; COMPUTE_PGM_RSRC2:USER_SGPR: 15
; COMPUTE_PGM_RSRC2:TRAP_HANDLER: 0
; COMPUTE_PGM_RSRC2:TGID_X_EN: 1
; COMPUTE_PGM_RSRC2:TGID_Y_EN: 0
; COMPUTE_PGM_RSRC2:TGID_Z_EN: 0
; COMPUTE_PGM_RSRC2:TIDIG_COMP_CNT: 1
	.section	.text._ZN12_GLOBAL__N_121softmax_warp_backwardIN3c104HalfES2_fLi8ELb0ELb1ELi64EEEvPT0_PKT_S7_iiiPKb,"axG",@progbits,_ZN12_GLOBAL__N_121softmax_warp_backwardIN3c104HalfES2_fLi8ELb0ELb1ELi64EEEvPT0_PKT_S7_iiiPKb,comdat
	.globl	_ZN12_GLOBAL__N_121softmax_warp_backwardIN3c104HalfES2_fLi8ELb0ELb1ELi64EEEvPT0_PKT_S7_iiiPKb ; -- Begin function _ZN12_GLOBAL__N_121softmax_warp_backwardIN3c104HalfES2_fLi8ELb0ELb1ELi64EEEvPT0_PKT_S7_iiiPKb
	.p2align	8
	.type	_ZN12_GLOBAL__N_121softmax_warp_backwardIN3c104HalfES2_fLi8ELb0ELb1ELi64EEEvPT0_PKT_S7_iiiPKb,@function
_ZN12_GLOBAL__N_121softmax_warp_backwardIN3c104HalfES2_fLi8ELb0ELb1ELi64EEEvPT0_PKT_S7_iiiPKb: ; @_ZN12_GLOBAL__N_121softmax_warp_backwardIN3c104HalfES2_fLi8ELb0ELb1ELi64EEEvPT0_PKT_S7_iiiPKb
; %bb.0:
	s_clause 0x1
	s_load_b32 s2, s[0:1], 0x3c
	s_load_b128 s[4:7], s[0:1], 0x18
	v_bfe_u32 v1, v0, 10, 10
	v_dual_mov_b32 v13, 0 :: v_dual_and_b32 v4, 63, v0
	s_load_b128 s[8:11], s[0:1], 0x0
	v_mov_b32_e32 v10, 0
	v_mov_b32_e32 v16, 0
	s_waitcnt lgkmcnt(0)
	s_lshr_b32 s2, s2, 16
	s_delay_alu instid0(SALU_CYCLE_1) | instskip(SKIP_1) | instid1(VALU_DEP_1)
	v_mad_u64_u32 v[5:6], null, s15, s2, v[1:2]
	s_load_b64 s[2:3], s[0:1], 0x10
	v_mad_u64_u32 v[2:3], null, v5, s5, v[4:5]
	v_sub_nc_u32_e32 v15, s4, v5
	v_cmp_gt_i32_e64 s4, s6, v4
	s_delay_alu instid0(VALU_DEP_2) | instskip(NEXT) | instid1(VALU_DEP_4)
	v_cmp_lt_i32_e64 s5, 0, v15
	v_ashrrev_i32_e32 v3, 31, v2
	s_delay_alu instid0(VALU_DEP_1) | instskip(NEXT) | instid1(VALU_DEP_1)
	v_lshlrev_b64 v[0:1], 1, v[2:3]
	v_add_co_u32 v5, vcc_lo, s10, v0
	s_delay_alu instid0(VALU_DEP_2) | instskip(SKIP_4) | instid1(SALU_CYCLE_1)
	v_add_co_ci_u32_e32 v6, vcc_lo, s11, v1, vcc_lo
	s_waitcnt lgkmcnt(0)
	v_add_co_u32 v7, vcc_lo, s2, v0
	v_add_co_ci_u32_e32 v8, vcc_lo, s3, v1, vcc_lo
	s_and_b32 s3, s5, s4
	s_and_saveexec_b32 s2, s3
	s_cbranch_execz .LBB828_2
; %bb.1:
	global_load_u16 v9, v[5:6], off
	global_load_u16 v11, v[7:8], off
	s_waitcnt vmcnt(1)
	v_cvt_f32_f16_e32 v13, v9
	s_waitcnt vmcnt(0)
	v_cvt_f32_f16_e32 v16, v11
.LBB828_2:
	s_or_b32 exec_lo, exec_lo, s2
	v_or_b32_e32 v9, 64, v4
	v_mov_b32_e32 v14, 0
	s_delay_alu instid0(VALU_DEP_2) | instskip(NEXT) | instid1(VALU_DEP_1)
	v_cmp_gt_i32_e64 s3, s6, v9
	s_and_b32 s7, s5, s3
	s_delay_alu instid0(SALU_CYCLE_1)
	s_and_saveexec_b32 s2, s7
	s_cbranch_execz .LBB828_4
; %bb.3:
	global_load_u16 v9, v[5:6], off offset:128
	global_load_u16 v11, v[7:8], off offset:128
	s_waitcnt vmcnt(1)
	v_cvt_f32_f16_e32 v10, v9
	s_waitcnt vmcnt(0)
	v_cvt_f32_f16_e32 v14, v11
.LBB828_4:
	s_or_b32 exec_lo, exec_lo, s2
	v_or_b32_e32 v9, 0x80, v4
	v_dual_mov_b32 v11, 0 :: v_dual_mov_b32 v12, 0
	s_delay_alu instid0(VALU_DEP_2) | instskip(SKIP_1) | instid1(VALU_DEP_2)
	v_cmp_gt_i32_e64 s2, s6, v9
	v_mov_b32_e32 v9, 0
	s_and_b32 s10, s5, s2
	s_delay_alu instid0(SALU_CYCLE_1)
	s_and_saveexec_b32 s7, s10
	s_cbranch_execz .LBB828_6
; %bb.5:
	global_load_u16 v11, v[5:6], off offset:256
	global_load_u16 v12, v[7:8], off offset:256
	s_waitcnt vmcnt(1)
	v_cvt_f32_f16_e32 v11, v11
	s_waitcnt vmcnt(0)
	v_cvt_f32_f16_e32 v12, v12
.LBB828_6:
	s_or_b32 exec_lo, exec_lo, s7
	v_or_b32_e32 v4, 0xc0, v4
	s_delay_alu instid0(VALU_DEP_1) | instskip(SKIP_2) | instid1(SALU_CYCLE_1)
	v_cmp_gt_i32_e32 vcc_lo, s6, v4
	v_mov_b32_e32 v4, 0
	s_and_b32 s6, s5, vcc_lo
	s_and_saveexec_b32 s5, s6
	s_cbranch_execz .LBB828_8
; %bb.7:
	global_load_u16 v4, v[5:6], off offset:384
	global_load_u16 v5, v[7:8], off offset:384
	s_waitcnt vmcnt(1)
	v_cvt_f32_f16_e32 v9, v4
	s_waitcnt vmcnt(0)
	v_cvt_f32_f16_e32 v4, v5
.LBB828_8:
	s_or_b32 exec_lo, exec_lo, s5
	s_load_b64 s[0:1], s[0:1], 0x28
	s_mov_b32 s10, exec_lo
	s_waitcnt lgkmcnt(0)
	v_add_co_u32 v2, s0, s0, v2
	s_delay_alu instid0(VALU_DEP_1)
	v_add_co_ci_u32_e64 v3, s0, s1, v3, s0
	s_clause 0x3
	global_load_u8 v5, v[2:3], off
	global_load_u8 v6, v[2:3], off offset:64
	global_load_u8 v7, v[2:3], off offset:128
	;; [unrolled: 1-line block ×3, first 2 shown]
	s_waitcnt vmcnt(3)
	v_and_b32_e32 v3, 1, v5
	s_waitcnt vmcnt(0)
	v_dual_add_f32 v5, 0, v13 :: v_dual_and_b32 v2, 1, v2
	s_delay_alu instid0(VALU_DEP_2) | instskip(NEXT) | instid1(VALU_DEP_1)
	v_cmp_eq_u32_e64 s6, 1, v3
	v_cndmask_b32_e64 v3, v5, 0, s6
	v_and_b32_e32 v5, 1, v6
	s_delay_alu instid0(VALU_DEP_2) | instskip(NEXT) | instid1(VALU_DEP_2)
	v_add_f32_e32 v6, v3, v10
	v_cmp_eq_u32_e64 s5, 1, v5
	v_mbcnt_lo_u32_b32 v5, -1, 0
	s_delay_alu instid0(VALU_DEP_2) | instskip(SKIP_1) | instid1(VALU_DEP_3)
	v_cndmask_b32_e64 v3, v6, v3, s5
	v_and_b32_e32 v6, 1, v7
	v_or_b32_e32 v8, 32, v5
	s_delay_alu instid0(VALU_DEP_3) | instskip(NEXT) | instid1(VALU_DEP_3)
	v_add_f32_e32 v7, v3, v11
	v_cmp_eq_u32_e64 s1, 1, v6
	s_delay_alu instid0(VALU_DEP_3) | instskip(NEXT) | instid1(VALU_DEP_2)
	v_cmp_gt_i32_e64 s0, 64, v8
	v_cndmask_b32_e64 v3, v7, v3, s1
	s_delay_alu instid0(VALU_DEP_2) | instskip(SKIP_1) | instid1(VALU_DEP_2)
	v_cndmask_b32_e64 v6, v5, v8, s0
	v_cmp_eq_u32_e64 s0, 1, v2
	v_dual_add_f32 v7, v3, v9 :: v_dual_lshlrev_b32 v6, 2, v6
	s_delay_alu instid0(VALU_DEP_1) | instskip(SKIP_2) | instid1(VALU_DEP_1)
	v_cndmask_b32_e64 v2, v7, v3, s0
	ds_bpermute_b32 v3, v6, v2
	v_xor_b32_e32 v6, 16, v5
	v_cmp_gt_i32_e64 s7, 64, v6
	s_delay_alu instid0(VALU_DEP_1) | instskip(NEXT) | instid1(VALU_DEP_1)
	v_cndmask_b32_e64 v6, v5, v6, s7
	v_lshlrev_b32_e32 v6, 2, v6
	s_waitcnt lgkmcnt(0)
	v_add_f32_e32 v2, v2, v3
	ds_bpermute_b32 v3, v6, v2
	v_xor_b32_e32 v6, 8, v5
	s_delay_alu instid0(VALU_DEP_1) | instskip(NEXT) | instid1(VALU_DEP_1)
	v_cmp_gt_i32_e64 s7, 64, v6
	v_cndmask_b32_e64 v6, v5, v6, s7
	s_delay_alu instid0(VALU_DEP_1) | instskip(SKIP_4) | instid1(VALU_DEP_1)
	v_lshlrev_b32_e32 v6, 2, v6
	s_waitcnt lgkmcnt(0)
	v_add_f32_e32 v2, v2, v3
	ds_bpermute_b32 v3, v6, v2
	v_xor_b32_e32 v6, 4, v5
	v_cmp_gt_i32_e64 s7, 64, v6
	s_delay_alu instid0(VALU_DEP_1) | instskip(NEXT) | instid1(VALU_DEP_1)
	v_cndmask_b32_e64 v6, v5, v6, s7
	v_lshlrev_b32_e32 v6, 2, v6
	s_waitcnt lgkmcnt(0)
	v_add_f32_e32 v2, v2, v3
	ds_bpermute_b32 v3, v6, v2
	v_xor_b32_e32 v6, 2, v5
	s_delay_alu instid0(VALU_DEP_1) | instskip(NEXT) | instid1(VALU_DEP_1)
	v_cmp_gt_i32_e64 s7, 64, v6
	v_cndmask_b32_e64 v6, v5, v6, s7
	s_delay_alu instid0(VALU_DEP_1) | instskip(SKIP_4) | instid1(VALU_DEP_1)
	v_lshlrev_b32_e32 v6, 2, v6
	s_waitcnt lgkmcnt(0)
	v_add_f32_e32 v2, v2, v3
	ds_bpermute_b32 v3, v6, v2
	v_xor_b32_e32 v6, 1, v5
	v_cmp_gt_i32_e64 s7, 64, v6
	s_delay_alu instid0(VALU_DEP_1) | instskip(SKIP_1) | instid1(VALU_DEP_1)
	v_cndmask_b32_e64 v5, v5, v6, s7
	s_waitcnt lgkmcnt(0)
	v_dual_add_f32 v2, v2, v3 :: v_dual_lshlrev_b32 v3, 2, v5
	ds_bpermute_b32 v3, v3, v2
	v_cmpx_lt_i32_e32 0, v15
	s_cbranch_execz .LBB828_29
; %bb.9:
	v_add_co_u32 v0, s7, s8, v0
	s_waitcnt lgkmcnt(0)
	v_add_f32_e32 v2, v2, v3
	v_add_co_ci_u32_e64 v1, s7, s9, v1, s7
	s_and_saveexec_b32 s7, s4
	s_cbranch_execz .LBB828_14
; %bb.10:
	s_xor_b32 s4, s6, -1
	s_delay_alu instid0(SALU_CYCLE_1) | instskip(NEXT) | instid1(SALU_CYCLE_1)
	s_and_saveexec_b32 s6, s4
	s_xor_b32 s4, exec_lo, s6
	s_cbranch_execz .LBB828_12
; %bb.11:
	v_fma_mixlo_f16 v3, -v2, v16, v13
	global_store_b16 v[0:1], v3, off
.LBB828_12:
	s_and_not1_saveexec_b32 s4, s4
	s_cbranch_execz .LBB828_14
; %bb.13:
	v_mov_b32_e32 v3, 0
	global_store_b16 v[0:1], v3, off
.LBB828_14:
	s_or_b32 exec_lo, exec_lo, s7
	s_and_saveexec_b32 s4, s3
	s_cbranch_execz .LBB828_19
; %bb.15:
	s_xor_b32 s3, s5, -1
	s_delay_alu instid0(SALU_CYCLE_1) | instskip(NEXT) | instid1(SALU_CYCLE_1)
	s_and_saveexec_b32 s5, s3
	s_xor_b32 s3, exec_lo, s5
	s_cbranch_execz .LBB828_17
; %bb.16:
	v_fma_mixlo_f16 v3, -v2, v14, v10
	global_store_b16 v[0:1], v3, off offset:128
.LBB828_17:
	s_and_not1_saveexec_b32 s3, s3
	s_cbranch_execz .LBB828_19
; %bb.18:
	v_mov_b32_e32 v3, 0
	global_store_b16 v[0:1], v3, off offset:128
.LBB828_19:
	s_or_b32 exec_lo, exec_lo, s4
	s_and_saveexec_b32 s3, s2
	s_cbranch_execz .LBB828_24
; %bb.20:
	s_xor_b32 s1, s1, -1
	s_delay_alu instid0(SALU_CYCLE_1) | instskip(NEXT) | instid1(SALU_CYCLE_1)
	s_and_saveexec_b32 s2, s1
	s_xor_b32 s1, exec_lo, s2
	s_cbranch_execz .LBB828_22
; %bb.21:
	v_fma_mixlo_f16 v3, -v2, v12, v11
	global_store_b16 v[0:1], v3, off offset:256
.LBB828_22:
	s_and_not1_saveexec_b32 s1, s1
	s_cbranch_execz .LBB828_24
; %bb.23:
	v_mov_b32_e32 v3, 0
	global_store_b16 v[0:1], v3, off offset:256
.LBB828_24:
	s_or_b32 exec_lo, exec_lo, s3
	s_delay_alu instid0(SALU_CYCLE_1)
	s_and_b32 exec_lo, exec_lo, vcc_lo
	s_cbranch_execz .LBB828_29
; %bb.25:
	s_xor_b32 s0, s0, -1
	s_delay_alu instid0(SALU_CYCLE_1) | instskip(NEXT) | instid1(SALU_CYCLE_1)
	s_and_saveexec_b32 s1, s0
	s_xor_b32 s0, exec_lo, s1
	s_cbranch_execz .LBB828_27
; %bb.26:
	v_fma_mixlo_f16 v2, -v2, v4, v9
	global_store_b16 v[0:1], v2, off offset:384
                                        ; implicit-def: $vgpr0_vgpr1
.LBB828_27:
	s_and_not1_saveexec_b32 s0, s0
	s_cbranch_execz .LBB828_29
; %bb.28:
	v_mov_b32_e32 v2, 0
	global_store_b16 v[0:1], v2, off offset:384
.LBB828_29:
	s_nop 0
	s_sendmsg sendmsg(MSG_DEALLOC_VGPRS)
	s_endpgm
	.section	.rodata,"a",@progbits
	.p2align	6, 0x0
	.amdhsa_kernel _ZN12_GLOBAL__N_121softmax_warp_backwardIN3c104HalfES2_fLi8ELb0ELb1ELi64EEEvPT0_PKT_S7_iiiPKb
		.amdhsa_group_segment_fixed_size 0
		.amdhsa_private_segment_fixed_size 0
		.amdhsa_kernarg_size 304
		.amdhsa_user_sgpr_count 15
		.amdhsa_user_sgpr_dispatch_ptr 0
		.amdhsa_user_sgpr_queue_ptr 0
		.amdhsa_user_sgpr_kernarg_segment_ptr 1
		.amdhsa_user_sgpr_dispatch_id 0
		.amdhsa_user_sgpr_private_segment_size 0
		.amdhsa_wavefront_size32 1
		.amdhsa_uses_dynamic_stack 0
		.amdhsa_enable_private_segment 0
		.amdhsa_system_sgpr_workgroup_id_x 1
		.amdhsa_system_sgpr_workgroup_id_y 0
		.amdhsa_system_sgpr_workgroup_id_z 0
		.amdhsa_system_sgpr_workgroup_info 0
		.amdhsa_system_vgpr_workitem_id 1
		.amdhsa_next_free_vgpr 17
		.amdhsa_next_free_sgpr 16
		.amdhsa_reserve_vcc 1
		.amdhsa_float_round_mode_32 0
		.amdhsa_float_round_mode_16_64 0
		.amdhsa_float_denorm_mode_32 3
		.amdhsa_float_denorm_mode_16_64 3
		.amdhsa_dx10_clamp 1
		.amdhsa_ieee_mode 1
		.amdhsa_fp16_overflow 0
		.amdhsa_workgroup_processor_mode 1
		.amdhsa_memory_ordered 1
		.amdhsa_forward_progress 0
		.amdhsa_shared_vgpr_count 0
		.amdhsa_exception_fp_ieee_invalid_op 0
		.amdhsa_exception_fp_denorm_src 0
		.amdhsa_exception_fp_ieee_div_zero 0
		.amdhsa_exception_fp_ieee_overflow 0
		.amdhsa_exception_fp_ieee_underflow 0
		.amdhsa_exception_fp_ieee_inexact 0
		.amdhsa_exception_int_div_zero 0
	.end_amdhsa_kernel
	.section	.text._ZN12_GLOBAL__N_121softmax_warp_backwardIN3c104HalfES2_fLi8ELb0ELb1ELi64EEEvPT0_PKT_S7_iiiPKb,"axG",@progbits,_ZN12_GLOBAL__N_121softmax_warp_backwardIN3c104HalfES2_fLi8ELb0ELb1ELi64EEEvPT0_PKT_S7_iiiPKb,comdat
.Lfunc_end828:
	.size	_ZN12_GLOBAL__N_121softmax_warp_backwardIN3c104HalfES2_fLi8ELb0ELb1ELi64EEEvPT0_PKT_S7_iiiPKb, .Lfunc_end828-_ZN12_GLOBAL__N_121softmax_warp_backwardIN3c104HalfES2_fLi8ELb0ELb1ELi64EEEvPT0_PKT_S7_iiiPKb
                                        ; -- End function
	.section	.AMDGPU.csdata,"",@progbits
; Kernel info:
; codeLenInByte = 1220
; NumSgprs: 18
; NumVgprs: 17
; ScratchSize: 0
; MemoryBound: 0
; FloatMode: 240
; IeeeMode: 1
; LDSByteSize: 0 bytes/workgroup (compile time only)
; SGPRBlocks: 2
; VGPRBlocks: 2
; NumSGPRsForWavesPerEU: 18
; NumVGPRsForWavesPerEU: 17
; Occupancy: 16
; WaveLimiterHint : 0
; COMPUTE_PGM_RSRC2:SCRATCH_EN: 0
; COMPUTE_PGM_RSRC2:USER_SGPR: 15
; COMPUTE_PGM_RSRC2:TRAP_HANDLER: 0
; COMPUTE_PGM_RSRC2:TGID_X_EN: 1
; COMPUTE_PGM_RSRC2:TGID_Y_EN: 0
; COMPUTE_PGM_RSRC2:TGID_Z_EN: 0
; COMPUTE_PGM_RSRC2:TIDIG_COMP_CNT: 1
	.section	.text._ZN12_GLOBAL__N_121softmax_warp_backwardIN3c104HalfES2_fLi8ELb0ELb1ELi32EEEvPT0_PKT_S7_iiiPKb,"axG",@progbits,_ZN12_GLOBAL__N_121softmax_warp_backwardIN3c104HalfES2_fLi8ELb0ELb1ELi32EEEvPT0_PKT_S7_iiiPKb,comdat
	.globl	_ZN12_GLOBAL__N_121softmax_warp_backwardIN3c104HalfES2_fLi8ELb0ELb1ELi32EEEvPT0_PKT_S7_iiiPKb ; -- Begin function _ZN12_GLOBAL__N_121softmax_warp_backwardIN3c104HalfES2_fLi8ELb0ELb1ELi32EEEvPT0_PKT_S7_iiiPKb
	.p2align	8
	.type	_ZN12_GLOBAL__N_121softmax_warp_backwardIN3c104HalfES2_fLi8ELb0ELb1ELi32EEEvPT0_PKT_S7_iiiPKb,@function
_ZN12_GLOBAL__N_121softmax_warp_backwardIN3c104HalfES2_fLi8ELb0ELb1ELi32EEEvPT0_PKT_S7_iiiPKb: ; @_ZN12_GLOBAL__N_121softmax_warp_backwardIN3c104HalfES2_fLi8ELb0ELb1ELi32EEEvPT0_PKT_S7_iiiPKb
; %bb.0:
	s_clause 0x1
	s_load_b32 s2, s[0:1], 0x3c
	s_load_b128 s[8:11], s[0:1], 0x18
	v_bfe_u32 v1, v0, 10, 10
	v_dual_mov_b32 v21, 0 :: v_dual_and_b32 v4, 31, v0
	s_load_b128 s[16:19], s[0:1], 0x0
	v_mov_b32_e32 v12, 0
	v_mov_b32_e32 v24, 0
	s_waitcnt lgkmcnt(0)
	s_lshr_b32 s2, s2, 16
	s_delay_alu instid0(SALU_CYCLE_1) | instskip(SKIP_1) | instid1(VALU_DEP_1)
	v_mad_u64_u32 v[5:6], null, s15, s2, v[1:2]
	s_load_b64 s[2:3], s[0:1], 0x10
	v_mad_u64_u32 v[2:3], null, v5, s9, v[4:5]
	v_sub_nc_u32_e32 v23, s8, v5
	v_cmp_gt_i32_e64 s8, s10, v4
	s_delay_alu instid0(VALU_DEP_2) | instskip(NEXT) | instid1(VALU_DEP_4)
	v_cmp_lt_i32_e64 s9, 0, v23
	v_ashrrev_i32_e32 v3, 31, v2
	s_delay_alu instid0(VALU_DEP_1) | instskip(NEXT) | instid1(VALU_DEP_1)
	v_lshlrev_b64 v[0:1], 1, v[2:3]
	v_add_co_u32 v5, vcc_lo, s18, v0
	s_delay_alu instid0(VALU_DEP_2) | instskip(SKIP_4) | instid1(SALU_CYCLE_1)
	v_add_co_ci_u32_e32 v6, vcc_lo, s19, v1, vcc_lo
	s_waitcnt lgkmcnt(0)
	v_add_co_u32 v7, vcc_lo, s2, v0
	v_add_co_ci_u32_e32 v8, vcc_lo, s3, v1, vcc_lo
	s_and_b32 s3, s9, s8
	s_and_saveexec_b32 s2, s3
	s_cbranch_execz .LBB829_2
; %bb.1:
	global_load_u16 v9, v[5:6], off
	global_load_u16 v10, v[7:8], off
	s_waitcnt vmcnt(1)
	v_cvt_f32_f16_e32 v21, v9
	s_waitcnt vmcnt(0)
	v_cvt_f32_f16_e32 v24, v10
.LBB829_2:
	s_or_b32 exec_lo, exec_lo, s2
	v_or_b32_e32 v9, 32, v4
	v_mov_b32_e32 v22, 0
	s_delay_alu instid0(VALU_DEP_2) | instskip(NEXT) | instid1(VALU_DEP_1)
	v_cmp_gt_i32_e64 s7, s10, v9
	s_and_b32 s3, s9, s7
	s_delay_alu instid0(SALU_CYCLE_1)
	s_and_saveexec_b32 s2, s3
	s_cbranch_execz .LBB829_4
; %bb.3:
	global_load_u16 v9, v[5:6], off offset:64
	global_load_u16 v10, v[7:8], off offset:64
	s_waitcnt vmcnt(1)
	v_cvt_f32_f16_e32 v12, v9
	s_waitcnt vmcnt(0)
	v_cvt_f32_f16_e32 v22, v10
.LBB829_4:
	s_or_b32 exec_lo, exec_lo, s2
	v_or_b32_e32 v9, 64, v4
	v_dual_mov_b32 v11, 0 :: v_dual_mov_b32 v20, 0
	v_mov_b32_e32 v19, 0
	s_delay_alu instid0(VALU_DEP_3) | instskip(NEXT) | instid1(VALU_DEP_1)
	v_cmp_gt_i32_e64 s6, s10, v9
	s_and_b32 s3, s9, s6
	s_delay_alu instid0(SALU_CYCLE_1)
	s_and_saveexec_b32 s2, s3
	s_cbranch_execz .LBB829_6
; %bb.5:
	global_load_u16 v9, v[5:6], off offset:128
	global_load_u16 v10, v[7:8], off offset:128
	s_waitcnt vmcnt(1)
	v_cvt_f32_f16_e32 v19, v9
	s_waitcnt vmcnt(0)
	v_cvt_f32_f16_e32 v20, v10
.LBB829_6:
	s_or_b32 exec_lo, exec_lo, s2
	v_or_b32_e32 v9, 0x60, v4
	v_mov_b32_e32 v18, 0
	s_delay_alu instid0(VALU_DEP_2) | instskip(NEXT) | instid1(VALU_DEP_1)
	v_cmp_gt_i32_e64 s5, s10, v9
	s_and_b32 s3, s9, s5
	s_delay_alu instid0(SALU_CYCLE_1)
	s_and_saveexec_b32 s2, s3
	s_cbranch_execz .LBB829_8
; %bb.7:
	global_load_u16 v9, v[5:6], off offset:192
	global_load_u16 v10, v[7:8], off offset:192
	s_waitcnt vmcnt(1)
	v_cvt_f32_f16_e32 v11, v9
	s_waitcnt vmcnt(0)
	v_cvt_f32_f16_e32 v18, v10
.LBB829_8:
	s_or_b32 exec_lo, exec_lo, s2
	v_or_b32_e32 v9, 0x80, v4
	v_dual_mov_b32 v10, 0 :: v_dual_mov_b32 v17, 0
	v_mov_b32_e32 v16, 0
	s_delay_alu instid0(VALU_DEP_3) | instskip(NEXT) | instid1(VALU_DEP_1)
	v_cmp_gt_i32_e64 s4, s10, v9
	s_and_b32 s3, s9, s4
	s_delay_alu instid0(SALU_CYCLE_1)
	s_and_saveexec_b32 s2, s3
	s_cbranch_execz .LBB829_10
; %bb.9:
	global_load_u16 v9, v[5:6], off offset:256
	global_load_u16 v13, v[7:8], off offset:256
	s_waitcnt vmcnt(1)
	v_cvt_f32_f16_e32 v16, v9
	s_waitcnt vmcnt(0)
	v_cvt_f32_f16_e32 v17, v13
.LBB829_10:
	s_or_b32 exec_lo, exec_lo, s2
	v_or_b32_e32 v9, 0xa0, v4
	v_mov_b32_e32 v15, 0
	s_delay_alu instid0(VALU_DEP_2) | instskip(NEXT) | instid1(VALU_DEP_1)
	v_cmp_gt_i32_e64 s3, s10, v9
	s_and_b32 s11, s9, s3
	s_delay_alu instid0(SALU_CYCLE_1)
	s_and_saveexec_b32 s2, s11
	s_cbranch_execz .LBB829_12
; %bb.11:
	global_load_u16 v9, v[5:6], off offset:320
	global_load_u16 v13, v[7:8], off offset:320
	s_waitcnt vmcnt(1)
	v_cvt_f32_f16_e32 v10, v9
	s_waitcnt vmcnt(0)
	v_cvt_f32_f16_e32 v15, v13
.LBB829_12:
	s_or_b32 exec_lo, exec_lo, s2
	v_or_b32_e32 v9, 0xc0, v4
	v_dual_mov_b32 v13, 0 :: v_dual_mov_b32 v14, 0
	s_delay_alu instid0(VALU_DEP_2) | instskip(SKIP_1) | instid1(VALU_DEP_2)
	v_cmp_gt_i32_e64 s2, s10, v9
	v_mov_b32_e32 v9, 0
	s_and_b32 s12, s9, s2
	s_delay_alu instid0(SALU_CYCLE_1)
	s_and_saveexec_b32 s11, s12
	s_cbranch_execz .LBB829_14
; %bb.13:
	global_load_u16 v13, v[5:6], off offset:384
	global_load_u16 v14, v[7:8], off offset:384
	s_waitcnt vmcnt(1)
	v_cvt_f32_f16_e32 v13, v13
	s_waitcnt vmcnt(0)
	v_cvt_f32_f16_e32 v14, v14
.LBB829_14:
	s_or_b32 exec_lo, exec_lo, s11
	v_or_b32_e32 v4, 0xe0, v4
	s_delay_alu instid0(VALU_DEP_1) | instskip(SKIP_2) | instid1(SALU_CYCLE_1)
	v_cmp_gt_i32_e32 vcc_lo, s10, v4
	v_mov_b32_e32 v4, 0
	s_and_b32 s10, s9, vcc_lo
	s_and_saveexec_b32 s9, s10
	s_cbranch_execz .LBB829_16
; %bb.15:
	global_load_u16 v4, v[5:6], off offset:448
	global_load_u16 v5, v[7:8], off offset:448
	s_waitcnt vmcnt(1)
	v_cvt_f32_f16_e32 v9, v4
	s_waitcnt vmcnt(0)
	v_cvt_f32_f16_e32 v4, v5
.LBB829_16:
	s_or_b32 exec_lo, exec_lo, s9
	s_load_b64 s[0:1], s[0:1], 0x28
	s_mov_b32 s18, exec_lo
	s_waitcnt lgkmcnt(0)
	v_add_co_u32 v2, s0, s0, v2
	s_delay_alu instid0(VALU_DEP_1)
	v_add_co_ci_u32_e64 v3, s0, s1, v3, s0
	s_clause 0x7
	global_load_u8 v5, v[2:3], off
	global_load_u8 v6, v[2:3], off offset:32
	global_load_u8 v7, v[2:3], off offset:64
	global_load_u8 v8, v[2:3], off offset:96
	global_load_u8 v25, v[2:3], off offset:128
	global_load_u8 v26, v[2:3], off offset:160
	global_load_u8 v27, v[2:3], off offset:192
	global_load_u8 v2, v[2:3], off offset:224
	s_waitcnt vmcnt(7)
	v_and_b32_e32 v3, 1, v5
	v_add_f32_e32 v5, 0, v21
	s_delay_alu instid0(VALU_DEP_2) | instskip(NEXT) | instid1(VALU_DEP_1)
	v_cmp_eq_u32_e64 s14, 1, v3
	v_cndmask_b32_e64 v3, v5, 0, s14
	s_waitcnt vmcnt(6)
	s_delay_alu instid0(VALU_DEP_1) | instskip(NEXT) | instid1(VALU_DEP_1)
	v_dual_add_f32 v6, v3, v12 :: v_dual_and_b32 v5, 1, v6
	v_cmp_eq_u32_e64 s13, 1, v5
	s_waitcnt vmcnt(5)
	v_and_b32_e32 v5, 1, v7
	s_delay_alu instid0(VALU_DEP_2) | instskip(NEXT) | instid1(VALU_DEP_2)
	v_cndmask_b32_e64 v3, v6, v3, s13
	v_cmp_eq_u32_e64 s12, 1, v5
	s_delay_alu instid0(VALU_DEP_2) | instskip(NEXT) | instid1(VALU_DEP_1)
	v_add_f32_e32 v6, v3, v19
	v_cndmask_b32_e64 v3, v6, v3, s12
	s_waitcnt vmcnt(4)
	s_delay_alu instid0(VALU_DEP_1) | instskip(NEXT) | instid1(VALU_DEP_1)
	v_dual_add_f32 v6, v3, v11 :: v_dual_and_b32 v5, 1, v8
	v_cmp_eq_u32_e64 s11, 1, v5
	s_waitcnt vmcnt(3)
	v_and_b32_e32 v5, 1, v25
	s_delay_alu instid0(VALU_DEP_2) | instskip(NEXT) | instid1(VALU_DEP_2)
	v_cndmask_b32_e64 v3, v6, v3, s11
	v_cmp_eq_u32_e64 s10, 1, v5
	s_waitcnt vmcnt(2)
	s_delay_alu instid0(VALU_DEP_2) | instskip(NEXT) | instid1(VALU_DEP_1)
	v_dual_add_f32 v6, v3, v16 :: v_dual_and_b32 v5, 1, v26
	v_cmp_eq_u32_e64 s9, 1, v5
	v_mbcnt_lo_u32_b32 v5, -1, 0
	s_delay_alu instid0(VALU_DEP_3) | instskip(NEXT) | instid1(VALU_DEP_2)
	v_cndmask_b32_e64 v3, v6, v3, s10
	v_xor_b32_e32 v8, 16, v5
	s_delay_alu instid0(VALU_DEP_2) | instskip(NEXT) | instid1(VALU_DEP_2)
	v_add_f32_e32 v6, v3, v10
	v_cmp_gt_i32_e64 s0, 32, v8
	s_delay_alu instid0(VALU_DEP_2) | instskip(SKIP_1) | instid1(VALU_DEP_1)
	v_cndmask_b32_e64 v3, v6, v3, s9
	s_waitcnt vmcnt(1)
	v_dual_add_f32 v7, v3, v13 :: v_dual_and_b32 v6, 1, v27
	s_delay_alu instid0(VALU_DEP_1) | instskip(SKIP_1) | instid1(VALU_DEP_2)
	v_cmp_eq_u32_e64 s1, 1, v6
	v_cndmask_b32_e64 v6, v5, v8, s0
	v_cndmask_b32_e64 v3, v7, v3, s1
	s_waitcnt vmcnt(0)
	v_and_b32_e32 v2, 1, v2
	s_delay_alu instid0(VALU_DEP_2) | instskip(NEXT) | instid1(VALU_DEP_2)
	v_dual_add_f32 v7, v3, v9 :: v_dual_lshlrev_b32 v6, 2, v6
	v_cmp_eq_u32_e64 s0, 1, v2
	s_delay_alu instid0(VALU_DEP_1) | instskip(SKIP_2) | instid1(VALU_DEP_1)
	v_cndmask_b32_e64 v2, v7, v3, s0
	ds_bpermute_b32 v3, v6, v2
	v_xor_b32_e32 v6, 8, v5
	v_cmp_gt_i32_e64 s15, 32, v6
	s_delay_alu instid0(VALU_DEP_1) | instskip(NEXT) | instid1(VALU_DEP_1)
	v_cndmask_b32_e64 v6, v5, v6, s15
	v_lshlrev_b32_e32 v6, 2, v6
	s_waitcnt lgkmcnt(0)
	v_add_f32_e32 v2, v2, v3
	ds_bpermute_b32 v3, v6, v2
	v_xor_b32_e32 v6, 4, v5
	s_delay_alu instid0(VALU_DEP_1) | instskip(NEXT) | instid1(VALU_DEP_1)
	v_cmp_gt_i32_e64 s15, 32, v6
	v_cndmask_b32_e64 v6, v5, v6, s15
	s_delay_alu instid0(VALU_DEP_1) | instskip(SKIP_4) | instid1(VALU_DEP_1)
	v_lshlrev_b32_e32 v6, 2, v6
	s_waitcnt lgkmcnt(0)
	v_add_f32_e32 v2, v2, v3
	ds_bpermute_b32 v3, v6, v2
	v_xor_b32_e32 v6, 2, v5
	v_cmp_gt_i32_e64 s15, 32, v6
	s_delay_alu instid0(VALU_DEP_1) | instskip(NEXT) | instid1(VALU_DEP_1)
	v_cndmask_b32_e64 v6, v5, v6, s15
	v_lshlrev_b32_e32 v6, 2, v6
	s_waitcnt lgkmcnt(0)
	v_add_f32_e32 v2, v2, v3
	ds_bpermute_b32 v3, v6, v2
	v_xor_b32_e32 v6, 1, v5
	s_delay_alu instid0(VALU_DEP_1) | instskip(NEXT) | instid1(VALU_DEP_1)
	v_cmp_gt_i32_e64 s15, 32, v6
	v_cndmask_b32_e64 v5, v5, v6, s15
	s_waitcnt lgkmcnt(0)
	s_delay_alu instid0(VALU_DEP_1)
	v_dual_add_f32 v2, v2, v3 :: v_dual_lshlrev_b32 v3, 2, v5
	ds_bpermute_b32 v3, v3, v2
	v_cmpx_lt_i32_e32 0, v23
	s_cbranch_execz .LBB829_57
; %bb.17:
	v_add_co_u32 v0, s15, s16, v0
	s_waitcnt lgkmcnt(0)
	v_add_f32_e32 v2, v2, v3
	v_add_co_ci_u32_e64 v1, s15, s17, v1, s15
	s_and_saveexec_b32 s15, s8
	s_cbranch_execz .LBB829_22
; %bb.18:
	s_xor_b32 s8, s14, -1
	s_delay_alu instid0(SALU_CYCLE_1) | instskip(NEXT) | instid1(SALU_CYCLE_1)
	s_and_saveexec_b32 s14, s8
	s_xor_b32 s8, exec_lo, s14
	s_cbranch_execz .LBB829_20
; %bb.19:
	v_fma_mixlo_f16 v3, -v2, v24, v21
	global_store_b16 v[0:1], v3, off
.LBB829_20:
	s_and_not1_saveexec_b32 s8, s8
	s_cbranch_execz .LBB829_22
; %bb.21:
	v_mov_b32_e32 v3, 0
	global_store_b16 v[0:1], v3, off
.LBB829_22:
	s_or_b32 exec_lo, exec_lo, s15
	s_and_saveexec_b32 s8, s7
	s_cbranch_execz .LBB829_27
; %bb.23:
	s_xor_b32 s7, s13, -1
	s_delay_alu instid0(SALU_CYCLE_1) | instskip(NEXT) | instid1(SALU_CYCLE_1)
	s_and_saveexec_b32 s13, s7
	s_xor_b32 s7, exec_lo, s13
	s_cbranch_execz .LBB829_25
; %bb.24:
	v_fma_mixlo_f16 v3, -v2, v22, v12
	global_store_b16 v[0:1], v3, off offset:64
.LBB829_25:
	s_and_not1_saveexec_b32 s7, s7
	s_cbranch_execz .LBB829_27
; %bb.26:
	v_mov_b32_e32 v3, 0
	global_store_b16 v[0:1], v3, off offset:64
.LBB829_27:
	s_or_b32 exec_lo, exec_lo, s8
	s_and_saveexec_b32 s7, s6
	s_cbranch_execz .LBB829_32
; %bb.28:
	s_xor_b32 s6, s12, -1
	s_delay_alu instid0(SALU_CYCLE_1) | instskip(NEXT) | instid1(SALU_CYCLE_1)
	s_and_saveexec_b32 s8, s6
	s_xor_b32 s6, exec_lo, s8
	s_cbranch_execz .LBB829_30
; %bb.29:
	v_fma_mixlo_f16 v3, -v2, v20, v19
	global_store_b16 v[0:1], v3, off offset:128
.LBB829_30:
	s_and_not1_saveexec_b32 s6, s6
	s_cbranch_execz .LBB829_32
; %bb.31:
	v_mov_b32_e32 v3, 0
	global_store_b16 v[0:1], v3, off offset:128
.LBB829_32:
	s_or_b32 exec_lo, exec_lo, s7
	s_and_saveexec_b32 s6, s5
	s_cbranch_execz .LBB829_37
; %bb.33:
	s_xor_b32 s5, s11, -1
	s_delay_alu instid0(SALU_CYCLE_1) | instskip(NEXT) | instid1(SALU_CYCLE_1)
	s_and_saveexec_b32 s7, s5
	s_xor_b32 s5, exec_lo, s7
	s_cbranch_execz .LBB829_35
; %bb.34:
	v_fma_mixlo_f16 v3, -v2, v18, v11
	global_store_b16 v[0:1], v3, off offset:192
.LBB829_35:
	s_and_not1_saveexec_b32 s5, s5
	s_cbranch_execz .LBB829_37
; %bb.36:
	v_mov_b32_e32 v3, 0
	global_store_b16 v[0:1], v3, off offset:192
.LBB829_37:
	s_or_b32 exec_lo, exec_lo, s6
	s_and_saveexec_b32 s5, s4
	s_cbranch_execz .LBB829_42
; %bb.38:
	s_xor_b32 s4, s10, -1
	s_delay_alu instid0(SALU_CYCLE_1) | instskip(NEXT) | instid1(SALU_CYCLE_1)
	s_and_saveexec_b32 s6, s4
	s_xor_b32 s4, exec_lo, s6
	s_cbranch_execz .LBB829_40
; %bb.39:
	v_fma_mixlo_f16 v3, -v2, v17, v16
	global_store_b16 v[0:1], v3, off offset:256
.LBB829_40:
	s_and_not1_saveexec_b32 s4, s4
	s_cbranch_execz .LBB829_42
; %bb.41:
	v_mov_b32_e32 v3, 0
	global_store_b16 v[0:1], v3, off offset:256
.LBB829_42:
	s_or_b32 exec_lo, exec_lo, s5
	s_and_saveexec_b32 s4, s3
	s_cbranch_execz .LBB829_47
; %bb.43:
	s_xor_b32 s3, s9, -1
	s_delay_alu instid0(SALU_CYCLE_1) | instskip(NEXT) | instid1(SALU_CYCLE_1)
	s_and_saveexec_b32 s5, s3
	s_xor_b32 s3, exec_lo, s5
	s_cbranch_execz .LBB829_45
; %bb.44:
	v_fma_mixlo_f16 v3, -v2, v15, v10
	global_store_b16 v[0:1], v3, off offset:320
.LBB829_45:
	s_and_not1_saveexec_b32 s3, s3
	s_cbranch_execz .LBB829_47
; %bb.46:
	v_mov_b32_e32 v3, 0
	global_store_b16 v[0:1], v3, off offset:320
.LBB829_47:
	s_or_b32 exec_lo, exec_lo, s4
	s_and_saveexec_b32 s3, s2
	s_cbranch_execz .LBB829_52
; %bb.48:
	s_xor_b32 s1, s1, -1
	s_delay_alu instid0(SALU_CYCLE_1) | instskip(NEXT) | instid1(SALU_CYCLE_1)
	s_and_saveexec_b32 s2, s1
	s_xor_b32 s1, exec_lo, s2
	s_cbranch_execz .LBB829_50
; %bb.49:
	v_fma_mixlo_f16 v3, -v2, v14, v13
	global_store_b16 v[0:1], v3, off offset:384
.LBB829_50:
	s_and_not1_saveexec_b32 s1, s1
	s_cbranch_execz .LBB829_52
; %bb.51:
	v_mov_b32_e32 v3, 0
	global_store_b16 v[0:1], v3, off offset:384
.LBB829_52:
	s_or_b32 exec_lo, exec_lo, s3
	s_delay_alu instid0(SALU_CYCLE_1)
	s_and_b32 exec_lo, exec_lo, vcc_lo
	s_cbranch_execz .LBB829_57
; %bb.53:
	s_xor_b32 s0, s0, -1
	s_delay_alu instid0(SALU_CYCLE_1) | instskip(NEXT) | instid1(SALU_CYCLE_1)
	s_and_saveexec_b32 s1, s0
	s_xor_b32 s0, exec_lo, s1
	s_cbranch_execz .LBB829_55
; %bb.54:
	v_fma_mixlo_f16 v2, -v2, v4, v9
	global_store_b16 v[0:1], v2, off offset:448
                                        ; implicit-def: $vgpr0_vgpr1
.LBB829_55:
	s_and_not1_saveexec_b32 s0, s0
	s_cbranch_execz .LBB829_57
; %bb.56:
	v_mov_b32_e32 v2, 0
	global_store_b16 v[0:1], v2, off offset:448
.LBB829_57:
	s_nop 0
	s_sendmsg sendmsg(MSG_DEALLOC_VGPRS)
	s_endpgm
	.section	.rodata,"a",@progbits
	.p2align	6, 0x0
	.amdhsa_kernel _ZN12_GLOBAL__N_121softmax_warp_backwardIN3c104HalfES2_fLi8ELb0ELb1ELi32EEEvPT0_PKT_S7_iiiPKb
		.amdhsa_group_segment_fixed_size 0
		.amdhsa_private_segment_fixed_size 0
		.amdhsa_kernarg_size 304
		.amdhsa_user_sgpr_count 15
		.amdhsa_user_sgpr_dispatch_ptr 0
		.amdhsa_user_sgpr_queue_ptr 0
		.amdhsa_user_sgpr_kernarg_segment_ptr 1
		.amdhsa_user_sgpr_dispatch_id 0
		.amdhsa_user_sgpr_private_segment_size 0
		.amdhsa_wavefront_size32 1
		.amdhsa_uses_dynamic_stack 0
		.amdhsa_enable_private_segment 0
		.amdhsa_system_sgpr_workgroup_id_x 1
		.amdhsa_system_sgpr_workgroup_id_y 0
		.amdhsa_system_sgpr_workgroup_id_z 0
		.amdhsa_system_sgpr_workgroup_info 0
		.amdhsa_system_vgpr_workitem_id 1
		.amdhsa_next_free_vgpr 28
		.amdhsa_next_free_sgpr 20
		.amdhsa_reserve_vcc 1
		.amdhsa_float_round_mode_32 0
		.amdhsa_float_round_mode_16_64 0
		.amdhsa_float_denorm_mode_32 3
		.amdhsa_float_denorm_mode_16_64 3
		.amdhsa_dx10_clamp 1
		.amdhsa_ieee_mode 1
		.amdhsa_fp16_overflow 0
		.amdhsa_workgroup_processor_mode 1
		.amdhsa_memory_ordered 1
		.amdhsa_forward_progress 0
		.amdhsa_shared_vgpr_count 0
		.amdhsa_exception_fp_ieee_invalid_op 0
		.amdhsa_exception_fp_denorm_src 0
		.amdhsa_exception_fp_ieee_div_zero 0
		.amdhsa_exception_fp_ieee_overflow 0
		.amdhsa_exception_fp_ieee_underflow 0
		.amdhsa_exception_fp_ieee_inexact 0
		.amdhsa_exception_int_div_zero 0
	.end_amdhsa_kernel
	.section	.text._ZN12_GLOBAL__N_121softmax_warp_backwardIN3c104HalfES2_fLi8ELb0ELb1ELi32EEEvPT0_PKT_S7_iiiPKb,"axG",@progbits,_ZN12_GLOBAL__N_121softmax_warp_backwardIN3c104HalfES2_fLi8ELb0ELb1ELi32EEEvPT0_PKT_S7_iiiPKb,comdat
.Lfunc_end829:
	.size	_ZN12_GLOBAL__N_121softmax_warp_backwardIN3c104HalfES2_fLi8ELb0ELb1ELi32EEEvPT0_PKT_S7_iiiPKb, .Lfunc_end829-_ZN12_GLOBAL__N_121softmax_warp_backwardIN3c104HalfES2_fLi8ELb0ELb1ELi32EEEvPT0_PKT_S7_iiiPKb
                                        ; -- End function
	.section	.AMDGPU.csdata,"",@progbits
; Kernel info:
; codeLenInByte = 1940
; NumSgprs: 22
; NumVgprs: 28
; ScratchSize: 0
; MemoryBound: 0
; FloatMode: 240
; IeeeMode: 1
; LDSByteSize: 0 bytes/workgroup (compile time only)
; SGPRBlocks: 2
; VGPRBlocks: 3
; NumSGPRsForWavesPerEU: 22
; NumVGPRsForWavesPerEU: 28
; Occupancy: 16
; WaveLimiterHint : 0
; COMPUTE_PGM_RSRC2:SCRATCH_EN: 0
; COMPUTE_PGM_RSRC2:USER_SGPR: 15
; COMPUTE_PGM_RSRC2:TRAP_HANDLER: 0
; COMPUTE_PGM_RSRC2:TGID_X_EN: 1
; COMPUTE_PGM_RSRC2:TGID_Y_EN: 0
; COMPUTE_PGM_RSRC2:TGID_Z_EN: 0
; COMPUTE_PGM_RSRC2:TIDIG_COMP_CNT: 1
	.section	.text._ZN12_GLOBAL__N_121softmax_warp_backwardIN3c104HalfES2_fLi9ELb0ELb1ELi64EEEvPT0_PKT_S7_iiiPKb,"axG",@progbits,_ZN12_GLOBAL__N_121softmax_warp_backwardIN3c104HalfES2_fLi9ELb0ELb1ELi64EEEvPT0_PKT_S7_iiiPKb,comdat
	.globl	_ZN12_GLOBAL__N_121softmax_warp_backwardIN3c104HalfES2_fLi9ELb0ELb1ELi64EEEvPT0_PKT_S7_iiiPKb ; -- Begin function _ZN12_GLOBAL__N_121softmax_warp_backwardIN3c104HalfES2_fLi9ELb0ELb1ELi64EEEvPT0_PKT_S7_iiiPKb
	.p2align	8
	.type	_ZN12_GLOBAL__N_121softmax_warp_backwardIN3c104HalfES2_fLi9ELb0ELb1ELi64EEEvPT0_PKT_S7_iiiPKb,@function
_ZN12_GLOBAL__N_121softmax_warp_backwardIN3c104HalfES2_fLi9ELb0ELb1ELi64EEEvPT0_PKT_S7_iiiPKb: ; @_ZN12_GLOBAL__N_121softmax_warp_backwardIN3c104HalfES2_fLi9ELb0ELb1ELi64EEEvPT0_PKT_S7_iiiPKb
; %bb.0:
	s_clause 0x1
	s_load_b32 s2, s[0:1], 0x3c
	s_load_b128 s[8:11], s[0:1], 0x18
	v_bfe_u32 v1, v0, 10, 10
	v_dual_mov_b32 v21, 0 :: v_dual_and_b32 v4, 63, v0
	s_load_b128 s[16:19], s[0:1], 0x0
	v_mov_b32_e32 v12, 0
	v_mov_b32_e32 v24, 0
	s_waitcnt lgkmcnt(0)
	s_lshr_b32 s2, s2, 16
	s_delay_alu instid0(SALU_CYCLE_1) | instskip(SKIP_1) | instid1(VALU_DEP_1)
	v_mad_u64_u32 v[5:6], null, s15, s2, v[1:2]
	s_load_b64 s[2:3], s[0:1], 0x10
	v_mad_u64_u32 v[2:3], null, v5, s9, v[4:5]
	v_sub_nc_u32_e32 v23, s8, v5
	v_cmp_gt_i32_e64 s8, s10, v4
	s_delay_alu instid0(VALU_DEP_2) | instskip(NEXT) | instid1(VALU_DEP_4)
	v_cmp_lt_i32_e64 s9, 0, v23
	v_ashrrev_i32_e32 v3, 31, v2
	s_delay_alu instid0(VALU_DEP_1) | instskip(NEXT) | instid1(VALU_DEP_1)
	v_lshlrev_b64 v[0:1], 1, v[2:3]
	v_add_co_u32 v5, vcc_lo, s18, v0
	s_delay_alu instid0(VALU_DEP_2) | instskip(SKIP_4) | instid1(SALU_CYCLE_1)
	v_add_co_ci_u32_e32 v6, vcc_lo, s19, v1, vcc_lo
	s_waitcnt lgkmcnt(0)
	v_add_co_u32 v7, vcc_lo, s2, v0
	v_add_co_ci_u32_e32 v8, vcc_lo, s3, v1, vcc_lo
	s_and_b32 s3, s9, s8
	s_and_saveexec_b32 s2, s3
	s_cbranch_execz .LBB830_2
; %bb.1:
	global_load_u16 v9, v[5:6], off
	global_load_u16 v10, v[7:8], off
	s_waitcnt vmcnt(1)
	v_cvt_f32_f16_e32 v21, v9
	s_waitcnt vmcnt(0)
	v_cvt_f32_f16_e32 v24, v10
.LBB830_2:
	s_or_b32 exec_lo, exec_lo, s2
	v_or_b32_e32 v9, 64, v4
	v_mov_b32_e32 v22, 0
	s_delay_alu instid0(VALU_DEP_2) | instskip(NEXT) | instid1(VALU_DEP_1)
	v_cmp_gt_i32_e64 s7, s10, v9
	s_and_b32 s3, s9, s7
	s_delay_alu instid0(SALU_CYCLE_1)
	s_and_saveexec_b32 s2, s3
	s_cbranch_execz .LBB830_4
; %bb.3:
	global_load_u16 v9, v[5:6], off offset:128
	global_load_u16 v10, v[7:8], off offset:128
	s_waitcnt vmcnt(1)
	v_cvt_f32_f16_e32 v12, v9
	s_waitcnt vmcnt(0)
	v_cvt_f32_f16_e32 v22, v10
.LBB830_4:
	s_or_b32 exec_lo, exec_lo, s2
	v_or_b32_e32 v9, 0x80, v4
	v_dual_mov_b32 v11, 0 :: v_dual_mov_b32 v20, 0
	v_mov_b32_e32 v19, 0
	s_delay_alu instid0(VALU_DEP_3) | instskip(NEXT) | instid1(VALU_DEP_1)
	v_cmp_gt_i32_e64 s6, s10, v9
	s_and_b32 s3, s9, s6
	s_delay_alu instid0(SALU_CYCLE_1)
	s_and_saveexec_b32 s2, s3
	s_cbranch_execz .LBB830_6
; %bb.5:
	global_load_u16 v9, v[5:6], off offset:256
	global_load_u16 v10, v[7:8], off offset:256
	s_waitcnt vmcnt(1)
	v_cvt_f32_f16_e32 v19, v9
	s_waitcnt vmcnt(0)
	v_cvt_f32_f16_e32 v20, v10
.LBB830_6:
	s_or_b32 exec_lo, exec_lo, s2
	v_or_b32_e32 v9, 0xc0, v4
	v_mov_b32_e32 v18, 0
	s_delay_alu instid0(VALU_DEP_2) | instskip(NEXT) | instid1(VALU_DEP_1)
	v_cmp_gt_i32_e64 s5, s10, v9
	s_and_b32 s3, s9, s5
	s_delay_alu instid0(SALU_CYCLE_1)
	s_and_saveexec_b32 s2, s3
	s_cbranch_execz .LBB830_8
; %bb.7:
	global_load_u16 v9, v[5:6], off offset:384
	global_load_u16 v10, v[7:8], off offset:384
	s_waitcnt vmcnt(1)
	v_cvt_f32_f16_e32 v11, v9
	s_waitcnt vmcnt(0)
	v_cvt_f32_f16_e32 v18, v10
.LBB830_8:
	s_or_b32 exec_lo, exec_lo, s2
	v_or_b32_e32 v9, 0x100, v4
	v_dual_mov_b32 v10, 0 :: v_dual_mov_b32 v17, 0
	v_mov_b32_e32 v16, 0
	s_delay_alu instid0(VALU_DEP_3) | instskip(NEXT) | instid1(VALU_DEP_1)
	v_cmp_gt_i32_e64 s4, s10, v9
	s_and_b32 s3, s9, s4
	s_delay_alu instid0(SALU_CYCLE_1)
	s_and_saveexec_b32 s2, s3
	s_cbranch_execz .LBB830_10
; %bb.9:
	global_load_u16 v9, v[5:6], off offset:512
	global_load_u16 v13, v[7:8], off offset:512
	s_waitcnt vmcnt(1)
	v_cvt_f32_f16_e32 v16, v9
	s_waitcnt vmcnt(0)
	v_cvt_f32_f16_e32 v17, v13
.LBB830_10:
	s_or_b32 exec_lo, exec_lo, s2
	v_or_b32_e32 v9, 0x140, v4
	v_mov_b32_e32 v15, 0
	s_delay_alu instid0(VALU_DEP_2) | instskip(NEXT) | instid1(VALU_DEP_1)
	v_cmp_gt_i32_e64 s3, s10, v9
	s_and_b32 s11, s9, s3
	s_delay_alu instid0(SALU_CYCLE_1)
	s_and_saveexec_b32 s2, s11
	s_cbranch_execz .LBB830_12
; %bb.11:
	global_load_u16 v9, v[5:6], off offset:640
	global_load_u16 v13, v[7:8], off offset:640
	s_waitcnt vmcnt(1)
	v_cvt_f32_f16_e32 v10, v9
	s_waitcnt vmcnt(0)
	v_cvt_f32_f16_e32 v15, v13
.LBB830_12:
	s_or_b32 exec_lo, exec_lo, s2
	v_or_b32_e32 v9, 0x180, v4
	v_dual_mov_b32 v13, 0 :: v_dual_mov_b32 v14, 0
	s_delay_alu instid0(VALU_DEP_2) | instskip(SKIP_1) | instid1(VALU_DEP_2)
	v_cmp_gt_i32_e64 s2, s10, v9
	v_mov_b32_e32 v9, 0
	s_and_b32 s12, s9, s2
	s_delay_alu instid0(SALU_CYCLE_1)
	s_and_saveexec_b32 s11, s12
	s_cbranch_execz .LBB830_14
; %bb.13:
	global_load_u16 v13, v[5:6], off offset:768
	global_load_u16 v14, v[7:8], off offset:768
	s_waitcnt vmcnt(1)
	v_cvt_f32_f16_e32 v13, v13
	s_waitcnt vmcnt(0)
	v_cvt_f32_f16_e32 v14, v14
.LBB830_14:
	s_or_b32 exec_lo, exec_lo, s11
	v_or_b32_e32 v4, 0x1c0, v4
	s_delay_alu instid0(VALU_DEP_1) | instskip(SKIP_2) | instid1(SALU_CYCLE_1)
	v_cmp_gt_i32_e32 vcc_lo, s10, v4
	v_mov_b32_e32 v4, 0
	s_and_b32 s10, s9, vcc_lo
	s_and_saveexec_b32 s9, s10
	s_cbranch_execz .LBB830_16
; %bb.15:
	global_load_u16 v4, v[5:6], off offset:896
	global_load_u16 v5, v[7:8], off offset:896
	s_waitcnt vmcnt(1)
	v_cvt_f32_f16_e32 v9, v4
	s_waitcnt vmcnt(0)
	v_cvt_f32_f16_e32 v4, v5
.LBB830_16:
	s_or_b32 exec_lo, exec_lo, s9
	s_load_b64 s[0:1], s[0:1], 0x28
	s_mov_b32 s18, exec_lo
	s_waitcnt lgkmcnt(0)
	v_add_co_u32 v2, s0, s0, v2
	s_delay_alu instid0(VALU_DEP_1)
	v_add_co_ci_u32_e64 v3, s0, s1, v3, s0
	s_clause 0x7
	global_load_u8 v5, v[2:3], off
	global_load_u8 v6, v[2:3], off offset:64
	global_load_u8 v7, v[2:3], off offset:128
	;; [unrolled: 1-line block ×7, first 2 shown]
	s_waitcnt vmcnt(7)
	v_and_b32_e32 v3, 1, v5
	v_add_f32_e32 v5, 0, v21
	s_delay_alu instid0(VALU_DEP_2) | instskip(NEXT) | instid1(VALU_DEP_1)
	v_cmp_eq_u32_e64 s14, 1, v3
	v_cndmask_b32_e64 v3, v5, 0, s14
	s_waitcnt vmcnt(6)
	s_delay_alu instid0(VALU_DEP_1) | instskip(NEXT) | instid1(VALU_DEP_1)
	v_dual_add_f32 v6, v3, v12 :: v_dual_and_b32 v5, 1, v6
	v_cmp_eq_u32_e64 s13, 1, v5
	s_waitcnt vmcnt(5)
	v_and_b32_e32 v5, 1, v7
	s_delay_alu instid0(VALU_DEP_2) | instskip(NEXT) | instid1(VALU_DEP_2)
	v_cndmask_b32_e64 v3, v6, v3, s13
	v_cmp_eq_u32_e64 s12, 1, v5
	s_delay_alu instid0(VALU_DEP_2) | instskip(NEXT) | instid1(VALU_DEP_1)
	v_add_f32_e32 v6, v3, v19
	v_cndmask_b32_e64 v3, v6, v3, s12
	s_waitcnt vmcnt(4)
	s_delay_alu instid0(VALU_DEP_1) | instskip(NEXT) | instid1(VALU_DEP_1)
	v_dual_add_f32 v6, v3, v11 :: v_dual_and_b32 v5, 1, v8
	v_cmp_eq_u32_e64 s11, 1, v5
	s_waitcnt vmcnt(3)
	v_and_b32_e32 v5, 1, v25
	s_delay_alu instid0(VALU_DEP_2) | instskip(NEXT) | instid1(VALU_DEP_2)
	v_cndmask_b32_e64 v3, v6, v3, s11
	v_cmp_eq_u32_e64 s10, 1, v5
	s_waitcnt vmcnt(2)
	s_delay_alu instid0(VALU_DEP_2) | instskip(NEXT) | instid1(VALU_DEP_1)
	v_dual_add_f32 v6, v3, v16 :: v_dual_and_b32 v5, 1, v26
	v_cmp_eq_u32_e64 s9, 1, v5
	v_mbcnt_lo_u32_b32 v5, -1, 0
	s_delay_alu instid0(VALU_DEP_3) | instskip(NEXT) | instid1(VALU_DEP_2)
	v_cndmask_b32_e64 v3, v6, v3, s10
	v_or_b32_e32 v8, 32, v5
	s_delay_alu instid0(VALU_DEP_2) | instskip(NEXT) | instid1(VALU_DEP_2)
	v_add_f32_e32 v6, v3, v10
	v_cmp_gt_i32_e64 s0, 64, v8
	s_delay_alu instid0(VALU_DEP_2) | instskip(SKIP_1) | instid1(VALU_DEP_1)
	v_cndmask_b32_e64 v3, v6, v3, s9
	s_waitcnt vmcnt(1)
	v_dual_add_f32 v7, v3, v13 :: v_dual_and_b32 v6, 1, v27
	s_delay_alu instid0(VALU_DEP_1) | instskip(SKIP_1) | instid1(VALU_DEP_2)
	v_cmp_eq_u32_e64 s1, 1, v6
	v_cndmask_b32_e64 v6, v5, v8, s0
	v_cndmask_b32_e64 v3, v7, v3, s1
	s_waitcnt vmcnt(0)
	v_and_b32_e32 v2, 1, v2
	s_delay_alu instid0(VALU_DEP_2) | instskip(NEXT) | instid1(VALU_DEP_2)
	v_dual_add_f32 v7, v3, v9 :: v_dual_lshlrev_b32 v6, 2, v6
	v_cmp_eq_u32_e64 s0, 1, v2
	s_delay_alu instid0(VALU_DEP_1) | instskip(SKIP_2) | instid1(VALU_DEP_1)
	v_cndmask_b32_e64 v2, v7, v3, s0
	ds_bpermute_b32 v3, v6, v2
	v_xor_b32_e32 v6, 16, v5
	v_cmp_gt_i32_e64 s15, 64, v6
	s_delay_alu instid0(VALU_DEP_1) | instskip(NEXT) | instid1(VALU_DEP_1)
	v_cndmask_b32_e64 v6, v5, v6, s15
	v_lshlrev_b32_e32 v6, 2, v6
	s_waitcnt lgkmcnt(0)
	v_add_f32_e32 v2, v2, v3
	ds_bpermute_b32 v3, v6, v2
	v_xor_b32_e32 v6, 8, v5
	s_delay_alu instid0(VALU_DEP_1) | instskip(NEXT) | instid1(VALU_DEP_1)
	v_cmp_gt_i32_e64 s15, 64, v6
	v_cndmask_b32_e64 v6, v5, v6, s15
	s_delay_alu instid0(VALU_DEP_1) | instskip(SKIP_4) | instid1(VALU_DEP_1)
	v_lshlrev_b32_e32 v6, 2, v6
	s_waitcnt lgkmcnt(0)
	v_add_f32_e32 v2, v2, v3
	ds_bpermute_b32 v3, v6, v2
	v_xor_b32_e32 v6, 4, v5
	v_cmp_gt_i32_e64 s15, 64, v6
	s_delay_alu instid0(VALU_DEP_1) | instskip(NEXT) | instid1(VALU_DEP_1)
	v_cndmask_b32_e64 v6, v5, v6, s15
	v_lshlrev_b32_e32 v6, 2, v6
	s_waitcnt lgkmcnt(0)
	v_add_f32_e32 v2, v2, v3
	ds_bpermute_b32 v3, v6, v2
	v_xor_b32_e32 v6, 2, v5
	s_delay_alu instid0(VALU_DEP_1) | instskip(NEXT) | instid1(VALU_DEP_1)
	v_cmp_gt_i32_e64 s15, 64, v6
	v_cndmask_b32_e64 v6, v5, v6, s15
	s_delay_alu instid0(VALU_DEP_1) | instskip(SKIP_4) | instid1(VALU_DEP_1)
	v_lshlrev_b32_e32 v6, 2, v6
	s_waitcnt lgkmcnt(0)
	v_add_f32_e32 v2, v2, v3
	ds_bpermute_b32 v3, v6, v2
	v_xor_b32_e32 v6, 1, v5
	v_cmp_gt_i32_e64 s15, 64, v6
	s_delay_alu instid0(VALU_DEP_1) | instskip(SKIP_1) | instid1(VALU_DEP_1)
	v_cndmask_b32_e64 v5, v5, v6, s15
	s_waitcnt lgkmcnt(0)
	v_dual_add_f32 v2, v2, v3 :: v_dual_lshlrev_b32 v3, 2, v5
	ds_bpermute_b32 v3, v3, v2
	v_cmpx_lt_i32_e32 0, v23
	s_cbranch_execz .LBB830_57
; %bb.17:
	v_add_co_u32 v0, s15, s16, v0
	s_waitcnt lgkmcnt(0)
	v_add_f32_e32 v2, v2, v3
	v_add_co_ci_u32_e64 v1, s15, s17, v1, s15
	s_and_saveexec_b32 s15, s8
	s_cbranch_execz .LBB830_22
; %bb.18:
	s_xor_b32 s8, s14, -1
	s_delay_alu instid0(SALU_CYCLE_1) | instskip(NEXT) | instid1(SALU_CYCLE_1)
	s_and_saveexec_b32 s14, s8
	s_xor_b32 s8, exec_lo, s14
	s_cbranch_execz .LBB830_20
; %bb.19:
	v_fma_mixlo_f16 v3, -v2, v24, v21
	global_store_b16 v[0:1], v3, off
.LBB830_20:
	s_and_not1_saveexec_b32 s8, s8
	s_cbranch_execz .LBB830_22
; %bb.21:
	v_mov_b32_e32 v3, 0
	global_store_b16 v[0:1], v3, off
.LBB830_22:
	s_or_b32 exec_lo, exec_lo, s15
	s_and_saveexec_b32 s8, s7
	s_cbranch_execz .LBB830_27
; %bb.23:
	s_xor_b32 s7, s13, -1
	s_delay_alu instid0(SALU_CYCLE_1) | instskip(NEXT) | instid1(SALU_CYCLE_1)
	s_and_saveexec_b32 s13, s7
	s_xor_b32 s7, exec_lo, s13
	s_cbranch_execz .LBB830_25
; %bb.24:
	v_fma_mixlo_f16 v3, -v2, v22, v12
	global_store_b16 v[0:1], v3, off offset:128
.LBB830_25:
	s_and_not1_saveexec_b32 s7, s7
	s_cbranch_execz .LBB830_27
; %bb.26:
	v_mov_b32_e32 v3, 0
	global_store_b16 v[0:1], v3, off offset:128
.LBB830_27:
	s_or_b32 exec_lo, exec_lo, s8
	s_and_saveexec_b32 s7, s6
	s_cbranch_execz .LBB830_32
; %bb.28:
	s_xor_b32 s6, s12, -1
	s_delay_alu instid0(SALU_CYCLE_1) | instskip(NEXT) | instid1(SALU_CYCLE_1)
	s_and_saveexec_b32 s8, s6
	s_xor_b32 s6, exec_lo, s8
	s_cbranch_execz .LBB830_30
; %bb.29:
	v_fma_mixlo_f16 v3, -v2, v20, v19
	global_store_b16 v[0:1], v3, off offset:256
.LBB830_30:
	s_and_not1_saveexec_b32 s6, s6
	s_cbranch_execz .LBB830_32
; %bb.31:
	v_mov_b32_e32 v3, 0
	global_store_b16 v[0:1], v3, off offset:256
.LBB830_32:
	;; [unrolled: 19-line block ×6, first 2 shown]
	s_or_b32 exec_lo, exec_lo, s3
	s_delay_alu instid0(SALU_CYCLE_1)
	s_and_b32 exec_lo, exec_lo, vcc_lo
	s_cbranch_execz .LBB830_57
; %bb.53:
	s_xor_b32 s0, s0, -1
	s_delay_alu instid0(SALU_CYCLE_1) | instskip(NEXT) | instid1(SALU_CYCLE_1)
	s_and_saveexec_b32 s1, s0
	s_xor_b32 s0, exec_lo, s1
	s_cbranch_execz .LBB830_55
; %bb.54:
	v_fma_mixlo_f16 v2, -v2, v4, v9
	global_store_b16 v[0:1], v2, off offset:896
                                        ; implicit-def: $vgpr0_vgpr1
.LBB830_55:
	s_and_not1_saveexec_b32 s0, s0
	s_cbranch_execz .LBB830_57
; %bb.56:
	v_mov_b32_e32 v2, 0
	global_store_b16 v[0:1], v2, off offset:896
.LBB830_57:
	s_nop 0
	s_sendmsg sendmsg(MSG_DEALLOC_VGPRS)
	s_endpgm
	.section	.rodata,"a",@progbits
	.p2align	6, 0x0
	.amdhsa_kernel _ZN12_GLOBAL__N_121softmax_warp_backwardIN3c104HalfES2_fLi9ELb0ELb1ELi64EEEvPT0_PKT_S7_iiiPKb
		.amdhsa_group_segment_fixed_size 0
		.amdhsa_private_segment_fixed_size 0
		.amdhsa_kernarg_size 304
		.amdhsa_user_sgpr_count 15
		.amdhsa_user_sgpr_dispatch_ptr 0
		.amdhsa_user_sgpr_queue_ptr 0
		.amdhsa_user_sgpr_kernarg_segment_ptr 1
		.amdhsa_user_sgpr_dispatch_id 0
		.amdhsa_user_sgpr_private_segment_size 0
		.amdhsa_wavefront_size32 1
		.amdhsa_uses_dynamic_stack 0
		.amdhsa_enable_private_segment 0
		.amdhsa_system_sgpr_workgroup_id_x 1
		.amdhsa_system_sgpr_workgroup_id_y 0
		.amdhsa_system_sgpr_workgroup_id_z 0
		.amdhsa_system_sgpr_workgroup_info 0
		.amdhsa_system_vgpr_workitem_id 1
		.amdhsa_next_free_vgpr 28
		.amdhsa_next_free_sgpr 20
		.amdhsa_reserve_vcc 1
		.amdhsa_float_round_mode_32 0
		.amdhsa_float_round_mode_16_64 0
		.amdhsa_float_denorm_mode_32 3
		.amdhsa_float_denorm_mode_16_64 3
		.amdhsa_dx10_clamp 1
		.amdhsa_ieee_mode 1
		.amdhsa_fp16_overflow 0
		.amdhsa_workgroup_processor_mode 1
		.amdhsa_memory_ordered 1
		.amdhsa_forward_progress 0
		.amdhsa_shared_vgpr_count 0
		.amdhsa_exception_fp_ieee_invalid_op 0
		.amdhsa_exception_fp_denorm_src 0
		.amdhsa_exception_fp_ieee_div_zero 0
		.amdhsa_exception_fp_ieee_overflow 0
		.amdhsa_exception_fp_ieee_underflow 0
		.amdhsa_exception_fp_ieee_inexact 0
		.amdhsa_exception_int_div_zero 0
	.end_amdhsa_kernel
	.section	.text._ZN12_GLOBAL__N_121softmax_warp_backwardIN3c104HalfES2_fLi9ELb0ELb1ELi64EEEvPT0_PKT_S7_iiiPKb,"axG",@progbits,_ZN12_GLOBAL__N_121softmax_warp_backwardIN3c104HalfES2_fLi9ELb0ELb1ELi64EEEvPT0_PKT_S7_iiiPKb,comdat
.Lfunc_end830:
	.size	_ZN12_GLOBAL__N_121softmax_warp_backwardIN3c104HalfES2_fLi9ELb0ELb1ELi64EEEvPT0_PKT_S7_iiiPKb, .Lfunc_end830-_ZN12_GLOBAL__N_121softmax_warp_backwardIN3c104HalfES2_fLi9ELb0ELb1ELi64EEEvPT0_PKT_S7_iiiPKb
                                        ; -- End function
	.section	.AMDGPU.csdata,"",@progbits
; Kernel info:
; codeLenInByte = 1988
; NumSgprs: 22
; NumVgprs: 28
; ScratchSize: 0
; MemoryBound: 0
; FloatMode: 240
; IeeeMode: 1
; LDSByteSize: 0 bytes/workgroup (compile time only)
; SGPRBlocks: 2
; VGPRBlocks: 3
; NumSGPRsForWavesPerEU: 22
; NumVGPRsForWavesPerEU: 28
; Occupancy: 16
; WaveLimiterHint : 0
; COMPUTE_PGM_RSRC2:SCRATCH_EN: 0
; COMPUTE_PGM_RSRC2:USER_SGPR: 15
; COMPUTE_PGM_RSRC2:TRAP_HANDLER: 0
; COMPUTE_PGM_RSRC2:TGID_X_EN: 1
; COMPUTE_PGM_RSRC2:TGID_Y_EN: 0
; COMPUTE_PGM_RSRC2:TGID_Z_EN: 0
; COMPUTE_PGM_RSRC2:TIDIG_COMP_CNT: 1
	.section	.text._ZN12_GLOBAL__N_121softmax_warp_backwardIN3c104HalfES2_fLi9ELb0ELb1ELi32EEEvPT0_PKT_S7_iiiPKb,"axG",@progbits,_ZN12_GLOBAL__N_121softmax_warp_backwardIN3c104HalfES2_fLi9ELb0ELb1ELi32EEEvPT0_PKT_S7_iiiPKb,comdat
	.globl	_ZN12_GLOBAL__N_121softmax_warp_backwardIN3c104HalfES2_fLi9ELb0ELb1ELi32EEEvPT0_PKT_S7_iiiPKb ; -- Begin function _ZN12_GLOBAL__N_121softmax_warp_backwardIN3c104HalfES2_fLi9ELb0ELb1ELi32EEEvPT0_PKT_S7_iiiPKb
	.p2align	8
	.type	_ZN12_GLOBAL__N_121softmax_warp_backwardIN3c104HalfES2_fLi9ELb0ELb1ELi32EEEvPT0_PKT_S7_iiiPKb,@function
_ZN12_GLOBAL__N_121softmax_warp_backwardIN3c104HalfES2_fLi9ELb0ELb1ELi32EEEvPT0_PKT_S7_iiiPKb: ; @_ZN12_GLOBAL__N_121softmax_warp_backwardIN3c104HalfES2_fLi9ELb0ELb1ELi32EEEvPT0_PKT_S7_iiiPKb
; %bb.0:
	s_clause 0x1
	s_load_b32 s2, s[0:1], 0x3c
	s_load_b128 s[16:19], s[0:1], 0x18
	v_bfe_u32 v1, v0, 10, 10
	v_dual_mov_b32 v23, 0 :: v_dual_and_b32 v4, 31, v0
	s_load_b128 s[36:39], s[0:1], 0x0
	v_dual_mov_b32 v37, 0 :: v_dual_mov_b32 v40, 0
	s_waitcnt lgkmcnt(0)
	s_lshr_b32 s2, s2, 16
	s_delay_alu instid0(SALU_CYCLE_1) | instskip(SKIP_1) | instid1(VALU_DEP_1)
	v_mad_u64_u32 v[5:6], null, s15, s2, v[1:2]
	s_load_b64 s[2:3], s[0:1], 0x10
	v_mad_u64_u32 v[2:3], null, v5, s17, v[4:5]
	v_sub_nc_u32_e32 v39, s16, v5
	v_cmp_gt_i32_e64 s16, s18, v4
	s_delay_alu instid0(VALU_DEP_2) | instskip(NEXT) | instid1(VALU_DEP_4)
	v_cmp_lt_i32_e64 s17, 0, v39
	v_ashrrev_i32_e32 v3, 31, v2
	s_delay_alu instid0(VALU_DEP_1) | instskip(NEXT) | instid1(VALU_DEP_1)
	v_lshlrev_b64 v[0:1], 1, v[2:3]
	v_add_co_u32 v5, vcc_lo, s38, v0
	s_delay_alu instid0(VALU_DEP_2) | instskip(SKIP_4) | instid1(SALU_CYCLE_1)
	v_add_co_ci_u32_e32 v6, vcc_lo, s39, v1, vcc_lo
	s_waitcnt lgkmcnt(0)
	v_add_co_u32 v7, vcc_lo, s2, v0
	v_add_co_ci_u32_e32 v8, vcc_lo, s3, v1, vcc_lo
	s_and_b32 s3, s17, s16
	s_and_saveexec_b32 s2, s3
	s_cbranch_execz .LBB831_2
; %bb.1:
	global_load_u16 v9, v[5:6], off
	global_load_u16 v10, v[7:8], off
	s_waitcnt vmcnt(1)
	v_cvt_f32_f16_e32 v37, v9
	s_waitcnt vmcnt(0)
	v_cvt_f32_f16_e32 v40, v10
.LBB831_2:
	s_or_b32 exec_lo, exec_lo, s2
	v_or_b32_e32 v9, 32, v4
	v_mov_b32_e32 v38, 0
	s_delay_alu instid0(VALU_DEP_2) | instskip(NEXT) | instid1(VALU_DEP_1)
	v_cmp_gt_i32_e64 s15, s18, v9
	s_and_b32 s3, s17, s15
	s_delay_alu instid0(SALU_CYCLE_1)
	s_and_saveexec_b32 s2, s3
	s_cbranch_execz .LBB831_4
; %bb.3:
	global_load_u16 v9, v[5:6], off offset:64
	global_load_u16 v10, v[7:8], off offset:64
	s_waitcnt vmcnt(1)
	v_cvt_f32_f16_e32 v23, v9
	s_waitcnt vmcnt(0)
	v_cvt_f32_f16_e32 v38, v10
.LBB831_4:
	s_or_b32 exec_lo, exec_lo, s2
	v_or_b32_e32 v9, 64, v4
	v_dual_mov_b32 v21, 0 :: v_dual_mov_b32 v36, 0
	v_mov_b32_e32 v35, 0
	s_delay_alu instid0(VALU_DEP_3) | instskip(NEXT) | instid1(VALU_DEP_1)
	v_cmp_gt_i32_e64 s14, s18, v9
	s_and_b32 s3, s17, s14
	s_delay_alu instid0(SALU_CYCLE_1)
	s_and_saveexec_b32 s2, s3
	s_cbranch_execz .LBB831_6
; %bb.5:
	global_load_u16 v9, v[5:6], off offset:128
	global_load_u16 v10, v[7:8], off offset:128
	s_waitcnt vmcnt(1)
	v_cvt_f32_f16_e32 v35, v9
	s_waitcnt vmcnt(0)
	v_cvt_f32_f16_e32 v36, v10
.LBB831_6:
	s_or_b32 exec_lo, exec_lo, s2
	v_or_b32_e32 v9, 0x60, v4
	v_mov_b32_e32 v34, 0
	s_delay_alu instid0(VALU_DEP_2) | instskip(NEXT) | instid1(VALU_DEP_1)
	v_cmp_gt_i32_e64 s13, s18, v9
	s_and_b32 s3, s17, s13
	s_delay_alu instid0(SALU_CYCLE_1)
	s_and_saveexec_b32 s2, s3
	s_cbranch_execz .LBB831_8
; %bb.7:
	global_load_u16 v9, v[5:6], off offset:192
	global_load_u16 v10, v[7:8], off offset:192
	s_waitcnt vmcnt(1)
	v_cvt_f32_f16_e32 v21, v9
	s_waitcnt vmcnt(0)
	v_cvt_f32_f16_e32 v34, v10
.LBB831_8:
	s_or_b32 exec_lo, exec_lo, s2
	v_or_b32_e32 v9, 0x80, v4
	v_dual_mov_b32 v17, 0 :: v_dual_mov_b32 v32, 0
	v_mov_b32_e32 v33, 0
	s_delay_alu instid0(VALU_DEP_3) | instskip(NEXT) | instid1(VALU_DEP_1)
	v_cmp_gt_i32_e64 s12, s18, v9
	s_and_b32 s3, s17, s12
	s_delay_alu instid0(SALU_CYCLE_1)
	s_and_saveexec_b32 s2, s3
	s_cbranch_execz .LBB831_10
; %bb.9:
	global_load_u16 v9, v[5:6], off offset:256
	global_load_u16 v10, v[7:8], off offset:256
	s_waitcnt vmcnt(1)
	v_cvt_f32_f16_e32 v32, v9
	s_waitcnt vmcnt(0)
	v_cvt_f32_f16_e32 v33, v10
.LBB831_10:
	;; [unrolled: 35-line block ×6, first 2 shown]
	s_or_b32 exec_lo, exec_lo, s2
	v_or_b32_e32 v9, 0x1a0, v4
	v_mov_b32_e32 v16, 0
	s_delay_alu instid0(VALU_DEP_2) | instskip(NEXT) | instid1(VALU_DEP_1)
	v_cmp_gt_i32_e64 s3, s18, v9
	s_and_b32 s19, s17, s3
	s_delay_alu instid0(SALU_CYCLE_1)
	s_and_saveexec_b32 s2, s19
	s_cbranch_execz .LBB831_28
; %bb.27:
	global_load_u16 v9, v[5:6], off offset:832
	global_load_u16 v14, v[7:8], off offset:832
	s_waitcnt vmcnt(1)
	v_cvt_f32_f16_e32 v10, v9
	s_waitcnt vmcnt(0)
	v_cvt_f32_f16_e32 v16, v14
.LBB831_28:
	s_or_b32 exec_lo, exec_lo, s2
	v_or_b32_e32 v9, 0x1c0, v4
	v_dual_mov_b32 v15, 0 :: v_dual_mov_b32 v14, 0
	s_delay_alu instid0(VALU_DEP_2) | instskip(SKIP_1) | instid1(VALU_DEP_2)
	v_cmp_gt_i32_e64 s2, s18, v9
	v_mov_b32_e32 v9, 0
	s_and_b32 s20, s17, s2
	s_delay_alu instid0(SALU_CYCLE_1)
	s_and_saveexec_b32 s19, s20
	s_cbranch_execz .LBB831_30
; %bb.29:
	global_load_u16 v14, v[5:6], off offset:896
	global_load_u16 v15, v[7:8], off offset:896
	s_waitcnt vmcnt(1)
	v_cvt_f32_f16_e32 v14, v14
	s_waitcnt vmcnt(0)
	v_cvt_f32_f16_e32 v15, v15
.LBB831_30:
	s_or_b32 exec_lo, exec_lo, s19
	v_or_b32_e32 v4, 0x1e0, v4
	s_delay_alu instid0(VALU_DEP_1) | instskip(SKIP_2) | instid1(SALU_CYCLE_1)
	v_cmp_gt_i32_e32 vcc_lo, s18, v4
	v_mov_b32_e32 v4, 0
	s_and_b32 s18, s17, vcc_lo
	s_and_saveexec_b32 s17, s18
	s_cbranch_execz .LBB831_32
; %bb.31:
	global_load_u16 v4, v[5:6], off offset:960
	global_load_u16 v5, v[7:8], off offset:960
	s_waitcnt vmcnt(1)
	v_cvt_f32_f16_e32 v9, v4
	s_waitcnt vmcnt(0)
	v_cvt_f32_f16_e32 v4, v5
.LBB831_32:
	s_or_b32 exec_lo, exec_lo, s17
	s_load_b64 s[0:1], s[0:1], 0x28
	s_mov_b32 s33, exec_lo
	s_waitcnt lgkmcnt(0)
	v_add_co_u32 v2, s0, s0, v2
	s_delay_alu instid0(VALU_DEP_1)
	v_add_co_ci_u32_e64 v3, s0, s1, v3, s0
	s_clause 0xf
	global_load_u8 v5, v[2:3], off
	global_load_u8 v6, v[2:3], off offset:32
	global_load_u8 v7, v[2:3], off offset:64
	;; [unrolled: 1-line block ×15, first 2 shown]
	s_waitcnt vmcnt(15)
	v_and_b32_e32 v3, 1, v5
	v_add_f32_e32 v5, 0, v37
	s_delay_alu instid0(VALU_DEP_2) | instskip(NEXT) | instid1(VALU_DEP_1)
	v_cmp_eq_u32_e64 s30, 1, v3
	v_cndmask_b32_e64 v3, v5, 0, s30
	s_waitcnt vmcnt(14)
	s_delay_alu instid0(VALU_DEP_1) | instskip(NEXT) | instid1(VALU_DEP_1)
	v_dual_add_f32 v6, v3, v23 :: v_dual_and_b32 v5, 1, v6
	v_cmp_eq_u32_e64 s29, 1, v5
	s_waitcnt vmcnt(13)
	v_and_b32_e32 v5, 1, v7
	s_delay_alu instid0(VALU_DEP_2) | instskip(NEXT) | instid1(VALU_DEP_2)
	v_cndmask_b32_e64 v3, v6, v3, s29
	v_cmp_eq_u32_e64 s28, 1, v5
	s_waitcnt vmcnt(12)
	s_delay_alu instid0(VALU_DEP_2) | instskip(NEXT) | instid1(VALU_DEP_1)
	v_dual_add_f32 v6, v3, v35 :: v_dual_and_b32 v5, 1, v8
	v_cmp_eq_u32_e64 s27, 1, v5
	s_delay_alu instid0(VALU_DEP_2) | instskip(NEXT) | instid1(VALU_DEP_1)
	v_cndmask_b32_e64 v3, v6, v3, s28
	v_add_f32_e32 v6, v3, v21
	s_delay_alu instid0(VALU_DEP_1) | instskip(SKIP_1) | instid1(VALU_DEP_1)
	v_cndmask_b32_e64 v3, v6, v3, s27
	s_waitcnt vmcnt(11)
	v_dual_add_f32 v6, v3, v32 :: v_dual_and_b32 v5, 1, v41
	s_delay_alu instid0(VALU_DEP_1) | instskip(SKIP_2) | instid1(VALU_DEP_2)
	v_cmp_eq_u32_e64 s26, 1, v5
	s_waitcnt vmcnt(10)
	v_and_b32_e32 v5, 1, v42
	v_cndmask_b32_e64 v3, v6, v3, s26
	s_delay_alu instid0(VALU_DEP_2) | instskip(SKIP_1) | instid1(VALU_DEP_2)
	v_cmp_eq_u32_e64 s25, 1, v5
	s_waitcnt vmcnt(9)
	v_dual_add_f32 v6, v3, v17 :: v_dual_and_b32 v5, 1, v43
	s_delay_alu instid0(VALU_DEP_1) | instskip(SKIP_2) | instid1(VALU_DEP_3)
	v_cmp_eq_u32_e64 s24, 1, v5
	s_waitcnt vmcnt(8)
	v_and_b32_e32 v5, 1, v44
	v_cndmask_b32_e64 v3, v6, v3, s25
	s_delay_alu instid0(VALU_DEP_2) | instskip(SKIP_2) | instid1(VALU_DEP_3)
	v_cmp_eq_u32_e64 s23, 1, v5
	s_waitcnt vmcnt(7)
	v_and_b32_e32 v5, 1, v45
	v_add_f32_e32 v6, v3, v29
	s_delay_alu instid0(VALU_DEP_2) | instskip(NEXT) | instid1(VALU_DEP_2)
	v_cmp_eq_u32_e64 s22, 1, v5
	v_cndmask_b32_e64 v3, v6, v3, s24
	s_waitcnt vmcnt(6)
	s_delay_alu instid0(VALU_DEP_1) | instskip(NEXT) | instid1(VALU_DEP_1)
	v_dual_add_f32 v6, v3, v13 :: v_dual_and_b32 v5, 1, v46
	v_cmp_eq_u32_e64 s21, 1, v5
	s_delay_alu instid0(VALU_DEP_2) | instskip(NEXT) | instid1(VALU_DEP_1)
	v_cndmask_b32_e64 v3, v6, v3, s23
	v_add_f32_e32 v6, v3, v26
	s_delay_alu instid0(VALU_DEP_1) | instskip(NEXT) | instid1(VALU_DEP_1)
	v_cndmask_b32_e64 v3, v6, v3, s22
	v_add_f32_e32 v6, v3, v12
	s_delay_alu instid0(VALU_DEP_1) | instskip(SKIP_1) | instid1(VALU_DEP_1)
	v_cndmask_b32_e64 v3, v6, v3, s21
	s_waitcnt vmcnt(5)
	v_dual_add_f32 v6, v3, v22 :: v_dual_and_b32 v5, 1, v47
	s_delay_alu instid0(VALU_DEP_1) | instskip(SKIP_2) | instid1(VALU_DEP_2)
	v_cmp_eq_u32_e64 s20, 1, v5
	s_waitcnt vmcnt(4)
	v_and_b32_e32 v5, 1, v48
	v_cndmask_b32_e64 v3, v6, v3, s20
	s_delay_alu instid0(VALU_DEP_2) | instskip(SKIP_1) | instid1(VALU_DEP_2)
	v_cmp_eq_u32_e64 s19, 1, v5
	s_waitcnt vmcnt(3)
	v_dual_add_f32 v6, v3, v11 :: v_dual_and_b32 v5, 1, v49
	s_delay_alu instid0(VALU_DEP_1) | instskip(SKIP_2) | instid1(VALU_DEP_3)
	v_cmp_eq_u32_e64 s18, 1, v5
	s_waitcnt vmcnt(2)
	v_and_b32_e32 v5, 1, v50
	v_cndmask_b32_e64 v3, v6, v3, s19
	s_delay_alu instid0(VALU_DEP_2) | instskip(SKIP_1) | instid1(VALU_DEP_3)
	v_cmp_eq_u32_e64 s17, 1, v5
	v_mbcnt_lo_u32_b32 v5, -1, 0
	v_add_f32_e32 v6, v3, v18
	s_delay_alu instid0(VALU_DEP_2) | instskip(NEXT) | instid1(VALU_DEP_2)
	v_xor_b32_e32 v8, 16, v5
	v_cndmask_b32_e64 v3, v6, v3, s18
	s_delay_alu instid0(VALU_DEP_2) | instskip(NEXT) | instid1(VALU_DEP_2)
	v_cmp_gt_i32_e64 s0, 32, v8
	v_add_f32_e32 v6, v3, v10
	s_delay_alu instid0(VALU_DEP_1) | instskip(SKIP_1) | instid1(VALU_DEP_1)
	v_cndmask_b32_e64 v3, v6, v3, s17
	s_waitcnt vmcnt(1)
	v_dual_add_f32 v7, v3, v14 :: v_dual_and_b32 v6, 1, v51
	s_delay_alu instid0(VALU_DEP_1) | instskip(SKIP_1) | instid1(VALU_DEP_2)
	v_cmp_eq_u32_e64 s1, 1, v6
	v_cndmask_b32_e64 v6, v5, v8, s0
	v_cndmask_b32_e64 v3, v7, v3, s1
	s_waitcnt vmcnt(0)
	v_and_b32_e32 v2, 1, v2
	s_delay_alu instid0(VALU_DEP_2) | instskip(NEXT) | instid1(VALU_DEP_2)
	v_dual_add_f32 v7, v3, v9 :: v_dual_lshlrev_b32 v6, 2, v6
	v_cmp_eq_u32_e64 s0, 1, v2
	s_delay_alu instid0(VALU_DEP_1) | instskip(SKIP_2) | instid1(VALU_DEP_1)
	v_cndmask_b32_e64 v2, v7, v3, s0
	ds_bpermute_b32 v3, v6, v2
	v_xor_b32_e32 v6, 8, v5
	v_cmp_gt_i32_e64 s31, 32, v6
	s_delay_alu instid0(VALU_DEP_1) | instskip(NEXT) | instid1(VALU_DEP_1)
	v_cndmask_b32_e64 v6, v5, v6, s31
	v_lshlrev_b32_e32 v6, 2, v6
	s_waitcnt lgkmcnt(0)
	v_add_f32_e32 v2, v2, v3
	ds_bpermute_b32 v3, v6, v2
	v_xor_b32_e32 v6, 4, v5
	s_delay_alu instid0(VALU_DEP_1) | instskip(NEXT) | instid1(VALU_DEP_1)
	v_cmp_gt_i32_e64 s31, 32, v6
	v_cndmask_b32_e64 v6, v5, v6, s31
	s_delay_alu instid0(VALU_DEP_1) | instskip(SKIP_4) | instid1(VALU_DEP_1)
	v_lshlrev_b32_e32 v6, 2, v6
	s_waitcnt lgkmcnt(0)
	v_add_f32_e32 v2, v2, v3
	ds_bpermute_b32 v3, v6, v2
	v_xor_b32_e32 v6, 2, v5
	v_cmp_gt_i32_e64 s31, 32, v6
	s_delay_alu instid0(VALU_DEP_1) | instskip(NEXT) | instid1(VALU_DEP_1)
	v_cndmask_b32_e64 v6, v5, v6, s31
	v_lshlrev_b32_e32 v6, 2, v6
	s_waitcnt lgkmcnt(0)
	v_add_f32_e32 v2, v2, v3
	ds_bpermute_b32 v3, v6, v2
	v_xor_b32_e32 v6, 1, v5
	s_delay_alu instid0(VALU_DEP_1) | instskip(NEXT) | instid1(VALU_DEP_1)
	v_cmp_gt_i32_e64 s31, 32, v6
	v_cndmask_b32_e64 v5, v5, v6, s31
	s_waitcnt lgkmcnt(0)
	s_delay_alu instid0(VALU_DEP_1)
	v_dual_add_f32 v2, v2, v3 :: v_dual_lshlrev_b32 v3, 2, v5
	ds_bpermute_b32 v3, v3, v2
	v_cmpx_lt_i32_e32 0, v39
	s_cbranch_execz .LBB831_113
; %bb.33:
	v_add_co_u32 v0, s31, s36, v0
	s_waitcnt lgkmcnt(0)
	v_add_f32_e32 v2, v2, v3
	v_add_co_ci_u32_e64 v1, s31, s37, v1, s31
	s_and_saveexec_b32 s31, s16
	s_cbranch_execz .LBB831_38
; %bb.34:
	s_xor_b32 s16, s30, -1
	s_delay_alu instid0(SALU_CYCLE_1) | instskip(NEXT) | instid1(SALU_CYCLE_1)
	s_and_saveexec_b32 s30, s16
	s_xor_b32 s16, exec_lo, s30
	s_cbranch_execz .LBB831_36
; %bb.35:
	v_fma_mixlo_f16 v3, -v2, v40, v37
	global_store_b16 v[0:1], v3, off
.LBB831_36:
	s_and_not1_saveexec_b32 s16, s16
	s_cbranch_execz .LBB831_38
; %bb.37:
	v_mov_b32_e32 v3, 0
	global_store_b16 v[0:1], v3, off
.LBB831_38:
	s_or_b32 exec_lo, exec_lo, s31
	s_and_saveexec_b32 s16, s15
	s_cbranch_execz .LBB831_43
; %bb.39:
	s_xor_b32 s15, s29, -1
	s_delay_alu instid0(SALU_CYCLE_1) | instskip(NEXT) | instid1(SALU_CYCLE_1)
	s_and_saveexec_b32 s29, s15
	s_xor_b32 s15, exec_lo, s29
	s_cbranch_execz .LBB831_41
; %bb.40:
	v_fma_mixlo_f16 v3, -v2, v38, v23
	global_store_b16 v[0:1], v3, off offset:64
.LBB831_41:
	s_and_not1_saveexec_b32 s15, s15
	s_cbranch_execz .LBB831_43
; %bb.42:
	v_mov_b32_e32 v3, 0
	global_store_b16 v[0:1], v3, off offset:64
.LBB831_43:
	s_or_b32 exec_lo, exec_lo, s16
	s_and_saveexec_b32 s15, s14
	s_cbranch_execz .LBB831_48
; %bb.44:
	s_xor_b32 s14, s28, -1
	s_delay_alu instid0(SALU_CYCLE_1) | instskip(NEXT) | instid1(SALU_CYCLE_1)
	s_and_saveexec_b32 s16, s14
	s_xor_b32 s14, exec_lo, s16
	s_cbranch_execz .LBB831_46
; %bb.45:
	v_fma_mixlo_f16 v3, -v2, v36, v35
	global_store_b16 v[0:1], v3, off offset:128
.LBB831_46:
	s_and_not1_saveexec_b32 s14, s14
	s_cbranch_execz .LBB831_48
; %bb.47:
	v_mov_b32_e32 v3, 0
	global_store_b16 v[0:1], v3, off offset:128
.LBB831_48:
	;; [unrolled: 19-line block ×14, first 2 shown]
	s_or_b32 exec_lo, exec_lo, s3
	s_delay_alu instid0(SALU_CYCLE_1)
	s_and_b32 exec_lo, exec_lo, vcc_lo
	s_cbranch_execz .LBB831_113
; %bb.109:
	s_xor_b32 s0, s0, -1
	s_delay_alu instid0(SALU_CYCLE_1) | instskip(NEXT) | instid1(SALU_CYCLE_1)
	s_and_saveexec_b32 s1, s0
	s_xor_b32 s0, exec_lo, s1
	s_cbranch_execz .LBB831_111
; %bb.110:
	v_fma_mixlo_f16 v2, -v2, v4, v9
	global_store_b16 v[0:1], v2, off offset:960
                                        ; implicit-def: $vgpr0_vgpr1
.LBB831_111:
	s_and_not1_saveexec_b32 s0, s0
	s_cbranch_execz .LBB831_113
; %bb.112:
	v_mov_b32_e32 v2, 0
	global_store_b16 v[0:1], v2, off offset:960
.LBB831_113:
	s_nop 0
	s_sendmsg sendmsg(MSG_DEALLOC_VGPRS)
	s_endpgm
	.section	.rodata,"a",@progbits
	.p2align	6, 0x0
	.amdhsa_kernel _ZN12_GLOBAL__N_121softmax_warp_backwardIN3c104HalfES2_fLi9ELb0ELb1ELi32EEEvPT0_PKT_S7_iiiPKb
		.amdhsa_group_segment_fixed_size 0
		.amdhsa_private_segment_fixed_size 0
		.amdhsa_kernarg_size 304
		.amdhsa_user_sgpr_count 15
		.amdhsa_user_sgpr_dispatch_ptr 0
		.amdhsa_user_sgpr_queue_ptr 0
		.amdhsa_user_sgpr_kernarg_segment_ptr 1
		.amdhsa_user_sgpr_dispatch_id 0
		.amdhsa_user_sgpr_private_segment_size 0
		.amdhsa_wavefront_size32 1
		.amdhsa_uses_dynamic_stack 0
		.amdhsa_enable_private_segment 0
		.amdhsa_system_sgpr_workgroup_id_x 1
		.amdhsa_system_sgpr_workgroup_id_y 0
		.amdhsa_system_sgpr_workgroup_id_z 0
		.amdhsa_system_sgpr_workgroup_info 0
		.amdhsa_system_vgpr_workitem_id 1
		.amdhsa_next_free_vgpr 52
		.amdhsa_next_free_sgpr 40
		.amdhsa_reserve_vcc 1
		.amdhsa_float_round_mode_32 0
		.amdhsa_float_round_mode_16_64 0
		.amdhsa_float_denorm_mode_32 3
		.amdhsa_float_denorm_mode_16_64 3
		.amdhsa_dx10_clamp 1
		.amdhsa_ieee_mode 1
		.amdhsa_fp16_overflow 0
		.amdhsa_workgroup_processor_mode 1
		.amdhsa_memory_ordered 1
		.amdhsa_forward_progress 0
		.amdhsa_shared_vgpr_count 0
		.amdhsa_exception_fp_ieee_invalid_op 0
		.amdhsa_exception_fp_denorm_src 0
		.amdhsa_exception_fp_ieee_div_zero 0
		.amdhsa_exception_fp_ieee_overflow 0
		.amdhsa_exception_fp_ieee_underflow 0
		.amdhsa_exception_fp_ieee_inexact 0
		.amdhsa_exception_int_div_zero 0
	.end_amdhsa_kernel
	.section	.text._ZN12_GLOBAL__N_121softmax_warp_backwardIN3c104HalfES2_fLi9ELb0ELb1ELi32EEEvPT0_PKT_S7_iiiPKb,"axG",@progbits,_ZN12_GLOBAL__N_121softmax_warp_backwardIN3c104HalfES2_fLi9ELb0ELb1ELi32EEEvPT0_PKT_S7_iiiPKb,comdat
.Lfunc_end831:
	.size	_ZN12_GLOBAL__N_121softmax_warp_backwardIN3c104HalfES2_fLi9ELb0ELb1ELi32EEEvPT0_PKT_S7_iiiPKb, .Lfunc_end831-_ZN12_GLOBAL__N_121softmax_warp_backwardIN3c104HalfES2_fLi9ELb0ELb1ELi32EEEvPT0_PKT_S7_iiiPKb
                                        ; -- End function
	.section	.AMDGPU.csdata,"",@progbits
; Kernel info:
; codeLenInByte = 3460
; NumSgprs: 42
; NumVgprs: 52
; ScratchSize: 0
; MemoryBound: 0
; FloatMode: 240
; IeeeMode: 1
; LDSByteSize: 0 bytes/workgroup (compile time only)
; SGPRBlocks: 5
; VGPRBlocks: 6
; NumSGPRsForWavesPerEU: 42
; NumVGPRsForWavesPerEU: 52
; Occupancy: 16
; WaveLimiterHint : 0
; COMPUTE_PGM_RSRC2:SCRATCH_EN: 0
; COMPUTE_PGM_RSRC2:USER_SGPR: 15
; COMPUTE_PGM_RSRC2:TRAP_HANDLER: 0
; COMPUTE_PGM_RSRC2:TGID_X_EN: 1
; COMPUTE_PGM_RSRC2:TGID_Y_EN: 0
; COMPUTE_PGM_RSRC2:TGID_Z_EN: 0
; COMPUTE_PGM_RSRC2:TIDIG_COMP_CNT: 1
	.section	.text._ZN12_GLOBAL__N_121softmax_warp_backwardIN3c104HalfES2_fLi10ELb0ELb1ELi64EEEvPT0_PKT_S7_iiiPKb,"axG",@progbits,_ZN12_GLOBAL__N_121softmax_warp_backwardIN3c104HalfES2_fLi10ELb0ELb1ELi64EEEvPT0_PKT_S7_iiiPKb,comdat
	.globl	_ZN12_GLOBAL__N_121softmax_warp_backwardIN3c104HalfES2_fLi10ELb0ELb1ELi64EEEvPT0_PKT_S7_iiiPKb ; -- Begin function _ZN12_GLOBAL__N_121softmax_warp_backwardIN3c104HalfES2_fLi10ELb0ELb1ELi64EEEvPT0_PKT_S7_iiiPKb
	.p2align	8
	.type	_ZN12_GLOBAL__N_121softmax_warp_backwardIN3c104HalfES2_fLi10ELb0ELb1ELi64EEEvPT0_PKT_S7_iiiPKb,@function
_ZN12_GLOBAL__N_121softmax_warp_backwardIN3c104HalfES2_fLi10ELb0ELb1ELi64EEEvPT0_PKT_S7_iiiPKb: ; @_ZN12_GLOBAL__N_121softmax_warp_backwardIN3c104HalfES2_fLi10ELb0ELb1ELi64EEEvPT0_PKT_S7_iiiPKb
; %bb.0:
	s_clause 0x1
	s_load_b32 s2, s[0:1], 0x3c
	s_load_b128 s[16:19], s[0:1], 0x18
	v_bfe_u32 v1, v0, 10, 10
	v_dual_mov_b32 v23, 0 :: v_dual_and_b32 v12, 0x3ff, v0
	s_load_b128 s[36:39], s[0:1], 0x0
	v_dual_mov_b32 v37, 0 :: v_dual_mov_b32 v40, 0
	s_delay_alu instid0(VALU_DEP_2) | instskip(SKIP_2) | instid1(SALU_CYCLE_1)
	v_and_b32_e32 v8, 63, v12
	s_waitcnt lgkmcnt(0)
	s_lshr_b32 s2, s2, 16
	v_mad_u64_u32 v[4:5], null, s15, s2, v[1:2]
	s_load_b64 s[2:3], s[0:1], 0x10
	s_delay_alu instid0(VALU_DEP_1) | instskip(SKIP_2) | instid1(VALU_DEP_2)
	v_mad_u64_u32 v[2:3], null, v4, s17, v[8:9]
	v_sub_nc_u32_e32 v39, s16, v4
	v_cmp_gt_i32_e64 s16, s18, v8
	v_cmp_lt_i32_e64 s17, 0, v39
	s_delay_alu instid0(VALU_DEP_4) | instskip(NEXT) | instid1(VALU_DEP_1)
	v_ashrrev_i32_e32 v3, 31, v2
	v_lshlrev_b64 v[0:1], 1, v[2:3]
	s_delay_alu instid0(VALU_DEP_1) | instskip(NEXT) | instid1(VALU_DEP_2)
	v_add_co_u32 v4, vcc_lo, s38, v0
	v_add_co_ci_u32_e32 v5, vcc_lo, s39, v1, vcc_lo
	s_waitcnt lgkmcnt(0)
	v_add_co_u32 v6, vcc_lo, s2, v0
	v_add_co_ci_u32_e32 v7, vcc_lo, s3, v1, vcc_lo
	s_and_b32 s3, s17, s16
	s_delay_alu instid0(SALU_CYCLE_1)
	s_and_saveexec_b32 s2, s3
	s_cbranch_execz .LBB832_2
; %bb.1:
	global_load_u16 v9, v[4:5], off
	global_load_u16 v10, v[6:7], off
	s_waitcnt vmcnt(1)
	v_cvt_f32_f16_e32 v37, v9
	s_waitcnt vmcnt(0)
	v_cvt_f32_f16_e32 v40, v10
.LBB832_2:
	s_or_b32 exec_lo, exec_lo, s2
	v_or_b32_e32 v9, 64, v8
	v_mov_b32_e32 v38, 0
	s_delay_alu instid0(VALU_DEP_2) | instskip(NEXT) | instid1(VALU_DEP_1)
	v_cmp_gt_i32_e64 s15, s18, v9
	s_and_b32 s3, s17, s15
	s_delay_alu instid0(SALU_CYCLE_1)
	s_and_saveexec_b32 s2, s3
	s_cbranch_execz .LBB832_4
; %bb.3:
	global_load_u16 v9, v[4:5], off offset:128
	global_load_u16 v10, v[6:7], off offset:128
	s_waitcnt vmcnt(1)
	v_cvt_f32_f16_e32 v23, v9
	s_waitcnt vmcnt(0)
	v_cvt_f32_f16_e32 v38, v10
.LBB832_4:
	s_or_b32 exec_lo, exec_lo, s2
	v_or_b32_e32 v9, 0x80, v8
	v_dual_mov_b32 v21, 0 :: v_dual_mov_b32 v36, 0
	v_mov_b32_e32 v35, 0
	s_delay_alu instid0(VALU_DEP_3) | instskip(NEXT) | instid1(VALU_DEP_1)
	v_cmp_gt_i32_e64 s14, s18, v9
	s_and_b32 s3, s17, s14
	s_delay_alu instid0(SALU_CYCLE_1)
	s_and_saveexec_b32 s2, s3
	s_cbranch_execz .LBB832_6
; %bb.5:
	global_load_u16 v9, v[4:5], off offset:256
	global_load_u16 v10, v[6:7], off offset:256
	s_waitcnt vmcnt(1)
	v_cvt_f32_f16_e32 v35, v9
	s_waitcnt vmcnt(0)
	v_cvt_f32_f16_e32 v36, v10
.LBB832_6:
	s_or_b32 exec_lo, exec_lo, s2
	v_or_b32_e32 v9, 0xc0, v8
	v_mov_b32_e32 v34, 0
	s_delay_alu instid0(VALU_DEP_2) | instskip(NEXT) | instid1(VALU_DEP_1)
	v_cmp_gt_i32_e64 s13, s18, v9
	s_and_b32 s3, s17, s13
	s_delay_alu instid0(SALU_CYCLE_1)
	s_and_saveexec_b32 s2, s3
	s_cbranch_execz .LBB832_8
; %bb.7:
	global_load_u16 v9, v[4:5], off offset:384
	global_load_u16 v10, v[6:7], off offset:384
	s_waitcnt vmcnt(1)
	v_cvt_f32_f16_e32 v21, v9
	s_waitcnt vmcnt(0)
	v_cvt_f32_f16_e32 v34, v10
.LBB832_8:
	s_or_b32 exec_lo, exec_lo, s2
	v_or_b32_e32 v9, 0x100, v8
	v_dual_mov_b32 v17, 0 :: v_dual_mov_b32 v32, 0
	v_mov_b32_e32 v33, 0
	s_delay_alu instid0(VALU_DEP_3) | instskip(NEXT) | instid1(VALU_DEP_1)
	v_cmp_gt_i32_e64 s12, s18, v9
	s_and_b32 s3, s17, s12
	s_delay_alu instid0(SALU_CYCLE_1)
	s_and_saveexec_b32 s2, s3
	s_cbranch_execz .LBB832_10
; %bb.9:
	global_load_u16 v9, v[4:5], off offset:512
	global_load_u16 v10, v[6:7], off offset:512
	s_waitcnt vmcnt(1)
	v_cvt_f32_f16_e32 v32, v9
	s_waitcnt vmcnt(0)
	v_cvt_f32_f16_e32 v33, v10
.LBB832_10:
	;; [unrolled: 35-line block ×4, first 2 shown]
	s_or_b32 exec_lo, exec_lo, s2
	v_or_b32_e32 v9, 0x240, v8
	v_mov_b32_e32 v25, 0
	s_delay_alu instid0(VALU_DEP_2) | instskip(NEXT) | instid1(VALU_DEP_1)
	v_cmp_gt_i32_e64 s7, s18, v9
	s_and_b32 s3, s17, s7
	s_delay_alu instid0(SALU_CYCLE_1)
	s_and_saveexec_b32 s2, s3
	s_cbranch_execz .LBB832_20
; %bb.19:
	global_load_u16 v9, v[4:5], off offset:1152
	global_load_u16 v10, v[6:7], off offset:1152
	s_waitcnt vmcnt(1)
	v_cvt_f32_f16_e32 v11, v9
	s_waitcnt vmcnt(0)
	v_cvt_f32_f16_e32 v25, v10
.LBB832_20:
	s_or_b32 exec_lo, exec_lo, s2
	v_or_b32_e32 v9, 0x280, v8
	v_mov_b32_e32 v10, 0
	v_mov_b32_e32 v22, 0
	;; [unrolled: 1-line block ×3, first 2 shown]
	s_delay_alu instid0(VALU_DEP_4) | instskip(NEXT) | instid1(VALU_DEP_1)
	v_cmp_gt_i32_e64 s6, s18, v9
	s_and_b32 s3, s17, s6
	s_delay_alu instid0(SALU_CYCLE_1)
	s_and_saveexec_b32 s2, s3
	s_cbranch_execz .LBB832_22
; %bb.21:
	global_load_u16 v9, v[4:5], off offset:1280
	global_load_u16 v14, v[6:7], off offset:1280
	s_waitcnt vmcnt(1)
	v_cvt_f32_f16_e32 v22, v9
	s_waitcnt vmcnt(0)
	v_cvt_f32_f16_e32 v24, v14
.LBB832_22:
	s_or_b32 exec_lo, exec_lo, s2
	v_or_b32_e32 v9, 0x2c0, v8
	v_mov_b32_e32 v20, 0
	s_delay_alu instid0(VALU_DEP_2) | instskip(NEXT) | instid1(VALU_DEP_1)
	v_cmp_gt_i32_e64 s5, s18, v9
	s_and_b32 s3, s17, s5
	s_delay_alu instid0(SALU_CYCLE_1)
	s_and_saveexec_b32 s2, s3
	s_cbranch_execz .LBB832_24
; %bb.23:
	global_load_u16 v9, v[4:5], off offset:1408
	global_load_u16 v14, v[6:7], off offset:1408
	s_waitcnt vmcnt(1)
	v_cvt_f32_f16_e32 v10, v9
	s_waitcnt vmcnt(0)
	v_cvt_f32_f16_e32 v20, v14
.LBB832_24:
	s_or_b32 exec_lo, exec_lo, s2
	v_or_b32_e32 v9, 0x300, v8
	v_dual_mov_b32 v19, 0 :: v_dual_mov_b32 v18, 0
	s_delay_alu instid0(VALU_DEP_2) | instskip(SKIP_1) | instid1(VALU_DEP_2)
	v_cmp_gt_i32_e64 s4, s18, v9
	v_mov_b32_e32 v9, 0
	s_and_b32 s3, s17, s4
	s_delay_alu instid0(SALU_CYCLE_1)
	s_and_saveexec_b32 s2, s3
	s_cbranch_execz .LBB832_26
; %bb.25:
	global_load_u16 v14, v[4:5], off offset:1536
	global_load_u16 v15, v[6:7], off offset:1536
	s_waitcnt vmcnt(1)
	v_cvt_f32_f16_e32 v18, v14
	s_waitcnt vmcnt(0)
	v_cvt_f32_f16_e32 v19, v15
.LBB832_26:
	s_or_b32 exec_lo, exec_lo, s2
	v_or_b32_e32 v14, 0x340, v8
	v_mov_b32_e32 v16, 0
	s_delay_alu instid0(VALU_DEP_2) | instskip(NEXT) | instid1(VALU_DEP_1)
	v_cmp_gt_i32_e64 s3, s18, v14
	s_and_b32 s19, s17, s3
	s_delay_alu instid0(SALU_CYCLE_1)
	s_and_saveexec_b32 s2, s19
	s_cbranch_execz .LBB832_28
; %bb.27:
	global_load_u16 v9, v[4:5], off offset:1664
	global_load_u16 v14, v[6:7], off offset:1664
	s_waitcnt vmcnt(1)
	v_cvt_f32_f16_e32 v9, v9
	s_waitcnt vmcnt(0)
	v_cvt_f32_f16_e32 v16, v14
.LBB832_28:
	s_or_b32 exec_lo, exec_lo, s2
	v_or_b32_e32 v8, 0x380, v8
	v_dual_mov_b32 v14, 0 :: v_dual_mov_b32 v15, 0
	s_delay_alu instid0(VALU_DEP_2) | instskip(SKIP_1) | instid1(VALU_DEP_2)
	v_cmp_gt_i32_e64 s2, s18, v8
	v_mov_b32_e32 v8, 0
	s_and_b32 s20, s17, s2
	s_delay_alu instid0(SALU_CYCLE_1)
	s_and_saveexec_b32 s19, s20
	s_cbranch_execz .LBB832_30
; %bb.29:
	global_load_u16 v14, v[4:5], off offset:1792
	global_load_u16 v15, v[6:7], off offset:1792
	s_waitcnt vmcnt(1)
	v_cvt_f32_f16_e32 v14, v14
	s_waitcnt vmcnt(0)
	v_cvt_f32_f16_e32 v15, v15
.LBB832_30:
	s_or_b32 exec_lo, exec_lo, s19
	v_or_b32_e32 v12, 0x3c0, v12
	s_delay_alu instid0(VALU_DEP_1) | instskip(SKIP_2) | instid1(SALU_CYCLE_1)
	v_cmp_gt_i32_e32 vcc_lo, s18, v12
	v_mov_b32_e32 v12, 0
	s_and_b32 s18, s17, vcc_lo
	s_and_saveexec_b32 s17, s18
	s_cbranch_execz .LBB832_32
; %bb.31:
	global_load_u16 v4, v[4:5], off offset:1920
	global_load_u16 v5, v[6:7], off offset:1920
	s_waitcnt vmcnt(1)
	v_cvt_f32_f16_e32 v8, v4
	s_waitcnt vmcnt(0)
	v_cvt_f32_f16_e32 v12, v5
.LBB832_32:
	s_or_b32 exec_lo, exec_lo, s17
	s_load_b64 s[0:1], s[0:1], 0x28
	s_mov_b32 s33, exec_lo
	s_waitcnt lgkmcnt(0)
	v_add_co_u32 v2, s0, s0, v2
	s_delay_alu instid0(VALU_DEP_1)
	v_add_co_ci_u32_e64 v3, s0, s1, v3, s0
	s_clause 0xf
	global_load_u8 v4, v[2:3], off
	global_load_u8 v5, v[2:3], off offset:64
	global_load_u8 v6, v[2:3], off offset:128
	;; [unrolled: 1-line block ×15, first 2 shown]
	s_waitcnt vmcnt(15)
	v_dual_add_f32 v4, 0, v37 :: v_dual_and_b32 v3, 1, v4
	s_delay_alu instid0(VALU_DEP_1) | instskip(NEXT) | instid1(VALU_DEP_1)
	v_cmp_eq_u32_e64 s30, 1, v3
	v_cndmask_b32_e64 v3, v4, 0, s30
	s_waitcnt vmcnt(14)
	s_delay_alu instid0(VALU_DEP_1) | instskip(NEXT) | instid1(VALU_DEP_1)
	v_dual_add_f32 v5, v3, v23 :: v_dual_and_b32 v4, 1, v5
	v_cmp_eq_u32_e64 s29, 1, v4
	s_waitcnt vmcnt(0)
	v_and_b32_e32 v2, 1, v2
	s_delay_alu instid0(VALU_DEP_2) | instskip(NEXT) | instid1(VALU_DEP_1)
	v_cndmask_b32_e64 v3, v5, v3, s29
	v_dual_add_f32 v5, v3, v35 :: v_dual_and_b32 v4, 1, v6
	s_delay_alu instid0(VALU_DEP_1) | instskip(NEXT) | instid1(VALU_DEP_1)
	v_cmp_eq_u32_e64 s28, 1, v4
	v_cndmask_b32_e64 v3, v5, v3, s28
	s_delay_alu instid0(VALU_DEP_1) | instskip(NEXT) | instid1(VALU_DEP_1)
	v_dual_add_f32 v5, v3, v21 :: v_dual_and_b32 v4, 1, v7
	v_cmp_eq_u32_e64 s27, 1, v4
	s_delay_alu instid0(VALU_DEP_1) | instskip(NEXT) | instid1(VALU_DEP_1)
	v_cndmask_b32_e64 v3, v5, v3, s27
	v_dual_add_f32 v5, v3, v32 :: v_dual_and_b32 v4, 1, v41
	s_delay_alu instid0(VALU_DEP_1) | instskip(NEXT) | instid1(VALU_DEP_1)
	v_cmp_eq_u32_e64 s26, 1, v4
	v_cndmask_b32_e64 v3, v5, v3, s26
	s_delay_alu instid0(VALU_DEP_1) | instskip(NEXT) | instid1(VALU_DEP_1)
	v_dual_add_f32 v5, v3, v17 :: v_dual_and_b32 v4, 1, v42
	v_cmp_eq_u32_e64 s25, 1, v4
	s_delay_alu instid0(VALU_DEP_1) | instskip(NEXT) | instid1(VALU_DEP_1)
	;; [unrolled: 9-line block ×5, first 2 shown]
	v_cndmask_b32_e64 v3, v5, v3, s19
	v_dual_add_f32 v5, v3, v18 :: v_dual_and_b32 v4, 1, v49
	s_delay_alu instid0(VALU_DEP_1) | instskip(NEXT) | instid1(VALU_DEP_1)
	v_cmp_eq_u32_e64 s18, 1, v4
	v_cndmask_b32_e64 v3, v5, v3, s18
	s_delay_alu instid0(VALU_DEP_1) | instskip(NEXT) | instid1(VALU_DEP_1)
	v_dual_add_f32 v5, v3, v9 :: v_dual_and_b32 v4, 1, v50
	v_cmp_eq_u32_e64 s17, 1, v4
	v_mbcnt_lo_u32_b32 v4, -1, 0
	s_delay_alu instid0(VALU_DEP_2) | instskip(SKIP_1) | instid1(VALU_DEP_3)
	v_cndmask_b32_e64 v3, v5, v3, s17
	v_and_b32_e32 v5, 1, v51
	v_or_b32_e32 v7, 32, v4
	s_delay_alu instid0(VALU_DEP_3) | instskip(NEXT) | instid1(VALU_DEP_3)
	v_add_f32_e32 v6, v3, v14
	v_cmp_eq_u32_e64 s1, 1, v5
	s_delay_alu instid0(VALU_DEP_3) | instskip(NEXT) | instid1(VALU_DEP_2)
	v_cmp_gt_i32_e64 s0, 64, v7
	v_cndmask_b32_e64 v3, v6, v3, s1
	s_delay_alu instid0(VALU_DEP_2) | instskip(SKIP_1) | instid1(VALU_DEP_2)
	v_cndmask_b32_e64 v5, v4, v7, s0
	v_cmp_eq_u32_e64 s0, 1, v2
	v_dual_add_f32 v6, v3, v8 :: v_dual_lshlrev_b32 v5, 2, v5
	s_delay_alu instid0(VALU_DEP_1) | instskip(SKIP_2) | instid1(VALU_DEP_1)
	v_cndmask_b32_e64 v2, v6, v3, s0
	ds_bpermute_b32 v3, v5, v2
	v_xor_b32_e32 v5, 16, v4
	v_cmp_gt_i32_e64 s31, 64, v5
	s_delay_alu instid0(VALU_DEP_1) | instskip(SKIP_1) | instid1(VALU_DEP_1)
	v_cndmask_b32_e64 v5, v4, v5, s31
	s_waitcnt lgkmcnt(0)
	v_dual_add_f32 v2, v2, v3 :: v_dual_lshlrev_b32 v5, 2, v5
	ds_bpermute_b32 v3, v5, v2
	v_xor_b32_e32 v5, 8, v4
	s_delay_alu instid0(VALU_DEP_1) | instskip(NEXT) | instid1(VALU_DEP_1)
	v_cmp_gt_i32_e64 s31, 64, v5
	v_cndmask_b32_e64 v5, v4, v5, s31
	s_waitcnt lgkmcnt(0)
	s_delay_alu instid0(VALU_DEP_1) | instskip(SKIP_2) | instid1(VALU_DEP_1)
	v_dual_add_f32 v2, v2, v3 :: v_dual_lshlrev_b32 v5, 2, v5
	ds_bpermute_b32 v3, v5, v2
	v_xor_b32_e32 v5, 4, v4
	v_cmp_gt_i32_e64 s31, 64, v5
	s_delay_alu instid0(VALU_DEP_1) | instskip(SKIP_1) | instid1(VALU_DEP_1)
	v_cndmask_b32_e64 v5, v4, v5, s31
	s_waitcnt lgkmcnt(0)
	v_dual_add_f32 v2, v2, v3 :: v_dual_lshlrev_b32 v5, 2, v5
	ds_bpermute_b32 v3, v5, v2
	v_xor_b32_e32 v5, 2, v4
	s_delay_alu instid0(VALU_DEP_1) | instskip(NEXT) | instid1(VALU_DEP_1)
	v_cmp_gt_i32_e64 s31, 64, v5
	v_cndmask_b32_e64 v5, v4, v5, s31
	s_waitcnt lgkmcnt(0)
	s_delay_alu instid0(VALU_DEP_1) | instskip(SKIP_2) | instid1(VALU_DEP_1)
	v_dual_add_f32 v2, v2, v3 :: v_dual_lshlrev_b32 v5, 2, v5
	ds_bpermute_b32 v3, v5, v2
	v_xor_b32_e32 v5, 1, v4
	v_cmp_gt_i32_e64 s31, 64, v5
	s_delay_alu instid0(VALU_DEP_1) | instskip(SKIP_1) | instid1(VALU_DEP_1)
	v_cndmask_b32_e64 v4, v4, v5, s31
	s_waitcnt lgkmcnt(0)
	v_dual_add_f32 v2, v2, v3 :: v_dual_lshlrev_b32 v3, 2, v4
	ds_bpermute_b32 v3, v3, v2
	v_cmpx_lt_i32_e32 0, v39
	s_cbranch_execz .LBB832_113
; %bb.33:
	v_add_co_u32 v0, s31, s36, v0
	s_waitcnt lgkmcnt(0)
	v_add_f32_e32 v2, v2, v3
	v_add_co_ci_u32_e64 v1, s31, s37, v1, s31
	s_and_saveexec_b32 s31, s16
	s_cbranch_execz .LBB832_38
; %bb.34:
	s_xor_b32 s16, s30, -1
	s_delay_alu instid0(SALU_CYCLE_1) | instskip(NEXT) | instid1(SALU_CYCLE_1)
	s_and_saveexec_b32 s30, s16
	s_xor_b32 s16, exec_lo, s30
	s_cbranch_execz .LBB832_36
; %bb.35:
	v_fma_mixlo_f16 v3, -v2, v40, v37
	global_store_b16 v[0:1], v3, off
.LBB832_36:
	s_and_not1_saveexec_b32 s16, s16
	s_cbranch_execz .LBB832_38
; %bb.37:
	v_mov_b32_e32 v3, 0
	global_store_b16 v[0:1], v3, off
.LBB832_38:
	s_or_b32 exec_lo, exec_lo, s31
	s_and_saveexec_b32 s16, s15
	s_cbranch_execz .LBB832_43
; %bb.39:
	s_xor_b32 s15, s29, -1
	s_delay_alu instid0(SALU_CYCLE_1) | instskip(NEXT) | instid1(SALU_CYCLE_1)
	s_and_saveexec_b32 s29, s15
	s_xor_b32 s15, exec_lo, s29
	s_cbranch_execz .LBB832_41
; %bb.40:
	v_fma_mixlo_f16 v3, -v2, v38, v23
	global_store_b16 v[0:1], v3, off offset:128
.LBB832_41:
	s_and_not1_saveexec_b32 s15, s15
	s_cbranch_execz .LBB832_43
; %bb.42:
	v_mov_b32_e32 v3, 0
	global_store_b16 v[0:1], v3, off offset:128
.LBB832_43:
	s_or_b32 exec_lo, exec_lo, s16
	s_and_saveexec_b32 s15, s14
	s_cbranch_execz .LBB832_48
; %bb.44:
	s_xor_b32 s14, s28, -1
	s_delay_alu instid0(SALU_CYCLE_1) | instskip(NEXT) | instid1(SALU_CYCLE_1)
	s_and_saveexec_b32 s16, s14
	s_xor_b32 s14, exec_lo, s16
	s_cbranch_execz .LBB832_46
; %bb.45:
	v_fma_mixlo_f16 v3, -v2, v36, v35
	global_store_b16 v[0:1], v3, off offset:256
.LBB832_46:
	s_and_not1_saveexec_b32 s14, s14
	s_cbranch_execz .LBB832_48
; %bb.47:
	v_mov_b32_e32 v3, 0
	global_store_b16 v[0:1], v3, off offset:256
.LBB832_48:
	;; [unrolled: 19-line block ×14, first 2 shown]
	s_or_b32 exec_lo, exec_lo, s3
	s_delay_alu instid0(SALU_CYCLE_1)
	s_and_b32 exec_lo, exec_lo, vcc_lo
	s_cbranch_execz .LBB832_113
; %bb.109:
	s_xor_b32 s0, s0, -1
	s_delay_alu instid0(SALU_CYCLE_1) | instskip(NEXT) | instid1(SALU_CYCLE_1)
	s_and_saveexec_b32 s1, s0
	s_xor_b32 s0, exec_lo, s1
	s_cbranch_execz .LBB832_111
; %bb.110:
	v_fma_mixlo_f16 v2, -v2, v12, v8
	global_store_b16 v[0:1], v2, off offset:1920
                                        ; implicit-def: $vgpr0_vgpr1
.LBB832_111:
	s_and_not1_saveexec_b32 s0, s0
	s_cbranch_execz .LBB832_113
; %bb.112:
	v_mov_b32_e32 v2, 0
	global_store_b16 v[0:1], v2, off offset:1920
.LBB832_113:
	s_nop 0
	s_sendmsg sendmsg(MSG_DEALLOC_VGPRS)
	s_endpgm
	.section	.rodata,"a",@progbits
	.p2align	6, 0x0
	.amdhsa_kernel _ZN12_GLOBAL__N_121softmax_warp_backwardIN3c104HalfES2_fLi10ELb0ELb1ELi64EEEvPT0_PKT_S7_iiiPKb
		.amdhsa_group_segment_fixed_size 0
		.amdhsa_private_segment_fixed_size 0
		.amdhsa_kernarg_size 304
		.amdhsa_user_sgpr_count 15
		.amdhsa_user_sgpr_dispatch_ptr 0
		.amdhsa_user_sgpr_queue_ptr 0
		.amdhsa_user_sgpr_kernarg_segment_ptr 1
		.amdhsa_user_sgpr_dispatch_id 0
		.amdhsa_user_sgpr_private_segment_size 0
		.amdhsa_wavefront_size32 1
		.amdhsa_uses_dynamic_stack 0
		.amdhsa_enable_private_segment 0
		.amdhsa_system_sgpr_workgroup_id_x 1
		.amdhsa_system_sgpr_workgroup_id_y 0
		.amdhsa_system_sgpr_workgroup_id_z 0
		.amdhsa_system_sgpr_workgroup_info 0
		.amdhsa_system_vgpr_workitem_id 1
		.amdhsa_next_free_vgpr 52
		.amdhsa_next_free_sgpr 40
		.amdhsa_reserve_vcc 1
		.amdhsa_float_round_mode_32 0
		.amdhsa_float_round_mode_16_64 0
		.amdhsa_float_denorm_mode_32 3
		.amdhsa_float_denorm_mode_16_64 3
		.amdhsa_dx10_clamp 1
		.amdhsa_ieee_mode 1
		.amdhsa_fp16_overflow 0
		.amdhsa_workgroup_processor_mode 1
		.amdhsa_memory_ordered 1
		.amdhsa_forward_progress 0
		.amdhsa_shared_vgpr_count 0
		.amdhsa_exception_fp_ieee_invalid_op 0
		.amdhsa_exception_fp_denorm_src 0
		.amdhsa_exception_fp_ieee_div_zero 0
		.amdhsa_exception_fp_ieee_overflow 0
		.amdhsa_exception_fp_ieee_underflow 0
		.amdhsa_exception_fp_ieee_inexact 0
		.amdhsa_exception_int_div_zero 0
	.end_amdhsa_kernel
	.section	.text._ZN12_GLOBAL__N_121softmax_warp_backwardIN3c104HalfES2_fLi10ELb0ELb1ELi64EEEvPT0_PKT_S7_iiiPKb,"axG",@progbits,_ZN12_GLOBAL__N_121softmax_warp_backwardIN3c104HalfES2_fLi10ELb0ELb1ELi64EEEvPT0_PKT_S7_iiiPKb,comdat
.Lfunc_end832:
	.size	_ZN12_GLOBAL__N_121softmax_warp_backwardIN3c104HalfES2_fLi10ELb0ELb1ELi64EEEvPT0_PKT_S7_iiiPKb, .Lfunc_end832-_ZN12_GLOBAL__N_121softmax_warp_backwardIN3c104HalfES2_fLi10ELb0ELb1ELi64EEEvPT0_PKT_S7_iiiPKb
                                        ; -- End function
	.section	.AMDGPU.csdata,"",@progbits
; Kernel info:
; codeLenInByte = 3468
; NumSgprs: 42
; NumVgprs: 52
; ScratchSize: 0
; MemoryBound: 0
; FloatMode: 240
; IeeeMode: 1
; LDSByteSize: 0 bytes/workgroup (compile time only)
; SGPRBlocks: 5
; VGPRBlocks: 6
; NumSGPRsForWavesPerEU: 42
; NumVGPRsForWavesPerEU: 52
; Occupancy: 16
; WaveLimiterHint : 0
; COMPUTE_PGM_RSRC2:SCRATCH_EN: 0
; COMPUTE_PGM_RSRC2:USER_SGPR: 15
; COMPUTE_PGM_RSRC2:TRAP_HANDLER: 0
; COMPUTE_PGM_RSRC2:TGID_X_EN: 1
; COMPUTE_PGM_RSRC2:TGID_Y_EN: 0
; COMPUTE_PGM_RSRC2:TGID_Z_EN: 0
; COMPUTE_PGM_RSRC2:TIDIG_COMP_CNT: 1
	.section	.text._ZN12_GLOBAL__N_121softmax_warp_backwardIN3c104HalfES2_fLi10ELb0ELb1ELi32EEEvPT0_PKT_S7_iiiPKb,"axG",@progbits,_ZN12_GLOBAL__N_121softmax_warp_backwardIN3c104HalfES2_fLi10ELb0ELb1ELi32EEEvPT0_PKT_S7_iiiPKb,comdat
	.globl	_ZN12_GLOBAL__N_121softmax_warp_backwardIN3c104HalfES2_fLi10ELb0ELb1ELi32EEEvPT0_PKT_S7_iiiPKb ; -- Begin function _ZN12_GLOBAL__N_121softmax_warp_backwardIN3c104HalfES2_fLi10ELb0ELb1ELi32EEEvPT0_PKT_S7_iiiPKb
	.p2align	8
	.type	_ZN12_GLOBAL__N_121softmax_warp_backwardIN3c104HalfES2_fLi10ELb0ELb1ELi32EEEvPT0_PKT_S7_iiiPKb,@function
_ZN12_GLOBAL__N_121softmax_warp_backwardIN3c104HalfES2_fLi10ELb0ELb1ELi32EEEvPT0_PKT_S7_iiiPKb: ; @_ZN12_GLOBAL__N_121softmax_warp_backwardIN3c104HalfES2_fLi10ELb0ELb1ELi32EEEvPT0_PKT_S7_iiiPKb
; %bb.0:
	s_clause 0x1
	s_load_b32 s2, s[0:1], 0x3c
	s_load_b128 s[36:39], s[0:1], 0x18
	v_bfe_u32 v1, v0, 10, 10
	v_dual_mov_b32 v55, 0 :: v_dual_and_b32 v12, 0x3ff, v0
	s_load_b128 s[68:71], s[0:1], 0x0
	v_dual_mov_b32 v69, 0 :: v_dual_mov_b32 v72, 0
	s_delay_alu instid0(VALU_DEP_2) | instskip(SKIP_2) | instid1(VALU_DEP_1)
	v_and_b32_e32 v8, 31, v12
	s_waitcnt lgkmcnt(0)
	s_lshr_b32 s2, s2, 16
	v_cmp_gt_i32_e64 s33, s38, v8
	v_mad_u64_u32 v[4:5], null, s15, s2, v[1:2]
	s_load_b64 s[2:3], s[0:1], 0x10
	s_delay_alu instid0(VALU_DEP_1) | instskip(SKIP_1) | instid1(VALU_DEP_1)
	v_mad_u64_u32 v[2:3], null, v4, s37, v[8:9]
	v_sub_nc_u32_e32 v71, s36, v4
	v_cmp_lt_i32_e64 s34, 0, v71
	s_delay_alu instid0(VALU_DEP_3) | instskip(NEXT) | instid1(VALU_DEP_1)
	v_ashrrev_i32_e32 v3, 31, v2
	v_lshlrev_b64 v[0:1], 1, v[2:3]
	s_delay_alu instid0(VALU_DEP_1) | instskip(NEXT) | instid1(VALU_DEP_2)
	v_add_co_u32 v4, vcc_lo, s70, v0
	v_add_co_ci_u32_e32 v5, vcc_lo, s71, v1, vcc_lo
	s_waitcnt lgkmcnt(0)
	v_add_co_u32 v6, vcc_lo, s2, v0
	v_add_co_ci_u32_e32 v7, vcc_lo, s3, v1, vcc_lo
	s_and_b32 s3, s34, s33
	s_delay_alu instid0(SALU_CYCLE_1)
	s_and_saveexec_b32 s2, s3
	s_cbranch_execz .LBB833_2
; %bb.1:
	global_load_u16 v9, v[4:5], off
	global_load_u16 v10, v[6:7], off
	s_waitcnt vmcnt(1)
	v_cvt_f32_f16_e32 v69, v9
	s_waitcnt vmcnt(0)
	v_cvt_f32_f16_e32 v72, v10
.LBB833_2:
	s_or_b32 exec_lo, exec_lo, s2
	v_or_b32_e32 v9, 32, v8
	v_mov_b32_e32 v70, 0
	s_delay_alu instid0(VALU_DEP_2) | instskip(NEXT) | instid1(VALU_DEP_1)
	v_cmp_gt_i32_e64 s31, s38, v9
	s_and_b32 s3, s34, s31
	s_delay_alu instid0(SALU_CYCLE_1)
	s_and_saveexec_b32 s2, s3
	s_cbranch_execz .LBB833_4
; %bb.3:
	global_load_u16 v9, v[4:5], off offset:64
	global_load_u16 v10, v[6:7], off offset:64
	s_waitcnt vmcnt(1)
	v_cvt_f32_f16_e32 v55, v9
	s_waitcnt vmcnt(0)
	v_cvt_f32_f16_e32 v70, v10
.LBB833_4:
	s_or_b32 exec_lo, exec_lo, s2
	v_or_b32_e32 v9, 64, v8
	v_dual_mov_b32 v53, 0 :: v_dual_mov_b32 v68, 0
	v_mov_b32_e32 v67, 0
	s_delay_alu instid0(VALU_DEP_3) | instskip(NEXT) | instid1(VALU_DEP_1)
	v_cmp_gt_i32_e64 s30, s38, v9
	s_and_b32 s3, s34, s30
	s_delay_alu instid0(SALU_CYCLE_1)
	s_and_saveexec_b32 s2, s3
	s_cbranch_execz .LBB833_6
; %bb.5:
	global_load_u16 v9, v[4:5], off offset:128
	global_load_u16 v10, v[6:7], off offset:128
	s_waitcnt vmcnt(1)
	v_cvt_f32_f16_e32 v67, v9
	s_waitcnt vmcnt(0)
	v_cvt_f32_f16_e32 v68, v10
.LBB833_6:
	s_or_b32 exec_lo, exec_lo, s2
	v_or_b32_e32 v9, 0x60, v8
	v_mov_b32_e32 v66, 0
	s_delay_alu instid0(VALU_DEP_2) | instskip(NEXT) | instid1(VALU_DEP_1)
	v_cmp_gt_i32_e64 s29, s38, v9
	s_and_b32 s3, s34, s29
	s_delay_alu instid0(SALU_CYCLE_1)
	s_and_saveexec_b32 s2, s3
	s_cbranch_execz .LBB833_8
; %bb.7:
	global_load_u16 v9, v[4:5], off offset:192
	global_load_u16 v10, v[6:7], off offset:192
	s_waitcnt vmcnt(1)
	v_cvt_f32_f16_e32 v53, v9
	s_waitcnt vmcnt(0)
	v_cvt_f32_f16_e32 v66, v10
.LBB833_8:
	s_or_b32 exec_lo, exec_lo, s2
	v_or_b32_e32 v9, 0x80, v8
	v_dual_mov_b32 v49, 0 :: v_dual_mov_b32 v64, 0
	v_mov_b32_e32 v65, 0
	s_delay_alu instid0(VALU_DEP_3) | instskip(NEXT) | instid1(VALU_DEP_1)
	v_cmp_gt_i32_e64 s28, s38, v9
	s_and_b32 s3, s34, s28
	s_delay_alu instid0(SALU_CYCLE_1)
	s_and_saveexec_b32 s2, s3
	s_cbranch_execz .LBB833_10
; %bb.9:
	global_load_u16 v9, v[4:5], off offset:256
	global_load_u16 v10, v[6:7], off offset:256
	s_waitcnt vmcnt(1)
	v_cvt_f32_f16_e32 v64, v9
	s_waitcnt vmcnt(0)
	v_cvt_f32_f16_e32 v65, v10
.LBB833_10:
	;; [unrolled: 35-line block ×13, first 2 shown]
	s_or_b32 exec_lo, exec_lo, s2
	v_or_b32_e32 v9, 0x360, v8
	v_mov_b32_e32 v20, 0
	s_delay_alu instid0(VALU_DEP_2) | instskip(NEXT) | instid1(VALU_DEP_1)
	v_cmp_gt_i32_e64 s5, s38, v9
	s_and_b32 s3, s34, s5
	s_delay_alu instid0(SALU_CYCLE_1)
	s_and_saveexec_b32 s2, s3
	s_cbranch_execz .LBB833_56
; %bb.55:
	global_load_u16 v9, v[4:5], off offset:1728
	global_load_u16 v14, v[6:7], off offset:1728
	s_waitcnt vmcnt(1)
	v_cvt_f32_f16_e32 v10, v9
	s_waitcnt vmcnt(0)
	v_cvt_f32_f16_e32 v20, v14
.LBB833_56:
	s_or_b32 exec_lo, exec_lo, s2
	v_or_b32_e32 v9, 0x380, v8
	v_dual_mov_b32 v19, 0 :: v_dual_mov_b32 v18, 0
	s_delay_alu instid0(VALU_DEP_2) | instskip(SKIP_1) | instid1(VALU_DEP_2)
	v_cmp_gt_i32_e64 s4, s38, v9
	v_mov_b32_e32 v9, 0
	s_and_b32 s3, s34, s4
	s_delay_alu instid0(SALU_CYCLE_1)
	s_and_saveexec_b32 s2, s3
	s_cbranch_execz .LBB833_58
; %bb.57:
	global_load_u16 v14, v[4:5], off offset:1792
	global_load_u16 v15, v[6:7], off offset:1792
	s_waitcnt vmcnt(1)
	v_cvt_f32_f16_e32 v18, v14
	s_waitcnt vmcnt(0)
	v_cvt_f32_f16_e32 v19, v15
.LBB833_58:
	s_or_b32 exec_lo, exec_lo, s2
	v_or_b32_e32 v14, 0x3a0, v8
	v_mov_b32_e32 v16, 0
	s_delay_alu instid0(VALU_DEP_2) | instskip(NEXT) | instid1(VALU_DEP_1)
	v_cmp_gt_i32_e64 s3, s38, v14
	s_and_b32 s35, s34, s3
	s_delay_alu instid0(SALU_CYCLE_1)
	s_and_saveexec_b32 s2, s35
	s_cbranch_execz .LBB833_60
; %bb.59:
	global_load_u16 v9, v[4:5], off offset:1856
	global_load_u16 v14, v[6:7], off offset:1856
	s_waitcnt vmcnt(1)
	v_cvt_f32_f16_e32 v9, v9
	s_waitcnt vmcnt(0)
	v_cvt_f32_f16_e32 v16, v14
.LBB833_60:
	s_or_b32 exec_lo, exec_lo, s2
	v_or_b32_e32 v8, 0x3c0, v8
	v_dual_mov_b32 v14, 0 :: v_dual_mov_b32 v15, 0
	s_delay_alu instid0(VALU_DEP_2) | instskip(SKIP_1) | instid1(VALU_DEP_2)
	v_cmp_gt_i32_e64 s2, s38, v8
	v_mov_b32_e32 v8, 0
	s_and_b32 s36, s34, s2
	s_delay_alu instid0(SALU_CYCLE_1)
	s_and_saveexec_b32 s35, s36
	s_cbranch_execz .LBB833_62
; %bb.61:
	global_load_u16 v14, v[4:5], off offset:1920
	global_load_u16 v15, v[6:7], off offset:1920
	s_waitcnt vmcnt(1)
	v_cvt_f32_f16_e32 v14, v14
	s_waitcnt vmcnt(0)
	v_cvt_f32_f16_e32 v15, v15
.LBB833_62:
	s_or_b32 exec_lo, exec_lo, s35
	v_or_b32_e32 v12, 0x3e0, v12
	s_delay_alu instid0(VALU_DEP_1) | instskip(SKIP_2) | instid1(SALU_CYCLE_1)
	v_cmp_gt_i32_e32 vcc_lo, s38, v12
	v_mov_b32_e32 v12, 0
	s_and_b32 s35, s34, vcc_lo
	s_and_saveexec_b32 s34, s35
	s_cbranch_execz .LBB833_64
; %bb.63:
	global_load_u16 v4, v[4:5], off offset:1984
	global_load_u16 v5, v[6:7], off offset:1984
	s_waitcnt vmcnt(1)
	v_cvt_f32_f16_e32 v8, v4
	s_waitcnt vmcnt(0)
	v_cvt_f32_f16_e32 v12, v5
.LBB833_64:
	s_or_b32 exec_lo, exec_lo, s34
	s_load_b64 s[0:1], s[0:1], 0x28
	s_mov_b32 s65, exec_lo
	s_waitcnt lgkmcnt(0)
	v_add_co_u32 v2, s0, s0, v2
	s_delay_alu instid0(VALU_DEP_1)
	v_add_co_ci_u32_e64 v3, s0, s1, v3, s0
	s_clause 0x1
	global_load_u8 v4, v[2:3], off
	global_load_u8 v5, v[2:3], off offset:32
	s_waitcnt vmcnt(1)
	v_and_b32_e32 v4, 1, v4
	s_waitcnt vmcnt(0)
	v_and_b32_e32 v5, 1, v5
	s_delay_alu instid0(VALU_DEP_2) | instskip(SKIP_1) | instid1(VALU_DEP_3)
	v_cmp_eq_u32_e64 s63, 1, v4
	v_add_f32_e32 v4, 0, v69
	v_cmp_eq_u32_e64 s62, 1, v5
	s_delay_alu instid0(VALU_DEP_2) | instskip(NEXT) | instid1(VALU_DEP_1)
	v_cndmask_b32_e64 v4, v4, 0, s63
	v_add_f32_e32 v5, v4, v55
	s_delay_alu instid0(VALU_DEP_1) | instskip(SKIP_3) | instid1(VALU_DEP_1)
	v_cndmask_b32_e64 v4, v5, v4, s62
	global_load_u8 v5, v[2:3], off offset:64
	s_waitcnt vmcnt(0)
	v_and_b32_e32 v5, 1, v5
	v_cmp_eq_u32_e64 s61, 1, v5
	v_add_f32_e32 v5, v4, v67
	s_delay_alu instid0(VALU_DEP_1) | instskip(SKIP_3) | instid1(VALU_DEP_1)
	v_cndmask_b32_e64 v4, v5, v4, s61
	global_load_u8 v5, v[2:3], off offset:96
	s_waitcnt vmcnt(0)
	v_and_b32_e32 v5, 1, v5
	v_cmp_eq_u32_e64 s60, 1, v5
	;; [unrolled: 7-line block ×28, first 2 shown]
	v_add_f32_e32 v5, v4, v9
	s_delay_alu instid0(VALU_DEP_1)
	v_cndmask_b32_e64 v4, v5, v4, s34
	s_clause 0x1
	global_load_u8 v5, v[2:3], off offset:960
	global_load_u8 v2, v[2:3], off offset:992
	v_mbcnt_lo_u32_b32 v3, -1, 0
	s_waitcnt vmcnt(1)
	v_and_b32_e32 v5, 1, v5
	s_waitcnt vmcnt(0)
	v_and_b32_e32 v2, 1, v2
	s_delay_alu instid0(VALU_DEP_2) | instskip(SKIP_1) | instid1(VALU_DEP_3)
	v_cmp_eq_u32_e64 s1, 1, v5
	v_add_f32_e32 v5, v4, v14
	v_cmp_eq_u32_e64 s0, 1, v2
	s_delay_alu instid0(VALU_DEP_2) | instskip(NEXT) | instid1(VALU_DEP_1)
	v_cndmask_b32_e64 v4, v5, v4, s1
	v_add_f32_e32 v2, v4, v8
	s_delay_alu instid0(VALU_DEP_1) | instskip(SKIP_1) | instid1(VALU_DEP_1)
	v_cndmask_b32_e64 v2, v2, v4, s0
	v_xor_b32_e32 v4, 16, v3
	v_cmp_gt_i32_e64 s64, 32, v4
	s_delay_alu instid0(VALU_DEP_1) | instskip(NEXT) | instid1(VALU_DEP_1)
	v_cndmask_b32_e64 v4, v3, v4, s64
	v_lshlrev_b32_e32 v4, 2, v4
	ds_bpermute_b32 v4, v4, v2
	s_waitcnt lgkmcnt(0)
	v_add_f32_e32 v2, v2, v4
	v_xor_b32_e32 v4, 8, v3
	s_delay_alu instid0(VALU_DEP_1) | instskip(NEXT) | instid1(VALU_DEP_1)
	v_cmp_gt_i32_e64 s64, 32, v4
	v_cndmask_b32_e64 v4, v3, v4, s64
	s_delay_alu instid0(VALU_DEP_1) | instskip(SKIP_4) | instid1(VALU_DEP_1)
	v_lshlrev_b32_e32 v4, 2, v4
	ds_bpermute_b32 v4, v4, v2
	s_waitcnt lgkmcnt(0)
	v_add_f32_e32 v2, v2, v4
	v_xor_b32_e32 v4, 4, v3
	v_cmp_gt_i32_e64 s64, 32, v4
	s_delay_alu instid0(VALU_DEP_1) | instskip(NEXT) | instid1(VALU_DEP_1)
	v_cndmask_b32_e64 v4, v3, v4, s64
	v_lshlrev_b32_e32 v4, 2, v4
	ds_bpermute_b32 v4, v4, v2
	s_waitcnt lgkmcnt(0)
	v_add_f32_e32 v2, v2, v4
	v_xor_b32_e32 v4, 2, v3
	s_delay_alu instid0(VALU_DEP_1) | instskip(NEXT) | instid1(VALU_DEP_1)
	v_cmp_gt_i32_e64 s64, 32, v4
	v_cndmask_b32_e64 v4, v3, v4, s64
	s_delay_alu instid0(VALU_DEP_1) | instskip(SKIP_4) | instid1(VALU_DEP_1)
	v_lshlrev_b32_e32 v4, 2, v4
	ds_bpermute_b32 v4, v4, v2
	s_waitcnt lgkmcnt(0)
	v_add_f32_e32 v2, v2, v4
	v_xor_b32_e32 v4, 1, v3
	v_cmp_gt_i32_e64 s64, 32, v4
	s_delay_alu instid0(VALU_DEP_1) | instskip(NEXT) | instid1(VALU_DEP_1)
	v_cndmask_b32_e64 v3, v3, v4, s64
	v_lshlrev_b32_e32 v3, 2, v3
	ds_bpermute_b32 v3, v3, v2
	v_cmpx_lt_i32_e32 0, v71
	s_cbranch_execz .LBB833_225
; %bb.65:
	v_add_co_u32 v0, s64, s68, v0
	s_waitcnt lgkmcnt(0)
	v_add_f32_e32 v2, v2, v3
	v_add_co_ci_u32_e64 v1, s64, s69, v1, s64
	s_and_saveexec_b32 s64, s33
	s_cbranch_execz .LBB833_70
; %bb.66:
	s_xor_b32 s33, s63, -1
	s_delay_alu instid0(SALU_CYCLE_1) | instskip(NEXT) | instid1(SALU_CYCLE_1)
	s_and_saveexec_b32 s63, s33
	s_xor_b32 s33, exec_lo, s63
	s_cbranch_execz .LBB833_68
; %bb.67:
	v_fma_mixlo_f16 v3, -v2, v72, v69
	global_store_b16 v[0:1], v3, off
.LBB833_68:
	s_and_not1_saveexec_b32 s33, s33
	s_cbranch_execz .LBB833_70
; %bb.69:
	v_mov_b32_e32 v3, 0
	global_store_b16 v[0:1], v3, off
.LBB833_70:
	s_or_b32 exec_lo, exec_lo, s64
	s_and_saveexec_b32 s33, s31
	s_cbranch_execz .LBB833_75
; %bb.71:
	s_xor_b32 s31, s62, -1
	s_delay_alu instid0(SALU_CYCLE_1) | instskip(NEXT) | instid1(SALU_CYCLE_1)
	s_and_saveexec_b32 s62, s31
	s_xor_b32 s31, exec_lo, s62
	s_cbranch_execz .LBB833_73
; %bb.72:
	v_fma_mixlo_f16 v3, -v2, v70, v55
	global_store_b16 v[0:1], v3, off offset:64
.LBB833_73:
	s_and_not1_saveexec_b32 s31, s31
	s_cbranch_execz .LBB833_75
; %bb.74:
	v_mov_b32_e32 v3, 0
	global_store_b16 v[0:1], v3, off offset:64
.LBB833_75:
	s_or_b32 exec_lo, exec_lo, s33
	s_and_saveexec_b32 s31, s30
	s_cbranch_execz .LBB833_80
; %bb.76:
	s_xor_b32 s30, s61, -1
	s_delay_alu instid0(SALU_CYCLE_1) | instskip(NEXT) | instid1(SALU_CYCLE_1)
	s_and_saveexec_b32 s33, s30
	s_xor_b32 s30, exec_lo, s33
	s_cbranch_execz .LBB833_78
; %bb.77:
	v_fma_mixlo_f16 v3, -v2, v68, v67
	global_store_b16 v[0:1], v3, off offset:128
.LBB833_78:
	s_and_not1_saveexec_b32 s30, s30
	s_cbranch_execz .LBB833_80
; %bb.79:
	v_mov_b32_e32 v3, 0
	global_store_b16 v[0:1], v3, off offset:128
.LBB833_80:
	;; [unrolled: 19-line block ×30, first 2 shown]
	s_or_b32 exec_lo, exec_lo, s3
	s_delay_alu instid0(SALU_CYCLE_1)
	s_and_b32 exec_lo, exec_lo, vcc_lo
	s_cbranch_execz .LBB833_225
; %bb.221:
	s_xor_b32 s0, s0, -1
	s_delay_alu instid0(SALU_CYCLE_1) | instskip(NEXT) | instid1(SALU_CYCLE_1)
	s_and_saveexec_b32 s1, s0
	s_xor_b32 s0, exec_lo, s1
	s_cbranch_execz .LBB833_223
; %bb.222:
	v_fma_mixlo_f16 v2, -v2, v12, v8
	global_store_b16 v[0:1], v2, off offset:1984
                                        ; implicit-def: $vgpr0_vgpr1
.LBB833_223:
	s_and_not1_saveexec_b32 s0, s0
	s_cbranch_execz .LBB833_225
; %bb.224:
	v_mov_b32_e32 v2, 0
	global_store_b16 v[0:1], v2, off offset:1984
.LBB833_225:
	s_nop 0
	s_sendmsg sendmsg(MSG_DEALLOC_VGPRS)
	s_endpgm
	.section	.rodata,"a",@progbits
	.p2align	6, 0x0
	.amdhsa_kernel _ZN12_GLOBAL__N_121softmax_warp_backwardIN3c104HalfES2_fLi10ELb0ELb1ELi32EEEvPT0_PKT_S7_iiiPKb
		.amdhsa_group_segment_fixed_size 0
		.amdhsa_private_segment_fixed_size 0
		.amdhsa_kernarg_size 304
		.amdhsa_user_sgpr_count 15
		.amdhsa_user_sgpr_dispatch_ptr 0
		.amdhsa_user_sgpr_queue_ptr 0
		.amdhsa_user_sgpr_kernarg_segment_ptr 1
		.amdhsa_user_sgpr_dispatch_id 0
		.amdhsa_user_sgpr_private_segment_size 0
		.amdhsa_wavefront_size32 1
		.amdhsa_uses_dynamic_stack 0
		.amdhsa_enable_private_segment 0
		.amdhsa_system_sgpr_workgroup_id_x 1
		.amdhsa_system_sgpr_workgroup_id_y 0
		.amdhsa_system_sgpr_workgroup_id_z 0
		.amdhsa_system_sgpr_workgroup_info 0
		.amdhsa_system_vgpr_workitem_id 1
		.amdhsa_next_free_vgpr 73
		.amdhsa_next_free_sgpr 72
		.amdhsa_reserve_vcc 1
		.amdhsa_float_round_mode_32 0
		.amdhsa_float_round_mode_16_64 0
		.amdhsa_float_denorm_mode_32 3
		.amdhsa_float_denorm_mode_16_64 3
		.amdhsa_dx10_clamp 1
		.amdhsa_ieee_mode 1
		.amdhsa_fp16_overflow 0
		.amdhsa_workgroup_processor_mode 1
		.amdhsa_memory_ordered 1
		.amdhsa_forward_progress 0
		.amdhsa_shared_vgpr_count 0
		.amdhsa_exception_fp_ieee_invalid_op 0
		.amdhsa_exception_fp_denorm_src 0
		.amdhsa_exception_fp_ieee_div_zero 0
		.amdhsa_exception_fp_ieee_overflow 0
		.amdhsa_exception_fp_ieee_underflow 0
		.amdhsa_exception_fp_ieee_inexact 0
		.amdhsa_exception_int_div_zero 0
	.end_amdhsa_kernel
	.section	.text._ZN12_GLOBAL__N_121softmax_warp_backwardIN3c104HalfES2_fLi10ELb0ELb1ELi32EEEvPT0_PKT_S7_iiiPKb,"axG",@progbits,_ZN12_GLOBAL__N_121softmax_warp_backwardIN3c104HalfES2_fLi10ELb0ELb1ELi32EEEvPT0_PKT_S7_iiiPKb,comdat
.Lfunc_end833:
	.size	_ZN12_GLOBAL__N_121softmax_warp_backwardIN3c104HalfES2_fLi10ELb0ELb1ELi32EEEvPT0_PKT_S7_iiiPKb, .Lfunc_end833-_ZN12_GLOBAL__N_121softmax_warp_backwardIN3c104HalfES2_fLi10ELb0ELb1ELi32EEEvPT0_PKT_S7_iiiPKb
                                        ; -- End function
	.section	.AMDGPU.csdata,"",@progbits
; Kernel info:
; codeLenInByte = 6460
; NumSgprs: 74
; NumVgprs: 73
; ScratchSize: 0
; MemoryBound: 0
; FloatMode: 240
; IeeeMode: 1
; LDSByteSize: 0 bytes/workgroup (compile time only)
; SGPRBlocks: 9
; VGPRBlocks: 9
; NumSGPRsForWavesPerEU: 74
; NumVGPRsForWavesPerEU: 73
; Occupancy: 16
; WaveLimiterHint : 0
; COMPUTE_PGM_RSRC2:SCRATCH_EN: 0
; COMPUTE_PGM_RSRC2:USER_SGPR: 15
; COMPUTE_PGM_RSRC2:TRAP_HANDLER: 0
; COMPUTE_PGM_RSRC2:TGID_X_EN: 1
; COMPUTE_PGM_RSRC2:TGID_Y_EN: 0
; COMPUTE_PGM_RSRC2:TGID_Z_EN: 0
; COMPUTE_PGM_RSRC2:TIDIG_COMP_CNT: 1
	.section	.text._ZN12_GLOBAL__N_121softmax_warp_backwardIN3c108BFloat16ES2_fLi0ELb0ELb1ELi64EEEvPT0_PKT_S7_iiiPKb,"axG",@progbits,_ZN12_GLOBAL__N_121softmax_warp_backwardIN3c108BFloat16ES2_fLi0ELb0ELb1ELi64EEEvPT0_PKT_S7_iiiPKb,comdat
	.globl	_ZN12_GLOBAL__N_121softmax_warp_backwardIN3c108BFloat16ES2_fLi0ELb0ELb1ELi64EEEvPT0_PKT_S7_iiiPKb ; -- Begin function _ZN12_GLOBAL__N_121softmax_warp_backwardIN3c108BFloat16ES2_fLi0ELb0ELb1ELi64EEEvPT0_PKT_S7_iiiPKb
	.p2align	8
	.type	_ZN12_GLOBAL__N_121softmax_warp_backwardIN3c108BFloat16ES2_fLi0ELb0ELb1ELi64EEEvPT0_PKT_S7_iiiPKb,@function
_ZN12_GLOBAL__N_121softmax_warp_backwardIN3c108BFloat16ES2_fLi0ELb0ELb1ELi64EEEvPT0_PKT_S7_iiiPKb: ; @_ZN12_GLOBAL__N_121softmax_warp_backwardIN3c108BFloat16ES2_fLi0ELb0ELb1ELi64EEEvPT0_PKT_S7_iiiPKb
; %bb.0:
	s_clause 0x1
	s_load_b32 s2, s[0:1], 0x3c
	s_load_b128 s[4:7], s[0:1], 0x18
	v_bfe_u32 v0, v0, 10, 10
	s_clause 0x1
	s_load_b128 s[8:11], s[0:1], 0x0
	s_load_b64 s[12:13], s[0:1], 0x10
	v_dual_mov_b32 v9, 0 :: v_dual_mov_b32 v10, 0
	v_mov_b32_e32 v11, 0
	s_waitcnt lgkmcnt(0)
	s_lshr_b32 s2, s2, 16
	s_cmp_gt_i32 s6, 0
	s_mul_i32 s15, s15, s2
	s_cselect_b32 s3, -1, 0
	v_add_lshl_u32 v0, s15, v0, 1
	s_delay_alu instid0(VALU_DEP_1) | instskip(SKIP_1) | instid1(VALU_DEP_1)
	v_mul_lo_u32 v2, v0, s5
	v_sub_nc_u32_e32 v8, s4, v0
	v_cmp_lt_i32_e32 vcc_lo, 0, v8
	s_delay_alu instid0(VALU_DEP_3) | instskip(SKIP_1) | instid1(VALU_DEP_1)
	v_ashrrev_i32_e32 v3, 31, v2
	s_and_b32 s4, s3, vcc_lo
	v_lshlrev_b64 v[0:1], 1, v[2:3]
	s_delay_alu instid0(VALU_DEP_1) | instskip(NEXT) | instid1(VALU_DEP_1)
	v_add_co_u32 v4, s2, s10, v0
	v_add_co_ci_u32_e64 v5, s2, s11, v1, s2
	v_add_co_u32 v6, s2, s12, v0
	s_delay_alu instid0(VALU_DEP_1)
	v_add_co_ci_u32_e64 v7, s2, s13, v1, s2
	s_and_saveexec_b32 s2, s4
	s_cbranch_execz .LBB834_2
; %bb.1:
	global_load_u16 v10, v[6:7], off
	global_load_u16 v11, v[4:5], off
	s_waitcnt vmcnt(1)
	v_lshlrev_b32_e32 v10, 16, v10
	s_waitcnt vmcnt(0)
	v_lshlrev_b32_e32 v11, 16, v11
.LBB834_2:
	s_or_b32 exec_lo, exec_lo, s2
	v_cmp_lt_i32_e64 s2, 1, v8
	v_mov_b32_e32 v12, 0
	s_mov_b32 s7, 0
	s_delay_alu instid0(VALU_DEP_2) | instskip(NEXT) | instid1(SALU_CYCLE_1)
	s_and_b32 s2, s3, s2
	s_and_saveexec_b32 s4, s2
	s_cbranch_execz .LBB834_4
; %bb.3:
	s_lshl_b64 s[10:11], s[6:7], 1
	s_delay_alu instid0(SALU_CYCLE_1) | instskip(NEXT) | instid1(VALU_DEP_1)
	v_add_co_u32 v6, s2, v6, s10
	v_add_co_ci_u32_e64 v7, s2, s11, v7, s2
	v_add_co_u32 v4, s2, v4, s10
	s_delay_alu instid0(VALU_DEP_1)
	v_add_co_ci_u32_e64 v5, s2, s11, v5, s2
	global_load_u16 v6, v[6:7], off
	global_load_u16 v4, v[4:5], off
	s_waitcnt vmcnt(1)
	v_lshlrev_b32_e32 v9, 16, v6
	s_waitcnt vmcnt(0)
	v_lshlrev_b32_e32 v12, 16, v4
.LBB834_4:
	s_or_b32 exec_lo, exec_lo, s4
	s_and_saveexec_b32 s2, vcc_lo
	s_cbranch_execz .LBB834_12
; %bb.5:
	s_load_b64 s[0:1], s[0:1], 0x28
	v_add_f32_e32 v7, 0, v12
	s_waitcnt lgkmcnt(0)
	v_add_co_u32 v2, vcc_lo, s0, v2
	v_add_co_ci_u32_e32 v3, vcc_lo, s1, v3, vcc_lo
	s_ashr_i32 s0, s6, 31
	s_delay_alu instid0(VALU_DEP_2) | instskip(NEXT) | instid1(VALU_DEP_2)
	v_add_co_u32 v4, vcc_lo, v2, s6
	v_add_co_ci_u32_e32 v5, vcc_lo, s0, v3, vcc_lo
	v_add_co_u32 v0, vcc_lo, s8, v0
	s_clause 0x1
	global_load_u8 v3, v[2:3], off
	global_load_u8 v4, v[4:5], off
	v_add_f32_e32 v5, 0, v11
	v_cndmask_b32_e64 v2, 0, 1, s3
	v_add_co_ci_u32_e32 v1, vcc_lo, s9, v1, vcc_lo
	s_and_not1_b32 vcc_lo, exec_lo, s3
	s_waitcnt vmcnt(1)
	v_and_b32_e32 v3, 1, v3
	s_waitcnt vmcnt(0)
	v_and_b32_e32 v6, 1, v4
	s_delay_alu instid0(VALU_DEP_2) | instskip(NEXT) | instid1(VALU_DEP_2)
	v_cmp_eq_u32_e64 s1, 1, v3
	v_cmp_eq_u32_e64 s0, 1, v6
	s_delay_alu instid0(VALU_DEP_2) | instskip(NEXT) | instid1(VALU_DEP_2)
	v_cndmask_b32_e64 v4, v5, 0, s1
	v_cndmask_b32_e64 v3, v7, 0, s0
	s_cbranch_vccnz .LBB834_9
; %bb.6:
	v_mov_b32_e32 v5, 0
	s_xor_b32 s2, s1, -1
	s_delay_alu instid0(SALU_CYCLE_1)
	s_and_saveexec_b32 s1, s2
; %bb.7:
	v_fma_f32 v4, -v4, v10, v11
	s_delay_alu instid0(VALU_DEP_1) | instskip(SKIP_1) | instid1(VALU_DEP_2)
	v_bfe_u32 v5, v4, 16, 1
	v_cmp_o_f32_e32 vcc_lo, v4, v4
	v_add3_u32 v5, v4, v5, 0x7fff
	s_delay_alu instid0(VALU_DEP_1) | instskip(NEXT) | instid1(VALU_DEP_1)
	v_lshrrev_b32_e32 v5, 16, v5
	v_cndmask_b32_e32 v5, 0x7fc0, v5, vcc_lo
; %bb.8:
	s_or_b32 exec_lo, exec_lo, s1
	global_store_b16 v[0:1], v5, off
.LBB834_9:
	v_cmp_ne_u32_e32 vcc_lo, 1, v8
	s_and_b32 exec_lo, exec_lo, vcc_lo
	s_cbranch_execz .LBB834_12
; %bb.10:
	v_cmp_ne_u32_e32 vcc_lo, 1, v2
	s_cbranch_vccnz .LBB834_12
; %bb.11:
	v_fma_f32 v2, -v3, v9, v12
	s_lshl_b64 s[2:3], s[6:7], 1
	s_delay_alu instid0(VALU_DEP_1) | instskip(SKIP_1) | instid1(VALU_DEP_2)
	v_bfe_u32 v3, v2, 16, 1
	v_cmp_o_f32_e32 vcc_lo, v2, v2
	v_add3_u32 v3, v2, v3, 0x7fff
	s_delay_alu instid0(VALU_DEP_1) | instskip(NEXT) | instid1(VALU_DEP_1)
	v_lshrrev_b32_e32 v3, 16, v3
	v_cndmask_b32_e32 v2, 0x7fc0, v3, vcc_lo
	v_add_co_u32 v0, vcc_lo, v0, s2
	v_add_co_ci_u32_e32 v1, vcc_lo, s3, v1, vcc_lo
	s_delay_alu instid0(VALU_DEP_3)
	v_cndmask_b32_e64 v2, v2, 0, s0
	global_store_b16 v[0:1], v2, off
.LBB834_12:
	s_nop 0
	s_sendmsg sendmsg(MSG_DEALLOC_VGPRS)
	s_endpgm
	.section	.rodata,"a",@progbits
	.p2align	6, 0x0
	.amdhsa_kernel _ZN12_GLOBAL__N_121softmax_warp_backwardIN3c108BFloat16ES2_fLi0ELb0ELb1ELi64EEEvPT0_PKT_S7_iiiPKb
		.amdhsa_group_segment_fixed_size 0
		.amdhsa_private_segment_fixed_size 0
		.amdhsa_kernarg_size 304
		.amdhsa_user_sgpr_count 15
		.amdhsa_user_sgpr_dispatch_ptr 0
		.amdhsa_user_sgpr_queue_ptr 0
		.amdhsa_user_sgpr_kernarg_segment_ptr 1
		.amdhsa_user_sgpr_dispatch_id 0
		.amdhsa_user_sgpr_private_segment_size 0
		.amdhsa_wavefront_size32 1
		.amdhsa_uses_dynamic_stack 0
		.amdhsa_enable_private_segment 0
		.amdhsa_system_sgpr_workgroup_id_x 1
		.amdhsa_system_sgpr_workgroup_id_y 0
		.amdhsa_system_sgpr_workgroup_id_z 0
		.amdhsa_system_sgpr_workgroup_info 0
		.amdhsa_system_vgpr_workitem_id 1
		.amdhsa_next_free_vgpr 13
		.amdhsa_next_free_sgpr 16
		.amdhsa_reserve_vcc 1
		.amdhsa_float_round_mode_32 0
		.amdhsa_float_round_mode_16_64 0
		.amdhsa_float_denorm_mode_32 3
		.amdhsa_float_denorm_mode_16_64 3
		.amdhsa_dx10_clamp 1
		.amdhsa_ieee_mode 1
		.amdhsa_fp16_overflow 0
		.amdhsa_workgroup_processor_mode 1
		.amdhsa_memory_ordered 1
		.amdhsa_forward_progress 0
		.amdhsa_shared_vgpr_count 0
		.amdhsa_exception_fp_ieee_invalid_op 0
		.amdhsa_exception_fp_denorm_src 0
		.amdhsa_exception_fp_ieee_div_zero 0
		.amdhsa_exception_fp_ieee_overflow 0
		.amdhsa_exception_fp_ieee_underflow 0
		.amdhsa_exception_fp_ieee_inexact 0
		.amdhsa_exception_int_div_zero 0
	.end_amdhsa_kernel
	.section	.text._ZN12_GLOBAL__N_121softmax_warp_backwardIN3c108BFloat16ES2_fLi0ELb0ELb1ELi64EEEvPT0_PKT_S7_iiiPKb,"axG",@progbits,_ZN12_GLOBAL__N_121softmax_warp_backwardIN3c108BFloat16ES2_fLi0ELb0ELb1ELi64EEEvPT0_PKT_S7_iiiPKb,comdat
.Lfunc_end834:
	.size	_ZN12_GLOBAL__N_121softmax_warp_backwardIN3c108BFloat16ES2_fLi0ELb0ELb1ELi64EEEvPT0_PKT_S7_iiiPKb, .Lfunc_end834-_ZN12_GLOBAL__N_121softmax_warp_backwardIN3c108BFloat16ES2_fLi0ELb0ELb1ELi64EEEvPT0_PKT_S7_iiiPKb
                                        ; -- End function
	.section	.AMDGPU.csdata,"",@progbits
; Kernel info:
; codeLenInByte = 688
; NumSgprs: 18
; NumVgprs: 13
; ScratchSize: 0
; MemoryBound: 0
; FloatMode: 240
; IeeeMode: 1
; LDSByteSize: 0 bytes/workgroup (compile time only)
; SGPRBlocks: 2
; VGPRBlocks: 1
; NumSGPRsForWavesPerEU: 18
; NumVGPRsForWavesPerEU: 13
; Occupancy: 16
; WaveLimiterHint : 0
; COMPUTE_PGM_RSRC2:SCRATCH_EN: 0
; COMPUTE_PGM_RSRC2:USER_SGPR: 15
; COMPUTE_PGM_RSRC2:TRAP_HANDLER: 0
; COMPUTE_PGM_RSRC2:TGID_X_EN: 1
; COMPUTE_PGM_RSRC2:TGID_Y_EN: 0
; COMPUTE_PGM_RSRC2:TGID_Z_EN: 0
; COMPUTE_PGM_RSRC2:TIDIG_COMP_CNT: 1
	.section	.text._ZN12_GLOBAL__N_121softmax_warp_backwardIN3c108BFloat16ES2_fLi0ELb0ELb1ELi32EEEvPT0_PKT_S7_iiiPKb,"axG",@progbits,_ZN12_GLOBAL__N_121softmax_warp_backwardIN3c108BFloat16ES2_fLi0ELb0ELb1ELi32EEEvPT0_PKT_S7_iiiPKb,comdat
	.globl	_ZN12_GLOBAL__N_121softmax_warp_backwardIN3c108BFloat16ES2_fLi0ELb0ELb1ELi32EEEvPT0_PKT_S7_iiiPKb ; -- Begin function _ZN12_GLOBAL__N_121softmax_warp_backwardIN3c108BFloat16ES2_fLi0ELb0ELb1ELi32EEEvPT0_PKT_S7_iiiPKb
	.p2align	8
	.type	_ZN12_GLOBAL__N_121softmax_warp_backwardIN3c108BFloat16ES2_fLi0ELb0ELb1ELi32EEEvPT0_PKT_S7_iiiPKb,@function
_ZN12_GLOBAL__N_121softmax_warp_backwardIN3c108BFloat16ES2_fLi0ELb0ELb1ELi32EEEvPT0_PKT_S7_iiiPKb: ; @_ZN12_GLOBAL__N_121softmax_warp_backwardIN3c108BFloat16ES2_fLi0ELb0ELb1ELi32EEEvPT0_PKT_S7_iiiPKb
; %bb.0:
	s_clause 0x1
	s_load_b32 s2, s[0:1], 0x3c
	s_load_b128 s[4:7], s[0:1], 0x18
	v_bfe_u32 v0, v0, 10, 10
	s_clause 0x1
	s_load_b128 s[8:11], s[0:1], 0x0
	s_load_b64 s[12:13], s[0:1], 0x10
	v_dual_mov_b32 v9, 0 :: v_dual_mov_b32 v10, 0
	v_mov_b32_e32 v11, 0
	s_waitcnt lgkmcnt(0)
	s_lshr_b32 s2, s2, 16
	s_cmp_gt_i32 s6, 0
	s_mul_i32 s15, s15, s2
	s_cselect_b32 s3, -1, 0
	v_add_lshl_u32 v0, s15, v0, 1
	s_delay_alu instid0(VALU_DEP_1) | instskip(SKIP_1) | instid1(VALU_DEP_1)
	v_mul_lo_u32 v2, v0, s5
	v_sub_nc_u32_e32 v8, s4, v0
	v_cmp_lt_i32_e32 vcc_lo, 0, v8
	s_delay_alu instid0(VALU_DEP_3) | instskip(SKIP_1) | instid1(VALU_DEP_1)
	v_ashrrev_i32_e32 v3, 31, v2
	s_and_b32 s4, s3, vcc_lo
	v_lshlrev_b64 v[0:1], 1, v[2:3]
	s_delay_alu instid0(VALU_DEP_1) | instskip(NEXT) | instid1(VALU_DEP_1)
	v_add_co_u32 v4, s2, s10, v0
	v_add_co_ci_u32_e64 v5, s2, s11, v1, s2
	v_add_co_u32 v6, s2, s12, v0
	s_delay_alu instid0(VALU_DEP_1)
	v_add_co_ci_u32_e64 v7, s2, s13, v1, s2
	s_and_saveexec_b32 s2, s4
	s_cbranch_execz .LBB835_2
; %bb.1:
	global_load_u16 v10, v[6:7], off
	global_load_u16 v11, v[4:5], off
	s_waitcnt vmcnt(1)
	v_lshlrev_b32_e32 v10, 16, v10
	s_waitcnt vmcnt(0)
	v_lshlrev_b32_e32 v11, 16, v11
.LBB835_2:
	s_or_b32 exec_lo, exec_lo, s2
	v_cmp_lt_i32_e64 s2, 1, v8
	v_mov_b32_e32 v12, 0
	s_mov_b32 s7, 0
	s_delay_alu instid0(VALU_DEP_2) | instskip(NEXT) | instid1(SALU_CYCLE_1)
	s_and_b32 s2, s3, s2
	s_and_saveexec_b32 s4, s2
	s_cbranch_execz .LBB835_4
; %bb.3:
	s_lshl_b64 s[10:11], s[6:7], 1
	s_delay_alu instid0(SALU_CYCLE_1) | instskip(NEXT) | instid1(VALU_DEP_1)
	v_add_co_u32 v6, s2, v6, s10
	v_add_co_ci_u32_e64 v7, s2, s11, v7, s2
	v_add_co_u32 v4, s2, v4, s10
	s_delay_alu instid0(VALU_DEP_1)
	v_add_co_ci_u32_e64 v5, s2, s11, v5, s2
	global_load_u16 v6, v[6:7], off
	global_load_u16 v4, v[4:5], off
	s_waitcnt vmcnt(1)
	v_lshlrev_b32_e32 v9, 16, v6
	s_waitcnt vmcnt(0)
	v_lshlrev_b32_e32 v12, 16, v4
.LBB835_4:
	s_or_b32 exec_lo, exec_lo, s4
	s_and_saveexec_b32 s2, vcc_lo
	s_cbranch_execz .LBB835_12
; %bb.5:
	s_load_b64 s[0:1], s[0:1], 0x28
	v_add_f32_e32 v7, 0, v12
	s_waitcnt lgkmcnt(0)
	v_add_co_u32 v2, vcc_lo, s0, v2
	v_add_co_ci_u32_e32 v3, vcc_lo, s1, v3, vcc_lo
	s_ashr_i32 s0, s6, 31
	s_delay_alu instid0(VALU_DEP_2) | instskip(NEXT) | instid1(VALU_DEP_2)
	v_add_co_u32 v4, vcc_lo, v2, s6
	v_add_co_ci_u32_e32 v5, vcc_lo, s0, v3, vcc_lo
	v_add_co_u32 v0, vcc_lo, s8, v0
	s_clause 0x1
	global_load_u8 v3, v[2:3], off
	global_load_u8 v4, v[4:5], off
	v_add_f32_e32 v5, 0, v11
	v_cndmask_b32_e64 v2, 0, 1, s3
	v_add_co_ci_u32_e32 v1, vcc_lo, s9, v1, vcc_lo
	s_and_not1_b32 vcc_lo, exec_lo, s3
	s_waitcnt vmcnt(1)
	v_and_b32_e32 v3, 1, v3
	s_waitcnt vmcnt(0)
	v_and_b32_e32 v6, 1, v4
	s_delay_alu instid0(VALU_DEP_2) | instskip(NEXT) | instid1(VALU_DEP_2)
	v_cmp_eq_u32_e64 s1, 1, v3
	v_cmp_eq_u32_e64 s0, 1, v6
	s_delay_alu instid0(VALU_DEP_2) | instskip(NEXT) | instid1(VALU_DEP_2)
	v_cndmask_b32_e64 v4, v5, 0, s1
	v_cndmask_b32_e64 v3, v7, 0, s0
	s_cbranch_vccnz .LBB835_9
; %bb.6:
	v_mov_b32_e32 v5, 0
	s_xor_b32 s2, s1, -1
	s_delay_alu instid0(SALU_CYCLE_1)
	s_and_saveexec_b32 s1, s2
; %bb.7:
	v_fma_f32 v4, -v4, v10, v11
	s_delay_alu instid0(VALU_DEP_1) | instskip(SKIP_1) | instid1(VALU_DEP_2)
	v_bfe_u32 v5, v4, 16, 1
	v_cmp_o_f32_e32 vcc_lo, v4, v4
	v_add3_u32 v5, v4, v5, 0x7fff
	s_delay_alu instid0(VALU_DEP_1) | instskip(NEXT) | instid1(VALU_DEP_1)
	v_lshrrev_b32_e32 v5, 16, v5
	v_cndmask_b32_e32 v5, 0x7fc0, v5, vcc_lo
; %bb.8:
	s_or_b32 exec_lo, exec_lo, s1
	global_store_b16 v[0:1], v5, off
.LBB835_9:
	v_cmp_ne_u32_e32 vcc_lo, 1, v8
	s_and_b32 exec_lo, exec_lo, vcc_lo
	s_cbranch_execz .LBB835_12
; %bb.10:
	v_cmp_ne_u32_e32 vcc_lo, 1, v2
	s_cbranch_vccnz .LBB835_12
; %bb.11:
	v_fma_f32 v2, -v3, v9, v12
	s_lshl_b64 s[2:3], s[6:7], 1
	s_delay_alu instid0(VALU_DEP_1) | instskip(SKIP_1) | instid1(VALU_DEP_2)
	v_bfe_u32 v3, v2, 16, 1
	v_cmp_o_f32_e32 vcc_lo, v2, v2
	v_add3_u32 v3, v2, v3, 0x7fff
	s_delay_alu instid0(VALU_DEP_1) | instskip(NEXT) | instid1(VALU_DEP_1)
	v_lshrrev_b32_e32 v3, 16, v3
	v_cndmask_b32_e32 v2, 0x7fc0, v3, vcc_lo
	v_add_co_u32 v0, vcc_lo, v0, s2
	v_add_co_ci_u32_e32 v1, vcc_lo, s3, v1, vcc_lo
	s_delay_alu instid0(VALU_DEP_3)
	v_cndmask_b32_e64 v2, v2, 0, s0
	global_store_b16 v[0:1], v2, off
.LBB835_12:
	s_nop 0
	s_sendmsg sendmsg(MSG_DEALLOC_VGPRS)
	s_endpgm
	.section	.rodata,"a",@progbits
	.p2align	6, 0x0
	.amdhsa_kernel _ZN12_GLOBAL__N_121softmax_warp_backwardIN3c108BFloat16ES2_fLi0ELb0ELb1ELi32EEEvPT0_PKT_S7_iiiPKb
		.amdhsa_group_segment_fixed_size 0
		.amdhsa_private_segment_fixed_size 0
		.amdhsa_kernarg_size 304
		.amdhsa_user_sgpr_count 15
		.amdhsa_user_sgpr_dispatch_ptr 0
		.amdhsa_user_sgpr_queue_ptr 0
		.amdhsa_user_sgpr_kernarg_segment_ptr 1
		.amdhsa_user_sgpr_dispatch_id 0
		.amdhsa_user_sgpr_private_segment_size 0
		.amdhsa_wavefront_size32 1
		.amdhsa_uses_dynamic_stack 0
		.amdhsa_enable_private_segment 0
		.amdhsa_system_sgpr_workgroup_id_x 1
		.amdhsa_system_sgpr_workgroup_id_y 0
		.amdhsa_system_sgpr_workgroup_id_z 0
		.amdhsa_system_sgpr_workgroup_info 0
		.amdhsa_system_vgpr_workitem_id 1
		.amdhsa_next_free_vgpr 13
		.amdhsa_next_free_sgpr 16
		.amdhsa_reserve_vcc 1
		.amdhsa_float_round_mode_32 0
		.amdhsa_float_round_mode_16_64 0
		.amdhsa_float_denorm_mode_32 3
		.amdhsa_float_denorm_mode_16_64 3
		.amdhsa_dx10_clamp 1
		.amdhsa_ieee_mode 1
		.amdhsa_fp16_overflow 0
		.amdhsa_workgroup_processor_mode 1
		.amdhsa_memory_ordered 1
		.amdhsa_forward_progress 0
		.amdhsa_shared_vgpr_count 0
		.amdhsa_exception_fp_ieee_invalid_op 0
		.amdhsa_exception_fp_denorm_src 0
		.amdhsa_exception_fp_ieee_div_zero 0
		.amdhsa_exception_fp_ieee_overflow 0
		.amdhsa_exception_fp_ieee_underflow 0
		.amdhsa_exception_fp_ieee_inexact 0
		.amdhsa_exception_int_div_zero 0
	.end_amdhsa_kernel
	.section	.text._ZN12_GLOBAL__N_121softmax_warp_backwardIN3c108BFloat16ES2_fLi0ELb0ELb1ELi32EEEvPT0_PKT_S7_iiiPKb,"axG",@progbits,_ZN12_GLOBAL__N_121softmax_warp_backwardIN3c108BFloat16ES2_fLi0ELb0ELb1ELi32EEEvPT0_PKT_S7_iiiPKb,comdat
.Lfunc_end835:
	.size	_ZN12_GLOBAL__N_121softmax_warp_backwardIN3c108BFloat16ES2_fLi0ELb0ELb1ELi32EEEvPT0_PKT_S7_iiiPKb, .Lfunc_end835-_ZN12_GLOBAL__N_121softmax_warp_backwardIN3c108BFloat16ES2_fLi0ELb0ELb1ELi32EEEvPT0_PKT_S7_iiiPKb
                                        ; -- End function
	.section	.AMDGPU.csdata,"",@progbits
; Kernel info:
; codeLenInByte = 688
; NumSgprs: 18
; NumVgprs: 13
; ScratchSize: 0
; MemoryBound: 0
; FloatMode: 240
; IeeeMode: 1
; LDSByteSize: 0 bytes/workgroup (compile time only)
; SGPRBlocks: 2
; VGPRBlocks: 1
; NumSGPRsForWavesPerEU: 18
; NumVGPRsForWavesPerEU: 13
; Occupancy: 16
; WaveLimiterHint : 0
; COMPUTE_PGM_RSRC2:SCRATCH_EN: 0
; COMPUTE_PGM_RSRC2:USER_SGPR: 15
; COMPUTE_PGM_RSRC2:TRAP_HANDLER: 0
; COMPUTE_PGM_RSRC2:TGID_X_EN: 1
; COMPUTE_PGM_RSRC2:TGID_Y_EN: 0
; COMPUTE_PGM_RSRC2:TGID_Z_EN: 0
; COMPUTE_PGM_RSRC2:TIDIG_COMP_CNT: 1
	.section	.text._ZN12_GLOBAL__N_121softmax_warp_backwardIN3c108BFloat16ES2_fLi1ELb0ELb1ELi64EEEvPT0_PKT_S7_iiiPKb,"axG",@progbits,_ZN12_GLOBAL__N_121softmax_warp_backwardIN3c108BFloat16ES2_fLi1ELb0ELb1ELi64EEEvPT0_PKT_S7_iiiPKb,comdat
	.globl	_ZN12_GLOBAL__N_121softmax_warp_backwardIN3c108BFloat16ES2_fLi1ELb0ELb1ELi64EEEvPT0_PKT_S7_iiiPKb ; -- Begin function _ZN12_GLOBAL__N_121softmax_warp_backwardIN3c108BFloat16ES2_fLi1ELb0ELb1ELi64EEEvPT0_PKT_S7_iiiPKb
	.p2align	8
	.type	_ZN12_GLOBAL__N_121softmax_warp_backwardIN3c108BFloat16ES2_fLi1ELb0ELb1ELi64EEEvPT0_PKT_S7_iiiPKb,@function
_ZN12_GLOBAL__N_121softmax_warp_backwardIN3c108BFloat16ES2_fLi1ELb0ELb1ELi64EEEvPT0_PKT_S7_iiiPKb: ; @_ZN12_GLOBAL__N_121softmax_warp_backwardIN3c108BFloat16ES2_fLi1ELb0ELb1ELi64EEEvPT0_PKT_S7_iiiPKb
; %bb.0:
	s_clause 0x1
	s_load_b32 s2, s[0:1], 0x3c
	s_load_b128 s[4:7], s[0:1], 0x18
	v_bfe_u32 v1, v0, 10, 10
	v_dual_mov_b32 v9, 0 :: v_dual_and_b32 v4, 1, v0
	s_clause 0x1
	s_load_b128 s[8:11], s[0:1], 0x0
	s_load_b64 s[12:13], s[0:1], 0x10
	v_dual_mov_b32 v10, 0 :: v_dual_mov_b32 v11, 0
	s_waitcnt lgkmcnt(0)
	s_lshr_b32 s2, s2, 16
	v_cmp_gt_i32_e32 vcc_lo, s6, v4
	s_mul_i32 s15, s15, s2
	s_delay_alu instid0(SALU_CYCLE_1) | instskip(NEXT) | instid1(VALU_DEP_1)
	v_add_lshl_u32 v1, s15, v1, 1
	v_mul_lo_u32 v2, v1, s5
	v_sub_nc_u32_e32 v8, s4, v1
	s_delay_alu instid0(VALU_DEP_1) | instskip(NEXT) | instid1(VALU_DEP_3)
	v_cmp_lt_i32_e64 s2, 0, v8
	v_or_b32_e32 v2, v2, v4
	s_delay_alu instid0(VALU_DEP_2) | instskip(NEXT) | instid1(VALU_DEP_1)
	s_and_b32 s4, vcc_lo, s2
	v_ashrrev_i32_e32 v3, 31, v2
	s_delay_alu instid0(VALU_DEP_1) | instskip(NEXT) | instid1(VALU_DEP_1)
	v_lshlrev_b64 v[0:1], 1, v[2:3]
	v_add_co_u32 v4, s3, s10, v0
	s_delay_alu instid0(VALU_DEP_1) | instskip(SKIP_1) | instid1(VALU_DEP_1)
	v_add_co_ci_u32_e64 v5, s3, s11, v1, s3
	v_add_co_u32 v6, s3, s12, v0
	v_add_co_ci_u32_e64 v7, s3, s13, v1, s3
	s_and_saveexec_b32 s3, s4
	s_cbranch_execz .LBB836_2
; %bb.1:
	global_load_u16 v10, v[6:7], off
	global_load_u16 v11, v[4:5], off
	s_waitcnt vmcnt(1)
	v_lshlrev_b32_e32 v10, 16, v10
	s_waitcnt vmcnt(0)
	v_lshlrev_b32_e32 v11, 16, v11
.LBB836_2:
	s_or_b32 exec_lo, exec_lo, s3
	v_cmp_lt_i32_e64 s3, 1, v8
	v_mov_b32_e32 v12, 0
	s_mov_b32 s7, 0
	s_delay_alu instid0(VALU_DEP_2) | instskip(NEXT) | instid1(SALU_CYCLE_1)
	s_and_b32 s3, vcc_lo, s3
	s_and_saveexec_b32 s4, s3
	s_cbranch_execz .LBB836_4
; %bb.3:
	s_lshl_b64 s[10:11], s[6:7], 1
	s_delay_alu instid0(SALU_CYCLE_1) | instskip(NEXT) | instid1(VALU_DEP_1)
	v_add_co_u32 v6, s3, v6, s10
	v_add_co_ci_u32_e64 v7, s3, s11, v7, s3
	v_add_co_u32 v4, s3, v4, s10
	s_delay_alu instid0(VALU_DEP_1)
	v_add_co_ci_u32_e64 v5, s3, s11, v5, s3
	global_load_u16 v6, v[6:7], off
	global_load_u16 v4, v[4:5], off
	s_waitcnt vmcnt(1)
	v_lshlrev_b32_e32 v9, 16, v6
	s_waitcnt vmcnt(0)
	v_lshlrev_b32_e32 v12, 16, v4
.LBB836_4:
	s_or_b32 exec_lo, exec_lo, s4
	s_load_b64 s[0:1], s[0:1], 0x28
	s_waitcnt lgkmcnt(0)
	v_add_co_u32 v2, s0, s0, v2
	s_delay_alu instid0(VALU_DEP_1) | instskip(SKIP_1) | instid1(VALU_DEP_2)
	v_add_co_ci_u32_e64 v3, s0, s1, v3, s0
	s_ashr_i32 s1, s6, 31
	v_add_co_u32 v4, s0, v2, s6
	s_delay_alu instid0(VALU_DEP_1) | instskip(SKIP_4) | instid1(VALU_DEP_1)
	v_add_co_ci_u32_e64 v5, s0, s1, v3, s0
	s_clause 0x1
	global_load_u8 v2, v[2:3], off
	global_load_u8 v3, v[4:5], off
	v_mbcnt_lo_u32_b32 v4, -1, 0
	v_and_b32_e32 v5, 30, v4
	v_xor_b32_e32 v6, 1, v4
	s_delay_alu instid0(VALU_DEP_2) | instskip(NEXT) | instid1(VALU_DEP_1)
	v_add_nc_u32_e32 v5, 2, v5
	v_cmp_lt_i32_e64 s0, v6, v5
	v_add_f32_e32 v5, 0, v11
	s_delay_alu instid0(VALU_DEP_2) | instskip(SKIP_1) | instid1(VALU_DEP_2)
	v_cndmask_b32_e64 v4, v4, v6, s0
	v_add_f32_e32 v6, 0, v12
	v_lshlrev_b32_e32 v7, 2, v4
	s_waitcnt vmcnt(1)
	v_and_b32_e32 v2, 1, v2
	s_waitcnt vmcnt(0)
	v_and_b32_e32 v3, 1, v3
	s_delay_alu instid0(VALU_DEP_2) | instskip(NEXT) | instid1(VALU_DEP_2)
	v_cmp_eq_u32_e64 s1, 1, v2
	v_cmp_eq_u32_e64 s0, 1, v3
	s_delay_alu instid0(VALU_DEP_2) | instskip(NEXT) | instid1(VALU_DEP_2)
	v_cndmask_b32_e64 v4, v5, 0, s1
	v_cndmask_b32_e64 v2, v6, 0, s0
	ds_bpermute_b32 v5, v7, v4
	ds_bpermute_b32 v3, v7, v2
	s_and_saveexec_b32 s3, s2
	s_cbranch_execz .LBB836_12
; %bb.5:
	v_add_co_u32 v0, s2, s8, v0
	s_delay_alu instid0(VALU_DEP_1)
	v_add_co_ci_u32_e64 v1, s2, s9, v1, s2
	s_and_saveexec_b32 s2, vcc_lo
	s_cbranch_execz .LBB836_9
; %bb.6:
	v_mov_b32_e32 v6, 0
	s_xor_b32 s1, s1, -1
	s_delay_alu instid0(SALU_CYCLE_1)
	s_and_saveexec_b32 s3, s1
	s_cbranch_execz .LBB836_8
; %bb.7:
	s_waitcnt lgkmcnt(1)
	v_add_f32_e32 v4, v4, v5
	s_delay_alu instid0(VALU_DEP_1) | instskip(NEXT) | instid1(VALU_DEP_1)
	v_fma_f32 v4, -v4, v10, v11
	v_bfe_u32 v5, v4, 16, 1
	v_cmp_o_f32_e64 s1, v4, v4
	s_delay_alu instid0(VALU_DEP_2) | instskip(NEXT) | instid1(VALU_DEP_1)
	v_add3_u32 v5, v4, v5, 0x7fff
	v_lshrrev_b32_e32 v5, 16, v5
	s_delay_alu instid0(VALU_DEP_1)
	v_cndmask_b32_e64 v6, 0x7fc0, v5, s1
.LBB836_8:
	s_or_b32 exec_lo, exec_lo, s3
	global_store_b16 v[0:1], v6, off
.LBB836_9:
	s_or_b32 exec_lo, exec_lo, s2
	v_cmp_ne_u32_e64 s1, 1, v8
	s_delay_alu instid0(VALU_DEP_1)
	s_and_b32 exec_lo, exec_lo, s1
	s_cbranch_execz .LBB836_12
; %bb.10:
	s_and_b32 exec_lo, exec_lo, vcc_lo
	s_cbranch_execz .LBB836_12
; %bb.11:
	s_waitcnt lgkmcnt(0)
	v_add_f32_e32 v2, v2, v3
	s_lshl_b64 s[2:3], s[6:7], 1
	s_delay_alu instid0(VALU_DEP_1) | instskip(NEXT) | instid1(VALU_DEP_1)
	v_fma_f32 v2, -v2, v9, v12
	v_bfe_u32 v3, v2, 16, 1
	v_cmp_o_f32_e32 vcc_lo, v2, v2
	s_delay_alu instid0(VALU_DEP_2) | instskip(NEXT) | instid1(VALU_DEP_1)
	v_add3_u32 v3, v2, v3, 0x7fff
	v_lshrrev_b32_e32 v3, 16, v3
	s_delay_alu instid0(VALU_DEP_1) | instskip(SKIP_2) | instid1(VALU_DEP_3)
	v_cndmask_b32_e32 v2, 0x7fc0, v3, vcc_lo
	v_add_co_u32 v0, vcc_lo, v0, s2
	v_add_co_ci_u32_e32 v1, vcc_lo, s3, v1, vcc_lo
	v_cndmask_b32_e64 v2, v2, 0, s0
	global_store_b16 v[0:1], v2, off
.LBB836_12:
	s_nop 0
	s_sendmsg sendmsg(MSG_DEALLOC_VGPRS)
	s_endpgm
	.section	.rodata,"a",@progbits
	.p2align	6, 0x0
	.amdhsa_kernel _ZN12_GLOBAL__N_121softmax_warp_backwardIN3c108BFloat16ES2_fLi1ELb0ELb1ELi64EEEvPT0_PKT_S7_iiiPKb
		.amdhsa_group_segment_fixed_size 0
		.amdhsa_private_segment_fixed_size 0
		.amdhsa_kernarg_size 304
		.amdhsa_user_sgpr_count 15
		.amdhsa_user_sgpr_dispatch_ptr 0
		.amdhsa_user_sgpr_queue_ptr 0
		.amdhsa_user_sgpr_kernarg_segment_ptr 1
		.amdhsa_user_sgpr_dispatch_id 0
		.amdhsa_user_sgpr_private_segment_size 0
		.amdhsa_wavefront_size32 1
		.amdhsa_uses_dynamic_stack 0
		.amdhsa_enable_private_segment 0
		.amdhsa_system_sgpr_workgroup_id_x 1
		.amdhsa_system_sgpr_workgroup_id_y 0
		.amdhsa_system_sgpr_workgroup_id_z 0
		.amdhsa_system_sgpr_workgroup_info 0
		.amdhsa_system_vgpr_workitem_id 1
		.amdhsa_next_free_vgpr 13
		.amdhsa_next_free_sgpr 16
		.amdhsa_reserve_vcc 1
		.amdhsa_float_round_mode_32 0
		.amdhsa_float_round_mode_16_64 0
		.amdhsa_float_denorm_mode_32 3
		.amdhsa_float_denorm_mode_16_64 3
		.amdhsa_dx10_clamp 1
		.amdhsa_ieee_mode 1
		.amdhsa_fp16_overflow 0
		.amdhsa_workgroup_processor_mode 1
		.amdhsa_memory_ordered 1
		.amdhsa_forward_progress 0
		.amdhsa_shared_vgpr_count 0
		.amdhsa_exception_fp_ieee_invalid_op 0
		.amdhsa_exception_fp_denorm_src 0
		.amdhsa_exception_fp_ieee_div_zero 0
		.amdhsa_exception_fp_ieee_overflow 0
		.amdhsa_exception_fp_ieee_underflow 0
		.amdhsa_exception_fp_ieee_inexact 0
		.amdhsa_exception_int_div_zero 0
	.end_amdhsa_kernel
	.section	.text._ZN12_GLOBAL__N_121softmax_warp_backwardIN3c108BFloat16ES2_fLi1ELb0ELb1ELi64EEEvPT0_PKT_S7_iiiPKb,"axG",@progbits,_ZN12_GLOBAL__N_121softmax_warp_backwardIN3c108BFloat16ES2_fLi1ELb0ELb1ELi64EEEvPT0_PKT_S7_iiiPKb,comdat
.Lfunc_end836:
	.size	_ZN12_GLOBAL__N_121softmax_warp_backwardIN3c108BFloat16ES2_fLi1ELb0ELb1ELi64EEEvPT0_PKT_S7_iiiPKb, .Lfunc_end836-_ZN12_GLOBAL__N_121softmax_warp_backwardIN3c108BFloat16ES2_fLi1ELb0ELb1ELi64EEEvPT0_PKT_S7_iiiPKb
                                        ; -- End function
	.section	.AMDGPU.csdata,"",@progbits
; Kernel info:
; codeLenInByte = 820
; NumSgprs: 18
; NumVgprs: 13
; ScratchSize: 0
; MemoryBound: 0
; FloatMode: 240
; IeeeMode: 1
; LDSByteSize: 0 bytes/workgroup (compile time only)
; SGPRBlocks: 2
; VGPRBlocks: 1
; NumSGPRsForWavesPerEU: 18
; NumVGPRsForWavesPerEU: 13
; Occupancy: 16
; WaveLimiterHint : 0
; COMPUTE_PGM_RSRC2:SCRATCH_EN: 0
; COMPUTE_PGM_RSRC2:USER_SGPR: 15
; COMPUTE_PGM_RSRC2:TRAP_HANDLER: 0
; COMPUTE_PGM_RSRC2:TGID_X_EN: 1
; COMPUTE_PGM_RSRC2:TGID_Y_EN: 0
; COMPUTE_PGM_RSRC2:TGID_Z_EN: 0
; COMPUTE_PGM_RSRC2:TIDIG_COMP_CNT: 1
	.section	.text._ZN12_GLOBAL__N_121softmax_warp_backwardIN3c108BFloat16ES2_fLi1ELb0ELb1ELi32EEEvPT0_PKT_S7_iiiPKb,"axG",@progbits,_ZN12_GLOBAL__N_121softmax_warp_backwardIN3c108BFloat16ES2_fLi1ELb0ELb1ELi32EEEvPT0_PKT_S7_iiiPKb,comdat
	.globl	_ZN12_GLOBAL__N_121softmax_warp_backwardIN3c108BFloat16ES2_fLi1ELb0ELb1ELi32EEEvPT0_PKT_S7_iiiPKb ; -- Begin function _ZN12_GLOBAL__N_121softmax_warp_backwardIN3c108BFloat16ES2_fLi1ELb0ELb1ELi32EEEvPT0_PKT_S7_iiiPKb
	.p2align	8
	.type	_ZN12_GLOBAL__N_121softmax_warp_backwardIN3c108BFloat16ES2_fLi1ELb0ELb1ELi32EEEvPT0_PKT_S7_iiiPKb,@function
_ZN12_GLOBAL__N_121softmax_warp_backwardIN3c108BFloat16ES2_fLi1ELb0ELb1ELi32EEEvPT0_PKT_S7_iiiPKb: ; @_ZN12_GLOBAL__N_121softmax_warp_backwardIN3c108BFloat16ES2_fLi1ELb0ELb1ELi32EEEvPT0_PKT_S7_iiiPKb
; %bb.0:
	s_clause 0x1
	s_load_b32 s2, s[0:1], 0x3c
	s_load_b128 s[4:7], s[0:1], 0x18
	v_bfe_u32 v1, v0, 10, 10
	v_dual_mov_b32 v9, 0 :: v_dual_and_b32 v4, 1, v0
	s_clause 0x1
	s_load_b128 s[8:11], s[0:1], 0x0
	s_load_b64 s[12:13], s[0:1], 0x10
	v_dual_mov_b32 v10, 0 :: v_dual_mov_b32 v11, 0
	s_waitcnt lgkmcnt(0)
	s_lshr_b32 s2, s2, 16
	v_cmp_gt_i32_e32 vcc_lo, s6, v4
	s_mul_i32 s15, s15, s2
	s_delay_alu instid0(SALU_CYCLE_1) | instskip(NEXT) | instid1(VALU_DEP_1)
	v_add_lshl_u32 v1, s15, v1, 1
	v_mul_lo_u32 v2, v1, s5
	v_sub_nc_u32_e32 v8, s4, v1
	s_delay_alu instid0(VALU_DEP_1) | instskip(NEXT) | instid1(VALU_DEP_3)
	v_cmp_lt_i32_e64 s2, 0, v8
	v_or_b32_e32 v2, v2, v4
	s_delay_alu instid0(VALU_DEP_2) | instskip(NEXT) | instid1(VALU_DEP_1)
	s_and_b32 s4, vcc_lo, s2
	v_ashrrev_i32_e32 v3, 31, v2
	s_delay_alu instid0(VALU_DEP_1) | instskip(NEXT) | instid1(VALU_DEP_1)
	v_lshlrev_b64 v[0:1], 1, v[2:3]
	v_add_co_u32 v4, s3, s10, v0
	s_delay_alu instid0(VALU_DEP_1) | instskip(SKIP_1) | instid1(VALU_DEP_1)
	v_add_co_ci_u32_e64 v5, s3, s11, v1, s3
	v_add_co_u32 v6, s3, s12, v0
	v_add_co_ci_u32_e64 v7, s3, s13, v1, s3
	s_and_saveexec_b32 s3, s4
	s_cbranch_execz .LBB837_2
; %bb.1:
	global_load_u16 v10, v[6:7], off
	global_load_u16 v11, v[4:5], off
	s_waitcnt vmcnt(1)
	v_lshlrev_b32_e32 v10, 16, v10
	s_waitcnt vmcnt(0)
	v_lshlrev_b32_e32 v11, 16, v11
.LBB837_2:
	s_or_b32 exec_lo, exec_lo, s3
	v_cmp_lt_i32_e64 s3, 1, v8
	v_mov_b32_e32 v12, 0
	s_mov_b32 s7, 0
	s_delay_alu instid0(VALU_DEP_2) | instskip(NEXT) | instid1(SALU_CYCLE_1)
	s_and_b32 s3, vcc_lo, s3
	s_and_saveexec_b32 s4, s3
	s_cbranch_execz .LBB837_4
; %bb.3:
	s_lshl_b64 s[10:11], s[6:7], 1
	s_delay_alu instid0(SALU_CYCLE_1) | instskip(NEXT) | instid1(VALU_DEP_1)
	v_add_co_u32 v6, s3, v6, s10
	v_add_co_ci_u32_e64 v7, s3, s11, v7, s3
	v_add_co_u32 v4, s3, v4, s10
	s_delay_alu instid0(VALU_DEP_1)
	v_add_co_ci_u32_e64 v5, s3, s11, v5, s3
	global_load_u16 v6, v[6:7], off
	global_load_u16 v4, v[4:5], off
	s_waitcnt vmcnt(1)
	v_lshlrev_b32_e32 v9, 16, v6
	s_waitcnt vmcnt(0)
	v_lshlrev_b32_e32 v12, 16, v4
.LBB837_4:
	s_or_b32 exec_lo, exec_lo, s4
	s_load_b64 s[0:1], s[0:1], 0x28
	s_waitcnt lgkmcnt(0)
	v_add_co_u32 v2, s0, s0, v2
	s_delay_alu instid0(VALU_DEP_1) | instskip(SKIP_1) | instid1(VALU_DEP_2)
	v_add_co_ci_u32_e64 v3, s0, s1, v3, s0
	s_ashr_i32 s1, s6, 31
	v_add_co_u32 v4, s0, v2, s6
	s_delay_alu instid0(VALU_DEP_1) | instskip(SKIP_4) | instid1(VALU_DEP_1)
	v_add_co_ci_u32_e64 v5, s0, s1, v3, s0
	s_clause 0x1
	global_load_u8 v2, v[2:3], off
	global_load_u8 v3, v[4:5], off
	v_mbcnt_lo_u32_b32 v4, -1, 0
	v_and_b32_e32 v5, 30, v4
	v_xor_b32_e32 v6, 1, v4
	s_delay_alu instid0(VALU_DEP_2) | instskip(NEXT) | instid1(VALU_DEP_1)
	v_add_nc_u32_e32 v5, 2, v5
	v_cmp_lt_i32_e64 s0, v6, v5
	v_add_f32_e32 v5, 0, v11
	s_delay_alu instid0(VALU_DEP_2) | instskip(SKIP_1) | instid1(VALU_DEP_2)
	v_cndmask_b32_e64 v4, v4, v6, s0
	v_add_f32_e32 v6, 0, v12
	v_lshlrev_b32_e32 v7, 2, v4
	s_waitcnt vmcnt(1)
	v_and_b32_e32 v2, 1, v2
	s_waitcnt vmcnt(0)
	v_and_b32_e32 v3, 1, v3
	s_delay_alu instid0(VALU_DEP_2) | instskip(NEXT) | instid1(VALU_DEP_2)
	v_cmp_eq_u32_e64 s1, 1, v2
	v_cmp_eq_u32_e64 s0, 1, v3
	s_delay_alu instid0(VALU_DEP_2) | instskip(NEXT) | instid1(VALU_DEP_2)
	v_cndmask_b32_e64 v4, v5, 0, s1
	v_cndmask_b32_e64 v2, v6, 0, s0
	ds_bpermute_b32 v5, v7, v4
	ds_bpermute_b32 v3, v7, v2
	s_and_saveexec_b32 s3, s2
	s_cbranch_execz .LBB837_12
; %bb.5:
	v_add_co_u32 v0, s2, s8, v0
	s_delay_alu instid0(VALU_DEP_1)
	v_add_co_ci_u32_e64 v1, s2, s9, v1, s2
	s_and_saveexec_b32 s2, vcc_lo
	s_cbranch_execz .LBB837_9
; %bb.6:
	v_mov_b32_e32 v6, 0
	s_xor_b32 s1, s1, -1
	s_delay_alu instid0(SALU_CYCLE_1)
	s_and_saveexec_b32 s3, s1
	s_cbranch_execz .LBB837_8
; %bb.7:
	s_waitcnt lgkmcnt(1)
	v_add_f32_e32 v4, v4, v5
	s_delay_alu instid0(VALU_DEP_1) | instskip(NEXT) | instid1(VALU_DEP_1)
	v_fma_f32 v4, -v4, v10, v11
	v_bfe_u32 v5, v4, 16, 1
	v_cmp_o_f32_e64 s1, v4, v4
	s_delay_alu instid0(VALU_DEP_2) | instskip(NEXT) | instid1(VALU_DEP_1)
	v_add3_u32 v5, v4, v5, 0x7fff
	v_lshrrev_b32_e32 v5, 16, v5
	s_delay_alu instid0(VALU_DEP_1)
	v_cndmask_b32_e64 v6, 0x7fc0, v5, s1
.LBB837_8:
	s_or_b32 exec_lo, exec_lo, s3
	global_store_b16 v[0:1], v6, off
.LBB837_9:
	s_or_b32 exec_lo, exec_lo, s2
	v_cmp_ne_u32_e64 s1, 1, v8
	s_delay_alu instid0(VALU_DEP_1)
	s_and_b32 exec_lo, exec_lo, s1
	s_cbranch_execz .LBB837_12
; %bb.10:
	s_and_b32 exec_lo, exec_lo, vcc_lo
	s_cbranch_execz .LBB837_12
; %bb.11:
	s_waitcnt lgkmcnt(0)
	v_add_f32_e32 v2, v2, v3
	s_lshl_b64 s[2:3], s[6:7], 1
	s_delay_alu instid0(VALU_DEP_1) | instskip(NEXT) | instid1(VALU_DEP_1)
	v_fma_f32 v2, -v2, v9, v12
	v_bfe_u32 v3, v2, 16, 1
	v_cmp_o_f32_e32 vcc_lo, v2, v2
	s_delay_alu instid0(VALU_DEP_2) | instskip(NEXT) | instid1(VALU_DEP_1)
	v_add3_u32 v3, v2, v3, 0x7fff
	v_lshrrev_b32_e32 v3, 16, v3
	s_delay_alu instid0(VALU_DEP_1) | instskip(SKIP_2) | instid1(VALU_DEP_3)
	v_cndmask_b32_e32 v2, 0x7fc0, v3, vcc_lo
	v_add_co_u32 v0, vcc_lo, v0, s2
	v_add_co_ci_u32_e32 v1, vcc_lo, s3, v1, vcc_lo
	v_cndmask_b32_e64 v2, v2, 0, s0
	global_store_b16 v[0:1], v2, off
.LBB837_12:
	s_nop 0
	s_sendmsg sendmsg(MSG_DEALLOC_VGPRS)
	s_endpgm
	.section	.rodata,"a",@progbits
	.p2align	6, 0x0
	.amdhsa_kernel _ZN12_GLOBAL__N_121softmax_warp_backwardIN3c108BFloat16ES2_fLi1ELb0ELb1ELi32EEEvPT0_PKT_S7_iiiPKb
		.amdhsa_group_segment_fixed_size 0
		.amdhsa_private_segment_fixed_size 0
		.amdhsa_kernarg_size 304
		.amdhsa_user_sgpr_count 15
		.amdhsa_user_sgpr_dispatch_ptr 0
		.amdhsa_user_sgpr_queue_ptr 0
		.amdhsa_user_sgpr_kernarg_segment_ptr 1
		.amdhsa_user_sgpr_dispatch_id 0
		.amdhsa_user_sgpr_private_segment_size 0
		.amdhsa_wavefront_size32 1
		.amdhsa_uses_dynamic_stack 0
		.amdhsa_enable_private_segment 0
		.amdhsa_system_sgpr_workgroup_id_x 1
		.amdhsa_system_sgpr_workgroup_id_y 0
		.amdhsa_system_sgpr_workgroup_id_z 0
		.amdhsa_system_sgpr_workgroup_info 0
		.amdhsa_system_vgpr_workitem_id 1
		.amdhsa_next_free_vgpr 13
		.amdhsa_next_free_sgpr 16
		.amdhsa_reserve_vcc 1
		.amdhsa_float_round_mode_32 0
		.amdhsa_float_round_mode_16_64 0
		.amdhsa_float_denorm_mode_32 3
		.amdhsa_float_denorm_mode_16_64 3
		.amdhsa_dx10_clamp 1
		.amdhsa_ieee_mode 1
		.amdhsa_fp16_overflow 0
		.amdhsa_workgroup_processor_mode 1
		.amdhsa_memory_ordered 1
		.amdhsa_forward_progress 0
		.amdhsa_shared_vgpr_count 0
		.amdhsa_exception_fp_ieee_invalid_op 0
		.amdhsa_exception_fp_denorm_src 0
		.amdhsa_exception_fp_ieee_div_zero 0
		.amdhsa_exception_fp_ieee_overflow 0
		.amdhsa_exception_fp_ieee_underflow 0
		.amdhsa_exception_fp_ieee_inexact 0
		.amdhsa_exception_int_div_zero 0
	.end_amdhsa_kernel
	.section	.text._ZN12_GLOBAL__N_121softmax_warp_backwardIN3c108BFloat16ES2_fLi1ELb0ELb1ELi32EEEvPT0_PKT_S7_iiiPKb,"axG",@progbits,_ZN12_GLOBAL__N_121softmax_warp_backwardIN3c108BFloat16ES2_fLi1ELb0ELb1ELi32EEEvPT0_PKT_S7_iiiPKb,comdat
.Lfunc_end837:
	.size	_ZN12_GLOBAL__N_121softmax_warp_backwardIN3c108BFloat16ES2_fLi1ELb0ELb1ELi32EEEvPT0_PKT_S7_iiiPKb, .Lfunc_end837-_ZN12_GLOBAL__N_121softmax_warp_backwardIN3c108BFloat16ES2_fLi1ELb0ELb1ELi32EEEvPT0_PKT_S7_iiiPKb
                                        ; -- End function
	.section	.AMDGPU.csdata,"",@progbits
; Kernel info:
; codeLenInByte = 820
; NumSgprs: 18
; NumVgprs: 13
; ScratchSize: 0
; MemoryBound: 0
; FloatMode: 240
; IeeeMode: 1
; LDSByteSize: 0 bytes/workgroup (compile time only)
; SGPRBlocks: 2
; VGPRBlocks: 1
; NumSGPRsForWavesPerEU: 18
; NumVGPRsForWavesPerEU: 13
; Occupancy: 16
; WaveLimiterHint : 0
; COMPUTE_PGM_RSRC2:SCRATCH_EN: 0
; COMPUTE_PGM_RSRC2:USER_SGPR: 15
; COMPUTE_PGM_RSRC2:TRAP_HANDLER: 0
; COMPUTE_PGM_RSRC2:TGID_X_EN: 1
; COMPUTE_PGM_RSRC2:TGID_Y_EN: 0
; COMPUTE_PGM_RSRC2:TGID_Z_EN: 0
; COMPUTE_PGM_RSRC2:TIDIG_COMP_CNT: 1
	.section	.text._ZN12_GLOBAL__N_121softmax_warp_backwardIN3c108BFloat16ES2_fLi2ELb0ELb1ELi64EEEvPT0_PKT_S7_iiiPKb,"axG",@progbits,_ZN12_GLOBAL__N_121softmax_warp_backwardIN3c108BFloat16ES2_fLi2ELb0ELb1ELi64EEEvPT0_PKT_S7_iiiPKb,comdat
	.globl	_ZN12_GLOBAL__N_121softmax_warp_backwardIN3c108BFloat16ES2_fLi2ELb0ELb1ELi64EEEvPT0_PKT_S7_iiiPKb ; -- Begin function _ZN12_GLOBAL__N_121softmax_warp_backwardIN3c108BFloat16ES2_fLi2ELb0ELb1ELi64EEEvPT0_PKT_S7_iiiPKb
	.p2align	8
	.type	_ZN12_GLOBAL__N_121softmax_warp_backwardIN3c108BFloat16ES2_fLi2ELb0ELb1ELi64EEEvPT0_PKT_S7_iiiPKb,@function
_ZN12_GLOBAL__N_121softmax_warp_backwardIN3c108BFloat16ES2_fLi2ELb0ELb1ELi64EEEvPT0_PKT_S7_iiiPKb: ; @_ZN12_GLOBAL__N_121softmax_warp_backwardIN3c108BFloat16ES2_fLi2ELb0ELb1ELi64EEEvPT0_PKT_S7_iiiPKb
; %bb.0:
	s_clause 0x1
	s_load_b32 s2, s[0:1], 0x3c
	s_load_b128 s[4:7], s[0:1], 0x18
	v_bfe_u32 v1, v0, 10, 10
	v_dual_mov_b32 v9, 0 :: v_dual_and_b32 v4, 3, v0
	s_clause 0x1
	s_load_b128 s[8:11], s[0:1], 0x0
	s_load_b64 s[12:13], s[0:1], 0x10
	v_dual_mov_b32 v10, 0 :: v_dual_mov_b32 v11, 0
	s_waitcnt lgkmcnt(0)
	s_lshr_b32 s2, s2, 16
	v_cmp_gt_i32_e32 vcc_lo, s6, v4
	s_mul_i32 s15, s15, s2
	s_delay_alu instid0(SALU_CYCLE_1) | instskip(NEXT) | instid1(VALU_DEP_1)
	v_add_lshl_u32 v0, s15, v1, 1
	v_mad_u64_u32 v[2:3], null, v0, s5, v[4:5]
	v_sub_nc_u32_e32 v8, s4, v0
	s_delay_alu instid0(VALU_DEP_1) | instskip(NEXT) | instid1(VALU_DEP_3)
	v_cmp_lt_i32_e64 s2, 0, v8
	v_ashrrev_i32_e32 v3, 31, v2
	s_delay_alu instid0(VALU_DEP_2) | instskip(NEXT) | instid1(VALU_DEP_1)
	s_and_b32 s4, vcc_lo, s2
	v_lshlrev_b64 v[0:1], 1, v[2:3]
	s_delay_alu instid0(VALU_DEP_1) | instskip(NEXT) | instid1(VALU_DEP_1)
	v_add_co_u32 v4, s3, s10, v0
	v_add_co_ci_u32_e64 v5, s3, s11, v1, s3
	v_add_co_u32 v6, s3, s12, v0
	s_delay_alu instid0(VALU_DEP_1)
	v_add_co_ci_u32_e64 v7, s3, s13, v1, s3
	s_and_saveexec_b32 s3, s4
	s_cbranch_execz .LBB838_2
; %bb.1:
	global_load_u16 v10, v[6:7], off
	global_load_u16 v11, v[4:5], off
	s_waitcnt vmcnt(1)
	v_lshlrev_b32_e32 v10, 16, v10
	s_waitcnt vmcnt(0)
	v_lshlrev_b32_e32 v11, 16, v11
.LBB838_2:
	s_or_b32 exec_lo, exec_lo, s3
	v_cmp_lt_i32_e64 s3, 1, v8
	v_mov_b32_e32 v12, 0
	s_mov_b32 s7, 0
	s_delay_alu instid0(VALU_DEP_2) | instskip(NEXT) | instid1(SALU_CYCLE_1)
	s_and_b32 s3, vcc_lo, s3
	s_and_saveexec_b32 s4, s3
	s_cbranch_execz .LBB838_4
; %bb.3:
	s_lshl_b64 s[10:11], s[6:7], 1
	s_delay_alu instid0(SALU_CYCLE_1) | instskip(NEXT) | instid1(VALU_DEP_1)
	v_add_co_u32 v6, s3, v6, s10
	v_add_co_ci_u32_e64 v7, s3, s11, v7, s3
	v_add_co_u32 v4, s3, v4, s10
	s_delay_alu instid0(VALU_DEP_1)
	v_add_co_ci_u32_e64 v5, s3, s11, v5, s3
	global_load_u16 v6, v[6:7], off
	global_load_u16 v4, v[4:5], off
	s_waitcnt vmcnt(1)
	v_lshlrev_b32_e32 v9, 16, v6
	s_waitcnt vmcnt(0)
	v_lshlrev_b32_e32 v12, 16, v4
.LBB838_4:
	s_or_b32 exec_lo, exec_lo, s4
	s_load_b64 s[0:1], s[0:1], 0x28
	v_add_f32_e32 v7, 0, v11
	s_waitcnt lgkmcnt(0)
	v_add_co_u32 v2, s0, s0, v2
	s_delay_alu instid0(VALU_DEP_1) | instskip(SKIP_1) | instid1(VALU_DEP_2)
	v_add_co_ci_u32_e64 v3, s0, s1, v3, s0
	s_ashr_i32 s1, s6, 31
	v_add_co_u32 v4, s0, v2, s6
	s_delay_alu instid0(VALU_DEP_1) | instskip(SKIP_4) | instid1(VALU_DEP_1)
	v_add_co_ci_u32_e64 v5, s0, s1, v3, s0
	s_clause 0x1
	global_load_u8 v2, v[2:3], off
	global_load_u8 v3, v[4:5], off
	v_mbcnt_lo_u32_b32 v4, -1, 0
	v_xor_b32_e32 v6, 2, v4
	s_waitcnt vmcnt(1)
	v_and_b32_e32 v2, 1, v2
	s_waitcnt vmcnt(0)
	v_and_b32_e32 v3, 1, v3
	s_delay_alu instid0(VALU_DEP_2) | instskip(NEXT) | instid1(VALU_DEP_1)
	v_cmp_eq_u32_e64 s1, 1, v2
	v_cndmask_b32_e64 v2, v7, 0, s1
	v_and_b32_e32 v5, 28, v4
	s_delay_alu instid0(VALU_DEP_1) | instskip(NEXT) | instid1(VALU_DEP_1)
	v_add_nc_u32_e32 v5, 4, v5
	v_cmp_lt_i32_e64 s0, v6, v5
	s_delay_alu instid0(VALU_DEP_1) | instskip(SKIP_2) | instid1(VALU_DEP_3)
	v_cndmask_b32_e64 v6, v4, v6, s0
	v_add_f32_e32 v13, 0, v12
	v_cmp_eq_u32_e64 s0, 1, v3
	v_lshlrev_b32_e32 v6, 2, v6
	s_delay_alu instid0(VALU_DEP_2) | instskip(SKIP_4) | instid1(VALU_DEP_1)
	v_cndmask_b32_e64 v3, v13, 0, s0
	v_xor_b32_e32 v13, 1, v4
	ds_bpermute_b32 v7, v6, v2
	ds_bpermute_b32 v6, v6, v3
	v_cmp_lt_i32_e64 s3, v13, v5
	v_cndmask_b32_e64 v5, v4, v13, s3
	s_waitcnt lgkmcnt(1)
	s_delay_alu instid0(VALU_DEP_1)
	v_dual_add_f32 v4, v2, v7 :: v_dual_lshlrev_b32 v7, 2, v5
	s_waitcnt lgkmcnt(0)
	v_add_f32_e32 v2, v3, v6
	ds_bpermute_b32 v5, v7, v4
	ds_bpermute_b32 v3, v7, v2
	s_and_saveexec_b32 s3, s2
	s_cbranch_execz .LBB838_12
; %bb.5:
	v_add_co_u32 v0, s2, s8, v0
	s_delay_alu instid0(VALU_DEP_1)
	v_add_co_ci_u32_e64 v1, s2, s9, v1, s2
	s_and_saveexec_b32 s2, vcc_lo
	s_cbranch_execz .LBB838_9
; %bb.6:
	v_mov_b32_e32 v6, 0
	s_xor_b32 s1, s1, -1
	s_delay_alu instid0(SALU_CYCLE_1)
	s_and_saveexec_b32 s3, s1
	s_cbranch_execz .LBB838_8
; %bb.7:
	s_waitcnt lgkmcnt(1)
	v_add_f32_e32 v4, v4, v5
	s_delay_alu instid0(VALU_DEP_1) | instskip(NEXT) | instid1(VALU_DEP_1)
	v_fma_f32 v4, -v4, v10, v11
	v_bfe_u32 v5, v4, 16, 1
	v_cmp_o_f32_e64 s1, v4, v4
	s_delay_alu instid0(VALU_DEP_2) | instskip(NEXT) | instid1(VALU_DEP_1)
	v_add3_u32 v5, v4, v5, 0x7fff
	v_lshrrev_b32_e32 v5, 16, v5
	s_delay_alu instid0(VALU_DEP_1)
	v_cndmask_b32_e64 v6, 0x7fc0, v5, s1
.LBB838_8:
	s_or_b32 exec_lo, exec_lo, s3
	global_store_b16 v[0:1], v6, off
.LBB838_9:
	s_or_b32 exec_lo, exec_lo, s2
	v_cmp_ne_u32_e64 s1, 1, v8
	s_delay_alu instid0(VALU_DEP_1)
	s_and_b32 exec_lo, exec_lo, s1
	s_cbranch_execz .LBB838_12
; %bb.10:
	s_and_b32 exec_lo, exec_lo, vcc_lo
	s_cbranch_execz .LBB838_12
; %bb.11:
	s_waitcnt lgkmcnt(0)
	v_add_f32_e32 v2, v2, v3
	s_lshl_b64 s[2:3], s[6:7], 1
	s_delay_alu instid0(VALU_DEP_1) | instskip(NEXT) | instid1(VALU_DEP_1)
	v_fma_f32 v2, -v2, v9, v12
	v_bfe_u32 v3, v2, 16, 1
	v_cmp_o_f32_e32 vcc_lo, v2, v2
	s_delay_alu instid0(VALU_DEP_2) | instskip(NEXT) | instid1(VALU_DEP_1)
	v_add3_u32 v3, v2, v3, 0x7fff
	v_lshrrev_b32_e32 v3, 16, v3
	s_delay_alu instid0(VALU_DEP_1) | instskip(SKIP_2) | instid1(VALU_DEP_3)
	v_cndmask_b32_e32 v2, 0x7fc0, v3, vcc_lo
	v_add_co_u32 v0, vcc_lo, v0, s2
	v_add_co_ci_u32_e32 v1, vcc_lo, s3, v1, vcc_lo
	v_cndmask_b32_e64 v2, v2, 0, s0
	global_store_b16 v[0:1], v2, off
.LBB838_12:
	s_nop 0
	s_sendmsg sendmsg(MSG_DEALLOC_VGPRS)
	s_endpgm
	.section	.rodata,"a",@progbits
	.p2align	6, 0x0
	.amdhsa_kernel _ZN12_GLOBAL__N_121softmax_warp_backwardIN3c108BFloat16ES2_fLi2ELb0ELb1ELi64EEEvPT0_PKT_S7_iiiPKb
		.amdhsa_group_segment_fixed_size 0
		.amdhsa_private_segment_fixed_size 0
		.amdhsa_kernarg_size 304
		.amdhsa_user_sgpr_count 15
		.amdhsa_user_sgpr_dispatch_ptr 0
		.amdhsa_user_sgpr_queue_ptr 0
		.amdhsa_user_sgpr_kernarg_segment_ptr 1
		.amdhsa_user_sgpr_dispatch_id 0
		.amdhsa_user_sgpr_private_segment_size 0
		.amdhsa_wavefront_size32 1
		.amdhsa_uses_dynamic_stack 0
		.amdhsa_enable_private_segment 0
		.amdhsa_system_sgpr_workgroup_id_x 1
		.amdhsa_system_sgpr_workgroup_id_y 0
		.amdhsa_system_sgpr_workgroup_id_z 0
		.amdhsa_system_sgpr_workgroup_info 0
		.amdhsa_system_vgpr_workitem_id 1
		.amdhsa_next_free_vgpr 14
		.amdhsa_next_free_sgpr 16
		.amdhsa_reserve_vcc 1
		.amdhsa_float_round_mode_32 0
		.amdhsa_float_round_mode_16_64 0
		.amdhsa_float_denorm_mode_32 3
		.amdhsa_float_denorm_mode_16_64 3
		.amdhsa_dx10_clamp 1
		.amdhsa_ieee_mode 1
		.amdhsa_fp16_overflow 0
		.amdhsa_workgroup_processor_mode 1
		.amdhsa_memory_ordered 1
		.amdhsa_forward_progress 0
		.amdhsa_shared_vgpr_count 0
		.amdhsa_exception_fp_ieee_invalid_op 0
		.amdhsa_exception_fp_denorm_src 0
		.amdhsa_exception_fp_ieee_div_zero 0
		.amdhsa_exception_fp_ieee_overflow 0
		.amdhsa_exception_fp_ieee_underflow 0
		.amdhsa_exception_fp_ieee_inexact 0
		.amdhsa_exception_int_div_zero 0
	.end_amdhsa_kernel
	.section	.text._ZN12_GLOBAL__N_121softmax_warp_backwardIN3c108BFloat16ES2_fLi2ELb0ELb1ELi64EEEvPT0_PKT_S7_iiiPKb,"axG",@progbits,_ZN12_GLOBAL__N_121softmax_warp_backwardIN3c108BFloat16ES2_fLi2ELb0ELb1ELi64EEEvPT0_PKT_S7_iiiPKb,comdat
.Lfunc_end838:
	.size	_ZN12_GLOBAL__N_121softmax_warp_backwardIN3c108BFloat16ES2_fLi2ELb0ELb1ELi64EEEvPT0_PKT_S7_iiiPKb, .Lfunc_end838-_ZN12_GLOBAL__N_121softmax_warp_backwardIN3c108BFloat16ES2_fLi2ELb0ELb1ELi64EEEvPT0_PKT_S7_iiiPKb
                                        ; -- End function
	.section	.AMDGPU.csdata,"",@progbits
; Kernel info:
; codeLenInByte = 876
; NumSgprs: 18
; NumVgprs: 14
; ScratchSize: 0
; MemoryBound: 0
; FloatMode: 240
; IeeeMode: 1
; LDSByteSize: 0 bytes/workgroup (compile time only)
; SGPRBlocks: 2
; VGPRBlocks: 1
; NumSGPRsForWavesPerEU: 18
; NumVGPRsForWavesPerEU: 14
; Occupancy: 16
; WaveLimiterHint : 0
; COMPUTE_PGM_RSRC2:SCRATCH_EN: 0
; COMPUTE_PGM_RSRC2:USER_SGPR: 15
; COMPUTE_PGM_RSRC2:TRAP_HANDLER: 0
; COMPUTE_PGM_RSRC2:TGID_X_EN: 1
; COMPUTE_PGM_RSRC2:TGID_Y_EN: 0
; COMPUTE_PGM_RSRC2:TGID_Z_EN: 0
; COMPUTE_PGM_RSRC2:TIDIG_COMP_CNT: 1
	.section	.text._ZN12_GLOBAL__N_121softmax_warp_backwardIN3c108BFloat16ES2_fLi2ELb0ELb1ELi32EEEvPT0_PKT_S7_iiiPKb,"axG",@progbits,_ZN12_GLOBAL__N_121softmax_warp_backwardIN3c108BFloat16ES2_fLi2ELb0ELb1ELi32EEEvPT0_PKT_S7_iiiPKb,comdat
	.globl	_ZN12_GLOBAL__N_121softmax_warp_backwardIN3c108BFloat16ES2_fLi2ELb0ELb1ELi32EEEvPT0_PKT_S7_iiiPKb ; -- Begin function _ZN12_GLOBAL__N_121softmax_warp_backwardIN3c108BFloat16ES2_fLi2ELb0ELb1ELi32EEEvPT0_PKT_S7_iiiPKb
	.p2align	8
	.type	_ZN12_GLOBAL__N_121softmax_warp_backwardIN3c108BFloat16ES2_fLi2ELb0ELb1ELi32EEEvPT0_PKT_S7_iiiPKb,@function
_ZN12_GLOBAL__N_121softmax_warp_backwardIN3c108BFloat16ES2_fLi2ELb0ELb1ELi32EEEvPT0_PKT_S7_iiiPKb: ; @_ZN12_GLOBAL__N_121softmax_warp_backwardIN3c108BFloat16ES2_fLi2ELb0ELb1ELi32EEEvPT0_PKT_S7_iiiPKb
; %bb.0:
	s_clause 0x1
	s_load_b32 s2, s[0:1], 0x3c
	s_load_b128 s[4:7], s[0:1], 0x18
	v_bfe_u32 v1, v0, 10, 10
	v_dual_mov_b32 v9, 0 :: v_dual_and_b32 v4, 3, v0
	s_clause 0x1
	s_load_b128 s[8:11], s[0:1], 0x0
	s_load_b64 s[12:13], s[0:1], 0x10
	v_dual_mov_b32 v10, 0 :: v_dual_mov_b32 v11, 0
	s_waitcnt lgkmcnt(0)
	s_lshr_b32 s2, s2, 16
	v_cmp_gt_i32_e32 vcc_lo, s6, v4
	s_mul_i32 s15, s15, s2
	s_delay_alu instid0(SALU_CYCLE_1) | instskip(NEXT) | instid1(VALU_DEP_1)
	v_add_lshl_u32 v0, s15, v1, 1
	v_mad_u64_u32 v[2:3], null, v0, s5, v[4:5]
	v_sub_nc_u32_e32 v8, s4, v0
	s_delay_alu instid0(VALU_DEP_1) | instskip(NEXT) | instid1(VALU_DEP_3)
	v_cmp_lt_i32_e64 s2, 0, v8
	v_ashrrev_i32_e32 v3, 31, v2
	s_delay_alu instid0(VALU_DEP_2) | instskip(NEXT) | instid1(VALU_DEP_1)
	s_and_b32 s4, vcc_lo, s2
	v_lshlrev_b64 v[0:1], 1, v[2:3]
	s_delay_alu instid0(VALU_DEP_1) | instskip(NEXT) | instid1(VALU_DEP_1)
	v_add_co_u32 v4, s3, s10, v0
	v_add_co_ci_u32_e64 v5, s3, s11, v1, s3
	v_add_co_u32 v6, s3, s12, v0
	s_delay_alu instid0(VALU_DEP_1)
	v_add_co_ci_u32_e64 v7, s3, s13, v1, s3
	s_and_saveexec_b32 s3, s4
	s_cbranch_execz .LBB839_2
; %bb.1:
	global_load_u16 v10, v[6:7], off
	global_load_u16 v11, v[4:5], off
	s_waitcnt vmcnt(1)
	v_lshlrev_b32_e32 v10, 16, v10
	s_waitcnt vmcnt(0)
	v_lshlrev_b32_e32 v11, 16, v11
.LBB839_2:
	s_or_b32 exec_lo, exec_lo, s3
	v_cmp_lt_i32_e64 s3, 1, v8
	v_mov_b32_e32 v12, 0
	s_mov_b32 s7, 0
	s_delay_alu instid0(VALU_DEP_2) | instskip(NEXT) | instid1(SALU_CYCLE_1)
	s_and_b32 s3, vcc_lo, s3
	s_and_saveexec_b32 s4, s3
	s_cbranch_execz .LBB839_4
; %bb.3:
	s_lshl_b64 s[10:11], s[6:7], 1
	s_delay_alu instid0(SALU_CYCLE_1) | instskip(NEXT) | instid1(VALU_DEP_1)
	v_add_co_u32 v6, s3, v6, s10
	v_add_co_ci_u32_e64 v7, s3, s11, v7, s3
	v_add_co_u32 v4, s3, v4, s10
	s_delay_alu instid0(VALU_DEP_1)
	v_add_co_ci_u32_e64 v5, s3, s11, v5, s3
	global_load_u16 v6, v[6:7], off
	global_load_u16 v4, v[4:5], off
	s_waitcnt vmcnt(1)
	v_lshlrev_b32_e32 v9, 16, v6
	s_waitcnt vmcnt(0)
	v_lshlrev_b32_e32 v12, 16, v4
.LBB839_4:
	s_or_b32 exec_lo, exec_lo, s4
	s_load_b64 s[0:1], s[0:1], 0x28
	v_add_f32_e32 v7, 0, v11
	s_waitcnt lgkmcnt(0)
	v_add_co_u32 v2, s0, s0, v2
	s_delay_alu instid0(VALU_DEP_1) | instskip(SKIP_1) | instid1(VALU_DEP_2)
	v_add_co_ci_u32_e64 v3, s0, s1, v3, s0
	s_ashr_i32 s1, s6, 31
	v_add_co_u32 v4, s0, v2, s6
	s_delay_alu instid0(VALU_DEP_1) | instskip(SKIP_4) | instid1(VALU_DEP_1)
	v_add_co_ci_u32_e64 v5, s0, s1, v3, s0
	s_clause 0x1
	global_load_u8 v2, v[2:3], off
	global_load_u8 v3, v[4:5], off
	v_mbcnt_lo_u32_b32 v4, -1, 0
	v_xor_b32_e32 v6, 2, v4
	s_waitcnt vmcnt(1)
	v_and_b32_e32 v2, 1, v2
	s_waitcnt vmcnt(0)
	v_and_b32_e32 v3, 1, v3
	s_delay_alu instid0(VALU_DEP_2) | instskip(NEXT) | instid1(VALU_DEP_1)
	v_cmp_eq_u32_e64 s1, 1, v2
	v_cndmask_b32_e64 v2, v7, 0, s1
	v_and_b32_e32 v5, 28, v4
	s_delay_alu instid0(VALU_DEP_1) | instskip(NEXT) | instid1(VALU_DEP_1)
	v_add_nc_u32_e32 v5, 4, v5
	v_cmp_lt_i32_e64 s0, v6, v5
	s_delay_alu instid0(VALU_DEP_1) | instskip(SKIP_2) | instid1(VALU_DEP_3)
	v_cndmask_b32_e64 v6, v4, v6, s0
	v_add_f32_e32 v13, 0, v12
	v_cmp_eq_u32_e64 s0, 1, v3
	v_lshlrev_b32_e32 v6, 2, v6
	s_delay_alu instid0(VALU_DEP_2) | instskip(SKIP_4) | instid1(VALU_DEP_1)
	v_cndmask_b32_e64 v3, v13, 0, s0
	v_xor_b32_e32 v13, 1, v4
	ds_bpermute_b32 v7, v6, v2
	ds_bpermute_b32 v6, v6, v3
	v_cmp_lt_i32_e64 s3, v13, v5
	v_cndmask_b32_e64 v5, v4, v13, s3
	s_waitcnt lgkmcnt(1)
	s_delay_alu instid0(VALU_DEP_1)
	v_dual_add_f32 v4, v2, v7 :: v_dual_lshlrev_b32 v7, 2, v5
	s_waitcnt lgkmcnt(0)
	v_add_f32_e32 v2, v3, v6
	ds_bpermute_b32 v5, v7, v4
	ds_bpermute_b32 v3, v7, v2
	s_and_saveexec_b32 s3, s2
	s_cbranch_execz .LBB839_12
; %bb.5:
	v_add_co_u32 v0, s2, s8, v0
	s_delay_alu instid0(VALU_DEP_1)
	v_add_co_ci_u32_e64 v1, s2, s9, v1, s2
	s_and_saveexec_b32 s2, vcc_lo
	s_cbranch_execz .LBB839_9
; %bb.6:
	v_mov_b32_e32 v6, 0
	s_xor_b32 s1, s1, -1
	s_delay_alu instid0(SALU_CYCLE_1)
	s_and_saveexec_b32 s3, s1
	s_cbranch_execz .LBB839_8
; %bb.7:
	s_waitcnt lgkmcnt(1)
	v_add_f32_e32 v4, v4, v5
	s_delay_alu instid0(VALU_DEP_1) | instskip(NEXT) | instid1(VALU_DEP_1)
	v_fma_f32 v4, -v4, v10, v11
	v_bfe_u32 v5, v4, 16, 1
	v_cmp_o_f32_e64 s1, v4, v4
	s_delay_alu instid0(VALU_DEP_2) | instskip(NEXT) | instid1(VALU_DEP_1)
	v_add3_u32 v5, v4, v5, 0x7fff
	v_lshrrev_b32_e32 v5, 16, v5
	s_delay_alu instid0(VALU_DEP_1)
	v_cndmask_b32_e64 v6, 0x7fc0, v5, s1
.LBB839_8:
	s_or_b32 exec_lo, exec_lo, s3
	global_store_b16 v[0:1], v6, off
.LBB839_9:
	s_or_b32 exec_lo, exec_lo, s2
	v_cmp_ne_u32_e64 s1, 1, v8
	s_delay_alu instid0(VALU_DEP_1)
	s_and_b32 exec_lo, exec_lo, s1
	s_cbranch_execz .LBB839_12
; %bb.10:
	s_and_b32 exec_lo, exec_lo, vcc_lo
	s_cbranch_execz .LBB839_12
; %bb.11:
	s_waitcnt lgkmcnt(0)
	v_add_f32_e32 v2, v2, v3
	s_lshl_b64 s[2:3], s[6:7], 1
	s_delay_alu instid0(VALU_DEP_1) | instskip(NEXT) | instid1(VALU_DEP_1)
	v_fma_f32 v2, -v2, v9, v12
	v_bfe_u32 v3, v2, 16, 1
	v_cmp_o_f32_e32 vcc_lo, v2, v2
	s_delay_alu instid0(VALU_DEP_2) | instskip(NEXT) | instid1(VALU_DEP_1)
	v_add3_u32 v3, v2, v3, 0x7fff
	v_lshrrev_b32_e32 v3, 16, v3
	s_delay_alu instid0(VALU_DEP_1) | instskip(SKIP_2) | instid1(VALU_DEP_3)
	v_cndmask_b32_e32 v2, 0x7fc0, v3, vcc_lo
	v_add_co_u32 v0, vcc_lo, v0, s2
	v_add_co_ci_u32_e32 v1, vcc_lo, s3, v1, vcc_lo
	v_cndmask_b32_e64 v2, v2, 0, s0
	global_store_b16 v[0:1], v2, off
.LBB839_12:
	s_nop 0
	s_sendmsg sendmsg(MSG_DEALLOC_VGPRS)
	s_endpgm
	.section	.rodata,"a",@progbits
	.p2align	6, 0x0
	.amdhsa_kernel _ZN12_GLOBAL__N_121softmax_warp_backwardIN3c108BFloat16ES2_fLi2ELb0ELb1ELi32EEEvPT0_PKT_S7_iiiPKb
		.amdhsa_group_segment_fixed_size 0
		.amdhsa_private_segment_fixed_size 0
		.amdhsa_kernarg_size 304
		.amdhsa_user_sgpr_count 15
		.amdhsa_user_sgpr_dispatch_ptr 0
		.amdhsa_user_sgpr_queue_ptr 0
		.amdhsa_user_sgpr_kernarg_segment_ptr 1
		.amdhsa_user_sgpr_dispatch_id 0
		.amdhsa_user_sgpr_private_segment_size 0
		.amdhsa_wavefront_size32 1
		.amdhsa_uses_dynamic_stack 0
		.amdhsa_enable_private_segment 0
		.amdhsa_system_sgpr_workgroup_id_x 1
		.amdhsa_system_sgpr_workgroup_id_y 0
		.amdhsa_system_sgpr_workgroup_id_z 0
		.amdhsa_system_sgpr_workgroup_info 0
		.amdhsa_system_vgpr_workitem_id 1
		.amdhsa_next_free_vgpr 14
		.amdhsa_next_free_sgpr 16
		.amdhsa_reserve_vcc 1
		.amdhsa_float_round_mode_32 0
		.amdhsa_float_round_mode_16_64 0
		.amdhsa_float_denorm_mode_32 3
		.amdhsa_float_denorm_mode_16_64 3
		.amdhsa_dx10_clamp 1
		.amdhsa_ieee_mode 1
		.amdhsa_fp16_overflow 0
		.amdhsa_workgroup_processor_mode 1
		.amdhsa_memory_ordered 1
		.amdhsa_forward_progress 0
		.amdhsa_shared_vgpr_count 0
		.amdhsa_exception_fp_ieee_invalid_op 0
		.amdhsa_exception_fp_denorm_src 0
		.amdhsa_exception_fp_ieee_div_zero 0
		.amdhsa_exception_fp_ieee_overflow 0
		.amdhsa_exception_fp_ieee_underflow 0
		.amdhsa_exception_fp_ieee_inexact 0
		.amdhsa_exception_int_div_zero 0
	.end_amdhsa_kernel
	.section	.text._ZN12_GLOBAL__N_121softmax_warp_backwardIN3c108BFloat16ES2_fLi2ELb0ELb1ELi32EEEvPT0_PKT_S7_iiiPKb,"axG",@progbits,_ZN12_GLOBAL__N_121softmax_warp_backwardIN3c108BFloat16ES2_fLi2ELb0ELb1ELi32EEEvPT0_PKT_S7_iiiPKb,comdat
.Lfunc_end839:
	.size	_ZN12_GLOBAL__N_121softmax_warp_backwardIN3c108BFloat16ES2_fLi2ELb0ELb1ELi32EEEvPT0_PKT_S7_iiiPKb, .Lfunc_end839-_ZN12_GLOBAL__N_121softmax_warp_backwardIN3c108BFloat16ES2_fLi2ELb0ELb1ELi32EEEvPT0_PKT_S7_iiiPKb
                                        ; -- End function
	.section	.AMDGPU.csdata,"",@progbits
; Kernel info:
; codeLenInByte = 876
; NumSgprs: 18
; NumVgprs: 14
; ScratchSize: 0
; MemoryBound: 0
; FloatMode: 240
; IeeeMode: 1
; LDSByteSize: 0 bytes/workgroup (compile time only)
; SGPRBlocks: 2
; VGPRBlocks: 1
; NumSGPRsForWavesPerEU: 18
; NumVGPRsForWavesPerEU: 14
; Occupancy: 16
; WaveLimiterHint : 0
; COMPUTE_PGM_RSRC2:SCRATCH_EN: 0
; COMPUTE_PGM_RSRC2:USER_SGPR: 15
; COMPUTE_PGM_RSRC2:TRAP_HANDLER: 0
; COMPUTE_PGM_RSRC2:TGID_X_EN: 1
; COMPUTE_PGM_RSRC2:TGID_Y_EN: 0
; COMPUTE_PGM_RSRC2:TGID_Z_EN: 0
; COMPUTE_PGM_RSRC2:TIDIG_COMP_CNT: 1
	.section	.text._ZN12_GLOBAL__N_121softmax_warp_backwardIN3c108BFloat16ES2_fLi3ELb0ELb1ELi64EEEvPT0_PKT_S7_iiiPKb,"axG",@progbits,_ZN12_GLOBAL__N_121softmax_warp_backwardIN3c108BFloat16ES2_fLi3ELb0ELb1ELi64EEEvPT0_PKT_S7_iiiPKb,comdat
	.globl	_ZN12_GLOBAL__N_121softmax_warp_backwardIN3c108BFloat16ES2_fLi3ELb0ELb1ELi64EEEvPT0_PKT_S7_iiiPKb ; -- Begin function _ZN12_GLOBAL__N_121softmax_warp_backwardIN3c108BFloat16ES2_fLi3ELb0ELb1ELi64EEEvPT0_PKT_S7_iiiPKb
	.p2align	8
	.type	_ZN12_GLOBAL__N_121softmax_warp_backwardIN3c108BFloat16ES2_fLi3ELb0ELb1ELi64EEEvPT0_PKT_S7_iiiPKb,@function
_ZN12_GLOBAL__N_121softmax_warp_backwardIN3c108BFloat16ES2_fLi3ELb0ELb1ELi64EEEvPT0_PKT_S7_iiiPKb: ; @_ZN12_GLOBAL__N_121softmax_warp_backwardIN3c108BFloat16ES2_fLi3ELb0ELb1ELi64EEEvPT0_PKT_S7_iiiPKb
; %bb.0:
	s_clause 0x1
	s_load_b32 s2, s[0:1], 0x3c
	s_load_b128 s[4:7], s[0:1], 0x18
	v_bfe_u32 v1, v0, 10, 10
	v_dual_mov_b32 v9, 0 :: v_dual_and_b32 v4, 7, v0
	s_clause 0x1
	s_load_b128 s[8:11], s[0:1], 0x0
	s_load_b64 s[12:13], s[0:1], 0x10
	v_dual_mov_b32 v10, 0 :: v_dual_mov_b32 v11, 0
	s_waitcnt lgkmcnt(0)
	s_lshr_b32 s2, s2, 16
	v_cmp_gt_i32_e32 vcc_lo, s6, v4
	s_mul_i32 s15, s15, s2
	s_delay_alu instid0(SALU_CYCLE_1) | instskip(NEXT) | instid1(VALU_DEP_1)
	v_add_lshl_u32 v0, s15, v1, 1
	v_mad_u64_u32 v[2:3], null, v0, s5, v[4:5]
	v_sub_nc_u32_e32 v8, s4, v0
	s_delay_alu instid0(VALU_DEP_1) | instskip(NEXT) | instid1(VALU_DEP_3)
	v_cmp_lt_i32_e64 s2, 0, v8
	v_ashrrev_i32_e32 v3, 31, v2
	s_delay_alu instid0(VALU_DEP_2) | instskip(NEXT) | instid1(VALU_DEP_1)
	s_and_b32 s4, vcc_lo, s2
	v_lshlrev_b64 v[0:1], 1, v[2:3]
	s_delay_alu instid0(VALU_DEP_1) | instskip(NEXT) | instid1(VALU_DEP_1)
	v_add_co_u32 v4, s3, s10, v0
	v_add_co_ci_u32_e64 v5, s3, s11, v1, s3
	v_add_co_u32 v6, s3, s12, v0
	s_delay_alu instid0(VALU_DEP_1)
	v_add_co_ci_u32_e64 v7, s3, s13, v1, s3
	s_and_saveexec_b32 s3, s4
	s_cbranch_execz .LBB840_2
; %bb.1:
	global_load_u16 v10, v[6:7], off
	global_load_u16 v11, v[4:5], off
	s_waitcnt vmcnt(1)
	v_lshlrev_b32_e32 v10, 16, v10
	s_waitcnt vmcnt(0)
	v_lshlrev_b32_e32 v11, 16, v11
.LBB840_2:
	s_or_b32 exec_lo, exec_lo, s3
	v_cmp_lt_i32_e64 s3, 1, v8
	v_mov_b32_e32 v12, 0
	s_mov_b32 s7, 0
	s_delay_alu instid0(VALU_DEP_2) | instskip(NEXT) | instid1(SALU_CYCLE_1)
	s_and_b32 s3, vcc_lo, s3
	s_and_saveexec_b32 s4, s3
	s_cbranch_execz .LBB840_4
; %bb.3:
	s_lshl_b64 s[10:11], s[6:7], 1
	s_delay_alu instid0(SALU_CYCLE_1) | instskip(NEXT) | instid1(VALU_DEP_1)
	v_add_co_u32 v6, s3, v6, s10
	v_add_co_ci_u32_e64 v7, s3, s11, v7, s3
	v_add_co_u32 v4, s3, v4, s10
	s_delay_alu instid0(VALU_DEP_1)
	v_add_co_ci_u32_e64 v5, s3, s11, v5, s3
	global_load_u16 v6, v[6:7], off
	global_load_u16 v4, v[4:5], off
	s_waitcnt vmcnt(1)
	v_lshlrev_b32_e32 v9, 16, v6
	s_waitcnt vmcnt(0)
	v_lshlrev_b32_e32 v12, 16, v4
.LBB840_4:
	s_or_b32 exec_lo, exec_lo, s4
	s_load_b64 s[0:1], s[0:1], 0x28
	v_add_f32_e32 v7, 0, v11
	s_waitcnt lgkmcnt(0)
	v_add_co_u32 v2, s0, s0, v2
	s_delay_alu instid0(VALU_DEP_1) | instskip(SKIP_1) | instid1(VALU_DEP_2)
	v_add_co_ci_u32_e64 v3, s0, s1, v3, s0
	s_ashr_i32 s1, s6, 31
	v_add_co_u32 v4, s0, v2, s6
	s_delay_alu instid0(VALU_DEP_1) | instskip(SKIP_4) | instid1(VALU_DEP_1)
	v_add_co_ci_u32_e64 v5, s0, s1, v3, s0
	s_clause 0x1
	global_load_u8 v2, v[2:3], off
	global_load_u8 v3, v[4:5], off
	v_mbcnt_lo_u32_b32 v4, -1, 0
	v_xor_b32_e32 v6, 4, v4
	s_waitcnt vmcnt(1)
	v_and_b32_e32 v2, 1, v2
	s_waitcnt vmcnt(0)
	v_and_b32_e32 v3, 1, v3
	s_delay_alu instid0(VALU_DEP_2) | instskip(NEXT) | instid1(VALU_DEP_1)
	v_cmp_eq_u32_e64 s1, 1, v2
	v_cndmask_b32_e64 v2, v7, 0, s1
	v_and_b32_e32 v5, 24, v4
	s_delay_alu instid0(VALU_DEP_1) | instskip(NEXT) | instid1(VALU_DEP_1)
	v_add_nc_u32_e32 v5, 8, v5
	v_cmp_lt_i32_e64 s0, v6, v5
	s_delay_alu instid0(VALU_DEP_1) | instskip(SKIP_2) | instid1(VALU_DEP_3)
	v_cndmask_b32_e64 v6, v4, v6, s0
	v_add_f32_e32 v13, 0, v12
	v_cmp_eq_u32_e64 s0, 1, v3
	v_lshlrev_b32_e32 v6, 2, v6
	s_delay_alu instid0(VALU_DEP_2) | instskip(SKIP_4) | instid1(VALU_DEP_1)
	v_cndmask_b32_e64 v3, v13, 0, s0
	v_xor_b32_e32 v13, 2, v4
	ds_bpermute_b32 v7, v6, v2
	ds_bpermute_b32 v6, v6, v3
	v_cmp_lt_i32_e64 s3, v13, v5
	v_cndmask_b32_e64 v13, v4, v13, s3
	s_waitcnt lgkmcnt(1)
	s_delay_alu instid0(VALU_DEP_1) | instskip(SKIP_1) | instid1(VALU_DEP_1)
	v_dual_add_f32 v2, v2, v7 :: v_dual_lshlrev_b32 v7, 2, v13
	v_xor_b32_e32 v13, 1, v4
	v_cmp_lt_i32_e64 s3, v13, v5
	s_delay_alu instid0(VALU_DEP_1)
	v_cndmask_b32_e64 v5, v4, v13, s3
	s_waitcnt lgkmcnt(0)
	v_add_f32_e32 v3, v3, v6
	ds_bpermute_b32 v6, v7, v2
	s_waitcnt lgkmcnt(0)
	v_add_f32_e32 v4, v2, v6
	v_lshlrev_b32_e32 v6, 2, v5
	ds_bpermute_b32 v7, v7, v3
	ds_bpermute_b32 v5, v6, v4
	s_waitcnt lgkmcnt(1)
	v_add_f32_e32 v2, v3, v7
	ds_bpermute_b32 v3, v6, v2
	s_and_saveexec_b32 s3, s2
	s_cbranch_execz .LBB840_12
; %bb.5:
	v_add_co_u32 v0, s2, s8, v0
	s_delay_alu instid0(VALU_DEP_1)
	v_add_co_ci_u32_e64 v1, s2, s9, v1, s2
	s_and_saveexec_b32 s2, vcc_lo
	s_cbranch_execz .LBB840_9
; %bb.6:
	v_mov_b32_e32 v6, 0
	s_xor_b32 s1, s1, -1
	s_delay_alu instid0(SALU_CYCLE_1)
	s_and_saveexec_b32 s3, s1
	s_cbranch_execz .LBB840_8
; %bb.7:
	s_waitcnt lgkmcnt(1)
	v_add_f32_e32 v4, v4, v5
	s_delay_alu instid0(VALU_DEP_1) | instskip(NEXT) | instid1(VALU_DEP_1)
	v_fma_f32 v4, -v4, v10, v11
	v_bfe_u32 v5, v4, 16, 1
	v_cmp_o_f32_e64 s1, v4, v4
	s_delay_alu instid0(VALU_DEP_2) | instskip(NEXT) | instid1(VALU_DEP_1)
	v_add3_u32 v5, v4, v5, 0x7fff
	v_lshrrev_b32_e32 v5, 16, v5
	s_delay_alu instid0(VALU_DEP_1)
	v_cndmask_b32_e64 v6, 0x7fc0, v5, s1
.LBB840_8:
	s_or_b32 exec_lo, exec_lo, s3
	global_store_b16 v[0:1], v6, off
.LBB840_9:
	s_or_b32 exec_lo, exec_lo, s2
	v_cmp_ne_u32_e64 s1, 1, v8
	s_delay_alu instid0(VALU_DEP_1)
	s_and_b32 exec_lo, exec_lo, s1
	s_cbranch_execz .LBB840_12
; %bb.10:
	s_and_b32 exec_lo, exec_lo, vcc_lo
	s_cbranch_execz .LBB840_12
; %bb.11:
	s_waitcnt lgkmcnt(0)
	v_add_f32_e32 v2, v2, v3
	s_lshl_b64 s[2:3], s[6:7], 1
	s_delay_alu instid0(VALU_DEP_1) | instskip(NEXT) | instid1(VALU_DEP_1)
	v_fma_f32 v2, -v2, v9, v12
	v_bfe_u32 v3, v2, 16, 1
	v_cmp_o_f32_e32 vcc_lo, v2, v2
	s_delay_alu instid0(VALU_DEP_2) | instskip(NEXT) | instid1(VALU_DEP_1)
	v_add3_u32 v3, v2, v3, 0x7fff
	v_lshrrev_b32_e32 v3, 16, v3
	s_delay_alu instid0(VALU_DEP_1) | instskip(SKIP_2) | instid1(VALU_DEP_3)
	v_cndmask_b32_e32 v2, 0x7fc0, v3, vcc_lo
	v_add_co_u32 v0, vcc_lo, v0, s2
	v_add_co_ci_u32_e32 v1, vcc_lo, s3, v1, vcc_lo
	v_cndmask_b32_e64 v2, v2, 0, s0
	global_store_b16 v[0:1], v2, off
.LBB840_12:
	s_nop 0
	s_sendmsg sendmsg(MSG_DEALLOC_VGPRS)
	s_endpgm
	.section	.rodata,"a",@progbits
	.p2align	6, 0x0
	.amdhsa_kernel _ZN12_GLOBAL__N_121softmax_warp_backwardIN3c108BFloat16ES2_fLi3ELb0ELb1ELi64EEEvPT0_PKT_S7_iiiPKb
		.amdhsa_group_segment_fixed_size 0
		.amdhsa_private_segment_fixed_size 0
		.amdhsa_kernarg_size 304
		.amdhsa_user_sgpr_count 15
		.amdhsa_user_sgpr_dispatch_ptr 0
		.amdhsa_user_sgpr_queue_ptr 0
		.amdhsa_user_sgpr_kernarg_segment_ptr 1
		.amdhsa_user_sgpr_dispatch_id 0
		.amdhsa_user_sgpr_private_segment_size 0
		.amdhsa_wavefront_size32 1
		.amdhsa_uses_dynamic_stack 0
		.amdhsa_enable_private_segment 0
		.amdhsa_system_sgpr_workgroup_id_x 1
		.amdhsa_system_sgpr_workgroup_id_y 0
		.amdhsa_system_sgpr_workgroup_id_z 0
		.amdhsa_system_sgpr_workgroup_info 0
		.amdhsa_system_vgpr_workitem_id 1
		.amdhsa_next_free_vgpr 14
		.amdhsa_next_free_sgpr 16
		.amdhsa_reserve_vcc 1
		.amdhsa_float_round_mode_32 0
		.amdhsa_float_round_mode_16_64 0
		.amdhsa_float_denorm_mode_32 3
		.amdhsa_float_denorm_mode_16_64 3
		.amdhsa_dx10_clamp 1
		.amdhsa_ieee_mode 1
		.amdhsa_fp16_overflow 0
		.amdhsa_workgroup_processor_mode 1
		.amdhsa_memory_ordered 1
		.amdhsa_forward_progress 0
		.amdhsa_shared_vgpr_count 0
		.amdhsa_exception_fp_ieee_invalid_op 0
		.amdhsa_exception_fp_denorm_src 0
		.amdhsa_exception_fp_ieee_div_zero 0
		.amdhsa_exception_fp_ieee_overflow 0
		.amdhsa_exception_fp_ieee_underflow 0
		.amdhsa_exception_fp_ieee_inexact 0
		.amdhsa_exception_int_div_zero 0
	.end_amdhsa_kernel
	.section	.text._ZN12_GLOBAL__N_121softmax_warp_backwardIN3c108BFloat16ES2_fLi3ELb0ELb1ELi64EEEvPT0_PKT_S7_iiiPKb,"axG",@progbits,_ZN12_GLOBAL__N_121softmax_warp_backwardIN3c108BFloat16ES2_fLi3ELb0ELb1ELi64EEEvPT0_PKT_S7_iiiPKb,comdat
.Lfunc_end840:
	.size	_ZN12_GLOBAL__N_121softmax_warp_backwardIN3c108BFloat16ES2_fLi3ELb0ELb1ELi64EEEvPT0_PKT_S7_iiiPKb, .Lfunc_end840-_ZN12_GLOBAL__N_121softmax_warp_backwardIN3c108BFloat16ES2_fLi3ELb0ELb1ELi64EEEvPT0_PKT_S7_iiiPKb
                                        ; -- End function
	.section	.AMDGPU.csdata,"",@progbits
; Kernel info:
; codeLenInByte = 936
; NumSgprs: 18
; NumVgprs: 14
; ScratchSize: 0
; MemoryBound: 0
; FloatMode: 240
; IeeeMode: 1
; LDSByteSize: 0 bytes/workgroup (compile time only)
; SGPRBlocks: 2
; VGPRBlocks: 1
; NumSGPRsForWavesPerEU: 18
; NumVGPRsForWavesPerEU: 14
; Occupancy: 16
; WaveLimiterHint : 0
; COMPUTE_PGM_RSRC2:SCRATCH_EN: 0
; COMPUTE_PGM_RSRC2:USER_SGPR: 15
; COMPUTE_PGM_RSRC2:TRAP_HANDLER: 0
; COMPUTE_PGM_RSRC2:TGID_X_EN: 1
; COMPUTE_PGM_RSRC2:TGID_Y_EN: 0
; COMPUTE_PGM_RSRC2:TGID_Z_EN: 0
; COMPUTE_PGM_RSRC2:TIDIG_COMP_CNT: 1
	.section	.text._ZN12_GLOBAL__N_121softmax_warp_backwardIN3c108BFloat16ES2_fLi3ELb0ELb1ELi32EEEvPT0_PKT_S7_iiiPKb,"axG",@progbits,_ZN12_GLOBAL__N_121softmax_warp_backwardIN3c108BFloat16ES2_fLi3ELb0ELb1ELi32EEEvPT0_PKT_S7_iiiPKb,comdat
	.globl	_ZN12_GLOBAL__N_121softmax_warp_backwardIN3c108BFloat16ES2_fLi3ELb0ELb1ELi32EEEvPT0_PKT_S7_iiiPKb ; -- Begin function _ZN12_GLOBAL__N_121softmax_warp_backwardIN3c108BFloat16ES2_fLi3ELb0ELb1ELi32EEEvPT0_PKT_S7_iiiPKb
	.p2align	8
	.type	_ZN12_GLOBAL__N_121softmax_warp_backwardIN3c108BFloat16ES2_fLi3ELb0ELb1ELi32EEEvPT0_PKT_S7_iiiPKb,@function
_ZN12_GLOBAL__N_121softmax_warp_backwardIN3c108BFloat16ES2_fLi3ELb0ELb1ELi32EEEvPT0_PKT_S7_iiiPKb: ; @_ZN12_GLOBAL__N_121softmax_warp_backwardIN3c108BFloat16ES2_fLi3ELb0ELb1ELi32EEEvPT0_PKT_S7_iiiPKb
; %bb.0:
	s_clause 0x1
	s_load_b32 s2, s[0:1], 0x3c
	s_load_b128 s[4:7], s[0:1], 0x18
	v_bfe_u32 v1, v0, 10, 10
	v_dual_mov_b32 v9, 0 :: v_dual_and_b32 v4, 7, v0
	s_clause 0x1
	s_load_b128 s[8:11], s[0:1], 0x0
	s_load_b64 s[12:13], s[0:1], 0x10
	v_dual_mov_b32 v10, 0 :: v_dual_mov_b32 v11, 0
	s_waitcnt lgkmcnt(0)
	s_lshr_b32 s2, s2, 16
	v_cmp_gt_i32_e32 vcc_lo, s6, v4
	s_mul_i32 s15, s15, s2
	s_delay_alu instid0(SALU_CYCLE_1) | instskip(NEXT) | instid1(VALU_DEP_1)
	v_add_lshl_u32 v0, s15, v1, 1
	v_mad_u64_u32 v[2:3], null, v0, s5, v[4:5]
	v_sub_nc_u32_e32 v8, s4, v0
	s_delay_alu instid0(VALU_DEP_1) | instskip(NEXT) | instid1(VALU_DEP_3)
	v_cmp_lt_i32_e64 s2, 0, v8
	v_ashrrev_i32_e32 v3, 31, v2
	s_delay_alu instid0(VALU_DEP_2) | instskip(NEXT) | instid1(VALU_DEP_1)
	s_and_b32 s4, vcc_lo, s2
	v_lshlrev_b64 v[0:1], 1, v[2:3]
	s_delay_alu instid0(VALU_DEP_1) | instskip(NEXT) | instid1(VALU_DEP_1)
	v_add_co_u32 v4, s3, s10, v0
	v_add_co_ci_u32_e64 v5, s3, s11, v1, s3
	v_add_co_u32 v6, s3, s12, v0
	s_delay_alu instid0(VALU_DEP_1)
	v_add_co_ci_u32_e64 v7, s3, s13, v1, s3
	s_and_saveexec_b32 s3, s4
	s_cbranch_execz .LBB841_2
; %bb.1:
	global_load_u16 v10, v[6:7], off
	global_load_u16 v11, v[4:5], off
	s_waitcnt vmcnt(1)
	v_lshlrev_b32_e32 v10, 16, v10
	s_waitcnt vmcnt(0)
	v_lshlrev_b32_e32 v11, 16, v11
.LBB841_2:
	s_or_b32 exec_lo, exec_lo, s3
	v_cmp_lt_i32_e64 s3, 1, v8
	v_mov_b32_e32 v12, 0
	s_mov_b32 s7, 0
	s_delay_alu instid0(VALU_DEP_2) | instskip(NEXT) | instid1(SALU_CYCLE_1)
	s_and_b32 s3, vcc_lo, s3
	s_and_saveexec_b32 s4, s3
	s_cbranch_execz .LBB841_4
; %bb.3:
	s_lshl_b64 s[10:11], s[6:7], 1
	s_delay_alu instid0(SALU_CYCLE_1) | instskip(NEXT) | instid1(VALU_DEP_1)
	v_add_co_u32 v6, s3, v6, s10
	v_add_co_ci_u32_e64 v7, s3, s11, v7, s3
	v_add_co_u32 v4, s3, v4, s10
	s_delay_alu instid0(VALU_DEP_1)
	v_add_co_ci_u32_e64 v5, s3, s11, v5, s3
	global_load_u16 v6, v[6:7], off
	global_load_u16 v4, v[4:5], off
	s_waitcnt vmcnt(1)
	v_lshlrev_b32_e32 v9, 16, v6
	s_waitcnt vmcnt(0)
	v_lshlrev_b32_e32 v12, 16, v4
.LBB841_4:
	s_or_b32 exec_lo, exec_lo, s4
	s_load_b64 s[0:1], s[0:1], 0x28
	v_add_f32_e32 v7, 0, v11
	s_waitcnt lgkmcnt(0)
	v_add_co_u32 v2, s0, s0, v2
	s_delay_alu instid0(VALU_DEP_1) | instskip(SKIP_1) | instid1(VALU_DEP_2)
	v_add_co_ci_u32_e64 v3, s0, s1, v3, s0
	s_ashr_i32 s1, s6, 31
	v_add_co_u32 v4, s0, v2, s6
	s_delay_alu instid0(VALU_DEP_1) | instskip(SKIP_4) | instid1(VALU_DEP_1)
	v_add_co_ci_u32_e64 v5, s0, s1, v3, s0
	s_clause 0x1
	global_load_u8 v2, v[2:3], off
	global_load_u8 v3, v[4:5], off
	v_mbcnt_lo_u32_b32 v4, -1, 0
	v_xor_b32_e32 v6, 4, v4
	s_waitcnt vmcnt(1)
	v_and_b32_e32 v2, 1, v2
	s_waitcnt vmcnt(0)
	v_and_b32_e32 v3, 1, v3
	s_delay_alu instid0(VALU_DEP_2) | instskip(NEXT) | instid1(VALU_DEP_1)
	v_cmp_eq_u32_e64 s1, 1, v2
	v_cndmask_b32_e64 v2, v7, 0, s1
	v_and_b32_e32 v5, 24, v4
	s_delay_alu instid0(VALU_DEP_1) | instskip(NEXT) | instid1(VALU_DEP_1)
	v_add_nc_u32_e32 v5, 8, v5
	v_cmp_lt_i32_e64 s0, v6, v5
	s_delay_alu instid0(VALU_DEP_1) | instskip(SKIP_2) | instid1(VALU_DEP_3)
	v_cndmask_b32_e64 v6, v4, v6, s0
	v_add_f32_e32 v13, 0, v12
	v_cmp_eq_u32_e64 s0, 1, v3
	v_lshlrev_b32_e32 v6, 2, v6
	s_delay_alu instid0(VALU_DEP_2) | instskip(SKIP_4) | instid1(VALU_DEP_1)
	v_cndmask_b32_e64 v3, v13, 0, s0
	v_xor_b32_e32 v13, 2, v4
	ds_bpermute_b32 v7, v6, v2
	ds_bpermute_b32 v6, v6, v3
	v_cmp_lt_i32_e64 s3, v13, v5
	v_cndmask_b32_e64 v13, v4, v13, s3
	s_waitcnt lgkmcnt(1)
	s_delay_alu instid0(VALU_DEP_1) | instskip(SKIP_1) | instid1(VALU_DEP_1)
	v_dual_add_f32 v2, v2, v7 :: v_dual_lshlrev_b32 v7, 2, v13
	v_xor_b32_e32 v13, 1, v4
	v_cmp_lt_i32_e64 s3, v13, v5
	s_delay_alu instid0(VALU_DEP_1)
	v_cndmask_b32_e64 v5, v4, v13, s3
	s_waitcnt lgkmcnt(0)
	v_add_f32_e32 v3, v3, v6
	ds_bpermute_b32 v6, v7, v2
	s_waitcnt lgkmcnt(0)
	v_add_f32_e32 v4, v2, v6
	v_lshlrev_b32_e32 v6, 2, v5
	ds_bpermute_b32 v7, v7, v3
	ds_bpermute_b32 v5, v6, v4
	s_waitcnt lgkmcnt(1)
	v_add_f32_e32 v2, v3, v7
	ds_bpermute_b32 v3, v6, v2
	s_and_saveexec_b32 s3, s2
	s_cbranch_execz .LBB841_12
; %bb.5:
	v_add_co_u32 v0, s2, s8, v0
	s_delay_alu instid0(VALU_DEP_1)
	v_add_co_ci_u32_e64 v1, s2, s9, v1, s2
	s_and_saveexec_b32 s2, vcc_lo
	s_cbranch_execz .LBB841_9
; %bb.6:
	v_mov_b32_e32 v6, 0
	s_xor_b32 s1, s1, -1
	s_delay_alu instid0(SALU_CYCLE_1)
	s_and_saveexec_b32 s3, s1
	s_cbranch_execz .LBB841_8
; %bb.7:
	s_waitcnt lgkmcnt(1)
	v_add_f32_e32 v4, v4, v5
	s_delay_alu instid0(VALU_DEP_1) | instskip(NEXT) | instid1(VALU_DEP_1)
	v_fma_f32 v4, -v4, v10, v11
	v_bfe_u32 v5, v4, 16, 1
	v_cmp_o_f32_e64 s1, v4, v4
	s_delay_alu instid0(VALU_DEP_2) | instskip(NEXT) | instid1(VALU_DEP_1)
	v_add3_u32 v5, v4, v5, 0x7fff
	v_lshrrev_b32_e32 v5, 16, v5
	s_delay_alu instid0(VALU_DEP_1)
	v_cndmask_b32_e64 v6, 0x7fc0, v5, s1
.LBB841_8:
	s_or_b32 exec_lo, exec_lo, s3
	global_store_b16 v[0:1], v6, off
.LBB841_9:
	s_or_b32 exec_lo, exec_lo, s2
	v_cmp_ne_u32_e64 s1, 1, v8
	s_delay_alu instid0(VALU_DEP_1)
	s_and_b32 exec_lo, exec_lo, s1
	s_cbranch_execz .LBB841_12
; %bb.10:
	s_and_b32 exec_lo, exec_lo, vcc_lo
	s_cbranch_execz .LBB841_12
; %bb.11:
	s_waitcnt lgkmcnt(0)
	v_add_f32_e32 v2, v2, v3
	s_lshl_b64 s[2:3], s[6:7], 1
	s_delay_alu instid0(VALU_DEP_1) | instskip(NEXT) | instid1(VALU_DEP_1)
	v_fma_f32 v2, -v2, v9, v12
	v_bfe_u32 v3, v2, 16, 1
	v_cmp_o_f32_e32 vcc_lo, v2, v2
	s_delay_alu instid0(VALU_DEP_2) | instskip(NEXT) | instid1(VALU_DEP_1)
	v_add3_u32 v3, v2, v3, 0x7fff
	v_lshrrev_b32_e32 v3, 16, v3
	s_delay_alu instid0(VALU_DEP_1) | instskip(SKIP_2) | instid1(VALU_DEP_3)
	v_cndmask_b32_e32 v2, 0x7fc0, v3, vcc_lo
	v_add_co_u32 v0, vcc_lo, v0, s2
	v_add_co_ci_u32_e32 v1, vcc_lo, s3, v1, vcc_lo
	v_cndmask_b32_e64 v2, v2, 0, s0
	global_store_b16 v[0:1], v2, off
.LBB841_12:
	s_nop 0
	s_sendmsg sendmsg(MSG_DEALLOC_VGPRS)
	s_endpgm
	.section	.rodata,"a",@progbits
	.p2align	6, 0x0
	.amdhsa_kernel _ZN12_GLOBAL__N_121softmax_warp_backwardIN3c108BFloat16ES2_fLi3ELb0ELb1ELi32EEEvPT0_PKT_S7_iiiPKb
		.amdhsa_group_segment_fixed_size 0
		.amdhsa_private_segment_fixed_size 0
		.amdhsa_kernarg_size 304
		.amdhsa_user_sgpr_count 15
		.amdhsa_user_sgpr_dispatch_ptr 0
		.amdhsa_user_sgpr_queue_ptr 0
		.amdhsa_user_sgpr_kernarg_segment_ptr 1
		.amdhsa_user_sgpr_dispatch_id 0
		.amdhsa_user_sgpr_private_segment_size 0
		.amdhsa_wavefront_size32 1
		.amdhsa_uses_dynamic_stack 0
		.amdhsa_enable_private_segment 0
		.amdhsa_system_sgpr_workgroup_id_x 1
		.amdhsa_system_sgpr_workgroup_id_y 0
		.amdhsa_system_sgpr_workgroup_id_z 0
		.amdhsa_system_sgpr_workgroup_info 0
		.amdhsa_system_vgpr_workitem_id 1
		.amdhsa_next_free_vgpr 14
		.amdhsa_next_free_sgpr 16
		.amdhsa_reserve_vcc 1
		.amdhsa_float_round_mode_32 0
		.amdhsa_float_round_mode_16_64 0
		.amdhsa_float_denorm_mode_32 3
		.amdhsa_float_denorm_mode_16_64 3
		.amdhsa_dx10_clamp 1
		.amdhsa_ieee_mode 1
		.amdhsa_fp16_overflow 0
		.amdhsa_workgroup_processor_mode 1
		.amdhsa_memory_ordered 1
		.amdhsa_forward_progress 0
		.amdhsa_shared_vgpr_count 0
		.amdhsa_exception_fp_ieee_invalid_op 0
		.amdhsa_exception_fp_denorm_src 0
		.amdhsa_exception_fp_ieee_div_zero 0
		.amdhsa_exception_fp_ieee_overflow 0
		.amdhsa_exception_fp_ieee_underflow 0
		.amdhsa_exception_fp_ieee_inexact 0
		.amdhsa_exception_int_div_zero 0
	.end_amdhsa_kernel
	.section	.text._ZN12_GLOBAL__N_121softmax_warp_backwardIN3c108BFloat16ES2_fLi3ELb0ELb1ELi32EEEvPT0_PKT_S7_iiiPKb,"axG",@progbits,_ZN12_GLOBAL__N_121softmax_warp_backwardIN3c108BFloat16ES2_fLi3ELb0ELb1ELi32EEEvPT0_PKT_S7_iiiPKb,comdat
.Lfunc_end841:
	.size	_ZN12_GLOBAL__N_121softmax_warp_backwardIN3c108BFloat16ES2_fLi3ELb0ELb1ELi32EEEvPT0_PKT_S7_iiiPKb, .Lfunc_end841-_ZN12_GLOBAL__N_121softmax_warp_backwardIN3c108BFloat16ES2_fLi3ELb0ELb1ELi32EEEvPT0_PKT_S7_iiiPKb
                                        ; -- End function
	.section	.AMDGPU.csdata,"",@progbits
; Kernel info:
; codeLenInByte = 936
; NumSgprs: 18
; NumVgprs: 14
; ScratchSize: 0
; MemoryBound: 0
; FloatMode: 240
; IeeeMode: 1
; LDSByteSize: 0 bytes/workgroup (compile time only)
; SGPRBlocks: 2
; VGPRBlocks: 1
; NumSGPRsForWavesPerEU: 18
; NumVGPRsForWavesPerEU: 14
; Occupancy: 16
; WaveLimiterHint : 0
; COMPUTE_PGM_RSRC2:SCRATCH_EN: 0
; COMPUTE_PGM_RSRC2:USER_SGPR: 15
; COMPUTE_PGM_RSRC2:TRAP_HANDLER: 0
; COMPUTE_PGM_RSRC2:TGID_X_EN: 1
; COMPUTE_PGM_RSRC2:TGID_Y_EN: 0
; COMPUTE_PGM_RSRC2:TGID_Z_EN: 0
; COMPUTE_PGM_RSRC2:TIDIG_COMP_CNT: 1
	.section	.text._ZN12_GLOBAL__N_121softmax_warp_backwardIN3c108BFloat16ES2_fLi4ELb0ELb1ELi64EEEvPT0_PKT_S7_iiiPKb,"axG",@progbits,_ZN12_GLOBAL__N_121softmax_warp_backwardIN3c108BFloat16ES2_fLi4ELb0ELb1ELi64EEEvPT0_PKT_S7_iiiPKb,comdat
	.globl	_ZN12_GLOBAL__N_121softmax_warp_backwardIN3c108BFloat16ES2_fLi4ELb0ELb1ELi64EEEvPT0_PKT_S7_iiiPKb ; -- Begin function _ZN12_GLOBAL__N_121softmax_warp_backwardIN3c108BFloat16ES2_fLi4ELb0ELb1ELi64EEEvPT0_PKT_S7_iiiPKb
	.p2align	8
	.type	_ZN12_GLOBAL__N_121softmax_warp_backwardIN3c108BFloat16ES2_fLi4ELb0ELb1ELi64EEEvPT0_PKT_S7_iiiPKb,@function
_ZN12_GLOBAL__N_121softmax_warp_backwardIN3c108BFloat16ES2_fLi4ELb0ELb1ELi64EEEvPT0_PKT_S7_iiiPKb: ; @_ZN12_GLOBAL__N_121softmax_warp_backwardIN3c108BFloat16ES2_fLi4ELb0ELb1ELi64EEEvPT0_PKT_S7_iiiPKb
; %bb.0:
	s_clause 0x1
	s_load_b32 s2, s[0:1], 0x3c
	s_load_b128 s[4:7], s[0:1], 0x18
	v_bfe_u32 v1, v0, 10, 10
	v_dual_mov_b32 v9, 0 :: v_dual_and_b32 v4, 15, v0
	s_clause 0x1
	s_load_b128 s[8:11], s[0:1], 0x0
	s_load_b64 s[12:13], s[0:1], 0x10
	v_dual_mov_b32 v10, 0 :: v_dual_mov_b32 v11, 0
	s_waitcnt lgkmcnt(0)
	s_lshr_b32 s2, s2, 16
	v_cmp_gt_i32_e32 vcc_lo, s6, v4
	s_mul_i32 s15, s15, s2
	s_delay_alu instid0(SALU_CYCLE_1) | instskip(NEXT) | instid1(VALU_DEP_1)
	v_add_lshl_u32 v0, s15, v1, 1
	v_mad_u64_u32 v[2:3], null, v0, s5, v[4:5]
	v_sub_nc_u32_e32 v8, s4, v0
	s_delay_alu instid0(VALU_DEP_1) | instskip(NEXT) | instid1(VALU_DEP_3)
	v_cmp_lt_i32_e64 s2, 0, v8
	v_ashrrev_i32_e32 v3, 31, v2
	s_delay_alu instid0(VALU_DEP_2) | instskip(NEXT) | instid1(VALU_DEP_1)
	s_and_b32 s4, vcc_lo, s2
	v_lshlrev_b64 v[0:1], 1, v[2:3]
	s_delay_alu instid0(VALU_DEP_1) | instskip(NEXT) | instid1(VALU_DEP_1)
	v_add_co_u32 v4, s3, s10, v0
	v_add_co_ci_u32_e64 v5, s3, s11, v1, s3
	v_add_co_u32 v6, s3, s12, v0
	s_delay_alu instid0(VALU_DEP_1)
	v_add_co_ci_u32_e64 v7, s3, s13, v1, s3
	s_and_saveexec_b32 s3, s4
	s_cbranch_execz .LBB842_2
; %bb.1:
	global_load_u16 v10, v[6:7], off
	global_load_u16 v11, v[4:5], off
	s_waitcnt vmcnt(1)
	v_lshlrev_b32_e32 v10, 16, v10
	s_waitcnt vmcnt(0)
	v_lshlrev_b32_e32 v11, 16, v11
.LBB842_2:
	s_or_b32 exec_lo, exec_lo, s3
	v_cmp_lt_i32_e64 s3, 1, v8
	v_mov_b32_e32 v12, 0
	s_mov_b32 s7, 0
	s_delay_alu instid0(VALU_DEP_2) | instskip(NEXT) | instid1(SALU_CYCLE_1)
	s_and_b32 s3, vcc_lo, s3
	s_and_saveexec_b32 s4, s3
	s_cbranch_execz .LBB842_4
; %bb.3:
	s_lshl_b64 s[10:11], s[6:7], 1
	s_delay_alu instid0(SALU_CYCLE_1) | instskip(NEXT) | instid1(VALU_DEP_1)
	v_add_co_u32 v6, s3, v6, s10
	v_add_co_ci_u32_e64 v7, s3, s11, v7, s3
	v_add_co_u32 v4, s3, v4, s10
	s_delay_alu instid0(VALU_DEP_1)
	v_add_co_ci_u32_e64 v5, s3, s11, v5, s3
	global_load_u16 v6, v[6:7], off
	global_load_u16 v4, v[4:5], off
	s_waitcnt vmcnt(1)
	v_lshlrev_b32_e32 v9, 16, v6
	s_waitcnt vmcnt(0)
	v_lshlrev_b32_e32 v12, 16, v4
.LBB842_4:
	s_or_b32 exec_lo, exec_lo, s4
	s_load_b64 s[0:1], s[0:1], 0x28
	v_add_f32_e32 v7, 0, v11
	s_waitcnt lgkmcnt(0)
	v_add_co_u32 v2, s0, s0, v2
	s_delay_alu instid0(VALU_DEP_1) | instskip(SKIP_1) | instid1(VALU_DEP_2)
	v_add_co_ci_u32_e64 v3, s0, s1, v3, s0
	s_ashr_i32 s1, s6, 31
	v_add_co_u32 v4, s0, v2, s6
	s_delay_alu instid0(VALU_DEP_1) | instskip(SKIP_4) | instid1(VALU_DEP_1)
	v_add_co_ci_u32_e64 v5, s0, s1, v3, s0
	s_clause 0x1
	global_load_u8 v2, v[2:3], off
	global_load_u8 v3, v[4:5], off
	v_mbcnt_lo_u32_b32 v4, -1, 0
	v_xor_b32_e32 v6, 8, v4
	s_waitcnt vmcnt(1)
	v_and_b32_e32 v2, 1, v2
	s_waitcnt vmcnt(0)
	v_and_b32_e32 v3, 1, v3
	s_delay_alu instid0(VALU_DEP_2) | instskip(NEXT) | instid1(VALU_DEP_1)
	v_cmp_eq_u32_e64 s1, 1, v2
	v_cndmask_b32_e64 v2, v7, 0, s1
	v_and_b32_e32 v5, 16, v4
	s_delay_alu instid0(VALU_DEP_1) | instskip(NEXT) | instid1(VALU_DEP_1)
	v_add_nc_u32_e32 v5, 16, v5
	v_cmp_lt_i32_e64 s0, v6, v5
	s_delay_alu instid0(VALU_DEP_1) | instskip(SKIP_2) | instid1(VALU_DEP_3)
	v_cndmask_b32_e64 v6, v4, v6, s0
	v_add_f32_e32 v13, 0, v12
	v_cmp_eq_u32_e64 s0, 1, v3
	v_lshlrev_b32_e32 v6, 2, v6
	s_delay_alu instid0(VALU_DEP_2) | instskip(SKIP_4) | instid1(VALU_DEP_1)
	v_cndmask_b32_e64 v3, v13, 0, s0
	v_xor_b32_e32 v13, 4, v4
	ds_bpermute_b32 v7, v6, v2
	ds_bpermute_b32 v6, v6, v3
	v_cmp_lt_i32_e64 s3, v13, v5
	v_cndmask_b32_e64 v13, v4, v13, s3
	s_waitcnt lgkmcnt(1)
	s_delay_alu instid0(VALU_DEP_1)
	v_dual_add_f32 v2, v2, v7 :: v_dual_lshlrev_b32 v7, 2, v13
	s_waitcnt lgkmcnt(0)
	v_add_f32_e32 v3, v3, v6
	v_xor_b32_e32 v13, 2, v4
	ds_bpermute_b32 v6, v7, v2
	s_waitcnt lgkmcnt(0)
	v_add_f32_e32 v2, v2, v6
	v_cmp_lt_i32_e64 s3, v13, v5
	s_delay_alu instid0(VALU_DEP_1) | instskip(NEXT) | instid1(VALU_DEP_1)
	v_cndmask_b32_e64 v13, v4, v13, s3
	v_lshlrev_b32_e32 v6, 2, v13
	ds_bpermute_b32 v7, v7, v3
	v_xor_b32_e32 v13, 1, v4
	s_delay_alu instid0(VALU_DEP_1) | instskip(NEXT) | instid1(VALU_DEP_1)
	v_cmp_lt_i32_e64 s3, v13, v5
	v_cndmask_b32_e64 v5, v4, v13, s3
	s_waitcnt lgkmcnt(0)
	v_add_f32_e32 v3, v3, v7
	ds_bpermute_b32 v7, v6, v2
	ds_bpermute_b32 v6, v6, v3
	s_waitcnt lgkmcnt(1)
	v_dual_add_f32 v4, v2, v7 :: v_dual_lshlrev_b32 v7, 2, v5
	s_waitcnt lgkmcnt(0)
	v_add_f32_e32 v2, v3, v6
	ds_bpermute_b32 v5, v7, v4
	ds_bpermute_b32 v3, v7, v2
	s_and_saveexec_b32 s3, s2
	s_cbranch_execz .LBB842_12
; %bb.5:
	v_add_co_u32 v0, s2, s8, v0
	s_delay_alu instid0(VALU_DEP_1)
	v_add_co_ci_u32_e64 v1, s2, s9, v1, s2
	s_and_saveexec_b32 s2, vcc_lo
	s_cbranch_execz .LBB842_9
; %bb.6:
	v_mov_b32_e32 v6, 0
	s_xor_b32 s1, s1, -1
	s_delay_alu instid0(SALU_CYCLE_1)
	s_and_saveexec_b32 s3, s1
	s_cbranch_execz .LBB842_8
; %bb.7:
	s_waitcnt lgkmcnt(1)
	v_add_f32_e32 v4, v4, v5
	s_delay_alu instid0(VALU_DEP_1) | instskip(NEXT) | instid1(VALU_DEP_1)
	v_fma_f32 v4, -v4, v10, v11
	v_bfe_u32 v5, v4, 16, 1
	v_cmp_o_f32_e64 s1, v4, v4
	s_delay_alu instid0(VALU_DEP_2) | instskip(NEXT) | instid1(VALU_DEP_1)
	v_add3_u32 v5, v4, v5, 0x7fff
	v_lshrrev_b32_e32 v5, 16, v5
	s_delay_alu instid0(VALU_DEP_1)
	v_cndmask_b32_e64 v6, 0x7fc0, v5, s1
.LBB842_8:
	s_or_b32 exec_lo, exec_lo, s3
	global_store_b16 v[0:1], v6, off
.LBB842_9:
	s_or_b32 exec_lo, exec_lo, s2
	v_cmp_ne_u32_e64 s1, 1, v8
	s_delay_alu instid0(VALU_DEP_1)
	s_and_b32 exec_lo, exec_lo, s1
	s_cbranch_execz .LBB842_12
; %bb.10:
	s_and_b32 exec_lo, exec_lo, vcc_lo
	s_cbranch_execz .LBB842_12
; %bb.11:
	s_waitcnt lgkmcnt(0)
	v_add_f32_e32 v2, v2, v3
	s_lshl_b64 s[2:3], s[6:7], 1
	s_delay_alu instid0(VALU_DEP_1) | instskip(NEXT) | instid1(VALU_DEP_1)
	v_fma_f32 v2, -v2, v9, v12
	v_bfe_u32 v3, v2, 16, 1
	v_cmp_o_f32_e32 vcc_lo, v2, v2
	s_delay_alu instid0(VALU_DEP_2) | instskip(NEXT) | instid1(VALU_DEP_1)
	v_add3_u32 v3, v2, v3, 0x7fff
	v_lshrrev_b32_e32 v3, 16, v3
	s_delay_alu instid0(VALU_DEP_1) | instskip(SKIP_2) | instid1(VALU_DEP_3)
	v_cndmask_b32_e32 v2, 0x7fc0, v3, vcc_lo
	v_add_co_u32 v0, vcc_lo, v0, s2
	v_add_co_ci_u32_e32 v1, vcc_lo, s3, v1, vcc_lo
	v_cndmask_b32_e64 v2, v2, 0, s0
	global_store_b16 v[0:1], v2, off
.LBB842_12:
	s_nop 0
	s_sendmsg sendmsg(MSG_DEALLOC_VGPRS)
	s_endpgm
	.section	.rodata,"a",@progbits
	.p2align	6, 0x0
	.amdhsa_kernel _ZN12_GLOBAL__N_121softmax_warp_backwardIN3c108BFloat16ES2_fLi4ELb0ELb1ELi64EEEvPT0_PKT_S7_iiiPKb
		.amdhsa_group_segment_fixed_size 0
		.amdhsa_private_segment_fixed_size 0
		.amdhsa_kernarg_size 304
		.amdhsa_user_sgpr_count 15
		.amdhsa_user_sgpr_dispatch_ptr 0
		.amdhsa_user_sgpr_queue_ptr 0
		.amdhsa_user_sgpr_kernarg_segment_ptr 1
		.amdhsa_user_sgpr_dispatch_id 0
		.amdhsa_user_sgpr_private_segment_size 0
		.amdhsa_wavefront_size32 1
		.amdhsa_uses_dynamic_stack 0
		.amdhsa_enable_private_segment 0
		.amdhsa_system_sgpr_workgroup_id_x 1
		.amdhsa_system_sgpr_workgroup_id_y 0
		.amdhsa_system_sgpr_workgroup_id_z 0
		.amdhsa_system_sgpr_workgroup_info 0
		.amdhsa_system_vgpr_workitem_id 1
		.amdhsa_next_free_vgpr 14
		.amdhsa_next_free_sgpr 16
		.amdhsa_reserve_vcc 1
		.amdhsa_float_round_mode_32 0
		.amdhsa_float_round_mode_16_64 0
		.amdhsa_float_denorm_mode_32 3
		.amdhsa_float_denorm_mode_16_64 3
		.amdhsa_dx10_clamp 1
		.amdhsa_ieee_mode 1
		.amdhsa_fp16_overflow 0
		.amdhsa_workgroup_processor_mode 1
		.amdhsa_memory_ordered 1
		.amdhsa_forward_progress 0
		.amdhsa_shared_vgpr_count 0
		.amdhsa_exception_fp_ieee_invalid_op 0
		.amdhsa_exception_fp_denorm_src 0
		.amdhsa_exception_fp_ieee_div_zero 0
		.amdhsa_exception_fp_ieee_overflow 0
		.amdhsa_exception_fp_ieee_underflow 0
		.amdhsa_exception_fp_ieee_inexact 0
		.amdhsa_exception_int_div_zero 0
	.end_amdhsa_kernel
	.section	.text._ZN12_GLOBAL__N_121softmax_warp_backwardIN3c108BFloat16ES2_fLi4ELb0ELb1ELi64EEEvPT0_PKT_S7_iiiPKb,"axG",@progbits,_ZN12_GLOBAL__N_121softmax_warp_backwardIN3c108BFloat16ES2_fLi4ELb0ELb1ELi64EEEvPT0_PKT_S7_iiiPKb,comdat
.Lfunc_end842:
	.size	_ZN12_GLOBAL__N_121softmax_warp_backwardIN3c108BFloat16ES2_fLi4ELb0ELb1ELi64EEEvPT0_PKT_S7_iiiPKb, .Lfunc_end842-_ZN12_GLOBAL__N_121softmax_warp_backwardIN3c108BFloat16ES2_fLi4ELb0ELb1ELi64EEEvPT0_PKT_S7_iiiPKb
                                        ; -- End function
	.section	.AMDGPU.csdata,"",@progbits
; Kernel info:
; codeLenInByte = 996
; NumSgprs: 18
; NumVgprs: 14
; ScratchSize: 0
; MemoryBound: 0
; FloatMode: 240
; IeeeMode: 1
; LDSByteSize: 0 bytes/workgroup (compile time only)
; SGPRBlocks: 2
; VGPRBlocks: 1
; NumSGPRsForWavesPerEU: 18
; NumVGPRsForWavesPerEU: 14
; Occupancy: 16
; WaveLimiterHint : 0
; COMPUTE_PGM_RSRC2:SCRATCH_EN: 0
; COMPUTE_PGM_RSRC2:USER_SGPR: 15
; COMPUTE_PGM_RSRC2:TRAP_HANDLER: 0
; COMPUTE_PGM_RSRC2:TGID_X_EN: 1
; COMPUTE_PGM_RSRC2:TGID_Y_EN: 0
; COMPUTE_PGM_RSRC2:TGID_Z_EN: 0
; COMPUTE_PGM_RSRC2:TIDIG_COMP_CNT: 1
	.section	.text._ZN12_GLOBAL__N_121softmax_warp_backwardIN3c108BFloat16ES2_fLi4ELb0ELb1ELi32EEEvPT0_PKT_S7_iiiPKb,"axG",@progbits,_ZN12_GLOBAL__N_121softmax_warp_backwardIN3c108BFloat16ES2_fLi4ELb0ELb1ELi32EEEvPT0_PKT_S7_iiiPKb,comdat
	.globl	_ZN12_GLOBAL__N_121softmax_warp_backwardIN3c108BFloat16ES2_fLi4ELb0ELb1ELi32EEEvPT0_PKT_S7_iiiPKb ; -- Begin function _ZN12_GLOBAL__N_121softmax_warp_backwardIN3c108BFloat16ES2_fLi4ELb0ELb1ELi32EEEvPT0_PKT_S7_iiiPKb
	.p2align	8
	.type	_ZN12_GLOBAL__N_121softmax_warp_backwardIN3c108BFloat16ES2_fLi4ELb0ELb1ELi32EEEvPT0_PKT_S7_iiiPKb,@function
_ZN12_GLOBAL__N_121softmax_warp_backwardIN3c108BFloat16ES2_fLi4ELb0ELb1ELi32EEEvPT0_PKT_S7_iiiPKb: ; @_ZN12_GLOBAL__N_121softmax_warp_backwardIN3c108BFloat16ES2_fLi4ELb0ELb1ELi32EEEvPT0_PKT_S7_iiiPKb
; %bb.0:
	s_clause 0x1
	s_load_b32 s2, s[0:1], 0x3c
	s_load_b128 s[4:7], s[0:1], 0x18
	v_bfe_u32 v1, v0, 10, 10
	v_dual_mov_b32 v9, 0 :: v_dual_and_b32 v4, 15, v0
	s_clause 0x1
	s_load_b128 s[8:11], s[0:1], 0x0
	s_load_b64 s[12:13], s[0:1], 0x10
	v_dual_mov_b32 v10, 0 :: v_dual_mov_b32 v11, 0
	s_waitcnt lgkmcnt(0)
	s_lshr_b32 s2, s2, 16
	v_cmp_gt_i32_e32 vcc_lo, s6, v4
	s_mul_i32 s15, s15, s2
	s_delay_alu instid0(SALU_CYCLE_1) | instskip(NEXT) | instid1(VALU_DEP_1)
	v_add_lshl_u32 v0, s15, v1, 1
	v_mad_u64_u32 v[2:3], null, v0, s5, v[4:5]
	v_sub_nc_u32_e32 v8, s4, v0
	s_delay_alu instid0(VALU_DEP_1) | instskip(NEXT) | instid1(VALU_DEP_3)
	v_cmp_lt_i32_e64 s2, 0, v8
	v_ashrrev_i32_e32 v3, 31, v2
	s_delay_alu instid0(VALU_DEP_2) | instskip(NEXT) | instid1(VALU_DEP_1)
	s_and_b32 s4, vcc_lo, s2
	v_lshlrev_b64 v[0:1], 1, v[2:3]
	s_delay_alu instid0(VALU_DEP_1) | instskip(NEXT) | instid1(VALU_DEP_1)
	v_add_co_u32 v4, s3, s10, v0
	v_add_co_ci_u32_e64 v5, s3, s11, v1, s3
	v_add_co_u32 v6, s3, s12, v0
	s_delay_alu instid0(VALU_DEP_1)
	v_add_co_ci_u32_e64 v7, s3, s13, v1, s3
	s_and_saveexec_b32 s3, s4
	s_cbranch_execz .LBB843_2
; %bb.1:
	global_load_u16 v10, v[6:7], off
	global_load_u16 v11, v[4:5], off
	s_waitcnt vmcnt(1)
	v_lshlrev_b32_e32 v10, 16, v10
	s_waitcnt vmcnt(0)
	v_lshlrev_b32_e32 v11, 16, v11
.LBB843_2:
	s_or_b32 exec_lo, exec_lo, s3
	v_cmp_lt_i32_e64 s3, 1, v8
	v_mov_b32_e32 v12, 0
	s_mov_b32 s7, 0
	s_delay_alu instid0(VALU_DEP_2) | instskip(NEXT) | instid1(SALU_CYCLE_1)
	s_and_b32 s3, vcc_lo, s3
	s_and_saveexec_b32 s4, s3
	s_cbranch_execz .LBB843_4
; %bb.3:
	s_lshl_b64 s[10:11], s[6:7], 1
	s_delay_alu instid0(SALU_CYCLE_1) | instskip(NEXT) | instid1(VALU_DEP_1)
	v_add_co_u32 v6, s3, v6, s10
	v_add_co_ci_u32_e64 v7, s3, s11, v7, s3
	v_add_co_u32 v4, s3, v4, s10
	s_delay_alu instid0(VALU_DEP_1)
	v_add_co_ci_u32_e64 v5, s3, s11, v5, s3
	global_load_u16 v6, v[6:7], off
	global_load_u16 v4, v[4:5], off
	s_waitcnt vmcnt(1)
	v_lshlrev_b32_e32 v9, 16, v6
	s_waitcnt vmcnt(0)
	v_lshlrev_b32_e32 v12, 16, v4
.LBB843_4:
	s_or_b32 exec_lo, exec_lo, s4
	s_load_b64 s[0:1], s[0:1], 0x28
	v_add_f32_e32 v7, 0, v11
	s_waitcnt lgkmcnt(0)
	v_add_co_u32 v2, s0, s0, v2
	s_delay_alu instid0(VALU_DEP_1) | instskip(SKIP_1) | instid1(VALU_DEP_2)
	v_add_co_ci_u32_e64 v3, s0, s1, v3, s0
	s_ashr_i32 s1, s6, 31
	v_add_co_u32 v4, s0, v2, s6
	s_delay_alu instid0(VALU_DEP_1) | instskip(SKIP_4) | instid1(VALU_DEP_1)
	v_add_co_ci_u32_e64 v5, s0, s1, v3, s0
	s_clause 0x1
	global_load_u8 v2, v[2:3], off
	global_load_u8 v3, v[4:5], off
	v_mbcnt_lo_u32_b32 v4, -1, 0
	v_xor_b32_e32 v6, 8, v4
	s_waitcnt vmcnt(1)
	v_and_b32_e32 v2, 1, v2
	s_waitcnt vmcnt(0)
	v_and_b32_e32 v3, 1, v3
	s_delay_alu instid0(VALU_DEP_2) | instskip(NEXT) | instid1(VALU_DEP_1)
	v_cmp_eq_u32_e64 s1, 1, v2
	v_cndmask_b32_e64 v2, v7, 0, s1
	v_and_b32_e32 v5, 16, v4
	s_delay_alu instid0(VALU_DEP_1) | instskip(NEXT) | instid1(VALU_DEP_1)
	v_add_nc_u32_e32 v5, 16, v5
	v_cmp_lt_i32_e64 s0, v6, v5
	s_delay_alu instid0(VALU_DEP_1) | instskip(SKIP_2) | instid1(VALU_DEP_3)
	v_cndmask_b32_e64 v6, v4, v6, s0
	v_add_f32_e32 v13, 0, v12
	v_cmp_eq_u32_e64 s0, 1, v3
	v_lshlrev_b32_e32 v6, 2, v6
	s_delay_alu instid0(VALU_DEP_2) | instskip(SKIP_4) | instid1(VALU_DEP_1)
	v_cndmask_b32_e64 v3, v13, 0, s0
	v_xor_b32_e32 v13, 4, v4
	ds_bpermute_b32 v7, v6, v2
	ds_bpermute_b32 v6, v6, v3
	v_cmp_lt_i32_e64 s3, v13, v5
	v_cndmask_b32_e64 v13, v4, v13, s3
	s_waitcnt lgkmcnt(1)
	s_delay_alu instid0(VALU_DEP_1)
	v_dual_add_f32 v2, v2, v7 :: v_dual_lshlrev_b32 v7, 2, v13
	s_waitcnt lgkmcnt(0)
	v_add_f32_e32 v3, v3, v6
	v_xor_b32_e32 v13, 2, v4
	ds_bpermute_b32 v6, v7, v2
	s_waitcnt lgkmcnt(0)
	v_add_f32_e32 v2, v2, v6
	v_cmp_lt_i32_e64 s3, v13, v5
	s_delay_alu instid0(VALU_DEP_1) | instskip(NEXT) | instid1(VALU_DEP_1)
	v_cndmask_b32_e64 v13, v4, v13, s3
	v_lshlrev_b32_e32 v6, 2, v13
	ds_bpermute_b32 v7, v7, v3
	v_xor_b32_e32 v13, 1, v4
	s_delay_alu instid0(VALU_DEP_1) | instskip(NEXT) | instid1(VALU_DEP_1)
	v_cmp_lt_i32_e64 s3, v13, v5
	v_cndmask_b32_e64 v5, v4, v13, s3
	s_waitcnt lgkmcnt(0)
	v_add_f32_e32 v3, v3, v7
	ds_bpermute_b32 v7, v6, v2
	ds_bpermute_b32 v6, v6, v3
	s_waitcnt lgkmcnt(1)
	v_dual_add_f32 v4, v2, v7 :: v_dual_lshlrev_b32 v7, 2, v5
	s_waitcnt lgkmcnt(0)
	v_add_f32_e32 v2, v3, v6
	ds_bpermute_b32 v5, v7, v4
	ds_bpermute_b32 v3, v7, v2
	s_and_saveexec_b32 s3, s2
	s_cbranch_execz .LBB843_12
; %bb.5:
	v_add_co_u32 v0, s2, s8, v0
	s_delay_alu instid0(VALU_DEP_1)
	v_add_co_ci_u32_e64 v1, s2, s9, v1, s2
	s_and_saveexec_b32 s2, vcc_lo
	s_cbranch_execz .LBB843_9
; %bb.6:
	v_mov_b32_e32 v6, 0
	s_xor_b32 s1, s1, -1
	s_delay_alu instid0(SALU_CYCLE_1)
	s_and_saveexec_b32 s3, s1
	s_cbranch_execz .LBB843_8
; %bb.7:
	s_waitcnt lgkmcnt(1)
	v_add_f32_e32 v4, v4, v5
	s_delay_alu instid0(VALU_DEP_1) | instskip(NEXT) | instid1(VALU_DEP_1)
	v_fma_f32 v4, -v4, v10, v11
	v_bfe_u32 v5, v4, 16, 1
	v_cmp_o_f32_e64 s1, v4, v4
	s_delay_alu instid0(VALU_DEP_2) | instskip(NEXT) | instid1(VALU_DEP_1)
	v_add3_u32 v5, v4, v5, 0x7fff
	v_lshrrev_b32_e32 v5, 16, v5
	s_delay_alu instid0(VALU_DEP_1)
	v_cndmask_b32_e64 v6, 0x7fc0, v5, s1
.LBB843_8:
	s_or_b32 exec_lo, exec_lo, s3
	global_store_b16 v[0:1], v6, off
.LBB843_9:
	s_or_b32 exec_lo, exec_lo, s2
	v_cmp_ne_u32_e64 s1, 1, v8
	s_delay_alu instid0(VALU_DEP_1)
	s_and_b32 exec_lo, exec_lo, s1
	s_cbranch_execz .LBB843_12
; %bb.10:
	s_and_b32 exec_lo, exec_lo, vcc_lo
	s_cbranch_execz .LBB843_12
; %bb.11:
	s_waitcnt lgkmcnt(0)
	v_add_f32_e32 v2, v2, v3
	s_lshl_b64 s[2:3], s[6:7], 1
	s_delay_alu instid0(VALU_DEP_1) | instskip(NEXT) | instid1(VALU_DEP_1)
	v_fma_f32 v2, -v2, v9, v12
	v_bfe_u32 v3, v2, 16, 1
	v_cmp_o_f32_e32 vcc_lo, v2, v2
	s_delay_alu instid0(VALU_DEP_2) | instskip(NEXT) | instid1(VALU_DEP_1)
	v_add3_u32 v3, v2, v3, 0x7fff
	v_lshrrev_b32_e32 v3, 16, v3
	s_delay_alu instid0(VALU_DEP_1) | instskip(SKIP_2) | instid1(VALU_DEP_3)
	v_cndmask_b32_e32 v2, 0x7fc0, v3, vcc_lo
	v_add_co_u32 v0, vcc_lo, v0, s2
	v_add_co_ci_u32_e32 v1, vcc_lo, s3, v1, vcc_lo
	v_cndmask_b32_e64 v2, v2, 0, s0
	global_store_b16 v[0:1], v2, off
.LBB843_12:
	s_nop 0
	s_sendmsg sendmsg(MSG_DEALLOC_VGPRS)
	s_endpgm
	.section	.rodata,"a",@progbits
	.p2align	6, 0x0
	.amdhsa_kernel _ZN12_GLOBAL__N_121softmax_warp_backwardIN3c108BFloat16ES2_fLi4ELb0ELb1ELi32EEEvPT0_PKT_S7_iiiPKb
		.amdhsa_group_segment_fixed_size 0
		.amdhsa_private_segment_fixed_size 0
		.amdhsa_kernarg_size 304
		.amdhsa_user_sgpr_count 15
		.amdhsa_user_sgpr_dispatch_ptr 0
		.amdhsa_user_sgpr_queue_ptr 0
		.amdhsa_user_sgpr_kernarg_segment_ptr 1
		.amdhsa_user_sgpr_dispatch_id 0
		.amdhsa_user_sgpr_private_segment_size 0
		.amdhsa_wavefront_size32 1
		.amdhsa_uses_dynamic_stack 0
		.amdhsa_enable_private_segment 0
		.amdhsa_system_sgpr_workgroup_id_x 1
		.amdhsa_system_sgpr_workgroup_id_y 0
		.amdhsa_system_sgpr_workgroup_id_z 0
		.amdhsa_system_sgpr_workgroup_info 0
		.amdhsa_system_vgpr_workitem_id 1
		.amdhsa_next_free_vgpr 14
		.amdhsa_next_free_sgpr 16
		.amdhsa_reserve_vcc 1
		.amdhsa_float_round_mode_32 0
		.amdhsa_float_round_mode_16_64 0
		.amdhsa_float_denorm_mode_32 3
		.amdhsa_float_denorm_mode_16_64 3
		.amdhsa_dx10_clamp 1
		.amdhsa_ieee_mode 1
		.amdhsa_fp16_overflow 0
		.amdhsa_workgroup_processor_mode 1
		.amdhsa_memory_ordered 1
		.amdhsa_forward_progress 0
		.amdhsa_shared_vgpr_count 0
		.amdhsa_exception_fp_ieee_invalid_op 0
		.amdhsa_exception_fp_denorm_src 0
		.amdhsa_exception_fp_ieee_div_zero 0
		.amdhsa_exception_fp_ieee_overflow 0
		.amdhsa_exception_fp_ieee_underflow 0
		.amdhsa_exception_fp_ieee_inexact 0
		.amdhsa_exception_int_div_zero 0
	.end_amdhsa_kernel
	.section	.text._ZN12_GLOBAL__N_121softmax_warp_backwardIN3c108BFloat16ES2_fLi4ELb0ELb1ELi32EEEvPT0_PKT_S7_iiiPKb,"axG",@progbits,_ZN12_GLOBAL__N_121softmax_warp_backwardIN3c108BFloat16ES2_fLi4ELb0ELb1ELi32EEEvPT0_PKT_S7_iiiPKb,comdat
.Lfunc_end843:
	.size	_ZN12_GLOBAL__N_121softmax_warp_backwardIN3c108BFloat16ES2_fLi4ELb0ELb1ELi32EEEvPT0_PKT_S7_iiiPKb, .Lfunc_end843-_ZN12_GLOBAL__N_121softmax_warp_backwardIN3c108BFloat16ES2_fLi4ELb0ELb1ELi32EEEvPT0_PKT_S7_iiiPKb
                                        ; -- End function
	.section	.AMDGPU.csdata,"",@progbits
; Kernel info:
; codeLenInByte = 996
; NumSgprs: 18
; NumVgprs: 14
; ScratchSize: 0
; MemoryBound: 0
; FloatMode: 240
; IeeeMode: 1
; LDSByteSize: 0 bytes/workgroup (compile time only)
; SGPRBlocks: 2
; VGPRBlocks: 1
; NumSGPRsForWavesPerEU: 18
; NumVGPRsForWavesPerEU: 14
; Occupancy: 16
; WaveLimiterHint : 0
; COMPUTE_PGM_RSRC2:SCRATCH_EN: 0
; COMPUTE_PGM_RSRC2:USER_SGPR: 15
; COMPUTE_PGM_RSRC2:TRAP_HANDLER: 0
; COMPUTE_PGM_RSRC2:TGID_X_EN: 1
; COMPUTE_PGM_RSRC2:TGID_Y_EN: 0
; COMPUTE_PGM_RSRC2:TGID_Z_EN: 0
; COMPUTE_PGM_RSRC2:TIDIG_COMP_CNT: 1
	.section	.text._ZN12_GLOBAL__N_121softmax_warp_backwardIN3c108BFloat16ES2_fLi5ELb0ELb1ELi64EEEvPT0_PKT_S7_iiiPKb,"axG",@progbits,_ZN12_GLOBAL__N_121softmax_warp_backwardIN3c108BFloat16ES2_fLi5ELb0ELb1ELi64EEEvPT0_PKT_S7_iiiPKb,comdat
	.globl	_ZN12_GLOBAL__N_121softmax_warp_backwardIN3c108BFloat16ES2_fLi5ELb0ELb1ELi64EEEvPT0_PKT_S7_iiiPKb ; -- Begin function _ZN12_GLOBAL__N_121softmax_warp_backwardIN3c108BFloat16ES2_fLi5ELb0ELb1ELi64EEEvPT0_PKT_S7_iiiPKb
	.p2align	8
	.type	_ZN12_GLOBAL__N_121softmax_warp_backwardIN3c108BFloat16ES2_fLi5ELb0ELb1ELi64EEEvPT0_PKT_S7_iiiPKb,@function
_ZN12_GLOBAL__N_121softmax_warp_backwardIN3c108BFloat16ES2_fLi5ELb0ELb1ELi64EEEvPT0_PKT_S7_iiiPKb: ; @_ZN12_GLOBAL__N_121softmax_warp_backwardIN3c108BFloat16ES2_fLi5ELb0ELb1ELi64EEEvPT0_PKT_S7_iiiPKb
; %bb.0:
	s_clause 0x1
	s_load_b32 s2, s[0:1], 0x3c
	s_load_b128 s[4:7], s[0:1], 0x18
	v_bfe_u32 v1, v0, 10, 10
	v_dual_mov_b32 v9, 0 :: v_dual_and_b32 v4, 31, v0
	s_clause 0x1
	s_load_b128 s[8:11], s[0:1], 0x0
	s_load_b64 s[12:13], s[0:1], 0x10
	v_dual_mov_b32 v10, 0 :: v_dual_mov_b32 v11, 0
	s_waitcnt lgkmcnt(0)
	s_lshr_b32 s2, s2, 16
	v_cmp_gt_i32_e32 vcc_lo, s6, v4
	s_mul_i32 s15, s15, s2
	s_delay_alu instid0(SALU_CYCLE_1) | instskip(NEXT) | instid1(VALU_DEP_1)
	v_add_lshl_u32 v0, s15, v1, 1
	v_mad_u64_u32 v[2:3], null, v0, s5, v[4:5]
	v_sub_nc_u32_e32 v8, s4, v0
	s_delay_alu instid0(VALU_DEP_1) | instskip(NEXT) | instid1(VALU_DEP_3)
	v_cmp_lt_i32_e64 s2, 0, v8
	v_ashrrev_i32_e32 v3, 31, v2
	s_delay_alu instid0(VALU_DEP_2) | instskip(NEXT) | instid1(VALU_DEP_1)
	s_and_b32 s4, vcc_lo, s2
	v_lshlrev_b64 v[0:1], 1, v[2:3]
	s_delay_alu instid0(VALU_DEP_1) | instskip(NEXT) | instid1(VALU_DEP_1)
	v_add_co_u32 v4, s3, s10, v0
	v_add_co_ci_u32_e64 v5, s3, s11, v1, s3
	v_add_co_u32 v6, s3, s12, v0
	s_delay_alu instid0(VALU_DEP_1)
	v_add_co_ci_u32_e64 v7, s3, s13, v1, s3
	s_and_saveexec_b32 s3, s4
	s_cbranch_execz .LBB844_2
; %bb.1:
	global_load_u16 v10, v[6:7], off
	global_load_u16 v11, v[4:5], off
	s_waitcnt vmcnt(1)
	v_lshlrev_b32_e32 v10, 16, v10
	s_waitcnt vmcnt(0)
	v_lshlrev_b32_e32 v11, 16, v11
.LBB844_2:
	s_or_b32 exec_lo, exec_lo, s3
	v_cmp_lt_i32_e64 s3, 1, v8
	v_mov_b32_e32 v12, 0
	s_mov_b32 s7, 0
	s_delay_alu instid0(VALU_DEP_2) | instskip(NEXT) | instid1(SALU_CYCLE_1)
	s_and_b32 s3, vcc_lo, s3
	s_and_saveexec_b32 s4, s3
	s_cbranch_execz .LBB844_4
; %bb.3:
	s_lshl_b64 s[10:11], s[6:7], 1
	s_delay_alu instid0(SALU_CYCLE_1) | instskip(NEXT) | instid1(VALU_DEP_1)
	v_add_co_u32 v6, s3, v6, s10
	v_add_co_ci_u32_e64 v7, s3, s11, v7, s3
	v_add_co_u32 v4, s3, v4, s10
	s_delay_alu instid0(VALU_DEP_1)
	v_add_co_ci_u32_e64 v5, s3, s11, v5, s3
	global_load_u16 v6, v[6:7], off
	global_load_u16 v4, v[4:5], off
	s_waitcnt vmcnt(1)
	v_lshlrev_b32_e32 v9, 16, v6
	s_waitcnt vmcnt(0)
	v_lshlrev_b32_e32 v12, 16, v4
.LBB844_4:
	s_or_b32 exec_lo, exec_lo, s4
	s_load_b64 s[0:1], s[0:1], 0x28
	s_delay_alu instid0(VALU_DEP_1) | instskip(SKIP_2) | instid1(VALU_DEP_1)
	v_add_f32_e32 v7, 0, v12
	s_waitcnt lgkmcnt(0)
	v_add_co_u32 v2, s0, s0, v2
	v_add_co_ci_u32_e64 v3, s0, s1, v3, s0
	s_ashr_i32 s1, s6, 31
	s_delay_alu instid0(VALU_DEP_2) | instskip(NEXT) | instid1(VALU_DEP_1)
	v_add_co_u32 v4, s0, v2, s6
	v_add_co_ci_u32_e64 v5, s0, s1, v3, s0
	s_clause 0x1
	global_load_u8 v2, v[2:3], off
	global_load_u8 v3, v[4:5], off
	v_mbcnt_lo_u32_b32 v4, -1, 0
	s_delay_alu instid0(VALU_DEP_1) | instskip(NEXT) | instid1(VALU_DEP_1)
	v_xor_b32_e32 v5, 16, v4
	v_cmp_gt_i32_e64 s0, 32, v5
	s_delay_alu instid0(VALU_DEP_1) | instskip(NEXT) | instid1(VALU_DEP_1)
	v_cndmask_b32_e64 v5, v4, v5, s0
	v_dual_add_f32 v6, 0, v11 :: v_dual_lshlrev_b32 v5, 2, v5
	s_waitcnt vmcnt(1)
	v_and_b32_e32 v2, 1, v2
	s_delay_alu instid0(VALU_DEP_1) | instskip(NEXT) | instid1(VALU_DEP_1)
	v_cmp_eq_u32_e64 s1, 1, v2
	v_cndmask_b32_e64 v2, v6, 0, s1
	ds_bpermute_b32 v6, v5, v2
	s_waitcnt vmcnt(0) lgkmcnt(0)
	v_dual_add_f32 v2, v2, v6 :: v_dual_and_b32 v3, 1, v3
	s_delay_alu instid0(VALU_DEP_1) | instskip(NEXT) | instid1(VALU_DEP_1)
	v_cmp_eq_u32_e64 s0, 1, v3
	v_cndmask_b32_e64 v3, v7, 0, s0
	v_xor_b32_e32 v7, 8, v4
	ds_bpermute_b32 v5, v5, v3
	v_cmp_gt_i32_e64 s3, 32, v7
	s_delay_alu instid0(VALU_DEP_1) | instskip(NEXT) | instid1(VALU_DEP_1)
	v_cndmask_b32_e64 v7, v4, v7, s3
	v_lshlrev_b32_e32 v6, 2, v7
	v_xor_b32_e32 v7, 4, v4
	s_delay_alu instid0(VALU_DEP_1)
	v_cmp_gt_i32_e64 s3, 32, v7
	s_waitcnt lgkmcnt(0)
	v_add_f32_e32 v3, v3, v5
	ds_bpermute_b32 v5, v6, v2
	v_cndmask_b32_e64 v7, v4, v7, s3
	ds_bpermute_b32 v6, v6, v3
	s_waitcnt lgkmcnt(1)
	v_dual_add_f32 v2, v2, v5 :: v_dual_lshlrev_b32 v5, 2, v7
	v_xor_b32_e32 v7, 2, v4
	s_delay_alu instid0(VALU_DEP_1) | instskip(NEXT) | instid1(VALU_DEP_1)
	v_cmp_gt_i32_e64 s3, 32, v7
	v_cndmask_b32_e64 v7, v4, v7, s3
	s_waitcnt lgkmcnt(0)
	v_add_f32_e32 v3, v3, v6
	ds_bpermute_b32 v6, v5, v2
	s_waitcnt lgkmcnt(0)
	v_add_f32_e32 v2, v2, v6
	v_lshlrev_b32_e32 v6, 2, v7
	ds_bpermute_b32 v5, v5, v3
	v_xor_b32_e32 v7, 1, v4
	s_delay_alu instid0(VALU_DEP_1) | instskip(NEXT) | instid1(VALU_DEP_1)
	v_cmp_gt_i32_e64 s3, 32, v7
	v_cndmask_b32_e64 v7, v4, v7, s3
	s_delay_alu instid0(VALU_DEP_1)
	v_lshlrev_b32_e32 v7, 2, v7
	s_waitcnt lgkmcnt(0)
	v_add_f32_e32 v3, v3, v5
	ds_bpermute_b32 v5, v6, v2
	ds_bpermute_b32 v6, v6, v3
	s_waitcnt lgkmcnt(1)
	v_add_f32_e32 v4, v2, v5
	s_waitcnt lgkmcnt(0)
	v_add_f32_e32 v2, v3, v6
	ds_bpermute_b32 v5, v7, v4
	ds_bpermute_b32 v3, v7, v2
	s_and_saveexec_b32 s3, s2
	s_cbranch_execz .LBB844_12
; %bb.5:
	v_add_co_u32 v0, s2, s8, v0
	s_delay_alu instid0(VALU_DEP_1)
	v_add_co_ci_u32_e64 v1, s2, s9, v1, s2
	s_and_saveexec_b32 s2, vcc_lo
	s_cbranch_execz .LBB844_9
; %bb.6:
	v_mov_b32_e32 v6, 0
	s_xor_b32 s1, s1, -1
	s_delay_alu instid0(SALU_CYCLE_1)
	s_and_saveexec_b32 s3, s1
	s_cbranch_execz .LBB844_8
; %bb.7:
	s_waitcnt lgkmcnt(1)
	v_add_f32_e32 v4, v4, v5
	s_delay_alu instid0(VALU_DEP_1) | instskip(NEXT) | instid1(VALU_DEP_1)
	v_fma_f32 v4, -v4, v10, v11
	v_bfe_u32 v5, v4, 16, 1
	v_cmp_o_f32_e64 s1, v4, v4
	s_delay_alu instid0(VALU_DEP_2) | instskip(NEXT) | instid1(VALU_DEP_1)
	v_add3_u32 v5, v4, v5, 0x7fff
	v_lshrrev_b32_e32 v5, 16, v5
	s_delay_alu instid0(VALU_DEP_1)
	v_cndmask_b32_e64 v6, 0x7fc0, v5, s1
.LBB844_8:
	s_or_b32 exec_lo, exec_lo, s3
	global_store_b16 v[0:1], v6, off
.LBB844_9:
	s_or_b32 exec_lo, exec_lo, s2
	v_cmp_ne_u32_e64 s1, 1, v8
	s_delay_alu instid0(VALU_DEP_1)
	s_and_b32 exec_lo, exec_lo, s1
	s_cbranch_execz .LBB844_12
; %bb.10:
	s_and_b32 exec_lo, exec_lo, vcc_lo
	s_cbranch_execz .LBB844_12
; %bb.11:
	s_waitcnt lgkmcnt(0)
	v_add_f32_e32 v2, v2, v3
	s_lshl_b64 s[2:3], s[6:7], 1
	s_delay_alu instid0(VALU_DEP_1) | instskip(NEXT) | instid1(VALU_DEP_1)
	v_fma_f32 v2, -v2, v9, v12
	v_bfe_u32 v3, v2, 16, 1
	v_cmp_o_f32_e32 vcc_lo, v2, v2
	s_delay_alu instid0(VALU_DEP_2) | instskip(NEXT) | instid1(VALU_DEP_1)
	v_add3_u32 v3, v2, v3, 0x7fff
	v_lshrrev_b32_e32 v3, 16, v3
	s_delay_alu instid0(VALU_DEP_1) | instskip(SKIP_2) | instid1(VALU_DEP_3)
	v_cndmask_b32_e32 v2, 0x7fc0, v3, vcc_lo
	v_add_co_u32 v0, vcc_lo, v0, s2
	v_add_co_ci_u32_e32 v1, vcc_lo, s3, v1, vcc_lo
	v_cndmask_b32_e64 v2, v2, 0, s0
	global_store_b16 v[0:1], v2, off
.LBB844_12:
	s_nop 0
	s_sendmsg sendmsg(MSG_DEALLOC_VGPRS)
	s_endpgm
	.section	.rodata,"a",@progbits
	.p2align	6, 0x0
	.amdhsa_kernel _ZN12_GLOBAL__N_121softmax_warp_backwardIN3c108BFloat16ES2_fLi5ELb0ELb1ELi64EEEvPT0_PKT_S7_iiiPKb
		.amdhsa_group_segment_fixed_size 0
		.amdhsa_private_segment_fixed_size 0
		.amdhsa_kernarg_size 304
		.amdhsa_user_sgpr_count 15
		.amdhsa_user_sgpr_dispatch_ptr 0
		.amdhsa_user_sgpr_queue_ptr 0
		.amdhsa_user_sgpr_kernarg_segment_ptr 1
		.amdhsa_user_sgpr_dispatch_id 0
		.amdhsa_user_sgpr_private_segment_size 0
		.amdhsa_wavefront_size32 1
		.amdhsa_uses_dynamic_stack 0
		.amdhsa_enable_private_segment 0
		.amdhsa_system_sgpr_workgroup_id_x 1
		.amdhsa_system_sgpr_workgroup_id_y 0
		.amdhsa_system_sgpr_workgroup_id_z 0
		.amdhsa_system_sgpr_workgroup_info 0
		.amdhsa_system_vgpr_workitem_id 1
		.amdhsa_next_free_vgpr 13
		.amdhsa_next_free_sgpr 16
		.amdhsa_reserve_vcc 1
		.amdhsa_float_round_mode_32 0
		.amdhsa_float_round_mode_16_64 0
		.amdhsa_float_denorm_mode_32 3
		.amdhsa_float_denorm_mode_16_64 3
		.amdhsa_dx10_clamp 1
		.amdhsa_ieee_mode 1
		.amdhsa_fp16_overflow 0
		.amdhsa_workgroup_processor_mode 1
		.amdhsa_memory_ordered 1
		.amdhsa_forward_progress 0
		.amdhsa_shared_vgpr_count 0
		.amdhsa_exception_fp_ieee_invalid_op 0
		.amdhsa_exception_fp_denorm_src 0
		.amdhsa_exception_fp_ieee_div_zero 0
		.amdhsa_exception_fp_ieee_overflow 0
		.amdhsa_exception_fp_ieee_underflow 0
		.amdhsa_exception_fp_ieee_inexact 0
		.amdhsa_exception_int_div_zero 0
	.end_amdhsa_kernel
	.section	.text._ZN12_GLOBAL__N_121softmax_warp_backwardIN3c108BFloat16ES2_fLi5ELb0ELb1ELi64EEEvPT0_PKT_S7_iiiPKb,"axG",@progbits,_ZN12_GLOBAL__N_121softmax_warp_backwardIN3c108BFloat16ES2_fLi5ELb0ELb1ELi64EEEvPT0_PKT_S7_iiiPKb,comdat
.Lfunc_end844:
	.size	_ZN12_GLOBAL__N_121softmax_warp_backwardIN3c108BFloat16ES2_fLi5ELb0ELb1ELi64EEEvPT0_PKT_S7_iiiPKb, .Lfunc_end844-_ZN12_GLOBAL__N_121softmax_warp_backwardIN3c108BFloat16ES2_fLi5ELb0ELb1ELi64EEEvPT0_PKT_S7_iiiPKb
                                        ; -- End function
	.section	.AMDGPU.csdata,"",@progbits
; Kernel info:
; codeLenInByte = 1048
; NumSgprs: 18
; NumVgprs: 13
; ScratchSize: 0
; MemoryBound: 0
; FloatMode: 240
; IeeeMode: 1
; LDSByteSize: 0 bytes/workgroup (compile time only)
; SGPRBlocks: 2
; VGPRBlocks: 1
; NumSGPRsForWavesPerEU: 18
; NumVGPRsForWavesPerEU: 13
; Occupancy: 16
; WaveLimiterHint : 0
; COMPUTE_PGM_RSRC2:SCRATCH_EN: 0
; COMPUTE_PGM_RSRC2:USER_SGPR: 15
; COMPUTE_PGM_RSRC2:TRAP_HANDLER: 0
; COMPUTE_PGM_RSRC2:TGID_X_EN: 1
; COMPUTE_PGM_RSRC2:TGID_Y_EN: 0
; COMPUTE_PGM_RSRC2:TGID_Z_EN: 0
; COMPUTE_PGM_RSRC2:TIDIG_COMP_CNT: 1
	.section	.text._ZN12_GLOBAL__N_121softmax_warp_backwardIN3c108BFloat16ES2_fLi5ELb0ELb1ELi32EEEvPT0_PKT_S7_iiiPKb,"axG",@progbits,_ZN12_GLOBAL__N_121softmax_warp_backwardIN3c108BFloat16ES2_fLi5ELb0ELb1ELi32EEEvPT0_PKT_S7_iiiPKb,comdat
	.globl	_ZN12_GLOBAL__N_121softmax_warp_backwardIN3c108BFloat16ES2_fLi5ELb0ELb1ELi32EEEvPT0_PKT_S7_iiiPKb ; -- Begin function _ZN12_GLOBAL__N_121softmax_warp_backwardIN3c108BFloat16ES2_fLi5ELb0ELb1ELi32EEEvPT0_PKT_S7_iiiPKb
	.p2align	8
	.type	_ZN12_GLOBAL__N_121softmax_warp_backwardIN3c108BFloat16ES2_fLi5ELb0ELb1ELi32EEEvPT0_PKT_S7_iiiPKb,@function
_ZN12_GLOBAL__N_121softmax_warp_backwardIN3c108BFloat16ES2_fLi5ELb0ELb1ELi32EEEvPT0_PKT_S7_iiiPKb: ; @_ZN12_GLOBAL__N_121softmax_warp_backwardIN3c108BFloat16ES2_fLi5ELb0ELb1ELi32EEEvPT0_PKT_S7_iiiPKb
; %bb.0:
	s_clause 0x1
	s_load_b32 s2, s[0:1], 0x3c
	s_load_b128 s[4:7], s[0:1], 0x18
	v_bfe_u32 v1, v0, 10, 10
	v_dual_mov_b32 v9, 0 :: v_dual_and_b32 v4, 31, v0
	s_clause 0x1
	s_load_b128 s[8:11], s[0:1], 0x0
	s_load_b64 s[12:13], s[0:1], 0x10
	v_dual_mov_b32 v10, 0 :: v_dual_mov_b32 v11, 0
	s_waitcnt lgkmcnt(0)
	s_lshr_b32 s2, s2, 16
	v_cmp_gt_i32_e32 vcc_lo, s6, v4
	s_mul_i32 s15, s15, s2
	s_delay_alu instid0(SALU_CYCLE_1) | instskip(NEXT) | instid1(VALU_DEP_1)
	v_add_lshl_u32 v0, s15, v1, 1
	v_mad_u64_u32 v[2:3], null, v0, s5, v[4:5]
	v_sub_nc_u32_e32 v8, s4, v0
	s_delay_alu instid0(VALU_DEP_1) | instskip(NEXT) | instid1(VALU_DEP_3)
	v_cmp_lt_i32_e64 s2, 0, v8
	v_ashrrev_i32_e32 v3, 31, v2
	s_delay_alu instid0(VALU_DEP_2) | instskip(NEXT) | instid1(VALU_DEP_1)
	s_and_b32 s4, vcc_lo, s2
	v_lshlrev_b64 v[0:1], 1, v[2:3]
	s_delay_alu instid0(VALU_DEP_1) | instskip(NEXT) | instid1(VALU_DEP_1)
	v_add_co_u32 v4, s3, s10, v0
	v_add_co_ci_u32_e64 v5, s3, s11, v1, s3
	v_add_co_u32 v6, s3, s12, v0
	s_delay_alu instid0(VALU_DEP_1)
	v_add_co_ci_u32_e64 v7, s3, s13, v1, s3
	s_and_saveexec_b32 s3, s4
	s_cbranch_execz .LBB845_2
; %bb.1:
	global_load_u16 v10, v[6:7], off
	global_load_u16 v11, v[4:5], off
	s_waitcnt vmcnt(1)
	v_lshlrev_b32_e32 v10, 16, v10
	s_waitcnt vmcnt(0)
	v_lshlrev_b32_e32 v11, 16, v11
.LBB845_2:
	s_or_b32 exec_lo, exec_lo, s3
	v_cmp_lt_i32_e64 s3, 1, v8
	v_mov_b32_e32 v12, 0
	s_mov_b32 s7, 0
	s_delay_alu instid0(VALU_DEP_2) | instskip(NEXT) | instid1(SALU_CYCLE_1)
	s_and_b32 s3, vcc_lo, s3
	s_and_saveexec_b32 s4, s3
	s_cbranch_execz .LBB845_4
; %bb.3:
	s_lshl_b64 s[10:11], s[6:7], 1
	s_delay_alu instid0(SALU_CYCLE_1) | instskip(NEXT) | instid1(VALU_DEP_1)
	v_add_co_u32 v6, s3, v6, s10
	v_add_co_ci_u32_e64 v7, s3, s11, v7, s3
	v_add_co_u32 v4, s3, v4, s10
	s_delay_alu instid0(VALU_DEP_1)
	v_add_co_ci_u32_e64 v5, s3, s11, v5, s3
	global_load_u16 v6, v[6:7], off
	global_load_u16 v4, v[4:5], off
	s_waitcnt vmcnt(1)
	v_lshlrev_b32_e32 v9, 16, v6
	s_waitcnt vmcnt(0)
	v_lshlrev_b32_e32 v12, 16, v4
.LBB845_4:
	s_or_b32 exec_lo, exec_lo, s4
	s_load_b64 s[0:1], s[0:1], 0x28
	s_delay_alu instid0(VALU_DEP_1) | instskip(SKIP_2) | instid1(VALU_DEP_1)
	v_add_f32_e32 v7, 0, v12
	s_waitcnt lgkmcnt(0)
	v_add_co_u32 v2, s0, s0, v2
	v_add_co_ci_u32_e64 v3, s0, s1, v3, s0
	s_ashr_i32 s1, s6, 31
	s_delay_alu instid0(VALU_DEP_2) | instskip(NEXT) | instid1(VALU_DEP_1)
	v_add_co_u32 v4, s0, v2, s6
	v_add_co_ci_u32_e64 v5, s0, s1, v3, s0
	s_clause 0x1
	global_load_u8 v2, v[2:3], off
	global_load_u8 v3, v[4:5], off
	v_mbcnt_lo_u32_b32 v4, -1, 0
	s_delay_alu instid0(VALU_DEP_1) | instskip(NEXT) | instid1(VALU_DEP_1)
	v_xor_b32_e32 v5, 16, v4
	v_cmp_gt_i32_e64 s0, 32, v5
	s_delay_alu instid0(VALU_DEP_1) | instskip(NEXT) | instid1(VALU_DEP_1)
	v_cndmask_b32_e64 v5, v4, v5, s0
	v_dual_add_f32 v6, 0, v11 :: v_dual_lshlrev_b32 v5, 2, v5
	s_waitcnt vmcnt(1)
	v_and_b32_e32 v2, 1, v2
	s_delay_alu instid0(VALU_DEP_1) | instskip(NEXT) | instid1(VALU_DEP_1)
	v_cmp_eq_u32_e64 s1, 1, v2
	v_cndmask_b32_e64 v2, v6, 0, s1
	ds_bpermute_b32 v6, v5, v2
	s_waitcnt vmcnt(0) lgkmcnt(0)
	v_dual_add_f32 v2, v2, v6 :: v_dual_and_b32 v3, 1, v3
	s_delay_alu instid0(VALU_DEP_1) | instskip(NEXT) | instid1(VALU_DEP_1)
	v_cmp_eq_u32_e64 s0, 1, v3
	v_cndmask_b32_e64 v3, v7, 0, s0
	v_xor_b32_e32 v7, 8, v4
	ds_bpermute_b32 v5, v5, v3
	v_cmp_gt_i32_e64 s3, 32, v7
	s_delay_alu instid0(VALU_DEP_1) | instskip(NEXT) | instid1(VALU_DEP_1)
	v_cndmask_b32_e64 v7, v4, v7, s3
	v_lshlrev_b32_e32 v6, 2, v7
	v_xor_b32_e32 v7, 4, v4
	s_delay_alu instid0(VALU_DEP_1)
	v_cmp_gt_i32_e64 s3, 32, v7
	s_waitcnt lgkmcnt(0)
	v_add_f32_e32 v3, v3, v5
	ds_bpermute_b32 v5, v6, v2
	v_cndmask_b32_e64 v7, v4, v7, s3
	ds_bpermute_b32 v6, v6, v3
	s_waitcnt lgkmcnt(1)
	v_dual_add_f32 v2, v2, v5 :: v_dual_lshlrev_b32 v5, 2, v7
	v_xor_b32_e32 v7, 2, v4
	s_delay_alu instid0(VALU_DEP_1) | instskip(NEXT) | instid1(VALU_DEP_1)
	v_cmp_gt_i32_e64 s3, 32, v7
	v_cndmask_b32_e64 v7, v4, v7, s3
	s_waitcnt lgkmcnt(0)
	v_add_f32_e32 v3, v3, v6
	ds_bpermute_b32 v6, v5, v2
	s_waitcnt lgkmcnt(0)
	v_add_f32_e32 v2, v2, v6
	v_lshlrev_b32_e32 v6, 2, v7
	ds_bpermute_b32 v5, v5, v3
	v_xor_b32_e32 v7, 1, v4
	s_delay_alu instid0(VALU_DEP_1) | instskip(NEXT) | instid1(VALU_DEP_1)
	v_cmp_gt_i32_e64 s3, 32, v7
	v_cndmask_b32_e64 v7, v4, v7, s3
	s_delay_alu instid0(VALU_DEP_1)
	v_lshlrev_b32_e32 v7, 2, v7
	s_waitcnt lgkmcnt(0)
	v_add_f32_e32 v3, v3, v5
	ds_bpermute_b32 v5, v6, v2
	ds_bpermute_b32 v6, v6, v3
	s_waitcnt lgkmcnt(1)
	v_add_f32_e32 v4, v2, v5
	s_waitcnt lgkmcnt(0)
	v_add_f32_e32 v2, v3, v6
	ds_bpermute_b32 v5, v7, v4
	ds_bpermute_b32 v3, v7, v2
	s_and_saveexec_b32 s3, s2
	s_cbranch_execz .LBB845_12
; %bb.5:
	v_add_co_u32 v0, s2, s8, v0
	s_delay_alu instid0(VALU_DEP_1)
	v_add_co_ci_u32_e64 v1, s2, s9, v1, s2
	s_and_saveexec_b32 s2, vcc_lo
	s_cbranch_execz .LBB845_9
; %bb.6:
	v_mov_b32_e32 v6, 0
	s_xor_b32 s1, s1, -1
	s_delay_alu instid0(SALU_CYCLE_1)
	s_and_saveexec_b32 s3, s1
	s_cbranch_execz .LBB845_8
; %bb.7:
	s_waitcnt lgkmcnt(1)
	v_add_f32_e32 v4, v4, v5
	s_delay_alu instid0(VALU_DEP_1) | instskip(NEXT) | instid1(VALU_DEP_1)
	v_fma_f32 v4, -v4, v10, v11
	v_bfe_u32 v5, v4, 16, 1
	v_cmp_o_f32_e64 s1, v4, v4
	s_delay_alu instid0(VALU_DEP_2) | instskip(NEXT) | instid1(VALU_DEP_1)
	v_add3_u32 v5, v4, v5, 0x7fff
	v_lshrrev_b32_e32 v5, 16, v5
	s_delay_alu instid0(VALU_DEP_1)
	v_cndmask_b32_e64 v6, 0x7fc0, v5, s1
.LBB845_8:
	s_or_b32 exec_lo, exec_lo, s3
	global_store_b16 v[0:1], v6, off
.LBB845_9:
	s_or_b32 exec_lo, exec_lo, s2
	v_cmp_ne_u32_e64 s1, 1, v8
	s_delay_alu instid0(VALU_DEP_1)
	s_and_b32 exec_lo, exec_lo, s1
	s_cbranch_execz .LBB845_12
; %bb.10:
	s_and_b32 exec_lo, exec_lo, vcc_lo
	s_cbranch_execz .LBB845_12
; %bb.11:
	s_waitcnt lgkmcnt(0)
	v_add_f32_e32 v2, v2, v3
	s_lshl_b64 s[2:3], s[6:7], 1
	s_delay_alu instid0(VALU_DEP_1) | instskip(NEXT) | instid1(VALU_DEP_1)
	v_fma_f32 v2, -v2, v9, v12
	v_bfe_u32 v3, v2, 16, 1
	v_cmp_o_f32_e32 vcc_lo, v2, v2
	s_delay_alu instid0(VALU_DEP_2) | instskip(NEXT) | instid1(VALU_DEP_1)
	v_add3_u32 v3, v2, v3, 0x7fff
	v_lshrrev_b32_e32 v3, 16, v3
	s_delay_alu instid0(VALU_DEP_1) | instskip(SKIP_2) | instid1(VALU_DEP_3)
	v_cndmask_b32_e32 v2, 0x7fc0, v3, vcc_lo
	v_add_co_u32 v0, vcc_lo, v0, s2
	v_add_co_ci_u32_e32 v1, vcc_lo, s3, v1, vcc_lo
	v_cndmask_b32_e64 v2, v2, 0, s0
	global_store_b16 v[0:1], v2, off
.LBB845_12:
	s_nop 0
	s_sendmsg sendmsg(MSG_DEALLOC_VGPRS)
	s_endpgm
	.section	.rodata,"a",@progbits
	.p2align	6, 0x0
	.amdhsa_kernel _ZN12_GLOBAL__N_121softmax_warp_backwardIN3c108BFloat16ES2_fLi5ELb0ELb1ELi32EEEvPT0_PKT_S7_iiiPKb
		.amdhsa_group_segment_fixed_size 0
		.amdhsa_private_segment_fixed_size 0
		.amdhsa_kernarg_size 304
		.amdhsa_user_sgpr_count 15
		.amdhsa_user_sgpr_dispatch_ptr 0
		.amdhsa_user_sgpr_queue_ptr 0
		.amdhsa_user_sgpr_kernarg_segment_ptr 1
		.amdhsa_user_sgpr_dispatch_id 0
		.amdhsa_user_sgpr_private_segment_size 0
		.amdhsa_wavefront_size32 1
		.amdhsa_uses_dynamic_stack 0
		.amdhsa_enable_private_segment 0
		.amdhsa_system_sgpr_workgroup_id_x 1
		.amdhsa_system_sgpr_workgroup_id_y 0
		.amdhsa_system_sgpr_workgroup_id_z 0
		.amdhsa_system_sgpr_workgroup_info 0
		.amdhsa_system_vgpr_workitem_id 1
		.amdhsa_next_free_vgpr 13
		.amdhsa_next_free_sgpr 16
		.amdhsa_reserve_vcc 1
		.amdhsa_float_round_mode_32 0
		.amdhsa_float_round_mode_16_64 0
		.amdhsa_float_denorm_mode_32 3
		.amdhsa_float_denorm_mode_16_64 3
		.amdhsa_dx10_clamp 1
		.amdhsa_ieee_mode 1
		.amdhsa_fp16_overflow 0
		.amdhsa_workgroup_processor_mode 1
		.amdhsa_memory_ordered 1
		.amdhsa_forward_progress 0
		.amdhsa_shared_vgpr_count 0
		.amdhsa_exception_fp_ieee_invalid_op 0
		.amdhsa_exception_fp_denorm_src 0
		.amdhsa_exception_fp_ieee_div_zero 0
		.amdhsa_exception_fp_ieee_overflow 0
		.amdhsa_exception_fp_ieee_underflow 0
		.amdhsa_exception_fp_ieee_inexact 0
		.amdhsa_exception_int_div_zero 0
	.end_amdhsa_kernel
	.section	.text._ZN12_GLOBAL__N_121softmax_warp_backwardIN3c108BFloat16ES2_fLi5ELb0ELb1ELi32EEEvPT0_PKT_S7_iiiPKb,"axG",@progbits,_ZN12_GLOBAL__N_121softmax_warp_backwardIN3c108BFloat16ES2_fLi5ELb0ELb1ELi32EEEvPT0_PKT_S7_iiiPKb,comdat
.Lfunc_end845:
	.size	_ZN12_GLOBAL__N_121softmax_warp_backwardIN3c108BFloat16ES2_fLi5ELb0ELb1ELi32EEEvPT0_PKT_S7_iiiPKb, .Lfunc_end845-_ZN12_GLOBAL__N_121softmax_warp_backwardIN3c108BFloat16ES2_fLi5ELb0ELb1ELi32EEEvPT0_PKT_S7_iiiPKb
                                        ; -- End function
	.section	.AMDGPU.csdata,"",@progbits
; Kernel info:
; codeLenInByte = 1048
; NumSgprs: 18
; NumVgprs: 13
; ScratchSize: 0
; MemoryBound: 0
; FloatMode: 240
; IeeeMode: 1
; LDSByteSize: 0 bytes/workgroup (compile time only)
; SGPRBlocks: 2
; VGPRBlocks: 1
; NumSGPRsForWavesPerEU: 18
; NumVGPRsForWavesPerEU: 13
; Occupancy: 16
; WaveLimiterHint : 0
; COMPUTE_PGM_RSRC2:SCRATCH_EN: 0
; COMPUTE_PGM_RSRC2:USER_SGPR: 15
; COMPUTE_PGM_RSRC2:TRAP_HANDLER: 0
; COMPUTE_PGM_RSRC2:TGID_X_EN: 1
; COMPUTE_PGM_RSRC2:TGID_Y_EN: 0
; COMPUTE_PGM_RSRC2:TGID_Z_EN: 0
; COMPUTE_PGM_RSRC2:TIDIG_COMP_CNT: 1
	.section	.text._ZN12_GLOBAL__N_121softmax_warp_backwardIN3c108BFloat16ES2_fLi6ELb0ELb1ELi64EEEvPT0_PKT_S7_iiiPKb,"axG",@progbits,_ZN12_GLOBAL__N_121softmax_warp_backwardIN3c108BFloat16ES2_fLi6ELb0ELb1ELi64EEEvPT0_PKT_S7_iiiPKb,comdat
	.globl	_ZN12_GLOBAL__N_121softmax_warp_backwardIN3c108BFloat16ES2_fLi6ELb0ELb1ELi64EEEvPT0_PKT_S7_iiiPKb ; -- Begin function _ZN12_GLOBAL__N_121softmax_warp_backwardIN3c108BFloat16ES2_fLi6ELb0ELb1ELi64EEEvPT0_PKT_S7_iiiPKb
	.p2align	8
	.type	_ZN12_GLOBAL__N_121softmax_warp_backwardIN3c108BFloat16ES2_fLi6ELb0ELb1ELi64EEEvPT0_PKT_S7_iiiPKb,@function
_ZN12_GLOBAL__N_121softmax_warp_backwardIN3c108BFloat16ES2_fLi6ELb0ELb1ELi64EEEvPT0_PKT_S7_iiiPKb: ; @_ZN12_GLOBAL__N_121softmax_warp_backwardIN3c108BFloat16ES2_fLi6ELb0ELb1ELi64EEEvPT0_PKT_S7_iiiPKb
; %bb.0:
	s_clause 0x1
	s_load_b32 s2, s[0:1], 0x3c
	s_load_b128 s[4:7], s[0:1], 0x18
	v_bfe_u32 v1, v0, 10, 10
	v_dual_mov_b32 v9, 0 :: v_dual_and_b32 v4, 63, v0
	s_clause 0x1
	s_load_b128 s[8:11], s[0:1], 0x0
	s_load_b64 s[12:13], s[0:1], 0x10
	v_dual_mov_b32 v10, 0 :: v_dual_mov_b32 v11, 0
	s_waitcnt lgkmcnt(0)
	s_lshr_b32 s2, s2, 16
	v_cmp_gt_i32_e32 vcc_lo, s6, v4
	s_mul_i32 s15, s15, s2
	s_delay_alu instid0(SALU_CYCLE_1) | instskip(NEXT) | instid1(VALU_DEP_1)
	v_add_lshl_u32 v0, s15, v1, 1
	v_mad_u64_u32 v[2:3], null, v0, s5, v[4:5]
	v_sub_nc_u32_e32 v8, s4, v0
	s_delay_alu instid0(VALU_DEP_1) | instskip(NEXT) | instid1(VALU_DEP_3)
	v_cmp_lt_i32_e64 s2, 0, v8
	v_ashrrev_i32_e32 v3, 31, v2
	s_delay_alu instid0(VALU_DEP_2) | instskip(NEXT) | instid1(VALU_DEP_1)
	s_and_b32 s4, vcc_lo, s2
	v_lshlrev_b64 v[0:1], 1, v[2:3]
	s_delay_alu instid0(VALU_DEP_1) | instskip(NEXT) | instid1(VALU_DEP_1)
	v_add_co_u32 v4, s3, s10, v0
	v_add_co_ci_u32_e64 v5, s3, s11, v1, s3
	v_add_co_u32 v6, s3, s12, v0
	s_delay_alu instid0(VALU_DEP_1)
	v_add_co_ci_u32_e64 v7, s3, s13, v1, s3
	s_and_saveexec_b32 s3, s4
	s_cbranch_execz .LBB846_2
; %bb.1:
	global_load_u16 v10, v[6:7], off
	global_load_u16 v11, v[4:5], off
	s_waitcnt vmcnt(1)
	v_lshlrev_b32_e32 v10, 16, v10
	s_waitcnt vmcnt(0)
	v_lshlrev_b32_e32 v11, 16, v11
.LBB846_2:
	s_or_b32 exec_lo, exec_lo, s3
	v_cmp_lt_i32_e64 s3, 1, v8
	v_mov_b32_e32 v12, 0
	s_mov_b32 s7, 0
	s_delay_alu instid0(VALU_DEP_2) | instskip(NEXT) | instid1(SALU_CYCLE_1)
	s_and_b32 s3, vcc_lo, s3
	s_and_saveexec_b32 s4, s3
	s_cbranch_execz .LBB846_4
; %bb.3:
	s_lshl_b64 s[10:11], s[6:7], 1
	s_delay_alu instid0(SALU_CYCLE_1) | instskip(NEXT) | instid1(VALU_DEP_1)
	v_add_co_u32 v6, s3, v6, s10
	v_add_co_ci_u32_e64 v7, s3, s11, v7, s3
	v_add_co_u32 v4, s3, v4, s10
	s_delay_alu instid0(VALU_DEP_1)
	v_add_co_ci_u32_e64 v5, s3, s11, v5, s3
	global_load_u16 v6, v[6:7], off
	global_load_u16 v4, v[4:5], off
	s_waitcnt vmcnt(1)
	v_lshlrev_b32_e32 v9, 16, v6
	s_waitcnt vmcnt(0)
	v_lshlrev_b32_e32 v12, 16, v4
.LBB846_4:
	s_or_b32 exec_lo, exec_lo, s4
	s_load_b64 s[0:1], s[0:1], 0x28
	s_delay_alu instid0(VALU_DEP_1) | instskip(SKIP_2) | instid1(VALU_DEP_1)
	v_add_f32_e32 v7, 0, v12
	s_waitcnt lgkmcnt(0)
	v_add_co_u32 v2, s0, s0, v2
	v_add_co_ci_u32_e64 v3, s0, s1, v3, s0
	s_ashr_i32 s1, s6, 31
	s_delay_alu instid0(VALU_DEP_2) | instskip(NEXT) | instid1(VALU_DEP_1)
	v_add_co_u32 v4, s0, v2, s6
	v_add_co_ci_u32_e64 v5, s0, s1, v3, s0
	s_clause 0x1
	global_load_u8 v2, v[2:3], off
	global_load_u8 v3, v[4:5], off
	v_mbcnt_lo_u32_b32 v4, -1, 0
	s_delay_alu instid0(VALU_DEP_1) | instskip(NEXT) | instid1(VALU_DEP_1)
	v_or_b32_e32 v5, 32, v4
	v_cmp_gt_i32_e64 s0, 64, v5
	s_delay_alu instid0(VALU_DEP_1) | instskip(NEXT) | instid1(VALU_DEP_1)
	v_cndmask_b32_e64 v5, v4, v5, s0
	v_dual_add_f32 v6, 0, v11 :: v_dual_lshlrev_b32 v5, 2, v5
	s_waitcnt vmcnt(1)
	v_and_b32_e32 v2, 1, v2
	s_delay_alu instid0(VALU_DEP_1) | instskip(NEXT) | instid1(VALU_DEP_1)
	v_cmp_eq_u32_e64 s1, 1, v2
	v_cndmask_b32_e64 v2, v6, 0, s1
	ds_bpermute_b32 v6, v5, v2
	s_waitcnt vmcnt(0) lgkmcnt(0)
	v_dual_add_f32 v2, v2, v6 :: v_dual_and_b32 v3, 1, v3
	s_delay_alu instid0(VALU_DEP_1) | instskip(NEXT) | instid1(VALU_DEP_1)
	v_cmp_eq_u32_e64 s0, 1, v3
	v_cndmask_b32_e64 v3, v7, 0, s0
	v_xor_b32_e32 v7, 16, v4
	ds_bpermute_b32 v5, v5, v3
	v_cmp_gt_i32_e64 s3, 64, v7
	s_delay_alu instid0(VALU_DEP_1) | instskip(NEXT) | instid1(VALU_DEP_1)
	v_cndmask_b32_e64 v7, v4, v7, s3
	v_lshlrev_b32_e32 v7, 2, v7
	s_waitcnt lgkmcnt(0)
	v_add_f32_e32 v3, v3, v5
	ds_bpermute_b32 v5, v7, v2
	s_waitcnt lgkmcnt(0)
	v_add_f32_e32 v2, v2, v5
	ds_bpermute_b32 v6, v7, v3
	v_xor_b32_e32 v7, 8, v4
	s_delay_alu instid0(VALU_DEP_1) | instskip(NEXT) | instid1(VALU_DEP_1)
	v_cmp_gt_i32_e64 s3, 64, v7
	v_cndmask_b32_e64 v7, v4, v7, s3
	s_delay_alu instid0(VALU_DEP_1) | instskip(SKIP_1) | instid1(VALU_DEP_1)
	v_lshlrev_b32_e32 v5, 2, v7
	v_xor_b32_e32 v7, 4, v4
	v_cmp_gt_i32_e64 s3, 64, v7
	s_delay_alu instid0(VALU_DEP_1)
	v_cndmask_b32_e64 v7, v4, v7, s3
	s_waitcnt lgkmcnt(0)
	v_add_f32_e32 v3, v3, v6
	ds_bpermute_b32 v6, v5, v2
	s_waitcnt lgkmcnt(0)
	v_add_f32_e32 v2, v2, v6
	v_lshlrev_b32_e32 v6, 2, v7
	ds_bpermute_b32 v5, v5, v3
	v_xor_b32_e32 v7, 2, v4
	s_delay_alu instid0(VALU_DEP_1) | instskip(NEXT) | instid1(VALU_DEP_1)
	v_cmp_gt_i32_e64 s3, 64, v7
	v_cndmask_b32_e64 v7, v4, v7, s3
	s_waitcnt lgkmcnt(0)
	v_add_f32_e32 v3, v3, v5
	ds_bpermute_b32 v5, v6, v2
	ds_bpermute_b32 v6, v6, v3
	s_waitcnt lgkmcnt(1)
	v_dual_add_f32 v2, v2, v5 :: v_dual_lshlrev_b32 v5, 2, v7
	v_xor_b32_e32 v7, 1, v4
	s_waitcnt lgkmcnt(0)
	v_add_f32_e32 v3, v3, v6
	ds_bpermute_b32 v6, v5, v2
	v_cmp_gt_i32_e64 s3, 64, v7
	ds_bpermute_b32 v5, v5, v3
	v_cndmask_b32_e64 v7, v4, v7, s3
	s_waitcnt lgkmcnt(1)
	v_add_f32_e32 v4, v2, v6
	s_delay_alu instid0(VALU_DEP_2)
	v_lshlrev_b32_e32 v6, 2, v7
	s_waitcnt lgkmcnt(0)
	v_add_f32_e32 v2, v3, v5
	ds_bpermute_b32 v5, v6, v4
	ds_bpermute_b32 v3, v6, v2
	s_and_saveexec_b32 s3, s2
	s_cbranch_execz .LBB846_12
; %bb.5:
	v_add_co_u32 v0, s2, s8, v0
	s_delay_alu instid0(VALU_DEP_1)
	v_add_co_ci_u32_e64 v1, s2, s9, v1, s2
	s_and_saveexec_b32 s2, vcc_lo
	s_cbranch_execz .LBB846_9
; %bb.6:
	v_mov_b32_e32 v6, 0
	s_xor_b32 s1, s1, -1
	s_delay_alu instid0(SALU_CYCLE_1)
	s_and_saveexec_b32 s3, s1
	s_cbranch_execz .LBB846_8
; %bb.7:
	s_waitcnt lgkmcnt(1)
	v_add_f32_e32 v4, v4, v5
	s_delay_alu instid0(VALU_DEP_1) | instskip(NEXT) | instid1(VALU_DEP_1)
	v_fma_f32 v4, -v4, v10, v11
	v_bfe_u32 v5, v4, 16, 1
	v_cmp_o_f32_e64 s1, v4, v4
	s_delay_alu instid0(VALU_DEP_2) | instskip(NEXT) | instid1(VALU_DEP_1)
	v_add3_u32 v5, v4, v5, 0x7fff
	v_lshrrev_b32_e32 v5, 16, v5
	s_delay_alu instid0(VALU_DEP_1)
	v_cndmask_b32_e64 v6, 0x7fc0, v5, s1
.LBB846_8:
	s_or_b32 exec_lo, exec_lo, s3
	global_store_b16 v[0:1], v6, off
.LBB846_9:
	s_or_b32 exec_lo, exec_lo, s2
	v_cmp_ne_u32_e64 s1, 1, v8
	s_delay_alu instid0(VALU_DEP_1)
	s_and_b32 exec_lo, exec_lo, s1
	s_cbranch_execz .LBB846_12
; %bb.10:
	s_and_b32 exec_lo, exec_lo, vcc_lo
	s_cbranch_execz .LBB846_12
; %bb.11:
	s_waitcnt lgkmcnt(0)
	v_add_f32_e32 v2, v2, v3
	s_lshl_b64 s[2:3], s[6:7], 1
	s_delay_alu instid0(VALU_DEP_1) | instskip(NEXT) | instid1(VALU_DEP_1)
	v_fma_f32 v2, -v2, v9, v12
	v_bfe_u32 v3, v2, 16, 1
	v_cmp_o_f32_e32 vcc_lo, v2, v2
	s_delay_alu instid0(VALU_DEP_2) | instskip(NEXT) | instid1(VALU_DEP_1)
	v_add3_u32 v3, v2, v3, 0x7fff
	v_lshrrev_b32_e32 v3, 16, v3
	s_delay_alu instid0(VALU_DEP_1) | instskip(SKIP_2) | instid1(VALU_DEP_3)
	v_cndmask_b32_e32 v2, 0x7fc0, v3, vcc_lo
	v_add_co_u32 v0, vcc_lo, v0, s2
	v_add_co_ci_u32_e32 v1, vcc_lo, s3, v1, vcc_lo
	v_cndmask_b32_e64 v2, v2, 0, s0
	global_store_b16 v[0:1], v2, off
.LBB846_12:
	s_nop 0
	s_sendmsg sendmsg(MSG_DEALLOC_VGPRS)
	s_endpgm
	.section	.rodata,"a",@progbits
	.p2align	6, 0x0
	.amdhsa_kernel _ZN12_GLOBAL__N_121softmax_warp_backwardIN3c108BFloat16ES2_fLi6ELb0ELb1ELi64EEEvPT0_PKT_S7_iiiPKb
		.amdhsa_group_segment_fixed_size 0
		.amdhsa_private_segment_fixed_size 0
		.amdhsa_kernarg_size 304
		.amdhsa_user_sgpr_count 15
		.amdhsa_user_sgpr_dispatch_ptr 0
		.amdhsa_user_sgpr_queue_ptr 0
		.amdhsa_user_sgpr_kernarg_segment_ptr 1
		.amdhsa_user_sgpr_dispatch_id 0
		.amdhsa_user_sgpr_private_segment_size 0
		.amdhsa_wavefront_size32 1
		.amdhsa_uses_dynamic_stack 0
		.amdhsa_enable_private_segment 0
		.amdhsa_system_sgpr_workgroup_id_x 1
		.amdhsa_system_sgpr_workgroup_id_y 0
		.amdhsa_system_sgpr_workgroup_id_z 0
		.amdhsa_system_sgpr_workgroup_info 0
		.amdhsa_system_vgpr_workitem_id 1
		.amdhsa_next_free_vgpr 13
		.amdhsa_next_free_sgpr 16
		.amdhsa_reserve_vcc 1
		.amdhsa_float_round_mode_32 0
		.amdhsa_float_round_mode_16_64 0
		.amdhsa_float_denorm_mode_32 3
		.amdhsa_float_denorm_mode_16_64 3
		.amdhsa_dx10_clamp 1
		.amdhsa_ieee_mode 1
		.amdhsa_fp16_overflow 0
		.amdhsa_workgroup_processor_mode 1
		.amdhsa_memory_ordered 1
		.amdhsa_forward_progress 0
		.amdhsa_shared_vgpr_count 0
		.amdhsa_exception_fp_ieee_invalid_op 0
		.amdhsa_exception_fp_denorm_src 0
		.amdhsa_exception_fp_ieee_div_zero 0
		.amdhsa_exception_fp_ieee_overflow 0
		.amdhsa_exception_fp_ieee_underflow 0
		.amdhsa_exception_fp_ieee_inexact 0
		.amdhsa_exception_int_div_zero 0
	.end_amdhsa_kernel
	.section	.text._ZN12_GLOBAL__N_121softmax_warp_backwardIN3c108BFloat16ES2_fLi6ELb0ELb1ELi64EEEvPT0_PKT_S7_iiiPKb,"axG",@progbits,_ZN12_GLOBAL__N_121softmax_warp_backwardIN3c108BFloat16ES2_fLi6ELb0ELb1ELi64EEEvPT0_PKT_S7_iiiPKb,comdat
.Lfunc_end846:
	.size	_ZN12_GLOBAL__N_121softmax_warp_backwardIN3c108BFloat16ES2_fLi6ELb0ELb1ELi64EEEvPT0_PKT_S7_iiiPKb, .Lfunc_end846-_ZN12_GLOBAL__N_121softmax_warp_backwardIN3c108BFloat16ES2_fLi6ELb0ELb1ELi64EEEvPT0_PKT_S7_iiiPKb
                                        ; -- End function
	.section	.AMDGPU.csdata,"",@progbits
; Kernel info:
; codeLenInByte = 1108
; NumSgprs: 18
; NumVgprs: 13
; ScratchSize: 0
; MemoryBound: 0
; FloatMode: 240
; IeeeMode: 1
; LDSByteSize: 0 bytes/workgroup (compile time only)
; SGPRBlocks: 2
; VGPRBlocks: 1
; NumSGPRsForWavesPerEU: 18
; NumVGPRsForWavesPerEU: 13
; Occupancy: 16
; WaveLimiterHint : 0
; COMPUTE_PGM_RSRC2:SCRATCH_EN: 0
; COMPUTE_PGM_RSRC2:USER_SGPR: 15
; COMPUTE_PGM_RSRC2:TRAP_HANDLER: 0
; COMPUTE_PGM_RSRC2:TGID_X_EN: 1
; COMPUTE_PGM_RSRC2:TGID_Y_EN: 0
; COMPUTE_PGM_RSRC2:TGID_Z_EN: 0
; COMPUTE_PGM_RSRC2:TIDIG_COMP_CNT: 1
	.section	.text._ZN12_GLOBAL__N_121softmax_warp_backwardIN3c108BFloat16ES2_fLi6ELb0ELb1ELi32EEEvPT0_PKT_S7_iiiPKb,"axG",@progbits,_ZN12_GLOBAL__N_121softmax_warp_backwardIN3c108BFloat16ES2_fLi6ELb0ELb1ELi32EEEvPT0_PKT_S7_iiiPKb,comdat
	.globl	_ZN12_GLOBAL__N_121softmax_warp_backwardIN3c108BFloat16ES2_fLi6ELb0ELb1ELi32EEEvPT0_PKT_S7_iiiPKb ; -- Begin function _ZN12_GLOBAL__N_121softmax_warp_backwardIN3c108BFloat16ES2_fLi6ELb0ELb1ELi32EEEvPT0_PKT_S7_iiiPKb
	.p2align	8
	.type	_ZN12_GLOBAL__N_121softmax_warp_backwardIN3c108BFloat16ES2_fLi6ELb0ELb1ELi32EEEvPT0_PKT_S7_iiiPKb,@function
_ZN12_GLOBAL__N_121softmax_warp_backwardIN3c108BFloat16ES2_fLi6ELb0ELb1ELi32EEEvPT0_PKT_S7_iiiPKb: ; @_ZN12_GLOBAL__N_121softmax_warp_backwardIN3c108BFloat16ES2_fLi6ELb0ELb1ELi32EEEvPT0_PKT_S7_iiiPKb
; %bb.0:
	s_clause 0x1
	s_load_b32 s2, s[0:1], 0x3c
	s_load_b128 s[8:11], s[0:1], 0x18
	v_bfe_u32 v1, v0, 10, 10
	v_dual_mov_b32 v15, 0 :: v_dual_and_b32 v8, 31, v0
	v_mov_b32_e32 v10, 0
	v_mov_b32_e32 v14, 0
	s_load_b64 s[4:5], s[0:1], 0x10
	s_waitcnt lgkmcnt(0)
	s_lshr_b32 s2, s2, 16
	v_cmp_gt_i32_e32 vcc_lo, s10, v8
	s_mul_i32 s15, s15, s2
	s_delay_alu instid0(SALU_CYCLE_1) | instskip(SKIP_1) | instid1(VALU_DEP_1)
	v_add_lshl_u32 v0, s15, v1, 1
	s_load_b128 s[12:15], s[0:1], 0x0
	v_mad_u64_u32 v[2:3], null, v0, s9, v[8:9]
	v_sub_nc_u32_e32 v9, s8, v0
	s_delay_alu instid0(VALU_DEP_1) | instskip(NEXT) | instid1(VALU_DEP_3)
	v_cmp_lt_i32_e64 s3, 0, v9
	v_ashrrev_i32_e32 v3, 31, v2
	s_delay_alu instid0(VALU_DEP_1) | instskip(SKIP_1) | instid1(VALU_DEP_1)
	v_lshlrev_b64 v[0:1], 1, v[2:3]
	s_waitcnt lgkmcnt(0)
	v_add_co_u32 v4, s2, s14, v0
	s_delay_alu instid0(VALU_DEP_1) | instskip(SKIP_1) | instid1(VALU_DEP_1)
	v_add_co_ci_u32_e64 v5, s2, s15, v1, s2
	v_add_co_u32 v6, s2, s4, v0
	v_add_co_ci_u32_e64 v7, s2, s5, v1, s2
	s_and_b32 s4, s3, vcc_lo
	s_delay_alu instid0(SALU_CYCLE_1)
	s_and_saveexec_b32 s2, s4
	s_cbranch_execz .LBB847_2
; %bb.1:
	global_load_u16 v11, v[6:7], off
	global_load_u16 v12, v[4:5], off
	s_waitcnt vmcnt(1)
	v_lshlrev_b32_e32 v14, 16, v11
	s_waitcnt vmcnt(0)
	v_lshlrev_b32_e32 v15, 16, v12
.LBB847_2:
	s_or_b32 exec_lo, exec_lo, s2
	v_or_b32_e32 v8, 32, v8
	v_mov_b32_e32 v13, 0
	s_delay_alu instid0(VALU_DEP_2) | instskip(NEXT) | instid1(VALU_DEP_1)
	v_cmp_gt_i32_e64 s2, s10, v8
	s_and_b32 s5, s3, s2
	s_delay_alu instid0(SALU_CYCLE_1)
	s_and_saveexec_b32 s4, s5
	s_cbranch_execz .LBB847_4
; %bb.3:
	global_load_u16 v8, v[6:7], off offset:64
	global_load_u16 v11, v[4:5], off offset:64
	s_waitcnt vmcnt(1)
	v_lshlrev_b32_e32 v10, 16, v8
	s_waitcnt vmcnt(0)
	v_lshlrev_b32_e32 v13, 16, v11
.LBB847_4:
	s_or_b32 exec_lo, exec_lo, s4
	v_cmp_lt_i32_e64 s4, 1, v9
	v_dual_mov_b32 v8, 0 :: v_dual_mov_b32 v11, 0
	v_mov_b32_e32 v12, 0
	s_mov_b32 s11, 0
	s_delay_alu instid0(VALU_DEP_3) | instskip(NEXT) | instid1(SALU_CYCLE_1)
	s_and_b32 s5, s4, vcc_lo
	s_and_saveexec_b32 s6, s5
	s_cbranch_execz .LBB847_6
; %bb.5:
	s_lshl_b64 s[8:9], s[10:11], 1
	s_delay_alu instid0(SALU_CYCLE_1) | instskip(NEXT) | instid1(VALU_DEP_1)
	v_add_co_u32 v11, s5, v6, s8
	v_add_co_ci_u32_e64 v12, s5, s9, v7, s5
	v_add_co_u32 v16, s5, v4, s8
	s_delay_alu instid0(VALU_DEP_1)
	v_add_co_ci_u32_e64 v17, s5, s9, v5, s5
	global_load_u16 v11, v[11:12], off
	global_load_u16 v12, v[16:17], off
	s_waitcnt vmcnt(1)
	v_lshlrev_b32_e32 v11, 16, v11
	s_waitcnt vmcnt(0)
	v_lshlrev_b32_e32 v12, 16, v12
.LBB847_6:
	s_or_b32 exec_lo, exec_lo, s6
	v_mov_b32_e32 v16, 0
	s_and_b32 s4, s4, s2
	s_delay_alu instid0(SALU_CYCLE_1)
	s_and_saveexec_b32 s5, s4
	s_cbranch_execz .LBB847_8
; %bb.7:
	s_lshl_b64 s[6:7], s[10:11], 1
	s_delay_alu instid0(SALU_CYCLE_1) | instskip(NEXT) | instid1(VALU_DEP_1)
	v_add_co_u32 v6, s4, v6, s6
	v_add_co_ci_u32_e64 v7, s4, s7, v7, s4
	v_add_co_u32 v4, s4, v4, s6
	s_delay_alu instid0(VALU_DEP_1)
	v_add_co_ci_u32_e64 v5, s4, s7, v5, s4
	global_load_u16 v6, v[6:7], off offset:64
	global_load_u16 v4, v[4:5], off offset:64
	s_waitcnt vmcnt(1)
	v_lshlrev_b32_e32 v8, 16, v6
	s_waitcnt vmcnt(0)
	v_lshlrev_b32_e32 v16, 16, v4
.LBB847_8:
	s_or_b32 exec_lo, exec_lo, s5
	s_load_b64 s[0:1], s[0:1], 0x28
	s_waitcnt lgkmcnt(0)
	v_add_co_u32 v2, s0, s0, v2
	s_delay_alu instid0(VALU_DEP_1) | instskip(SKIP_1) | instid1(VALU_DEP_2)
	v_add_co_ci_u32_e64 v3, s0, s1, v3, s0
	s_ashr_i32 s1, s10, 31
	v_add_co_u32 v4, s0, v2, s10
	s_delay_alu instid0(VALU_DEP_1)
	v_add_co_ci_u32_e64 v5, s0, s1, v3, s0
	s_clause 0x3
	global_load_u8 v6, v[2:3], off
	global_load_u8 v7, v[4:5], off
	global_load_u8 v2, v[2:3], off offset:32
	global_load_u8 v3, v[4:5], off offset:32
	v_mbcnt_lo_u32_b32 v4, -1, 0
	v_add_f32_e32 v18, 0, v12
	s_delay_alu instid0(VALU_DEP_2) | instskip(NEXT) | instid1(VALU_DEP_1)
	v_xor_b32_e32 v17, 16, v4
	v_cmp_gt_i32_e64 s0, 32, v17
	s_waitcnt vmcnt(3)
	v_dual_add_f32 v6, 0, v15 :: v_dual_and_b32 v5, 1, v6
	s_waitcnt vmcnt(2)
	v_and_b32_e32 v7, 1, v7
	s_delay_alu instid0(VALU_DEP_2) | instskip(NEXT) | instid1(VALU_DEP_2)
	v_cmp_eq_u32_e64 s5, 1, v5
	v_cmp_eq_u32_e64 s1, 1, v7
	s_delay_alu instid0(VALU_DEP_2)
	v_cndmask_b32_e64 v5, v6, 0, s5
	s_waitcnt vmcnt(1)
	v_and_b32_e32 v2, 1, v2
	v_cndmask_b32_e64 v6, v4, v17, s0
	v_cndmask_b32_e64 v7, v18, 0, s1
	s_waitcnt vmcnt(0)
	v_and_b32_e32 v3, 1, v3
	v_add_f32_e32 v17, v5, v13
	v_cmp_eq_u32_e64 s4, 1, v2
	v_lshlrev_b32_e32 v6, 2, v6
	v_add_f32_e32 v18, v7, v16
	v_cmp_eq_u32_e64 s0, 1, v3
	s_delay_alu instid0(VALU_DEP_4) | instskip(NEXT) | instid1(VALU_DEP_2)
	v_cndmask_b32_e64 v2, v17, v5, s4
	v_cndmask_b32_e64 v3, v18, v7, s0
	v_xor_b32_e32 v7, 8, v4
	ds_bpermute_b32 v5, v6, v2
	ds_bpermute_b32 v6, v6, v3
	v_cmp_gt_i32_e64 s6, 32, v7
	s_delay_alu instid0(VALU_DEP_1) | instskip(SKIP_1) | instid1(VALU_DEP_1)
	v_cndmask_b32_e64 v7, v4, v7, s6
	s_waitcnt lgkmcnt(1)
	v_dual_add_f32 v2, v2, v5 :: v_dual_lshlrev_b32 v5, 2, v7
	v_xor_b32_e32 v7, 4, v4
	s_delay_alu instid0(VALU_DEP_1) | instskip(NEXT) | instid1(VALU_DEP_1)
	v_cmp_gt_i32_e64 s6, 32, v7
	v_cndmask_b32_e64 v7, v4, v7, s6
	s_waitcnt lgkmcnt(0)
	v_add_f32_e32 v3, v3, v6
	ds_bpermute_b32 v6, v5, v2
	s_waitcnt lgkmcnt(0)
	v_add_f32_e32 v2, v2, v6
	v_lshlrev_b32_e32 v6, 2, v7
	ds_bpermute_b32 v5, v5, v3
	v_xor_b32_e32 v7, 2, v4
	s_delay_alu instid0(VALU_DEP_1) | instskip(NEXT) | instid1(VALU_DEP_1)
	v_cmp_gt_i32_e64 s6, 32, v7
	v_cndmask_b32_e64 v7, v4, v7, s6
	s_waitcnt lgkmcnt(0)
	v_add_f32_e32 v3, v3, v5
	ds_bpermute_b32 v5, v6, v2
	ds_bpermute_b32 v6, v6, v3
	s_waitcnt lgkmcnt(1)
	v_dual_add_f32 v2, v2, v5 :: v_dual_lshlrev_b32 v5, 2, v7
	v_xor_b32_e32 v7, 1, v4
	s_waitcnt lgkmcnt(0)
	v_add_f32_e32 v3, v3, v6
	ds_bpermute_b32 v6, v5, v2
	v_cmp_gt_i32_e64 s6, 32, v7
	ds_bpermute_b32 v5, v5, v3
	v_cndmask_b32_e64 v7, v4, v7, s6
	s_waitcnt lgkmcnt(1)
	v_add_f32_e32 v4, v2, v6
	s_delay_alu instid0(VALU_DEP_2)
	v_lshlrev_b32_e32 v6, 2, v7
	s_waitcnt lgkmcnt(0)
	v_add_f32_e32 v2, v3, v5
	ds_bpermute_b32 v5, v6, v4
	ds_bpermute_b32 v3, v6, v2
	s_and_saveexec_b32 s6, s3
	s_cbranch_execz .LBB847_12
; %bb.9:
	v_add_co_u32 v0, s3, s12, v0
	s_waitcnt lgkmcnt(1)
	v_add_f32_e32 v4, v4, v5
	v_add_co_ci_u32_e64 v1, s3, s13, v1, s3
	s_and_saveexec_b32 s6, vcc_lo
	s_cbranch_execnz .LBB847_13
; %bb.10:
	s_or_b32 exec_lo, exec_lo, s6
	s_xor_b32 s3, s4, -1
	s_and_saveexec_b32 s4, s2
	s_cbranch_execnz .LBB847_16
.LBB847_11:
	s_or_b32 exec_lo, exec_lo, s4
	v_cmp_ne_u32_e64 s3, 1, v9
	s_delay_alu instid0(VALU_DEP_1)
	s_and_b32 exec_lo, exec_lo, s3
	s_cbranch_execnz .LBB847_19
.LBB847_12:
	s_nop 0
	s_sendmsg sendmsg(MSG_DEALLOC_VGPRS)
	s_endpgm
.LBB847_13:
	v_mov_b32_e32 v5, 0
	s_xor_b32 s3, s5, -1
	s_delay_alu instid0(SALU_CYCLE_1)
	s_and_saveexec_b32 s5, s3
; %bb.14:
	v_fma_f32 v5, -v4, v14, v15
	s_delay_alu instid0(VALU_DEP_1) | instskip(SKIP_1) | instid1(VALU_DEP_2)
	v_bfe_u32 v6, v5, 16, 1
	v_cmp_o_f32_e64 s3, v5, v5
	v_add3_u32 v6, v5, v6, 0x7fff
	s_delay_alu instid0(VALU_DEP_1) | instskip(NEXT) | instid1(VALU_DEP_1)
	v_lshrrev_b32_e32 v6, 16, v6
	v_cndmask_b32_e64 v5, 0x7fc0, v6, s3
; %bb.15:
	s_or_b32 exec_lo, exec_lo, s5
	global_store_b16 v[0:1], v5, off
	s_or_b32 exec_lo, exec_lo, s6
	s_xor_b32 s3, s4, -1
	s_and_saveexec_b32 s4, s2
	s_cbranch_execz .LBB847_11
.LBB847_16:
	v_mov_b32_e32 v5, 0
	s_and_saveexec_b32 s5, s3
; %bb.17:
	v_fma_f32 v4, -v4, v10, v13
	s_delay_alu instid0(VALU_DEP_1) | instskip(SKIP_1) | instid1(VALU_DEP_2)
	v_bfe_u32 v5, v4, 16, 1
	v_cmp_o_f32_e64 s3, v4, v4
	v_add3_u32 v5, v4, v5, 0x7fff
	s_delay_alu instid0(VALU_DEP_1) | instskip(NEXT) | instid1(VALU_DEP_1)
	v_lshrrev_b32_e32 v5, 16, v5
	v_cndmask_b32_e64 v5, 0x7fc0, v5, s3
; %bb.18:
	s_or_b32 exec_lo, exec_lo, s5
	global_store_b16 v[0:1], v5, off offset:64
	s_or_b32 exec_lo, exec_lo, s4
	v_cmp_ne_u32_e64 s3, 1, v9
	s_delay_alu instid0(VALU_DEP_1)
	s_and_b32 exec_lo, exec_lo, s3
	s_cbranch_execz .LBB847_12
.LBB847_19:
	s_lshl_b64 s[4:5], s[10:11], 1
	s_waitcnt lgkmcnt(0)
	v_add_f32_e32 v2, v2, v3
	v_add_co_u32 v0, s3, v0, s4
	s_delay_alu instid0(VALU_DEP_1)
	v_add_co_ci_u32_e64 v1, s3, s5, v1, s3
	s_and_saveexec_b32 s3, vcc_lo
	s_cbranch_execz .LBB847_21
; %bb.20:
	v_fma_f32 v3, -v2, v11, v12
	s_delay_alu instid0(VALU_DEP_1) | instskip(SKIP_1) | instid1(VALU_DEP_2)
	v_bfe_u32 v4, v3, 16, 1
	v_cmp_o_f32_e32 vcc_lo, v3, v3
	v_add3_u32 v4, v3, v4, 0x7fff
	s_delay_alu instid0(VALU_DEP_1) | instskip(NEXT) | instid1(VALU_DEP_1)
	v_lshrrev_b32_e32 v4, 16, v4
	v_cndmask_b32_e32 v3, 0x7fc0, v4, vcc_lo
	s_delay_alu instid0(VALU_DEP_1)
	v_cndmask_b32_e64 v3, v3, 0, s1
	global_store_b16 v[0:1], v3, off
.LBB847_21:
	s_or_b32 exec_lo, exec_lo, s3
	s_delay_alu instid0(SALU_CYCLE_1)
	s_and_b32 exec_lo, exec_lo, s2
	s_cbranch_execz .LBB847_12
; %bb.22:
	v_fma_f32 v2, -v2, v8, v16
	s_delay_alu instid0(VALU_DEP_1) | instskip(SKIP_1) | instid1(VALU_DEP_2)
	v_bfe_u32 v3, v2, 16, 1
	v_cmp_o_f32_e32 vcc_lo, v2, v2
	v_add3_u32 v3, v2, v3, 0x7fff
	s_delay_alu instid0(VALU_DEP_1) | instskip(NEXT) | instid1(VALU_DEP_1)
	v_lshrrev_b32_e32 v3, 16, v3
	v_cndmask_b32_e32 v2, 0x7fc0, v3, vcc_lo
	s_delay_alu instid0(VALU_DEP_1)
	v_cndmask_b32_e64 v2, v2, 0, s0
	global_store_b16 v[0:1], v2, off offset:64
	s_nop 0
	s_sendmsg sendmsg(MSG_DEALLOC_VGPRS)
	s_endpgm
	.section	.rodata,"a",@progbits
	.p2align	6, 0x0
	.amdhsa_kernel _ZN12_GLOBAL__N_121softmax_warp_backwardIN3c108BFloat16ES2_fLi6ELb0ELb1ELi32EEEvPT0_PKT_S7_iiiPKb
		.amdhsa_group_segment_fixed_size 0
		.amdhsa_private_segment_fixed_size 0
		.amdhsa_kernarg_size 304
		.amdhsa_user_sgpr_count 15
		.amdhsa_user_sgpr_dispatch_ptr 0
		.amdhsa_user_sgpr_queue_ptr 0
		.amdhsa_user_sgpr_kernarg_segment_ptr 1
		.amdhsa_user_sgpr_dispatch_id 0
		.amdhsa_user_sgpr_private_segment_size 0
		.amdhsa_wavefront_size32 1
		.amdhsa_uses_dynamic_stack 0
		.amdhsa_enable_private_segment 0
		.amdhsa_system_sgpr_workgroup_id_x 1
		.amdhsa_system_sgpr_workgroup_id_y 0
		.amdhsa_system_sgpr_workgroup_id_z 0
		.amdhsa_system_sgpr_workgroup_info 0
		.amdhsa_system_vgpr_workitem_id 1
		.amdhsa_next_free_vgpr 19
		.amdhsa_next_free_sgpr 16
		.amdhsa_reserve_vcc 1
		.amdhsa_float_round_mode_32 0
		.amdhsa_float_round_mode_16_64 0
		.amdhsa_float_denorm_mode_32 3
		.amdhsa_float_denorm_mode_16_64 3
		.amdhsa_dx10_clamp 1
		.amdhsa_ieee_mode 1
		.amdhsa_fp16_overflow 0
		.amdhsa_workgroup_processor_mode 1
		.amdhsa_memory_ordered 1
		.amdhsa_forward_progress 0
		.amdhsa_shared_vgpr_count 0
		.amdhsa_exception_fp_ieee_invalid_op 0
		.amdhsa_exception_fp_denorm_src 0
		.amdhsa_exception_fp_ieee_div_zero 0
		.amdhsa_exception_fp_ieee_overflow 0
		.amdhsa_exception_fp_ieee_underflow 0
		.amdhsa_exception_fp_ieee_inexact 0
		.amdhsa_exception_int_div_zero 0
	.end_amdhsa_kernel
	.section	.text._ZN12_GLOBAL__N_121softmax_warp_backwardIN3c108BFloat16ES2_fLi6ELb0ELb1ELi32EEEvPT0_PKT_S7_iiiPKb,"axG",@progbits,_ZN12_GLOBAL__N_121softmax_warp_backwardIN3c108BFloat16ES2_fLi6ELb0ELb1ELi32EEEvPT0_PKT_S7_iiiPKb,comdat
.Lfunc_end847:
	.size	_ZN12_GLOBAL__N_121softmax_warp_backwardIN3c108BFloat16ES2_fLi6ELb0ELb1ELi32EEEvPT0_PKT_S7_iiiPKb, .Lfunc_end847-_ZN12_GLOBAL__N_121softmax_warp_backwardIN3c108BFloat16ES2_fLi6ELb0ELb1ELi32EEEvPT0_PKT_S7_iiiPKb
                                        ; -- End function
	.section	.AMDGPU.csdata,"",@progbits
; Kernel info:
; codeLenInByte = 1532
; NumSgprs: 18
; NumVgprs: 19
; ScratchSize: 0
; MemoryBound: 0
; FloatMode: 240
; IeeeMode: 1
; LDSByteSize: 0 bytes/workgroup (compile time only)
; SGPRBlocks: 2
; VGPRBlocks: 2
; NumSGPRsForWavesPerEU: 18
; NumVGPRsForWavesPerEU: 19
; Occupancy: 16
; WaveLimiterHint : 0
; COMPUTE_PGM_RSRC2:SCRATCH_EN: 0
; COMPUTE_PGM_RSRC2:USER_SGPR: 15
; COMPUTE_PGM_RSRC2:TRAP_HANDLER: 0
; COMPUTE_PGM_RSRC2:TGID_X_EN: 1
; COMPUTE_PGM_RSRC2:TGID_Y_EN: 0
; COMPUTE_PGM_RSRC2:TGID_Z_EN: 0
; COMPUTE_PGM_RSRC2:TIDIG_COMP_CNT: 1
	.section	.text._ZN12_GLOBAL__N_121softmax_warp_backwardIN3c108BFloat16ES2_fLi7ELb0ELb1ELi64EEEvPT0_PKT_S7_iiiPKb,"axG",@progbits,_ZN12_GLOBAL__N_121softmax_warp_backwardIN3c108BFloat16ES2_fLi7ELb0ELb1ELi64EEEvPT0_PKT_S7_iiiPKb,comdat
	.globl	_ZN12_GLOBAL__N_121softmax_warp_backwardIN3c108BFloat16ES2_fLi7ELb0ELb1ELi64EEEvPT0_PKT_S7_iiiPKb ; -- Begin function _ZN12_GLOBAL__N_121softmax_warp_backwardIN3c108BFloat16ES2_fLi7ELb0ELb1ELi64EEEvPT0_PKT_S7_iiiPKb
	.p2align	8
	.type	_ZN12_GLOBAL__N_121softmax_warp_backwardIN3c108BFloat16ES2_fLi7ELb0ELb1ELi64EEEvPT0_PKT_S7_iiiPKb,@function
_ZN12_GLOBAL__N_121softmax_warp_backwardIN3c108BFloat16ES2_fLi7ELb0ELb1ELi64EEEvPT0_PKT_S7_iiiPKb: ; @_ZN12_GLOBAL__N_121softmax_warp_backwardIN3c108BFloat16ES2_fLi7ELb0ELb1ELi64EEEvPT0_PKT_S7_iiiPKb
; %bb.0:
	s_clause 0x1
	s_load_b32 s2, s[0:1], 0x3c
	s_load_b128 s[8:11], s[0:1], 0x18
	v_bfe_u32 v1, v0, 10, 10
	v_dual_mov_b32 v15, 0 :: v_dual_and_b32 v8, 63, v0
	v_mov_b32_e32 v10, 0
	v_mov_b32_e32 v14, 0
	s_load_b64 s[4:5], s[0:1], 0x10
	s_waitcnt lgkmcnt(0)
	s_lshr_b32 s2, s2, 16
	v_cmp_gt_i32_e32 vcc_lo, s10, v8
	s_mul_i32 s15, s15, s2
	s_delay_alu instid0(SALU_CYCLE_1) | instskip(SKIP_1) | instid1(VALU_DEP_1)
	v_add_lshl_u32 v0, s15, v1, 1
	s_load_b128 s[12:15], s[0:1], 0x0
	v_mad_u64_u32 v[2:3], null, v0, s9, v[8:9]
	v_sub_nc_u32_e32 v9, s8, v0
	s_delay_alu instid0(VALU_DEP_1) | instskip(NEXT) | instid1(VALU_DEP_3)
	v_cmp_lt_i32_e64 s3, 0, v9
	v_ashrrev_i32_e32 v3, 31, v2
	s_delay_alu instid0(VALU_DEP_1) | instskip(SKIP_1) | instid1(VALU_DEP_1)
	v_lshlrev_b64 v[0:1], 1, v[2:3]
	s_waitcnt lgkmcnt(0)
	v_add_co_u32 v4, s2, s14, v0
	s_delay_alu instid0(VALU_DEP_1) | instskip(SKIP_1) | instid1(VALU_DEP_1)
	v_add_co_ci_u32_e64 v5, s2, s15, v1, s2
	v_add_co_u32 v6, s2, s4, v0
	v_add_co_ci_u32_e64 v7, s2, s5, v1, s2
	s_and_b32 s4, s3, vcc_lo
	s_delay_alu instid0(SALU_CYCLE_1)
	s_and_saveexec_b32 s2, s4
	s_cbranch_execz .LBB848_2
; %bb.1:
	global_load_u16 v11, v[6:7], off
	global_load_u16 v12, v[4:5], off
	s_waitcnt vmcnt(1)
	v_lshlrev_b32_e32 v14, 16, v11
	s_waitcnt vmcnt(0)
	v_lshlrev_b32_e32 v15, 16, v12
.LBB848_2:
	s_or_b32 exec_lo, exec_lo, s2
	v_or_b32_e32 v8, 64, v8
	v_mov_b32_e32 v13, 0
	s_delay_alu instid0(VALU_DEP_2) | instskip(NEXT) | instid1(VALU_DEP_1)
	v_cmp_gt_i32_e64 s2, s10, v8
	s_and_b32 s5, s3, s2
	s_delay_alu instid0(SALU_CYCLE_1)
	s_and_saveexec_b32 s4, s5
	s_cbranch_execz .LBB848_4
; %bb.3:
	global_load_u16 v8, v[6:7], off offset:128
	global_load_u16 v11, v[4:5], off offset:128
	s_waitcnt vmcnt(1)
	v_lshlrev_b32_e32 v10, 16, v8
	s_waitcnt vmcnt(0)
	v_lshlrev_b32_e32 v13, 16, v11
.LBB848_4:
	s_or_b32 exec_lo, exec_lo, s4
	v_cmp_lt_i32_e64 s4, 1, v9
	v_dual_mov_b32 v8, 0 :: v_dual_mov_b32 v11, 0
	v_mov_b32_e32 v12, 0
	s_mov_b32 s11, 0
	s_delay_alu instid0(VALU_DEP_3) | instskip(NEXT) | instid1(SALU_CYCLE_1)
	s_and_b32 s5, s4, vcc_lo
	s_and_saveexec_b32 s6, s5
	s_cbranch_execz .LBB848_6
; %bb.5:
	s_lshl_b64 s[8:9], s[10:11], 1
	s_delay_alu instid0(SALU_CYCLE_1) | instskip(NEXT) | instid1(VALU_DEP_1)
	v_add_co_u32 v11, s5, v6, s8
	v_add_co_ci_u32_e64 v12, s5, s9, v7, s5
	v_add_co_u32 v16, s5, v4, s8
	s_delay_alu instid0(VALU_DEP_1)
	v_add_co_ci_u32_e64 v17, s5, s9, v5, s5
	global_load_u16 v11, v[11:12], off
	global_load_u16 v12, v[16:17], off
	s_waitcnt vmcnt(1)
	v_lshlrev_b32_e32 v11, 16, v11
	s_waitcnt vmcnt(0)
	v_lshlrev_b32_e32 v12, 16, v12
.LBB848_6:
	s_or_b32 exec_lo, exec_lo, s6
	v_mov_b32_e32 v16, 0
	s_and_b32 s4, s4, s2
	s_delay_alu instid0(SALU_CYCLE_1)
	s_and_saveexec_b32 s5, s4
	s_cbranch_execz .LBB848_8
; %bb.7:
	s_lshl_b64 s[6:7], s[10:11], 1
	s_delay_alu instid0(SALU_CYCLE_1) | instskip(NEXT) | instid1(VALU_DEP_1)
	v_add_co_u32 v6, s4, v6, s6
	v_add_co_ci_u32_e64 v7, s4, s7, v7, s4
	v_add_co_u32 v4, s4, v4, s6
	s_delay_alu instid0(VALU_DEP_1)
	v_add_co_ci_u32_e64 v5, s4, s7, v5, s4
	global_load_u16 v6, v[6:7], off offset:128
	global_load_u16 v4, v[4:5], off offset:128
	s_waitcnt vmcnt(1)
	v_lshlrev_b32_e32 v8, 16, v6
	s_waitcnt vmcnt(0)
	v_lshlrev_b32_e32 v16, 16, v4
.LBB848_8:
	s_or_b32 exec_lo, exec_lo, s5
	s_load_b64 s[0:1], s[0:1], 0x28
	s_waitcnt lgkmcnt(0)
	v_add_co_u32 v2, s0, s0, v2
	s_delay_alu instid0(VALU_DEP_1) | instskip(SKIP_1) | instid1(VALU_DEP_2)
	v_add_co_ci_u32_e64 v3, s0, s1, v3, s0
	s_ashr_i32 s1, s10, 31
	v_add_co_u32 v4, s0, v2, s10
	s_delay_alu instid0(VALU_DEP_1)
	v_add_co_ci_u32_e64 v5, s0, s1, v3, s0
	s_clause 0x3
	global_load_u8 v6, v[2:3], off
	global_load_u8 v7, v[4:5], off
	global_load_u8 v2, v[2:3], off offset:64
	global_load_u8 v3, v[4:5], off offset:64
	v_mbcnt_lo_u32_b32 v4, -1, 0
	v_add_f32_e32 v18, 0, v12
	s_delay_alu instid0(VALU_DEP_2) | instskip(NEXT) | instid1(VALU_DEP_1)
	v_or_b32_e32 v17, 32, v4
	v_cmp_gt_i32_e64 s0, 64, v17
	s_waitcnt vmcnt(3)
	v_dual_add_f32 v6, 0, v15 :: v_dual_and_b32 v5, 1, v6
	s_waitcnt vmcnt(2)
	v_and_b32_e32 v7, 1, v7
	s_delay_alu instid0(VALU_DEP_2) | instskip(NEXT) | instid1(VALU_DEP_2)
	v_cmp_eq_u32_e64 s5, 1, v5
	v_cmp_eq_u32_e64 s1, 1, v7
	s_delay_alu instid0(VALU_DEP_2)
	v_cndmask_b32_e64 v5, v6, 0, s5
	s_waitcnt vmcnt(1)
	v_and_b32_e32 v2, 1, v2
	v_cndmask_b32_e64 v6, v4, v17, s0
	v_cndmask_b32_e64 v7, v18, 0, s1
	s_waitcnt vmcnt(0)
	v_and_b32_e32 v3, 1, v3
	v_add_f32_e32 v17, v5, v13
	v_cmp_eq_u32_e64 s4, 1, v2
	v_lshlrev_b32_e32 v6, 2, v6
	v_add_f32_e32 v18, v7, v16
	v_cmp_eq_u32_e64 s0, 1, v3
	s_delay_alu instid0(VALU_DEP_4) | instskip(NEXT) | instid1(VALU_DEP_2)
	v_cndmask_b32_e64 v2, v17, v5, s4
	v_cndmask_b32_e64 v3, v18, v7, s0
	v_xor_b32_e32 v7, 16, v4
	ds_bpermute_b32 v5, v6, v2
	ds_bpermute_b32 v6, v6, v3
	v_cmp_gt_i32_e64 s6, 64, v7
	s_delay_alu instid0(VALU_DEP_1) | instskip(SKIP_1) | instid1(VALU_DEP_1)
	v_cndmask_b32_e64 v7, v4, v7, s6
	s_waitcnt lgkmcnt(1)
	v_dual_add_f32 v2, v2, v5 :: v_dual_lshlrev_b32 v7, 2, v7
	ds_bpermute_b32 v5, v7, v2
	s_waitcnt lgkmcnt(0)
	v_dual_add_f32 v3, v3, v6 :: v_dual_add_f32 v2, v2, v5
	ds_bpermute_b32 v6, v7, v3
	v_xor_b32_e32 v7, 8, v4
	s_delay_alu instid0(VALU_DEP_1) | instskip(NEXT) | instid1(VALU_DEP_1)
	v_cmp_gt_i32_e64 s6, 64, v7
	v_cndmask_b32_e64 v7, v4, v7, s6
	s_delay_alu instid0(VALU_DEP_1) | instskip(SKIP_1) | instid1(VALU_DEP_1)
	v_lshlrev_b32_e32 v5, 2, v7
	v_xor_b32_e32 v7, 4, v4
	v_cmp_gt_i32_e64 s6, 64, v7
	s_delay_alu instid0(VALU_DEP_1)
	v_cndmask_b32_e64 v7, v4, v7, s6
	s_waitcnt lgkmcnt(0)
	v_add_f32_e32 v3, v3, v6
	ds_bpermute_b32 v6, v5, v2
	s_waitcnt lgkmcnt(0)
	v_add_f32_e32 v2, v2, v6
	v_lshlrev_b32_e32 v6, 2, v7
	ds_bpermute_b32 v5, v5, v3
	v_xor_b32_e32 v7, 2, v4
	s_delay_alu instid0(VALU_DEP_1) | instskip(NEXT) | instid1(VALU_DEP_1)
	v_cmp_gt_i32_e64 s6, 64, v7
	v_cndmask_b32_e64 v7, v4, v7, s6
	s_waitcnt lgkmcnt(0)
	v_add_f32_e32 v3, v3, v5
	ds_bpermute_b32 v5, v6, v2
	ds_bpermute_b32 v6, v6, v3
	s_waitcnt lgkmcnt(1)
	v_dual_add_f32 v2, v2, v5 :: v_dual_lshlrev_b32 v5, 2, v7
	v_xor_b32_e32 v7, 1, v4
	s_delay_alu instid0(VALU_DEP_1) | instskip(NEXT) | instid1(VALU_DEP_1)
	v_cmp_gt_i32_e64 s6, 64, v7
	v_cndmask_b32_e64 v7, v4, v7, s6
	s_waitcnt lgkmcnt(0)
	v_add_f32_e32 v3, v3, v6
	ds_bpermute_b32 v6, v5, v2
	s_waitcnt lgkmcnt(0)
	v_add_f32_e32 v4, v2, v6
	v_lshlrev_b32_e32 v6, 2, v7
	ds_bpermute_b32 v5, v5, v3
	s_waitcnt lgkmcnt(0)
	v_add_f32_e32 v2, v3, v5
	ds_bpermute_b32 v5, v6, v4
	ds_bpermute_b32 v3, v6, v2
	s_and_saveexec_b32 s6, s3
	s_cbranch_execz .LBB848_12
; %bb.9:
	v_add_co_u32 v0, s3, s12, v0
	s_waitcnt lgkmcnt(1)
	v_add_f32_e32 v4, v4, v5
	v_add_co_ci_u32_e64 v1, s3, s13, v1, s3
	s_and_saveexec_b32 s6, vcc_lo
	s_cbranch_execnz .LBB848_13
; %bb.10:
	s_or_b32 exec_lo, exec_lo, s6
	s_xor_b32 s3, s4, -1
	s_and_saveexec_b32 s4, s2
	s_cbranch_execnz .LBB848_16
.LBB848_11:
	s_or_b32 exec_lo, exec_lo, s4
	v_cmp_ne_u32_e64 s3, 1, v9
	s_delay_alu instid0(VALU_DEP_1)
	s_and_b32 exec_lo, exec_lo, s3
	s_cbranch_execnz .LBB848_19
.LBB848_12:
	s_nop 0
	s_sendmsg sendmsg(MSG_DEALLOC_VGPRS)
	s_endpgm
.LBB848_13:
	v_mov_b32_e32 v5, 0
	s_xor_b32 s3, s5, -1
	s_delay_alu instid0(SALU_CYCLE_1)
	s_and_saveexec_b32 s5, s3
; %bb.14:
	v_fma_f32 v5, -v4, v14, v15
	s_delay_alu instid0(VALU_DEP_1) | instskip(SKIP_1) | instid1(VALU_DEP_2)
	v_bfe_u32 v6, v5, 16, 1
	v_cmp_o_f32_e64 s3, v5, v5
	v_add3_u32 v6, v5, v6, 0x7fff
	s_delay_alu instid0(VALU_DEP_1) | instskip(NEXT) | instid1(VALU_DEP_1)
	v_lshrrev_b32_e32 v6, 16, v6
	v_cndmask_b32_e64 v5, 0x7fc0, v6, s3
; %bb.15:
	s_or_b32 exec_lo, exec_lo, s5
	global_store_b16 v[0:1], v5, off
	s_or_b32 exec_lo, exec_lo, s6
	s_xor_b32 s3, s4, -1
	s_and_saveexec_b32 s4, s2
	s_cbranch_execz .LBB848_11
.LBB848_16:
	v_mov_b32_e32 v5, 0
	s_and_saveexec_b32 s5, s3
; %bb.17:
	v_fma_f32 v4, -v4, v10, v13
	s_delay_alu instid0(VALU_DEP_1) | instskip(SKIP_1) | instid1(VALU_DEP_2)
	v_bfe_u32 v5, v4, 16, 1
	v_cmp_o_f32_e64 s3, v4, v4
	v_add3_u32 v5, v4, v5, 0x7fff
	s_delay_alu instid0(VALU_DEP_1) | instskip(NEXT) | instid1(VALU_DEP_1)
	v_lshrrev_b32_e32 v5, 16, v5
	v_cndmask_b32_e64 v5, 0x7fc0, v5, s3
; %bb.18:
	s_or_b32 exec_lo, exec_lo, s5
	global_store_b16 v[0:1], v5, off offset:128
	s_or_b32 exec_lo, exec_lo, s4
	v_cmp_ne_u32_e64 s3, 1, v9
	s_delay_alu instid0(VALU_DEP_1)
	s_and_b32 exec_lo, exec_lo, s3
	s_cbranch_execz .LBB848_12
.LBB848_19:
	s_lshl_b64 s[4:5], s[10:11], 1
	s_waitcnt lgkmcnt(0)
	v_add_f32_e32 v2, v2, v3
	v_add_co_u32 v0, s3, v0, s4
	s_delay_alu instid0(VALU_DEP_1)
	v_add_co_ci_u32_e64 v1, s3, s5, v1, s3
	s_and_saveexec_b32 s3, vcc_lo
	s_cbranch_execz .LBB848_21
; %bb.20:
	v_fma_f32 v3, -v2, v11, v12
	s_delay_alu instid0(VALU_DEP_1) | instskip(SKIP_1) | instid1(VALU_DEP_2)
	v_bfe_u32 v4, v3, 16, 1
	v_cmp_o_f32_e32 vcc_lo, v3, v3
	v_add3_u32 v4, v3, v4, 0x7fff
	s_delay_alu instid0(VALU_DEP_1) | instskip(NEXT) | instid1(VALU_DEP_1)
	v_lshrrev_b32_e32 v4, 16, v4
	v_cndmask_b32_e32 v3, 0x7fc0, v4, vcc_lo
	s_delay_alu instid0(VALU_DEP_1)
	v_cndmask_b32_e64 v3, v3, 0, s1
	global_store_b16 v[0:1], v3, off
.LBB848_21:
	s_or_b32 exec_lo, exec_lo, s3
	s_delay_alu instid0(SALU_CYCLE_1)
	s_and_b32 exec_lo, exec_lo, s2
	s_cbranch_execz .LBB848_12
; %bb.22:
	v_fma_f32 v2, -v2, v8, v16
	s_delay_alu instid0(VALU_DEP_1) | instskip(SKIP_1) | instid1(VALU_DEP_2)
	v_bfe_u32 v3, v2, 16, 1
	v_cmp_o_f32_e32 vcc_lo, v2, v2
	v_add3_u32 v3, v2, v3, 0x7fff
	s_delay_alu instid0(VALU_DEP_1) | instskip(NEXT) | instid1(VALU_DEP_1)
	v_lshrrev_b32_e32 v3, 16, v3
	v_cndmask_b32_e32 v2, 0x7fc0, v3, vcc_lo
	s_delay_alu instid0(VALU_DEP_1)
	v_cndmask_b32_e64 v2, v2, 0, s0
	global_store_b16 v[0:1], v2, off offset:128
	s_nop 0
	s_sendmsg sendmsg(MSG_DEALLOC_VGPRS)
	s_endpgm
	.section	.rodata,"a",@progbits
	.p2align	6, 0x0
	.amdhsa_kernel _ZN12_GLOBAL__N_121softmax_warp_backwardIN3c108BFloat16ES2_fLi7ELb0ELb1ELi64EEEvPT0_PKT_S7_iiiPKb
		.amdhsa_group_segment_fixed_size 0
		.amdhsa_private_segment_fixed_size 0
		.amdhsa_kernarg_size 304
		.amdhsa_user_sgpr_count 15
		.amdhsa_user_sgpr_dispatch_ptr 0
		.amdhsa_user_sgpr_queue_ptr 0
		.amdhsa_user_sgpr_kernarg_segment_ptr 1
		.amdhsa_user_sgpr_dispatch_id 0
		.amdhsa_user_sgpr_private_segment_size 0
		.amdhsa_wavefront_size32 1
		.amdhsa_uses_dynamic_stack 0
		.amdhsa_enable_private_segment 0
		.amdhsa_system_sgpr_workgroup_id_x 1
		.amdhsa_system_sgpr_workgroup_id_y 0
		.amdhsa_system_sgpr_workgroup_id_z 0
		.amdhsa_system_sgpr_workgroup_info 0
		.amdhsa_system_vgpr_workitem_id 1
		.amdhsa_next_free_vgpr 19
		.amdhsa_next_free_sgpr 16
		.amdhsa_reserve_vcc 1
		.amdhsa_float_round_mode_32 0
		.amdhsa_float_round_mode_16_64 0
		.amdhsa_float_denorm_mode_32 3
		.amdhsa_float_denorm_mode_16_64 3
		.amdhsa_dx10_clamp 1
		.amdhsa_ieee_mode 1
		.amdhsa_fp16_overflow 0
		.amdhsa_workgroup_processor_mode 1
		.amdhsa_memory_ordered 1
		.amdhsa_forward_progress 0
		.amdhsa_shared_vgpr_count 0
		.amdhsa_exception_fp_ieee_invalid_op 0
		.amdhsa_exception_fp_denorm_src 0
		.amdhsa_exception_fp_ieee_div_zero 0
		.amdhsa_exception_fp_ieee_overflow 0
		.amdhsa_exception_fp_ieee_underflow 0
		.amdhsa_exception_fp_ieee_inexact 0
		.amdhsa_exception_int_div_zero 0
	.end_amdhsa_kernel
	.section	.text._ZN12_GLOBAL__N_121softmax_warp_backwardIN3c108BFloat16ES2_fLi7ELb0ELb1ELi64EEEvPT0_PKT_S7_iiiPKb,"axG",@progbits,_ZN12_GLOBAL__N_121softmax_warp_backwardIN3c108BFloat16ES2_fLi7ELb0ELb1ELi64EEEvPT0_PKT_S7_iiiPKb,comdat
.Lfunc_end848:
	.size	_ZN12_GLOBAL__N_121softmax_warp_backwardIN3c108BFloat16ES2_fLi7ELb0ELb1ELi64EEEvPT0_PKT_S7_iiiPKb, .Lfunc_end848-_ZN12_GLOBAL__N_121softmax_warp_backwardIN3c108BFloat16ES2_fLi7ELb0ELb1ELi64EEEvPT0_PKT_S7_iiiPKb
                                        ; -- End function
	.section	.AMDGPU.csdata,"",@progbits
; Kernel info:
; codeLenInByte = 1592
; NumSgprs: 18
; NumVgprs: 19
; ScratchSize: 0
; MemoryBound: 0
; FloatMode: 240
; IeeeMode: 1
; LDSByteSize: 0 bytes/workgroup (compile time only)
; SGPRBlocks: 2
; VGPRBlocks: 2
; NumSGPRsForWavesPerEU: 18
; NumVGPRsForWavesPerEU: 19
; Occupancy: 16
; WaveLimiterHint : 0
; COMPUTE_PGM_RSRC2:SCRATCH_EN: 0
; COMPUTE_PGM_RSRC2:USER_SGPR: 15
; COMPUTE_PGM_RSRC2:TRAP_HANDLER: 0
; COMPUTE_PGM_RSRC2:TGID_X_EN: 1
; COMPUTE_PGM_RSRC2:TGID_Y_EN: 0
; COMPUTE_PGM_RSRC2:TGID_Z_EN: 0
; COMPUTE_PGM_RSRC2:TIDIG_COMP_CNT: 1
	.section	.text._ZN12_GLOBAL__N_121softmax_warp_backwardIN3c108BFloat16ES2_fLi7ELb0ELb1ELi32EEEvPT0_PKT_S7_iiiPKb,"axG",@progbits,_ZN12_GLOBAL__N_121softmax_warp_backwardIN3c108BFloat16ES2_fLi7ELb0ELb1ELi32EEEvPT0_PKT_S7_iiiPKb,comdat
	.globl	_ZN12_GLOBAL__N_121softmax_warp_backwardIN3c108BFloat16ES2_fLi7ELb0ELb1ELi32EEEvPT0_PKT_S7_iiiPKb ; -- Begin function _ZN12_GLOBAL__N_121softmax_warp_backwardIN3c108BFloat16ES2_fLi7ELb0ELb1ELi32EEEvPT0_PKT_S7_iiiPKb
	.p2align	8
	.type	_ZN12_GLOBAL__N_121softmax_warp_backwardIN3c108BFloat16ES2_fLi7ELb0ELb1ELi32EEEvPT0_PKT_S7_iiiPKb,@function
_ZN12_GLOBAL__N_121softmax_warp_backwardIN3c108BFloat16ES2_fLi7ELb0ELb1ELi32EEEvPT0_PKT_S7_iiiPKb: ; @_ZN12_GLOBAL__N_121softmax_warp_backwardIN3c108BFloat16ES2_fLi7ELb0ELb1ELi32EEEvPT0_PKT_S7_iiiPKb
; %bb.0:
	s_clause 0x1
	s_load_b32 s2, s[0:1], 0x3c
	s_load_b128 s[8:11], s[0:1], 0x18
	v_bfe_u32 v1, v0, 10, 10
	v_dual_mov_b32 v11, 0 :: v_dual_and_b32 v8, 31, v0
	v_mov_b32_e32 v20, 0
	v_mov_b32_e32 v22, 0
	s_load_b64 s[6:7], s[0:1], 0x10
	s_waitcnt lgkmcnt(0)
	s_lshr_b32 s2, s2, 16
	v_cmp_gt_i32_e32 vcc_lo, s10, v8
	s_mul_i32 s15, s15, s2
	s_delay_alu instid0(SALU_CYCLE_1) | instskip(SKIP_1) | instid1(VALU_DEP_1)
	v_add_lshl_u32 v0, s15, v1, 1
	s_load_b128 s[12:15], s[0:1], 0x0
	v_mad_u64_u32 v[2:3], null, v0, s9, v[8:9]
	v_sub_nc_u32_e32 v9, s8, v0
	s_delay_alu instid0(VALU_DEP_1) | instskip(NEXT) | instid1(VALU_DEP_3)
	v_cmp_lt_i32_e64 s5, 0, v9
	v_ashrrev_i32_e32 v3, 31, v2
	s_delay_alu instid0(VALU_DEP_2) | instskip(NEXT) | instid1(VALU_DEP_1)
	s_and_b32 s3, s5, vcc_lo
	v_lshlrev_b64 v[0:1], 1, v[2:3]
	s_waitcnt lgkmcnt(0)
	s_delay_alu instid0(VALU_DEP_1) | instskip(NEXT) | instid1(VALU_DEP_1)
	v_add_co_u32 v4, s2, s14, v0
	v_add_co_ci_u32_e64 v5, s2, s15, v1, s2
	v_add_co_u32 v6, s2, s6, v0
	s_delay_alu instid0(VALU_DEP_1)
	v_add_co_ci_u32_e64 v7, s2, s7, v1, s2
	s_and_saveexec_b32 s2, s3
	s_cbranch_execz .LBB849_2
; %bb.1:
	global_load_u16 v10, v[6:7], off
	global_load_u16 v12, v[4:5], off
	s_waitcnt vmcnt(1)
	v_lshlrev_b32_e32 v20, 16, v10
	s_waitcnt vmcnt(0)
	v_lshlrev_b32_e32 v22, 16, v12
.LBB849_2:
	s_or_b32 exec_lo, exec_lo, s2
	v_or_b32_e32 v10, 32, v8
	v_mov_b32_e32 v19, 0
	s_delay_alu instid0(VALU_DEP_2) | instskip(NEXT) | instid1(VALU_DEP_1)
	v_cmp_gt_i32_e64 s2, s10, v10
	s_and_b32 s4, s5, s2
	s_delay_alu instid0(SALU_CYCLE_1)
	s_and_saveexec_b32 s3, s4
	s_cbranch_execz .LBB849_4
; %bb.3:
	global_load_u16 v10, v[6:7], off offset:64
	global_load_u16 v12, v[4:5], off offset:64
	s_waitcnt vmcnt(1)
	v_lshlrev_b32_e32 v11, 16, v10
	s_waitcnt vmcnt(0)
	v_lshlrev_b32_e32 v19, 16, v12
.LBB849_4:
	s_or_b32 exec_lo, exec_lo, s3
	v_or_b32_e32 v10, 64, v8
	v_dual_mov_b32 v16, 0 :: v_dual_mov_b32 v15, 0
	s_delay_alu instid0(VALU_DEP_2) | instskip(SKIP_1) | instid1(VALU_DEP_2)
	v_cmp_gt_i32_e64 s3, s10, v10
	v_mov_b32_e32 v10, 0
	s_and_b32 s6, s5, s3
	s_delay_alu instid0(SALU_CYCLE_1)
	s_and_saveexec_b32 s4, s6
	s_cbranch_execz .LBB849_6
; %bb.5:
	global_load_u16 v12, v[6:7], off offset:128
	global_load_u16 v13, v[4:5], off offset:128
	s_waitcnt vmcnt(1)
	v_lshlrev_b32_e32 v15, 16, v12
	s_waitcnt vmcnt(0)
	v_lshlrev_b32_e32 v16, 16, v13
.LBB849_6:
	s_or_b32 exec_lo, exec_lo, s4
	v_or_b32_e32 v8, 0x60, v8
	v_mov_b32_e32 v13, 0
	s_delay_alu instid0(VALU_DEP_2) | instskip(NEXT) | instid1(VALU_DEP_1)
	v_cmp_gt_i32_e64 s4, s10, v8
	s_and_b32 s7, s5, s4
	s_delay_alu instid0(SALU_CYCLE_1)
	s_and_saveexec_b32 s6, s7
	s_cbranch_execz .LBB849_8
; %bb.7:
	global_load_u16 v8, v[6:7], off offset:192
	global_load_u16 v12, v[4:5], off offset:192
	s_waitcnt vmcnt(1)
	v_lshlrev_b32_e32 v10, 16, v8
	s_waitcnt vmcnt(0)
	v_lshlrev_b32_e32 v13, 16, v12
.LBB849_8:
	s_or_b32 exec_lo, exec_lo, s6
	v_cmp_lt_i32_e64 s6, 1, v9
	v_mov_b32_e32 v8, 0
	v_mov_b32_e32 v12, 0
	;; [unrolled: 1-line block ×3, first 2 shown]
	s_mov_b32 s11, 0
	s_and_b32 s7, s6, vcc_lo
	s_delay_alu instid0(SALU_CYCLE_1)
	s_and_saveexec_b32 s8, s7
	s_cbranch_execz .LBB849_10
; %bb.9:
	s_lshl_b64 s[14:15], s[10:11], 1
	s_delay_alu instid0(SALU_CYCLE_1) | instskip(NEXT) | instid1(VALU_DEP_1)
	v_add_co_u32 v17, s7, v6, s14
	v_add_co_ci_u32_e64 v18, s7, s15, v7, s7
	v_add_co_u32 v23, s7, v4, s14
	s_delay_alu instid0(VALU_DEP_1)
	v_add_co_ci_u32_e64 v24, s7, s15, v5, s7
	global_load_u16 v12, v[17:18], off
	global_load_u16 v14, v[23:24], off
	s_waitcnt vmcnt(1)
	v_lshlrev_b32_e32 v12, 16, v12
	s_waitcnt vmcnt(0)
	v_lshlrev_b32_e32 v14, 16, v14
.LBB849_10:
	s_or_b32 exec_lo, exec_lo, s8
	v_mov_b32_e32 v17, 0
	s_and_b32 s7, s6, s2
	s_delay_alu instid0(SALU_CYCLE_1)
	s_and_saveexec_b32 s8, s7
	s_cbranch_execz .LBB849_12
; %bb.11:
	s_lshl_b64 s[14:15], s[10:11], 1
	s_delay_alu instid0(SALU_CYCLE_1) | instskip(NEXT) | instid1(VALU_DEP_1)
	v_add_co_u32 v17, s7, v6, s14
	v_add_co_ci_u32_e64 v18, s7, s15, v7, s7
	v_add_co_u32 v23, s7, v4, s14
	s_delay_alu instid0(VALU_DEP_1)
	v_add_co_ci_u32_e64 v24, s7, s15, v5, s7
	global_load_u16 v8, v[17:18], off offset:64
	global_load_u16 v17, v[23:24], off offset:64
	s_waitcnt vmcnt(1)
	v_lshlrev_b32_e32 v8, 16, v8
	s_waitcnt vmcnt(0)
	v_lshlrev_b32_e32 v17, 16, v17
.LBB849_12:
	s_or_b32 exec_lo, exec_lo, s8
	v_dual_mov_b32 v18, 0 :: v_dual_mov_b32 v21, 0
	v_mov_b32_e32 v23, 0
	s_and_b32 s7, s6, s3
	s_delay_alu instid0(SALU_CYCLE_1)
	s_and_saveexec_b32 s8, s7
	s_cbranch_execz .LBB849_14
; %bb.13:
	s_lshl_b64 s[14:15], s[10:11], 1
	s_delay_alu instid0(SALU_CYCLE_1) | instskip(NEXT) | instid1(VALU_DEP_1)
	v_add_co_u32 v23, s7, v6, s14
	v_add_co_ci_u32_e64 v24, s7, s15, v7, s7
	v_add_co_u32 v25, s7, v4, s14
	s_delay_alu instid0(VALU_DEP_1)
	v_add_co_ci_u32_e64 v26, s7, s15, v5, s7
	global_load_u16 v21, v[23:24], off offset:128
	global_load_u16 v23, v[25:26], off offset:128
	s_waitcnt vmcnt(1)
	v_lshlrev_b32_e32 v21, 16, v21
	s_waitcnt vmcnt(0)
	v_lshlrev_b32_e32 v23, 16, v23
.LBB849_14:
	s_or_b32 exec_lo, exec_lo, s8
	v_mov_b32_e32 v24, 0
	s_and_b32 s6, s6, s4
	s_delay_alu instid0(SALU_CYCLE_1)
	s_and_saveexec_b32 s7, s6
	s_cbranch_execz .LBB849_16
; %bb.15:
	s_lshl_b64 s[8:9], s[10:11], 1
	s_delay_alu instid0(SALU_CYCLE_1) | instskip(NEXT) | instid1(VALU_DEP_1)
	v_add_co_u32 v6, s6, v6, s8
	v_add_co_ci_u32_e64 v7, s6, s9, v7, s6
	v_add_co_u32 v4, s6, v4, s8
	s_delay_alu instid0(VALU_DEP_1)
	v_add_co_ci_u32_e64 v5, s6, s9, v5, s6
	global_load_u16 v6, v[6:7], off offset:192
	global_load_u16 v4, v[4:5], off offset:192
	s_waitcnt vmcnt(1)
	v_lshlrev_b32_e32 v18, 16, v6
	s_waitcnt vmcnt(0)
	v_lshlrev_b32_e32 v24, 16, v4
.LBB849_16:
	s_or_b32 exec_lo, exec_lo, s7
	s_load_b64 s[0:1], s[0:1], 0x28
	s_ashr_i32 s11, s10, 31
	s_waitcnt lgkmcnt(0)
	v_add_co_u32 v2, s0, s0, v2
	s_delay_alu instid0(VALU_DEP_1) | instskip(NEXT) | instid1(VALU_DEP_2)
	v_add_co_ci_u32_e64 v3, s0, s1, v3, s0
	v_add_co_u32 v4, s0, v2, s10
	s_delay_alu instid0(VALU_DEP_1)
	v_add_co_ci_u32_e64 v5, s0, s11, v3, s0
	s_clause 0x7
	global_load_u8 v6, v[2:3], off
	global_load_u8 v7, v[4:5], off
	global_load_u8 v25, v[2:3], off offset:32
	global_load_u8 v26, v[4:5], off offset:32
	;; [unrolled: 1-line block ×6, first 2 shown]
	v_add_f32_e32 v30, 0, v14
	s_waitcnt vmcnt(7)
	v_and_b32_e32 v5, 1, v6
	s_waitcnt vmcnt(6)
	v_dual_add_f32 v6, 0, v22 :: v_dual_and_b32 v7, 1, v7
	s_waitcnt vmcnt(4)
	v_and_b32_e32 v26, 1, v26
	v_cmp_eq_u32_e64 s8, 1, v5
	s_delay_alu instid0(VALU_DEP_3)
	v_cmp_eq_u32_e64 s7, 1, v7
	v_and_b32_e32 v7, 1, v25
	s_waitcnt vmcnt(0)
	v_and_b32_e32 v4, 1, v4
	v_cndmask_b32_e64 v5, v6, 0, s8
	v_cmp_eq_u32_e64 s6, 1, v26
	v_cndmask_b32_e64 v6, v30, 0, s7
	v_cmp_eq_u32_e64 s0, 1, v7
	v_mbcnt_lo_u32_b32 v7, -1, 0
	s_delay_alu instid0(VALU_DEP_3) | instskip(NEXT) | instid1(VALU_DEP_1)
	v_dual_add_f32 v25, v5, v19 :: v_dual_add_f32 v30, v6, v17
	v_cndmask_b32_e64 v5, v25, v5, s0
	v_and_b32_e32 v25, 1, v27
	s_delay_alu instid0(VALU_DEP_4) | instskip(NEXT) | instid1(VALU_DEP_4)
	v_xor_b32_e32 v27, 16, v7
	v_cndmask_b32_e64 v6, v30, v6, s6
	s_delay_alu instid0(VALU_DEP_4) | instskip(NEXT) | instid1(VALU_DEP_4)
	v_add_f32_e32 v26, v5, v16
	v_cmp_eq_u32_e64 s0, 1, v25
	s_delay_alu instid0(VALU_DEP_1) | instskip(SKIP_3) | instid1(VALU_DEP_2)
	v_cndmask_b32_e64 v5, v26, v5, s0
	v_and_b32_e32 v28, 1, v28
	v_cmp_gt_i32_e64 s0, 32, v27
	v_and_b32_e32 v26, 1, v29
	v_cndmask_b32_e64 v25, v7, v27, s0
	v_dual_add_f32 v30, v6, v23 :: v_dual_add_f32 v27, v5, v13
	v_cmp_eq_u32_e64 s1, 1, v28
	s_delay_alu instid0(VALU_DEP_4) | instskip(NEXT) | instid1(VALU_DEP_4)
	v_cmp_eq_u32_e64 s0, 1, v26
	v_lshlrev_b32_e32 v25, 2, v25
	v_xor_b32_e32 v26, 8, v7
	s_delay_alu instid0(VALU_DEP_4) | instskip(NEXT) | instid1(VALU_DEP_4)
	v_cndmask_b32_e64 v6, v30, v6, s1
	v_cndmask_b32_e64 v5, v27, v5, s0
	v_cmp_eq_u32_e64 s0, 1, v4
	s_delay_alu instid0(VALU_DEP_4) | instskip(NEXT) | instid1(VALU_DEP_4)
	v_cmp_gt_i32_e64 s9, 32, v26
	v_add_f32_e32 v28, v6, v24
	s_delay_alu instid0(VALU_DEP_2) | instskip(NEXT) | instid1(VALU_DEP_2)
	v_cndmask_b32_e64 v26, v7, v26, s9
	v_cndmask_b32_e64 v4, v28, v6, s0
	ds_bpermute_b32 v6, v25, v5
	ds_bpermute_b32 v25, v25, v4
	s_waitcnt lgkmcnt(1)
	v_add_f32_e32 v5, v5, v6
	v_lshlrev_b32_e32 v6, 2, v26
	v_xor_b32_e32 v26, 4, v7
	s_waitcnt lgkmcnt(0)
	v_add_f32_e32 v4, v4, v25
	ds_bpermute_b32 v25, v6, v5
	v_cmp_gt_i32_e64 s9, 32, v26
	ds_bpermute_b32 v6, v6, v4
	v_cndmask_b32_e64 v26, v7, v26, s9
	s_waitcnt lgkmcnt(1)
	v_add_f32_e32 v5, v5, v25
	s_delay_alu instid0(VALU_DEP_2)
	v_lshlrev_b32_e32 v25, 2, v26
	v_xor_b32_e32 v26, 2, v7
	s_waitcnt lgkmcnt(0)
	v_add_f32_e32 v4, v4, v6
	ds_bpermute_b32 v6, v25, v5
	v_cmp_gt_i32_e64 s9, 32, v26
	ds_bpermute_b32 v25, v25, v4
	v_cndmask_b32_e64 v26, v7, v26, s9
	s_waitcnt lgkmcnt(1)
	v_add_f32_e32 v5, v5, v6
	s_delay_alu instid0(VALU_DEP_2)
	v_lshlrev_b32_e32 v6, 2, v26
	s_waitcnt lgkmcnt(0)
	v_add_f32_e32 v4, v4, v25
	ds_bpermute_b32 v25, v6, v5
	ds_bpermute_b32 v26, v6, v4
	v_xor_b32_e32 v6, 1, v7
	s_delay_alu instid0(VALU_DEP_1) | instskip(NEXT) | instid1(VALU_DEP_1)
	v_cmp_gt_i32_e64 s9, 32, v6
	v_cndmask_b32_e64 v7, v7, v6, s9
	s_waitcnt lgkmcnt(1)
	s_delay_alu instid0(VALU_DEP_1)
	v_dual_add_f32 v6, v5, v25 :: v_dual_lshlrev_b32 v5, 2, v7
	s_waitcnt lgkmcnt(0)
	v_add_f32_e32 v4, v4, v26
	ds_bpermute_b32 v7, v5, v6
	ds_bpermute_b32 v5, v5, v4
	s_and_saveexec_b32 s9, s5
	s_cbranch_execz .LBB849_22
; %bb.17:
	v_add_co_u32 v0, s5, s12, v0
	s_waitcnt lgkmcnt(1)
	v_add_f32_e32 v6, v6, v7
	v_add_co_ci_u32_e64 v1, s5, s13, v1, s5
	s_and_saveexec_b32 s9, vcc_lo
	s_cbranch_execnz .LBB849_23
; %bb.18:
	s_or_b32 exec_lo, exec_lo, s9
	s_and_saveexec_b32 s8, s2
	s_cbranch_execnz .LBB849_26
.LBB849_19:
	s_or_b32 exec_lo, exec_lo, s8
	s_and_saveexec_b32 s8, s3
	s_cbranch_execnz .LBB849_29
.LBB849_20:
	s_or_b32 exec_lo, exec_lo, s8
	s_and_saveexec_b32 s8, s4
	s_cbranch_execnz .LBB849_32
.LBB849_21:
	s_or_b32 exec_lo, exec_lo, s8
	v_cmp_ne_u32_e64 s5, 1, v9
	s_delay_alu instid0(VALU_DEP_1)
	s_and_b32 exec_lo, exec_lo, s5
	s_cbranch_execnz .LBB849_35
.LBB849_22:
	s_nop 0
	s_sendmsg sendmsg(MSG_DEALLOC_VGPRS)
	s_endpgm
.LBB849_23:
	v_mov_b32_e32 v7, 0
	s_xor_b32 s5, s8, -1
	s_delay_alu instid0(SALU_CYCLE_1)
	s_and_saveexec_b32 s8, s5
; %bb.24:
	v_fma_f32 v7, -v6, v20, v22
	s_delay_alu instid0(VALU_DEP_1) | instskip(SKIP_1) | instid1(VALU_DEP_2)
	v_bfe_u32 v20, v7, 16, 1
	v_cmp_o_f32_e64 s5, v7, v7
	v_add3_u32 v20, v7, v20, 0x7fff
	s_delay_alu instid0(VALU_DEP_1) | instskip(NEXT) | instid1(VALU_DEP_1)
	v_lshrrev_b32_e32 v20, 16, v20
	v_cndmask_b32_e64 v7, 0x7fc0, v20, s5
; %bb.25:
	s_or_b32 exec_lo, exec_lo, s8
	global_store_b16 v[0:1], v7, off
	s_or_b32 exec_lo, exec_lo, s9
	s_and_saveexec_b32 s8, s2
	s_cbranch_execz .LBB849_19
.LBB849_26:
	global_load_u8 v7, v[2:3], off offset:32
	s_waitcnt vmcnt(0)
	v_and_b32_e32 v7, 1, v7
	s_delay_alu instid0(VALU_DEP_1) | instskip(SKIP_1) | instid1(VALU_DEP_2)
	v_cmp_eq_u32_e64 s5, 1, v7
	v_mov_b32_e32 v7, 0
	s_xor_b32 s5, s5, -1
	s_delay_alu instid0(SALU_CYCLE_1)
	s_and_saveexec_b32 s9, s5
; %bb.27:
	v_fma_f32 v7, -v6, v11, v19
	s_delay_alu instid0(VALU_DEP_1) | instskip(SKIP_1) | instid1(VALU_DEP_2)
	v_bfe_u32 v11, v7, 16, 1
	v_cmp_o_f32_e64 s5, v7, v7
	v_add3_u32 v11, v7, v11, 0x7fff
	s_delay_alu instid0(VALU_DEP_1) | instskip(NEXT) | instid1(VALU_DEP_1)
	v_lshrrev_b32_e32 v11, 16, v11
	v_cndmask_b32_e64 v7, 0x7fc0, v11, s5
; %bb.28:
	s_or_b32 exec_lo, exec_lo, s9
	global_store_b16 v[0:1], v7, off offset:64
	s_or_b32 exec_lo, exec_lo, s8
	s_and_saveexec_b32 s8, s3
	s_cbranch_execz .LBB849_20
.LBB849_29:
	global_load_u8 v7, v[2:3], off offset:64
	s_waitcnt vmcnt(0)
	v_and_b32_e32 v7, 1, v7
	s_delay_alu instid0(VALU_DEP_1) | instskip(SKIP_1) | instid1(VALU_DEP_2)
	v_cmp_eq_u32_e64 s5, 1, v7
	v_mov_b32_e32 v7, 0
	s_xor_b32 s5, s5, -1
	s_delay_alu instid0(SALU_CYCLE_1)
	s_and_saveexec_b32 s9, s5
; %bb.30:
	v_fma_f32 v7, -v6, v15, v16
	s_delay_alu instid0(VALU_DEP_1) | instskip(SKIP_1) | instid1(VALU_DEP_2)
	v_bfe_u32 v11, v7, 16, 1
	v_cmp_o_f32_e64 s5, v7, v7
	v_add3_u32 v11, v7, v11, 0x7fff
	s_delay_alu instid0(VALU_DEP_1) | instskip(NEXT) | instid1(VALU_DEP_1)
	v_lshrrev_b32_e32 v11, 16, v11
	v_cndmask_b32_e64 v7, 0x7fc0, v11, s5
; %bb.31:
	s_or_b32 exec_lo, exec_lo, s9
	global_store_b16 v[0:1], v7, off offset:128
	s_or_b32 exec_lo, exec_lo, s8
	s_and_saveexec_b32 s8, s4
	s_cbranch_execz .LBB849_21
.LBB849_32:
	global_load_u8 v2, v[2:3], off offset:96
	s_waitcnt vmcnt(0)
	v_and_b32_e32 v2, 1, v2
	s_delay_alu instid0(VALU_DEP_1) | instskip(SKIP_1) | instid1(VALU_DEP_2)
	v_cmp_eq_u32_e64 s5, 1, v2
	v_mov_b32_e32 v2, 0
	s_xor_b32 s5, s5, -1
	s_delay_alu instid0(SALU_CYCLE_1)
	s_and_saveexec_b32 s9, s5
; %bb.33:
	v_fma_f32 v2, -v6, v10, v13
	s_delay_alu instid0(VALU_DEP_1) | instskip(SKIP_1) | instid1(VALU_DEP_2)
	v_bfe_u32 v3, v2, 16, 1
	v_cmp_o_f32_e64 s5, v2, v2
	v_add3_u32 v3, v2, v3, 0x7fff
	s_delay_alu instid0(VALU_DEP_1) | instskip(NEXT) | instid1(VALU_DEP_1)
	v_lshrrev_b32_e32 v3, 16, v3
	v_cndmask_b32_e64 v2, 0x7fc0, v3, s5
; %bb.34:
	s_or_b32 exec_lo, exec_lo, s9
	global_store_b16 v[0:1], v2, off offset:192
	s_or_b32 exec_lo, exec_lo, s8
	v_cmp_ne_u32_e64 s5, 1, v9
	s_delay_alu instid0(VALU_DEP_1)
	s_and_b32 exec_lo, exec_lo, s5
	s_cbranch_execz .LBB849_22
.LBB849_35:
	s_lshl_b64 s[8:9], s[10:11], 1
	s_waitcnt lgkmcnt(0)
	v_add_f32_e32 v2, v4, v5
	v_add_co_u32 v0, s5, v0, s8
	s_delay_alu instid0(VALU_DEP_1)
	v_add_co_ci_u32_e64 v1, s5, s9, v1, s5
	s_and_saveexec_b32 s5, vcc_lo
	s_cbranch_execnz .LBB849_39
; %bb.36:
	s_or_b32 exec_lo, exec_lo, s5
	s_and_saveexec_b32 s5, s2
	s_cbranch_execnz .LBB849_40
.LBB849_37:
	s_or_b32 exec_lo, exec_lo, s5
	s_and_saveexec_b32 s2, s3
	s_cbranch_execnz .LBB849_41
.LBB849_38:
	s_or_b32 exec_lo, exec_lo, s2
	s_delay_alu instid0(SALU_CYCLE_1)
	s_and_b32 exec_lo, exec_lo, s4
	s_cbranch_execz .LBB849_22
	s_branch .LBB849_42
.LBB849_39:
	v_fma_f32 v3, -v2, v12, v14
	s_delay_alu instid0(VALU_DEP_1) | instskip(SKIP_1) | instid1(VALU_DEP_2)
	v_bfe_u32 v4, v3, 16, 1
	v_cmp_o_f32_e32 vcc_lo, v3, v3
	v_add3_u32 v4, v3, v4, 0x7fff
	s_delay_alu instid0(VALU_DEP_1) | instskip(NEXT) | instid1(VALU_DEP_1)
	v_lshrrev_b32_e32 v4, 16, v4
	v_cndmask_b32_e32 v3, 0x7fc0, v4, vcc_lo
	s_delay_alu instid0(VALU_DEP_1)
	v_cndmask_b32_e64 v3, v3, 0, s7
	global_store_b16 v[0:1], v3, off
	s_or_b32 exec_lo, exec_lo, s5
	s_and_saveexec_b32 s5, s2
	s_cbranch_execz .LBB849_37
.LBB849_40:
	v_fma_f32 v3, -v2, v8, v17
	s_delay_alu instid0(VALU_DEP_1) | instskip(SKIP_1) | instid1(VALU_DEP_2)
	v_bfe_u32 v4, v3, 16, 1
	v_cmp_o_f32_e32 vcc_lo, v3, v3
	v_add3_u32 v4, v3, v4, 0x7fff
	s_delay_alu instid0(VALU_DEP_1) | instskip(NEXT) | instid1(VALU_DEP_1)
	v_lshrrev_b32_e32 v4, 16, v4
	v_cndmask_b32_e32 v3, 0x7fc0, v4, vcc_lo
	s_delay_alu instid0(VALU_DEP_1)
	v_cndmask_b32_e64 v3, v3, 0, s6
	global_store_b16 v[0:1], v3, off offset:64
	s_or_b32 exec_lo, exec_lo, s5
	s_and_saveexec_b32 s2, s3
	s_cbranch_execz .LBB849_38
.LBB849_41:
	v_fma_f32 v3, -v2, v21, v23
	s_delay_alu instid0(VALU_DEP_1) | instskip(SKIP_1) | instid1(VALU_DEP_2)
	v_bfe_u32 v4, v3, 16, 1
	v_cmp_o_f32_e32 vcc_lo, v3, v3
	v_add3_u32 v4, v3, v4, 0x7fff
	s_delay_alu instid0(VALU_DEP_1) | instskip(NEXT) | instid1(VALU_DEP_1)
	v_lshrrev_b32_e32 v4, 16, v4
	v_cndmask_b32_e32 v3, 0x7fc0, v4, vcc_lo
	s_delay_alu instid0(VALU_DEP_1) | instskip(SKIP_2) | instid1(SALU_CYCLE_1)
	v_cndmask_b32_e64 v3, v3, 0, s1
	global_store_b16 v[0:1], v3, off offset:128
	s_or_b32 exec_lo, exec_lo, s2
	s_and_b32 exec_lo, exec_lo, s4
	s_cbranch_execz .LBB849_22
.LBB849_42:
	v_fma_f32 v2, -v2, v18, v24
	s_delay_alu instid0(VALU_DEP_1) | instskip(SKIP_1) | instid1(VALU_DEP_2)
	v_bfe_u32 v3, v2, 16, 1
	v_cmp_o_f32_e32 vcc_lo, v2, v2
	v_add3_u32 v3, v2, v3, 0x7fff
	s_delay_alu instid0(VALU_DEP_1) | instskip(NEXT) | instid1(VALU_DEP_1)
	v_lshrrev_b32_e32 v3, 16, v3
	v_cndmask_b32_e32 v2, 0x7fc0, v3, vcc_lo
	s_delay_alu instid0(VALU_DEP_1)
	v_cndmask_b32_e64 v2, v2, 0, s0
	global_store_b16 v[0:1], v2, off offset:192
	s_nop 0
	s_sendmsg sendmsg(MSG_DEALLOC_VGPRS)
	s_endpgm
	.section	.rodata,"a",@progbits
	.p2align	6, 0x0
	.amdhsa_kernel _ZN12_GLOBAL__N_121softmax_warp_backwardIN3c108BFloat16ES2_fLi7ELb0ELb1ELi32EEEvPT0_PKT_S7_iiiPKb
		.amdhsa_group_segment_fixed_size 0
		.amdhsa_private_segment_fixed_size 0
		.amdhsa_kernarg_size 304
		.amdhsa_user_sgpr_count 15
		.amdhsa_user_sgpr_dispatch_ptr 0
		.amdhsa_user_sgpr_queue_ptr 0
		.amdhsa_user_sgpr_kernarg_segment_ptr 1
		.amdhsa_user_sgpr_dispatch_id 0
		.amdhsa_user_sgpr_private_segment_size 0
		.amdhsa_wavefront_size32 1
		.amdhsa_uses_dynamic_stack 0
		.amdhsa_enable_private_segment 0
		.amdhsa_system_sgpr_workgroup_id_x 1
		.amdhsa_system_sgpr_workgroup_id_y 0
		.amdhsa_system_sgpr_workgroup_id_z 0
		.amdhsa_system_sgpr_workgroup_info 0
		.amdhsa_system_vgpr_workitem_id 1
		.amdhsa_next_free_vgpr 31
		.amdhsa_next_free_sgpr 16
		.amdhsa_reserve_vcc 1
		.amdhsa_float_round_mode_32 0
		.amdhsa_float_round_mode_16_64 0
		.amdhsa_float_denorm_mode_32 3
		.amdhsa_float_denorm_mode_16_64 3
		.amdhsa_dx10_clamp 1
		.amdhsa_ieee_mode 1
		.amdhsa_fp16_overflow 0
		.amdhsa_workgroup_processor_mode 1
		.amdhsa_memory_ordered 1
		.amdhsa_forward_progress 0
		.amdhsa_shared_vgpr_count 0
		.amdhsa_exception_fp_ieee_invalid_op 0
		.amdhsa_exception_fp_denorm_src 0
		.amdhsa_exception_fp_ieee_div_zero 0
		.amdhsa_exception_fp_ieee_overflow 0
		.amdhsa_exception_fp_ieee_underflow 0
		.amdhsa_exception_fp_ieee_inexact 0
		.amdhsa_exception_int_div_zero 0
	.end_amdhsa_kernel
	.section	.text._ZN12_GLOBAL__N_121softmax_warp_backwardIN3c108BFloat16ES2_fLi7ELb0ELb1ELi32EEEvPT0_PKT_S7_iiiPKb,"axG",@progbits,_ZN12_GLOBAL__N_121softmax_warp_backwardIN3c108BFloat16ES2_fLi7ELb0ELb1ELi32EEEvPT0_PKT_S7_iiiPKb,comdat
.Lfunc_end849:
	.size	_ZN12_GLOBAL__N_121softmax_warp_backwardIN3c108BFloat16ES2_fLi7ELb0ELb1ELi32EEEvPT0_PKT_S7_iiiPKb, .Lfunc_end849-_ZN12_GLOBAL__N_121softmax_warp_backwardIN3c108BFloat16ES2_fLi7ELb0ELb1ELi32EEEvPT0_PKT_S7_iiiPKb
                                        ; -- End function
	.section	.AMDGPU.csdata,"",@progbits
; Kernel info:
; codeLenInByte = 2560
; NumSgprs: 18
; NumVgprs: 31
; ScratchSize: 0
; MemoryBound: 0
; FloatMode: 240
; IeeeMode: 1
; LDSByteSize: 0 bytes/workgroup (compile time only)
; SGPRBlocks: 2
; VGPRBlocks: 3
; NumSGPRsForWavesPerEU: 18
; NumVGPRsForWavesPerEU: 31
; Occupancy: 16
; WaveLimiterHint : 0
; COMPUTE_PGM_RSRC2:SCRATCH_EN: 0
; COMPUTE_PGM_RSRC2:USER_SGPR: 15
; COMPUTE_PGM_RSRC2:TRAP_HANDLER: 0
; COMPUTE_PGM_RSRC2:TGID_X_EN: 1
; COMPUTE_PGM_RSRC2:TGID_Y_EN: 0
; COMPUTE_PGM_RSRC2:TGID_Z_EN: 0
; COMPUTE_PGM_RSRC2:TIDIG_COMP_CNT: 1
	.section	.text._ZN12_GLOBAL__N_121softmax_warp_backwardIN3c108BFloat16ES2_fLi8ELb0ELb1ELi64EEEvPT0_PKT_S7_iiiPKb,"axG",@progbits,_ZN12_GLOBAL__N_121softmax_warp_backwardIN3c108BFloat16ES2_fLi8ELb0ELb1ELi64EEEvPT0_PKT_S7_iiiPKb,comdat
	.globl	_ZN12_GLOBAL__N_121softmax_warp_backwardIN3c108BFloat16ES2_fLi8ELb0ELb1ELi64EEEvPT0_PKT_S7_iiiPKb ; -- Begin function _ZN12_GLOBAL__N_121softmax_warp_backwardIN3c108BFloat16ES2_fLi8ELb0ELb1ELi64EEEvPT0_PKT_S7_iiiPKb
	.p2align	8
	.type	_ZN12_GLOBAL__N_121softmax_warp_backwardIN3c108BFloat16ES2_fLi8ELb0ELb1ELi64EEEvPT0_PKT_S7_iiiPKb,@function
_ZN12_GLOBAL__N_121softmax_warp_backwardIN3c108BFloat16ES2_fLi8ELb0ELb1ELi64EEEvPT0_PKT_S7_iiiPKb: ; @_ZN12_GLOBAL__N_121softmax_warp_backwardIN3c108BFloat16ES2_fLi8ELb0ELb1ELi64EEEvPT0_PKT_S7_iiiPKb
; %bb.0:
	s_clause 0x1
	s_load_b32 s2, s[0:1], 0x3c
	s_load_b128 s[4:7], s[0:1], 0x18
	v_bfe_u32 v1, v0, 10, 10
	v_and_b32_e32 v4, 63, v0
	s_load_b128 s[8:11], s[0:1], 0x0
	v_mov_b32_e32 v10, 0
	v_mov_b32_e32 v14, 0
	;; [unrolled: 1-line block ×3, first 2 shown]
	s_waitcnt lgkmcnt(0)
	s_lshr_b32 s2, s2, 16
	s_delay_alu instid0(SALU_CYCLE_1) | instskip(SKIP_1) | instid1(VALU_DEP_1)
	v_mad_u64_u32 v[5:6], null, s15, s2, v[1:2]
	s_load_b64 s[2:3], s[0:1], 0x10
	v_mad_u64_u32 v[2:3], null, v5, s5, v[4:5]
	v_sub_nc_u32_e32 v15, s4, v5
	v_cmp_gt_i32_e64 s4, s6, v4
	s_delay_alu instid0(VALU_DEP_2) | instskip(NEXT) | instid1(VALU_DEP_4)
	v_cmp_lt_i32_e64 s5, 0, v15
	v_ashrrev_i32_e32 v3, 31, v2
	s_delay_alu instid0(VALU_DEP_1) | instskip(NEXT) | instid1(VALU_DEP_1)
	v_lshlrev_b64 v[0:1], 1, v[2:3]
	v_add_co_u32 v5, vcc_lo, s10, v0
	s_delay_alu instid0(VALU_DEP_2) | instskip(SKIP_4) | instid1(SALU_CYCLE_1)
	v_add_co_ci_u32_e32 v6, vcc_lo, s11, v1, vcc_lo
	s_waitcnt lgkmcnt(0)
	v_add_co_u32 v7, vcc_lo, s2, v0
	v_add_co_ci_u32_e32 v8, vcc_lo, s3, v1, vcc_lo
	s_and_b32 s3, s5, s4
	s_and_saveexec_b32 s2, s3
	s_cbranch_execz .LBB850_2
; %bb.1:
	global_load_u16 v9, v[5:6], off
	global_load_u16 v11, v[7:8], off
	s_waitcnt vmcnt(1)
	v_lshlrev_b32_e32 v14, 16, v9
	s_waitcnt vmcnt(0)
	v_lshlrev_b32_e32 v16, 16, v11
.LBB850_2:
	s_or_b32 exec_lo, exec_lo, s2
	v_or_b32_e32 v9, 64, v4
	v_mov_b32_e32 v13, 0
	s_delay_alu instid0(VALU_DEP_2) | instskip(NEXT) | instid1(VALU_DEP_1)
	v_cmp_gt_i32_e64 s3, s6, v9
	s_and_b32 s7, s5, s3
	s_delay_alu instid0(SALU_CYCLE_1)
	s_and_saveexec_b32 s2, s7
	s_cbranch_execz .LBB850_4
; %bb.3:
	global_load_u16 v9, v[5:6], off offset:128
	global_load_u16 v11, v[7:8], off offset:128
	s_waitcnt vmcnt(1)
	v_lshlrev_b32_e32 v10, 16, v9
	s_waitcnt vmcnt(0)
	v_lshlrev_b32_e32 v13, 16, v11
.LBB850_4:
	s_or_b32 exec_lo, exec_lo, s2
	v_or_b32_e32 v9, 0x80, v4
	v_dual_mov_b32 v11, 0 :: v_dual_mov_b32 v12, 0
	s_delay_alu instid0(VALU_DEP_2) | instskip(SKIP_1) | instid1(VALU_DEP_2)
	v_cmp_gt_i32_e64 s2, s6, v9
	v_mov_b32_e32 v9, 0
	s_and_b32 s10, s5, s2
	s_delay_alu instid0(SALU_CYCLE_1)
	s_and_saveexec_b32 s7, s10
	s_cbranch_execz .LBB850_6
; %bb.5:
	global_load_u16 v11, v[5:6], off offset:256
	global_load_u16 v12, v[7:8], off offset:256
	s_waitcnt vmcnt(1)
	v_lshlrev_b32_e32 v11, 16, v11
	s_waitcnt vmcnt(0)
	v_lshlrev_b32_e32 v12, 16, v12
.LBB850_6:
	s_or_b32 exec_lo, exec_lo, s7
	v_or_b32_e32 v4, 0xc0, v4
	s_delay_alu instid0(VALU_DEP_1) | instskip(SKIP_2) | instid1(SALU_CYCLE_1)
	v_cmp_gt_i32_e32 vcc_lo, s6, v4
	v_mov_b32_e32 v4, 0
	s_and_b32 s6, s5, vcc_lo
	s_and_saveexec_b32 s5, s6
	s_cbranch_execz .LBB850_8
; %bb.7:
	global_load_u16 v4, v[5:6], off offset:384
	global_load_u16 v5, v[7:8], off offset:384
	s_waitcnt vmcnt(1)
	v_lshlrev_b32_e32 v9, 16, v4
	s_waitcnt vmcnt(0)
	v_lshlrev_b32_e32 v4, 16, v5
.LBB850_8:
	s_or_b32 exec_lo, exec_lo, s5
	s_load_b64 s[0:1], s[0:1], 0x28
	s_mov_b32 s10, exec_lo
	s_waitcnt lgkmcnt(0)
	v_add_co_u32 v2, s0, s0, v2
	s_delay_alu instid0(VALU_DEP_1)
	v_add_co_ci_u32_e64 v3, s0, s1, v3, s0
	s_clause 0x3
	global_load_u8 v5, v[2:3], off
	global_load_u8 v6, v[2:3], off offset:64
	global_load_u8 v7, v[2:3], off offset:128
	;; [unrolled: 1-line block ×3, first 2 shown]
	s_waitcnt vmcnt(3)
	v_and_b32_e32 v3, 1, v5
	v_add_f32_e32 v5, 0, v14
	s_waitcnt vmcnt(0)
	v_and_b32_e32 v2, 1, v2
	s_delay_alu instid0(VALU_DEP_3) | instskip(NEXT) | instid1(VALU_DEP_1)
	v_cmp_eq_u32_e64 s6, 1, v3
	v_cndmask_b32_e64 v3, v5, 0, s6
	v_and_b32_e32 v5, 1, v6
	s_delay_alu instid0(VALU_DEP_2) | instskip(NEXT) | instid1(VALU_DEP_2)
	v_add_f32_e32 v6, v3, v10
	v_cmp_eq_u32_e64 s0, 1, v5
	v_mbcnt_lo_u32_b32 v5, -1, 0
	s_delay_alu instid0(VALU_DEP_2) | instskip(SKIP_1) | instid1(VALU_DEP_3)
	v_cndmask_b32_e64 v3, v6, v3, s0
	v_and_b32_e32 v6, 1, v7
	v_or_b32_e32 v8, 32, v5
	s_delay_alu instid0(VALU_DEP_3) | instskip(NEXT) | instid1(VALU_DEP_3)
	v_add_f32_e32 v7, v3, v11
	v_cmp_eq_u32_e64 s1, 1, v6
	s_delay_alu instid0(VALU_DEP_3) | instskip(NEXT) | instid1(VALU_DEP_2)
	v_cmp_gt_i32_e64 s5, 64, v8
	v_cndmask_b32_e64 v3, v7, v3, s1
	s_delay_alu instid0(VALU_DEP_2) | instskip(SKIP_1) | instid1(VALU_DEP_2)
	v_cndmask_b32_e64 v6, v5, v8, s5
	v_cmp_eq_u32_e64 s5, 1, v2
	v_dual_add_f32 v7, v3, v9 :: v_dual_lshlrev_b32 v6, 2, v6
	s_delay_alu instid0(VALU_DEP_1) | instskip(SKIP_2) | instid1(VALU_DEP_1)
	v_cndmask_b32_e64 v2, v7, v3, s5
	ds_bpermute_b32 v3, v6, v2
	v_xor_b32_e32 v6, 16, v5
	v_cmp_gt_i32_e64 s7, 64, v6
	s_delay_alu instid0(VALU_DEP_1) | instskip(NEXT) | instid1(VALU_DEP_1)
	v_cndmask_b32_e64 v6, v5, v6, s7
	v_lshlrev_b32_e32 v6, 2, v6
	s_waitcnt lgkmcnt(0)
	v_add_f32_e32 v2, v2, v3
	ds_bpermute_b32 v3, v6, v2
	v_xor_b32_e32 v6, 8, v5
	s_delay_alu instid0(VALU_DEP_1) | instskip(NEXT) | instid1(VALU_DEP_1)
	v_cmp_gt_i32_e64 s7, 64, v6
	v_cndmask_b32_e64 v6, v5, v6, s7
	s_delay_alu instid0(VALU_DEP_1) | instskip(SKIP_4) | instid1(VALU_DEP_1)
	v_lshlrev_b32_e32 v6, 2, v6
	s_waitcnt lgkmcnt(0)
	v_add_f32_e32 v2, v2, v3
	ds_bpermute_b32 v3, v6, v2
	v_xor_b32_e32 v6, 4, v5
	v_cmp_gt_i32_e64 s7, 64, v6
	s_delay_alu instid0(VALU_DEP_1) | instskip(NEXT) | instid1(VALU_DEP_1)
	v_cndmask_b32_e64 v6, v5, v6, s7
	v_lshlrev_b32_e32 v6, 2, v6
	s_waitcnt lgkmcnt(0)
	v_add_f32_e32 v2, v2, v3
	ds_bpermute_b32 v3, v6, v2
	v_xor_b32_e32 v6, 2, v5
	s_delay_alu instid0(VALU_DEP_1) | instskip(NEXT) | instid1(VALU_DEP_1)
	v_cmp_gt_i32_e64 s7, 64, v6
	v_cndmask_b32_e64 v6, v5, v6, s7
	s_delay_alu instid0(VALU_DEP_1) | instskip(SKIP_4) | instid1(VALU_DEP_1)
	v_lshlrev_b32_e32 v6, 2, v6
	s_waitcnt lgkmcnt(0)
	v_add_f32_e32 v2, v2, v3
	ds_bpermute_b32 v3, v6, v2
	v_xor_b32_e32 v6, 1, v5
	v_cmp_gt_i32_e64 s7, 64, v6
	s_delay_alu instid0(VALU_DEP_1) | instskip(SKIP_1) | instid1(VALU_DEP_1)
	v_cndmask_b32_e64 v5, v5, v6, s7
	s_waitcnt lgkmcnt(0)
	v_dual_add_f32 v2, v2, v3 :: v_dual_lshlrev_b32 v3, 2, v5
	ds_bpermute_b32 v3, v3, v2
	v_cmpx_lt_i32_e32 0, v15
	s_cbranch_execz .LBB850_16
; %bb.9:
	v_add_co_u32 v0, s7, s8, v0
	s_waitcnt lgkmcnt(0)
	v_add_f32_e32 v2, v2, v3
	v_add_co_ci_u32_e64 v1, s7, s9, v1, s7
	s_and_saveexec_b32 s7, s4
	s_cbranch_execz .LBB850_13
; %bb.10:
	v_mov_b32_e32 v3, 0
	s_xor_b32 s4, s6, -1
	s_delay_alu instid0(SALU_CYCLE_1)
	s_and_saveexec_b32 s6, s4
; %bb.11:
	v_fma_f32 v3, -v2, v16, v14
	s_delay_alu instid0(VALU_DEP_1) | instskip(SKIP_1) | instid1(VALU_DEP_2)
	v_bfe_u32 v5, v3, 16, 1
	v_cmp_o_f32_e64 s4, v3, v3
	v_add3_u32 v5, v3, v5, 0x7fff
	s_delay_alu instid0(VALU_DEP_1) | instskip(NEXT) | instid1(VALU_DEP_1)
	v_lshrrev_b32_e32 v5, 16, v5
	v_cndmask_b32_e64 v3, 0x7fc0, v5, s4
; %bb.12:
	s_or_b32 exec_lo, exec_lo, s6
	global_store_b16 v[0:1], v3, off
.LBB850_13:
	s_or_b32 exec_lo, exec_lo, s7
	s_xor_b32 s0, s0, -1
	s_xor_b32 s4, s1, -1
	;; [unrolled: 1-line block ×3, first 2 shown]
	s_and_saveexec_b32 s5, s3
	s_cbranch_execnz .LBB850_17
; %bb.14:
	s_or_b32 exec_lo, exec_lo, s5
	s_and_saveexec_b32 s3, s2
	s_cbranch_execnz .LBB850_20
.LBB850_15:
	s_or_b32 exec_lo, exec_lo, s3
	s_delay_alu instid0(SALU_CYCLE_1)
	s_and_b32 exec_lo, exec_lo, vcc_lo
	s_cbranch_execnz .LBB850_23
.LBB850_16:
	s_nop 0
	s_sendmsg sendmsg(MSG_DEALLOC_VGPRS)
	s_endpgm
.LBB850_17:
	v_mov_b32_e32 v3, 0
	s_and_saveexec_b32 s3, s0
; %bb.18:
	v_fma_f32 v3, -v2, v13, v10
	s_delay_alu instid0(VALU_DEP_1) | instskip(SKIP_1) | instid1(VALU_DEP_2)
	v_bfe_u32 v5, v3, 16, 1
	v_cmp_o_f32_e64 s0, v3, v3
	v_add3_u32 v5, v3, v5, 0x7fff
	s_delay_alu instid0(VALU_DEP_1) | instskip(NEXT) | instid1(VALU_DEP_1)
	v_lshrrev_b32_e32 v5, 16, v5
	v_cndmask_b32_e64 v3, 0x7fc0, v5, s0
; %bb.19:
	s_or_b32 exec_lo, exec_lo, s3
	global_store_b16 v[0:1], v3, off offset:128
	s_or_b32 exec_lo, exec_lo, s5
	s_and_saveexec_b32 s3, s2
	s_cbranch_execz .LBB850_15
.LBB850_20:
	v_mov_b32_e32 v3, 0
	s_and_saveexec_b32 s2, s4
; %bb.21:
	v_fma_f32 v3, -v2, v12, v11
	s_delay_alu instid0(VALU_DEP_1) | instskip(SKIP_1) | instid1(VALU_DEP_2)
	v_bfe_u32 v5, v3, 16, 1
	v_cmp_o_f32_e64 s0, v3, v3
	v_add3_u32 v5, v3, v5, 0x7fff
	s_delay_alu instid0(VALU_DEP_1) | instskip(NEXT) | instid1(VALU_DEP_1)
	v_lshrrev_b32_e32 v5, 16, v5
	v_cndmask_b32_e64 v3, 0x7fc0, v5, s0
; %bb.22:
	s_or_b32 exec_lo, exec_lo, s2
	global_store_b16 v[0:1], v3, off offset:256
	s_or_b32 exec_lo, exec_lo, s3
	s_delay_alu instid0(SALU_CYCLE_1)
	s_and_b32 exec_lo, exec_lo, vcc_lo
	s_cbranch_execz .LBB850_16
.LBB850_23:
	v_mov_b32_e32 v3, 0
	s_and_saveexec_b32 s0, s1
; %bb.24:
	v_fma_f32 v2, -v2, v4, v9
	s_delay_alu instid0(VALU_DEP_1) | instskip(SKIP_1) | instid1(VALU_DEP_2)
	v_bfe_u32 v3, v2, 16, 1
	v_cmp_o_f32_e32 vcc_lo, v2, v2
	v_add3_u32 v3, v2, v3, 0x7fff
	s_delay_alu instid0(VALU_DEP_1) | instskip(NEXT) | instid1(VALU_DEP_1)
	v_lshrrev_b32_e32 v3, 16, v3
	v_cndmask_b32_e32 v3, 0x7fc0, v3, vcc_lo
; %bb.25:
	s_or_b32 exec_lo, exec_lo, s0
	global_store_b16 v[0:1], v3, off offset:384
	s_nop 0
	s_sendmsg sendmsg(MSG_DEALLOC_VGPRS)
	s_endpgm
	.section	.rodata,"a",@progbits
	.p2align	6, 0x0
	.amdhsa_kernel _ZN12_GLOBAL__N_121softmax_warp_backwardIN3c108BFloat16ES2_fLi8ELb0ELb1ELi64EEEvPT0_PKT_S7_iiiPKb
		.amdhsa_group_segment_fixed_size 0
		.amdhsa_private_segment_fixed_size 0
		.amdhsa_kernarg_size 304
		.amdhsa_user_sgpr_count 15
		.amdhsa_user_sgpr_dispatch_ptr 0
		.amdhsa_user_sgpr_queue_ptr 0
		.amdhsa_user_sgpr_kernarg_segment_ptr 1
		.amdhsa_user_sgpr_dispatch_id 0
		.amdhsa_user_sgpr_private_segment_size 0
		.amdhsa_wavefront_size32 1
		.amdhsa_uses_dynamic_stack 0
		.amdhsa_enable_private_segment 0
		.amdhsa_system_sgpr_workgroup_id_x 1
		.amdhsa_system_sgpr_workgroup_id_y 0
		.amdhsa_system_sgpr_workgroup_id_z 0
		.amdhsa_system_sgpr_workgroup_info 0
		.amdhsa_system_vgpr_workitem_id 1
		.amdhsa_next_free_vgpr 17
		.amdhsa_next_free_sgpr 16
		.amdhsa_reserve_vcc 1
		.amdhsa_float_round_mode_32 0
		.amdhsa_float_round_mode_16_64 0
		.amdhsa_float_denorm_mode_32 3
		.amdhsa_float_denorm_mode_16_64 3
		.amdhsa_dx10_clamp 1
		.amdhsa_ieee_mode 1
		.amdhsa_fp16_overflow 0
		.amdhsa_workgroup_processor_mode 1
		.amdhsa_memory_ordered 1
		.amdhsa_forward_progress 0
		.amdhsa_shared_vgpr_count 0
		.amdhsa_exception_fp_ieee_invalid_op 0
		.amdhsa_exception_fp_denorm_src 0
		.amdhsa_exception_fp_ieee_div_zero 0
		.amdhsa_exception_fp_ieee_overflow 0
		.amdhsa_exception_fp_ieee_underflow 0
		.amdhsa_exception_fp_ieee_inexact 0
		.amdhsa_exception_int_div_zero 0
	.end_amdhsa_kernel
	.section	.text._ZN12_GLOBAL__N_121softmax_warp_backwardIN3c108BFloat16ES2_fLi8ELb0ELb1ELi64EEEvPT0_PKT_S7_iiiPKb,"axG",@progbits,_ZN12_GLOBAL__N_121softmax_warp_backwardIN3c108BFloat16ES2_fLi8ELb0ELb1ELi64EEEvPT0_PKT_S7_iiiPKb,comdat
.Lfunc_end850:
	.size	_ZN12_GLOBAL__N_121softmax_warp_backwardIN3c108BFloat16ES2_fLi8ELb0ELb1ELi64EEEvPT0_PKT_S7_iiiPKb, .Lfunc_end850-_ZN12_GLOBAL__N_121softmax_warp_backwardIN3c108BFloat16ES2_fLi8ELb0ELb1ELi64EEEvPT0_PKT_S7_iiiPKb
                                        ; -- End function
	.section	.AMDGPU.csdata,"",@progbits
; Kernel info:
; codeLenInByte = 1368
; NumSgprs: 18
; NumVgprs: 17
; ScratchSize: 0
; MemoryBound: 0
; FloatMode: 240
; IeeeMode: 1
; LDSByteSize: 0 bytes/workgroup (compile time only)
; SGPRBlocks: 2
; VGPRBlocks: 2
; NumSGPRsForWavesPerEU: 18
; NumVGPRsForWavesPerEU: 17
; Occupancy: 16
; WaveLimiterHint : 0
; COMPUTE_PGM_RSRC2:SCRATCH_EN: 0
; COMPUTE_PGM_RSRC2:USER_SGPR: 15
; COMPUTE_PGM_RSRC2:TRAP_HANDLER: 0
; COMPUTE_PGM_RSRC2:TGID_X_EN: 1
; COMPUTE_PGM_RSRC2:TGID_Y_EN: 0
; COMPUTE_PGM_RSRC2:TGID_Z_EN: 0
; COMPUTE_PGM_RSRC2:TIDIG_COMP_CNT: 1
	.section	.text._ZN12_GLOBAL__N_121softmax_warp_backwardIN3c108BFloat16ES2_fLi8ELb0ELb1ELi32EEEvPT0_PKT_S7_iiiPKb,"axG",@progbits,_ZN12_GLOBAL__N_121softmax_warp_backwardIN3c108BFloat16ES2_fLi8ELb0ELb1ELi32EEEvPT0_PKT_S7_iiiPKb,comdat
	.globl	_ZN12_GLOBAL__N_121softmax_warp_backwardIN3c108BFloat16ES2_fLi8ELb0ELb1ELi32EEEvPT0_PKT_S7_iiiPKb ; -- Begin function _ZN12_GLOBAL__N_121softmax_warp_backwardIN3c108BFloat16ES2_fLi8ELb0ELb1ELi32EEEvPT0_PKT_S7_iiiPKb
	.p2align	8
	.type	_ZN12_GLOBAL__N_121softmax_warp_backwardIN3c108BFloat16ES2_fLi8ELb0ELb1ELi32EEEvPT0_PKT_S7_iiiPKb,@function
_ZN12_GLOBAL__N_121softmax_warp_backwardIN3c108BFloat16ES2_fLi8ELb0ELb1ELi32EEEvPT0_PKT_S7_iiiPKb: ; @_ZN12_GLOBAL__N_121softmax_warp_backwardIN3c108BFloat16ES2_fLi8ELb0ELb1ELi32EEEvPT0_PKT_S7_iiiPKb
; %bb.0:
	s_clause 0x1
	s_load_b32 s2, s[0:1], 0x3c
	s_load_b128 s[8:11], s[0:1], 0x18
	v_bfe_u32 v1, v0, 10, 10
	v_and_b32_e32 v4, 31, v0
	s_load_b128 s[16:19], s[0:1], 0x0
	v_mov_b32_e32 v14, 0
	v_mov_b32_e32 v22, 0
	v_mov_b32_e32 v24, 0
	s_waitcnt lgkmcnt(0)
	s_lshr_b32 s2, s2, 16
	s_delay_alu instid0(SALU_CYCLE_1) | instskip(SKIP_1) | instid1(VALU_DEP_1)
	v_mad_u64_u32 v[5:6], null, s15, s2, v[1:2]
	s_load_b64 s[2:3], s[0:1], 0x10
	v_mad_u64_u32 v[2:3], null, v5, s9, v[4:5]
	v_sub_nc_u32_e32 v23, s8, v5
	v_cmp_gt_i32_e64 s8, s10, v4
	s_delay_alu instid0(VALU_DEP_2) | instskip(NEXT) | instid1(VALU_DEP_4)
	v_cmp_lt_i32_e64 s9, 0, v23
	v_ashrrev_i32_e32 v3, 31, v2
	s_delay_alu instid0(VALU_DEP_1) | instskip(NEXT) | instid1(VALU_DEP_1)
	v_lshlrev_b64 v[0:1], 1, v[2:3]
	v_add_co_u32 v5, vcc_lo, s18, v0
	s_delay_alu instid0(VALU_DEP_2) | instskip(SKIP_4) | instid1(SALU_CYCLE_1)
	v_add_co_ci_u32_e32 v6, vcc_lo, s19, v1, vcc_lo
	s_waitcnt lgkmcnt(0)
	v_add_co_u32 v7, vcc_lo, s2, v0
	v_add_co_ci_u32_e32 v8, vcc_lo, s3, v1, vcc_lo
	s_and_b32 s3, s9, s8
	s_and_saveexec_b32 s2, s3
	s_cbranch_execz .LBB851_2
; %bb.1:
	global_load_u16 v9, v[5:6], off
	global_load_u16 v10, v[7:8], off
	s_waitcnt vmcnt(1)
	v_lshlrev_b32_e32 v22, 16, v9
	s_waitcnt vmcnt(0)
	v_lshlrev_b32_e32 v24, 16, v10
.LBB851_2:
	s_or_b32 exec_lo, exec_lo, s2
	v_or_b32_e32 v9, 32, v4
	v_mov_b32_e32 v21, 0
	s_delay_alu instid0(VALU_DEP_2) | instskip(NEXT) | instid1(VALU_DEP_1)
	v_cmp_gt_i32_e64 s7, s10, v9
	s_and_b32 s3, s9, s7
	s_delay_alu instid0(SALU_CYCLE_1)
	s_and_saveexec_b32 s2, s3
	s_cbranch_execz .LBB851_4
; %bb.3:
	global_load_u16 v9, v[5:6], off offset:64
	global_load_u16 v10, v[7:8], off offset:64
	s_waitcnt vmcnt(1)
	v_lshlrev_b32_e32 v14, 16, v9
	s_waitcnt vmcnt(0)
	v_lshlrev_b32_e32 v21, 16, v10
.LBB851_4:
	s_or_b32 exec_lo, exec_lo, s2
	v_or_b32_e32 v9, 64, v4
	v_dual_mov_b32 v11, 0 :: v_dual_mov_b32 v20, 0
	v_mov_b32_e32 v19, 0
	s_delay_alu instid0(VALU_DEP_3) | instskip(NEXT) | instid1(VALU_DEP_1)
	v_cmp_gt_i32_e64 s6, s10, v9
	s_and_b32 s3, s9, s6
	s_delay_alu instid0(SALU_CYCLE_1)
	s_and_saveexec_b32 s2, s3
	s_cbranch_execz .LBB851_6
; %bb.5:
	global_load_u16 v9, v[5:6], off offset:128
	global_load_u16 v10, v[7:8], off offset:128
	s_waitcnt vmcnt(1)
	v_lshlrev_b32_e32 v19, 16, v9
	s_waitcnt vmcnt(0)
	v_lshlrev_b32_e32 v20, 16, v10
.LBB851_6:
	s_or_b32 exec_lo, exec_lo, s2
	v_or_b32_e32 v9, 0x60, v4
	v_mov_b32_e32 v18, 0
	s_delay_alu instid0(VALU_DEP_2) | instskip(NEXT) | instid1(VALU_DEP_1)
	v_cmp_gt_i32_e64 s5, s10, v9
	s_and_b32 s3, s9, s5
	s_delay_alu instid0(SALU_CYCLE_1)
	s_and_saveexec_b32 s2, s3
	s_cbranch_execz .LBB851_8
; %bb.7:
	global_load_u16 v9, v[5:6], off offset:192
	global_load_u16 v10, v[7:8], off offset:192
	s_waitcnt vmcnt(1)
	v_lshlrev_b32_e32 v11, 16, v9
	s_waitcnt vmcnt(0)
	v_lshlrev_b32_e32 v18, 16, v10
.LBB851_8:
	s_or_b32 exec_lo, exec_lo, s2
	v_or_b32_e32 v9, 0x80, v4
	v_dual_mov_b32 v10, 0 :: v_dual_mov_b32 v17, 0
	v_mov_b32_e32 v16, 0
	s_delay_alu instid0(VALU_DEP_3) | instskip(NEXT) | instid1(VALU_DEP_1)
	v_cmp_gt_i32_e64 s4, s10, v9
	s_and_b32 s3, s9, s4
	s_delay_alu instid0(SALU_CYCLE_1)
	s_and_saveexec_b32 s2, s3
	s_cbranch_execz .LBB851_10
; %bb.9:
	global_load_u16 v9, v[5:6], off offset:256
	global_load_u16 v12, v[7:8], off offset:256
	s_waitcnt vmcnt(1)
	v_lshlrev_b32_e32 v16, 16, v9
	s_waitcnt vmcnt(0)
	v_lshlrev_b32_e32 v17, 16, v12
.LBB851_10:
	s_or_b32 exec_lo, exec_lo, s2
	v_or_b32_e32 v9, 0xa0, v4
	v_mov_b32_e32 v15, 0
	s_delay_alu instid0(VALU_DEP_2) | instskip(NEXT) | instid1(VALU_DEP_1)
	v_cmp_gt_i32_e64 s3, s10, v9
	s_and_b32 s11, s9, s3
	s_delay_alu instid0(SALU_CYCLE_1)
	s_and_saveexec_b32 s2, s11
	s_cbranch_execz .LBB851_12
; %bb.11:
	global_load_u16 v9, v[5:6], off offset:320
	global_load_u16 v12, v[7:8], off offset:320
	s_waitcnt vmcnt(1)
	v_lshlrev_b32_e32 v10, 16, v9
	s_waitcnt vmcnt(0)
	v_lshlrev_b32_e32 v15, 16, v12
.LBB851_12:
	s_or_b32 exec_lo, exec_lo, s2
	v_or_b32_e32 v9, 0xc0, v4
	v_dual_mov_b32 v13, 0 :: v_dual_mov_b32 v12, 0
	s_delay_alu instid0(VALU_DEP_2) | instskip(SKIP_1) | instid1(VALU_DEP_2)
	v_cmp_gt_i32_e64 s2, s10, v9
	v_mov_b32_e32 v9, 0
	s_and_b32 s12, s9, s2
	s_delay_alu instid0(SALU_CYCLE_1)
	s_and_saveexec_b32 s11, s12
	s_cbranch_execz .LBB851_14
; %bb.13:
	global_load_u16 v12, v[5:6], off offset:384
	global_load_u16 v13, v[7:8], off offset:384
	s_waitcnt vmcnt(1)
	v_lshlrev_b32_e32 v12, 16, v12
	s_waitcnt vmcnt(0)
	v_lshlrev_b32_e32 v13, 16, v13
.LBB851_14:
	s_or_b32 exec_lo, exec_lo, s11
	v_or_b32_e32 v4, 0xe0, v4
	s_delay_alu instid0(VALU_DEP_1) | instskip(SKIP_2) | instid1(SALU_CYCLE_1)
	v_cmp_gt_i32_e32 vcc_lo, s10, v4
	v_mov_b32_e32 v4, 0
	s_and_b32 s10, s9, vcc_lo
	s_and_saveexec_b32 s9, s10
	s_cbranch_execz .LBB851_16
; %bb.15:
	global_load_u16 v4, v[5:6], off offset:448
	global_load_u16 v5, v[7:8], off offset:448
	s_waitcnt vmcnt(1)
	v_lshlrev_b32_e32 v9, 16, v4
	s_waitcnt vmcnt(0)
	v_lshlrev_b32_e32 v4, 16, v5
.LBB851_16:
	s_or_b32 exec_lo, exec_lo, s9
	s_load_b64 s[0:1], s[0:1], 0x28
	s_mov_b32 s18, exec_lo
	s_waitcnt lgkmcnt(0)
	v_add_co_u32 v2, s0, s0, v2
	s_delay_alu instid0(VALU_DEP_1)
	v_add_co_ci_u32_e64 v3, s0, s1, v3, s0
	s_clause 0x7
	global_load_u8 v5, v[2:3], off
	global_load_u8 v6, v[2:3], off offset:32
	global_load_u8 v7, v[2:3], off offset:64
	;; [unrolled: 1-line block ×7, first 2 shown]
	s_waitcnt vmcnt(7)
	v_and_b32_e32 v3, 1, v5
	v_add_f32_e32 v5, 0, v22
	s_delay_alu instid0(VALU_DEP_2) | instskip(NEXT) | instid1(VALU_DEP_1)
	v_cmp_eq_u32_e64 s12, 1, v3
	v_cndmask_b32_e64 v3, v5, 0, s12
	s_waitcnt vmcnt(6)
	v_and_b32_e32 v5, 1, v6
	s_delay_alu instid0(VALU_DEP_2) | instskip(NEXT) | instid1(VALU_DEP_2)
	v_add_f32_e32 v6, v3, v14
	v_cmp_eq_u32_e64 s0, 1, v5
	s_waitcnt vmcnt(5)
	v_and_b32_e32 v5, 1, v7
	s_delay_alu instid0(VALU_DEP_2) | instskip(NEXT) | instid1(VALU_DEP_2)
	v_cndmask_b32_e64 v3, v6, v3, s0
	v_cmp_eq_u32_e64 s1, 1, v5
	s_waitcnt vmcnt(4)
	s_delay_alu instid0(VALU_DEP_2) | instskip(NEXT) | instid1(VALU_DEP_1)
	v_dual_add_f32 v6, v3, v19 :: v_dual_and_b32 v5, 1, v8
	v_cmp_eq_u32_e64 s9, 1, v5
	s_delay_alu instid0(VALU_DEP_2) | instskip(NEXT) | instid1(VALU_DEP_1)
	v_cndmask_b32_e64 v3, v6, v3, s1
	v_add_f32_e32 v6, v3, v11
	s_delay_alu instid0(VALU_DEP_1) | instskip(SKIP_1) | instid1(VALU_DEP_1)
	v_cndmask_b32_e64 v3, v6, v3, s9
	s_waitcnt vmcnt(3)
	v_dual_add_f32 v6, v3, v16 :: v_dual_and_b32 v5, 1, v25
	s_delay_alu instid0(VALU_DEP_1) | instskip(SKIP_2) | instid1(VALU_DEP_2)
	v_cmp_eq_u32_e64 s10, 1, v5
	s_waitcnt vmcnt(2)
	v_and_b32_e32 v5, 1, v26
	v_cndmask_b32_e64 v3, v6, v3, s10
	s_delay_alu instid0(VALU_DEP_2) | instskip(SKIP_1) | instid1(VALU_DEP_3)
	v_cmp_eq_u32_e64 s11, 1, v5
	v_mbcnt_lo_u32_b32 v5, -1, 0
	v_add_f32_e32 v6, v3, v10
	s_delay_alu instid0(VALU_DEP_2) | instskip(NEXT) | instid1(VALU_DEP_2)
	v_xor_b32_e32 v8, 16, v5
	v_cndmask_b32_e64 v3, v6, v3, s11
	s_waitcnt vmcnt(1)
	v_and_b32_e32 v6, 1, v27
	s_delay_alu instid0(VALU_DEP_3) | instskip(NEXT) | instid1(VALU_DEP_3)
	v_cmp_gt_i32_e64 s14, 32, v8
	v_add_f32_e32 v7, v3, v12
	s_delay_alu instid0(VALU_DEP_3) | instskip(NEXT) | instid1(VALU_DEP_3)
	v_cmp_eq_u32_e64 s13, 1, v6
	v_cndmask_b32_e64 v6, v5, v8, s14
	s_delay_alu instid0(VALU_DEP_2) | instskip(SKIP_2) | instid1(VALU_DEP_2)
	v_cndmask_b32_e64 v3, v7, v3, s13
	s_waitcnt vmcnt(0)
	v_and_b32_e32 v2, 1, v2
	v_dual_add_f32 v7, v3, v9 :: v_dual_lshlrev_b32 v6, 2, v6
	s_delay_alu instid0(VALU_DEP_2) | instskip(NEXT) | instid1(VALU_DEP_1)
	v_cmp_eq_u32_e64 s14, 1, v2
	v_cndmask_b32_e64 v2, v7, v3, s14
	ds_bpermute_b32 v3, v6, v2
	v_xor_b32_e32 v6, 8, v5
	s_delay_alu instid0(VALU_DEP_1) | instskip(NEXT) | instid1(VALU_DEP_1)
	v_cmp_gt_i32_e64 s15, 32, v6
	v_cndmask_b32_e64 v6, v5, v6, s15
	s_delay_alu instid0(VALU_DEP_1) | instskip(SKIP_4) | instid1(VALU_DEP_1)
	v_lshlrev_b32_e32 v6, 2, v6
	s_waitcnt lgkmcnt(0)
	v_add_f32_e32 v2, v2, v3
	ds_bpermute_b32 v3, v6, v2
	v_xor_b32_e32 v6, 4, v5
	v_cmp_gt_i32_e64 s15, 32, v6
	s_delay_alu instid0(VALU_DEP_1) | instskip(NEXT) | instid1(VALU_DEP_1)
	v_cndmask_b32_e64 v6, v5, v6, s15
	v_lshlrev_b32_e32 v6, 2, v6
	s_waitcnt lgkmcnt(0)
	v_add_f32_e32 v2, v2, v3
	ds_bpermute_b32 v3, v6, v2
	v_xor_b32_e32 v6, 2, v5
	s_delay_alu instid0(VALU_DEP_1) | instskip(NEXT) | instid1(VALU_DEP_1)
	v_cmp_gt_i32_e64 s15, 32, v6
	v_cndmask_b32_e64 v6, v5, v6, s15
	s_delay_alu instid0(VALU_DEP_1) | instskip(SKIP_4) | instid1(VALU_DEP_1)
	v_lshlrev_b32_e32 v6, 2, v6
	s_waitcnt lgkmcnt(0)
	v_add_f32_e32 v2, v2, v3
	ds_bpermute_b32 v3, v6, v2
	v_xor_b32_e32 v6, 1, v5
	v_cmp_gt_i32_e64 s15, 32, v6
	s_delay_alu instid0(VALU_DEP_1) | instskip(SKIP_1) | instid1(VALU_DEP_1)
	v_cndmask_b32_e64 v5, v5, v6, s15
	s_waitcnt lgkmcnt(0)
	v_dual_add_f32 v2, v2, v3 :: v_dual_lshlrev_b32 v3, 2, v5
	ds_bpermute_b32 v3, v3, v2
	v_cmpx_lt_i32_e32 0, v23
	s_cbranch_execz .LBB851_28
; %bb.17:
	v_add_co_u32 v0, s15, s16, v0
	s_waitcnt lgkmcnt(0)
	v_add_f32_e32 v2, v2, v3
	v_add_co_ci_u32_e64 v1, s15, s17, v1, s15
	s_and_saveexec_b32 s15, s8
	s_cbranch_execz .LBB851_21
; %bb.18:
	v_mov_b32_e32 v3, 0
	s_xor_b32 s8, s12, -1
	s_delay_alu instid0(SALU_CYCLE_1)
	s_and_saveexec_b32 s12, s8
; %bb.19:
	v_fma_f32 v3, -v2, v24, v22
	s_delay_alu instid0(VALU_DEP_1) | instskip(SKIP_1) | instid1(VALU_DEP_2)
	v_bfe_u32 v5, v3, 16, 1
	v_cmp_o_f32_e64 s8, v3, v3
	v_add3_u32 v5, v3, v5, 0x7fff
	s_delay_alu instid0(VALU_DEP_1) | instskip(NEXT) | instid1(VALU_DEP_1)
	v_lshrrev_b32_e32 v5, 16, v5
	v_cndmask_b32_e64 v3, 0x7fc0, v5, s8
; %bb.20:
	s_or_b32 exec_lo, exec_lo, s12
	global_store_b16 v[0:1], v3, off
.LBB851_21:
	s_or_b32 exec_lo, exec_lo, s15
	s_xor_b32 s0, s0, -1
	s_xor_b32 s15, s1, -1
	;; [unrolled: 1-line block ×7, first 2 shown]
	s_and_saveexec_b32 s11, s7
	s_cbranch_execnz .LBB851_29
; %bb.22:
	s_or_b32 exec_lo, exec_lo, s11
	s_and_saveexec_b32 s7, s6
	s_cbranch_execnz .LBB851_32
.LBB851_23:
	s_or_b32 exec_lo, exec_lo, s7
	s_and_saveexec_b32 s6, s5
	s_cbranch_execnz .LBB851_35
.LBB851_24:
	s_or_b32 exec_lo, exec_lo, s6
	s_and_saveexec_b32 s5, s4
	s_cbranch_execnz .LBB851_38
.LBB851_25:
	s_or_b32 exec_lo, exec_lo, s5
	s_and_saveexec_b32 s4, s3
	s_cbranch_execnz .LBB851_41
.LBB851_26:
	s_or_b32 exec_lo, exec_lo, s4
	s_and_saveexec_b32 s3, s2
	s_cbranch_execnz .LBB851_44
.LBB851_27:
	s_or_b32 exec_lo, exec_lo, s3
	s_delay_alu instid0(SALU_CYCLE_1)
	s_and_b32 exec_lo, exec_lo, vcc_lo
	s_cbranch_execnz .LBB851_47
.LBB851_28:
	s_nop 0
	s_sendmsg sendmsg(MSG_DEALLOC_VGPRS)
	s_endpgm
.LBB851_29:
	v_mov_b32_e32 v3, 0
	s_and_saveexec_b32 s7, s0
; %bb.30:
	v_fma_f32 v3, -v2, v21, v14
	s_delay_alu instid0(VALU_DEP_1) | instskip(SKIP_1) | instid1(VALU_DEP_2)
	v_bfe_u32 v5, v3, 16, 1
	v_cmp_o_f32_e64 s0, v3, v3
	v_add3_u32 v5, v3, v5, 0x7fff
	s_delay_alu instid0(VALU_DEP_1) | instskip(NEXT) | instid1(VALU_DEP_1)
	v_lshrrev_b32_e32 v5, 16, v5
	v_cndmask_b32_e64 v3, 0x7fc0, v5, s0
; %bb.31:
	s_or_b32 exec_lo, exec_lo, s7
	global_store_b16 v[0:1], v3, off offset:64
	s_or_b32 exec_lo, exec_lo, s11
	s_and_saveexec_b32 s7, s6
	s_cbranch_execz .LBB851_23
.LBB851_32:
	v_mov_b32_e32 v3, 0
	s_and_saveexec_b32 s6, s15
; %bb.33:
	v_fma_f32 v3, -v2, v20, v19
	s_delay_alu instid0(VALU_DEP_1) | instskip(SKIP_1) | instid1(VALU_DEP_2)
	v_bfe_u32 v5, v3, 16, 1
	v_cmp_o_f32_e64 s0, v3, v3
	v_add3_u32 v5, v3, v5, 0x7fff
	s_delay_alu instid0(VALU_DEP_1) | instskip(NEXT) | instid1(VALU_DEP_1)
	v_lshrrev_b32_e32 v5, 16, v5
	v_cndmask_b32_e64 v3, 0x7fc0, v5, s0
; %bb.34:
	s_or_b32 exec_lo, exec_lo, s6
	global_store_b16 v[0:1], v3, off offset:128
	s_or_b32 exec_lo, exec_lo, s7
	s_and_saveexec_b32 s6, s5
	s_cbranch_execz .LBB851_24
.LBB851_35:
	v_mov_b32_e32 v3, 0
	s_and_saveexec_b32 s5, s12
; %bb.36:
	v_fma_f32 v3, -v2, v18, v11
	s_delay_alu instid0(VALU_DEP_1) | instskip(SKIP_1) | instid1(VALU_DEP_2)
	v_bfe_u32 v5, v3, 16, 1
	v_cmp_o_f32_e64 s0, v3, v3
	v_add3_u32 v5, v3, v5, 0x7fff
	s_delay_alu instid0(VALU_DEP_1) | instskip(NEXT) | instid1(VALU_DEP_1)
	v_lshrrev_b32_e32 v5, 16, v5
	v_cndmask_b32_e64 v3, 0x7fc0, v5, s0
; %bb.37:
	s_or_b32 exec_lo, exec_lo, s5
	global_store_b16 v[0:1], v3, off offset:192
	s_or_b32 exec_lo, exec_lo, s6
	s_and_saveexec_b32 s5, s4
	s_cbranch_execz .LBB851_25
.LBB851_38:
	v_mov_b32_e32 v3, 0
	s_and_saveexec_b32 s4, s10
; %bb.39:
	v_fma_f32 v3, -v2, v17, v16
	s_delay_alu instid0(VALU_DEP_1) | instskip(SKIP_1) | instid1(VALU_DEP_2)
	v_bfe_u32 v5, v3, 16, 1
	v_cmp_o_f32_e64 s0, v3, v3
	v_add3_u32 v5, v3, v5, 0x7fff
	s_delay_alu instid0(VALU_DEP_1) | instskip(NEXT) | instid1(VALU_DEP_1)
	v_lshrrev_b32_e32 v5, 16, v5
	v_cndmask_b32_e64 v3, 0x7fc0, v5, s0
; %bb.40:
	s_or_b32 exec_lo, exec_lo, s4
	global_store_b16 v[0:1], v3, off offset:256
	s_or_b32 exec_lo, exec_lo, s5
	s_and_saveexec_b32 s4, s3
	s_cbranch_execz .LBB851_26
.LBB851_41:
	v_mov_b32_e32 v3, 0
	s_and_saveexec_b32 s3, s9
; %bb.42:
	v_fma_f32 v3, -v2, v15, v10
	s_delay_alu instid0(VALU_DEP_1) | instskip(SKIP_1) | instid1(VALU_DEP_2)
	v_bfe_u32 v5, v3, 16, 1
	v_cmp_o_f32_e64 s0, v3, v3
	v_add3_u32 v5, v3, v5, 0x7fff
	s_delay_alu instid0(VALU_DEP_1) | instskip(NEXT) | instid1(VALU_DEP_1)
	v_lshrrev_b32_e32 v5, 16, v5
	v_cndmask_b32_e64 v3, 0x7fc0, v5, s0
; %bb.43:
	s_or_b32 exec_lo, exec_lo, s3
	global_store_b16 v[0:1], v3, off offset:320
	s_or_b32 exec_lo, exec_lo, s4
	s_and_saveexec_b32 s3, s2
	s_cbranch_execz .LBB851_27
.LBB851_44:
	v_mov_b32_e32 v3, 0
	s_and_saveexec_b32 s2, s8
; %bb.45:
	v_fma_f32 v3, -v2, v13, v12
	s_delay_alu instid0(VALU_DEP_1) | instskip(SKIP_1) | instid1(VALU_DEP_2)
	v_bfe_u32 v5, v3, 16, 1
	v_cmp_o_f32_e64 s0, v3, v3
	v_add3_u32 v5, v3, v5, 0x7fff
	s_delay_alu instid0(VALU_DEP_1) | instskip(NEXT) | instid1(VALU_DEP_1)
	v_lshrrev_b32_e32 v5, 16, v5
	v_cndmask_b32_e64 v3, 0x7fc0, v5, s0
; %bb.46:
	s_or_b32 exec_lo, exec_lo, s2
	global_store_b16 v[0:1], v3, off offset:384
	s_or_b32 exec_lo, exec_lo, s3
	s_delay_alu instid0(SALU_CYCLE_1)
	s_and_b32 exec_lo, exec_lo, vcc_lo
	s_cbranch_execz .LBB851_28
.LBB851_47:
	v_mov_b32_e32 v3, 0
	s_and_saveexec_b32 s0, s1
; %bb.48:
	v_fma_f32 v2, -v2, v4, v9
	s_delay_alu instid0(VALU_DEP_1) | instskip(SKIP_1) | instid1(VALU_DEP_2)
	v_bfe_u32 v3, v2, 16, 1
	v_cmp_o_f32_e32 vcc_lo, v2, v2
	v_add3_u32 v3, v2, v3, 0x7fff
	s_delay_alu instid0(VALU_DEP_1) | instskip(NEXT) | instid1(VALU_DEP_1)
	v_lshrrev_b32_e32 v3, 16, v3
	v_cndmask_b32_e32 v3, 0x7fc0, v3, vcc_lo
; %bb.49:
	s_or_b32 exec_lo, exec_lo, s0
	global_store_b16 v[0:1], v3, off offset:448
	s_nop 0
	s_sendmsg sendmsg(MSG_DEALLOC_VGPRS)
	s_endpgm
	.section	.rodata,"a",@progbits
	.p2align	6, 0x0
	.amdhsa_kernel _ZN12_GLOBAL__N_121softmax_warp_backwardIN3c108BFloat16ES2_fLi8ELb0ELb1ELi32EEEvPT0_PKT_S7_iiiPKb
		.amdhsa_group_segment_fixed_size 0
		.amdhsa_private_segment_fixed_size 0
		.amdhsa_kernarg_size 304
		.amdhsa_user_sgpr_count 15
		.amdhsa_user_sgpr_dispatch_ptr 0
		.amdhsa_user_sgpr_queue_ptr 0
		.amdhsa_user_sgpr_kernarg_segment_ptr 1
		.amdhsa_user_sgpr_dispatch_id 0
		.amdhsa_user_sgpr_private_segment_size 0
		.amdhsa_wavefront_size32 1
		.amdhsa_uses_dynamic_stack 0
		.amdhsa_enable_private_segment 0
		.amdhsa_system_sgpr_workgroup_id_x 1
		.amdhsa_system_sgpr_workgroup_id_y 0
		.amdhsa_system_sgpr_workgroup_id_z 0
		.amdhsa_system_sgpr_workgroup_info 0
		.amdhsa_system_vgpr_workitem_id 1
		.amdhsa_next_free_vgpr 28
		.amdhsa_next_free_sgpr 20
		.amdhsa_reserve_vcc 1
		.amdhsa_float_round_mode_32 0
		.amdhsa_float_round_mode_16_64 0
		.amdhsa_float_denorm_mode_32 3
		.amdhsa_float_denorm_mode_16_64 3
		.amdhsa_dx10_clamp 1
		.amdhsa_ieee_mode 1
		.amdhsa_fp16_overflow 0
		.amdhsa_workgroup_processor_mode 1
		.amdhsa_memory_ordered 1
		.amdhsa_forward_progress 0
		.amdhsa_shared_vgpr_count 0
		.amdhsa_exception_fp_ieee_invalid_op 0
		.amdhsa_exception_fp_denorm_src 0
		.amdhsa_exception_fp_ieee_div_zero 0
		.amdhsa_exception_fp_ieee_overflow 0
		.amdhsa_exception_fp_ieee_underflow 0
		.amdhsa_exception_fp_ieee_inexact 0
		.amdhsa_exception_int_div_zero 0
	.end_amdhsa_kernel
	.section	.text._ZN12_GLOBAL__N_121softmax_warp_backwardIN3c108BFloat16ES2_fLi8ELb0ELb1ELi32EEEvPT0_PKT_S7_iiiPKb,"axG",@progbits,_ZN12_GLOBAL__N_121softmax_warp_backwardIN3c108BFloat16ES2_fLi8ELb0ELb1ELi32EEEvPT0_PKT_S7_iiiPKb,comdat
.Lfunc_end851:
	.size	_ZN12_GLOBAL__N_121softmax_warp_backwardIN3c108BFloat16ES2_fLi8ELb0ELb1ELi32EEEvPT0_PKT_S7_iiiPKb, .Lfunc_end851-_ZN12_GLOBAL__N_121softmax_warp_backwardIN3c108BFloat16ES2_fLi8ELb0ELb1ELi32EEEvPT0_PKT_S7_iiiPKb
                                        ; -- End function
	.section	.AMDGPU.csdata,"",@progbits
; Kernel info:
; codeLenInByte = 2248
; NumSgprs: 22
; NumVgprs: 28
; ScratchSize: 0
; MemoryBound: 0
; FloatMode: 240
; IeeeMode: 1
; LDSByteSize: 0 bytes/workgroup (compile time only)
; SGPRBlocks: 2
; VGPRBlocks: 3
; NumSGPRsForWavesPerEU: 22
; NumVGPRsForWavesPerEU: 28
; Occupancy: 16
; WaveLimiterHint : 0
; COMPUTE_PGM_RSRC2:SCRATCH_EN: 0
; COMPUTE_PGM_RSRC2:USER_SGPR: 15
; COMPUTE_PGM_RSRC2:TRAP_HANDLER: 0
; COMPUTE_PGM_RSRC2:TGID_X_EN: 1
; COMPUTE_PGM_RSRC2:TGID_Y_EN: 0
; COMPUTE_PGM_RSRC2:TGID_Z_EN: 0
; COMPUTE_PGM_RSRC2:TIDIG_COMP_CNT: 1
	.section	.text._ZN12_GLOBAL__N_121softmax_warp_backwardIN3c108BFloat16ES2_fLi9ELb0ELb1ELi64EEEvPT0_PKT_S7_iiiPKb,"axG",@progbits,_ZN12_GLOBAL__N_121softmax_warp_backwardIN3c108BFloat16ES2_fLi9ELb0ELb1ELi64EEEvPT0_PKT_S7_iiiPKb,comdat
	.globl	_ZN12_GLOBAL__N_121softmax_warp_backwardIN3c108BFloat16ES2_fLi9ELb0ELb1ELi64EEEvPT0_PKT_S7_iiiPKb ; -- Begin function _ZN12_GLOBAL__N_121softmax_warp_backwardIN3c108BFloat16ES2_fLi9ELb0ELb1ELi64EEEvPT0_PKT_S7_iiiPKb
	.p2align	8
	.type	_ZN12_GLOBAL__N_121softmax_warp_backwardIN3c108BFloat16ES2_fLi9ELb0ELb1ELi64EEEvPT0_PKT_S7_iiiPKb,@function
_ZN12_GLOBAL__N_121softmax_warp_backwardIN3c108BFloat16ES2_fLi9ELb0ELb1ELi64EEEvPT0_PKT_S7_iiiPKb: ; @_ZN12_GLOBAL__N_121softmax_warp_backwardIN3c108BFloat16ES2_fLi9ELb0ELb1ELi64EEEvPT0_PKT_S7_iiiPKb
; %bb.0:
	s_clause 0x1
	s_load_b32 s2, s[0:1], 0x3c
	s_load_b128 s[8:11], s[0:1], 0x18
	v_bfe_u32 v1, v0, 10, 10
	v_and_b32_e32 v4, 63, v0
	s_load_b128 s[16:19], s[0:1], 0x0
	v_mov_b32_e32 v14, 0
	v_mov_b32_e32 v22, 0
	;; [unrolled: 1-line block ×3, first 2 shown]
	s_waitcnt lgkmcnt(0)
	s_lshr_b32 s2, s2, 16
	s_delay_alu instid0(SALU_CYCLE_1) | instskip(SKIP_1) | instid1(VALU_DEP_1)
	v_mad_u64_u32 v[5:6], null, s15, s2, v[1:2]
	s_load_b64 s[2:3], s[0:1], 0x10
	v_mad_u64_u32 v[2:3], null, v5, s9, v[4:5]
	v_sub_nc_u32_e32 v23, s8, v5
	v_cmp_gt_i32_e64 s8, s10, v4
	s_delay_alu instid0(VALU_DEP_2) | instskip(NEXT) | instid1(VALU_DEP_4)
	v_cmp_lt_i32_e64 s9, 0, v23
	v_ashrrev_i32_e32 v3, 31, v2
	s_delay_alu instid0(VALU_DEP_1) | instskip(NEXT) | instid1(VALU_DEP_1)
	v_lshlrev_b64 v[0:1], 1, v[2:3]
	v_add_co_u32 v5, vcc_lo, s18, v0
	s_delay_alu instid0(VALU_DEP_2) | instskip(SKIP_4) | instid1(SALU_CYCLE_1)
	v_add_co_ci_u32_e32 v6, vcc_lo, s19, v1, vcc_lo
	s_waitcnt lgkmcnt(0)
	v_add_co_u32 v7, vcc_lo, s2, v0
	v_add_co_ci_u32_e32 v8, vcc_lo, s3, v1, vcc_lo
	s_and_b32 s3, s9, s8
	s_and_saveexec_b32 s2, s3
	s_cbranch_execz .LBB852_2
; %bb.1:
	global_load_u16 v9, v[5:6], off
	global_load_u16 v10, v[7:8], off
	s_waitcnt vmcnt(1)
	v_lshlrev_b32_e32 v22, 16, v9
	s_waitcnt vmcnt(0)
	v_lshlrev_b32_e32 v24, 16, v10
.LBB852_2:
	s_or_b32 exec_lo, exec_lo, s2
	v_or_b32_e32 v9, 64, v4
	v_mov_b32_e32 v21, 0
	s_delay_alu instid0(VALU_DEP_2) | instskip(NEXT) | instid1(VALU_DEP_1)
	v_cmp_gt_i32_e64 s7, s10, v9
	s_and_b32 s3, s9, s7
	s_delay_alu instid0(SALU_CYCLE_1)
	s_and_saveexec_b32 s2, s3
	s_cbranch_execz .LBB852_4
; %bb.3:
	global_load_u16 v9, v[5:6], off offset:128
	global_load_u16 v10, v[7:8], off offset:128
	s_waitcnt vmcnt(1)
	v_lshlrev_b32_e32 v14, 16, v9
	s_waitcnt vmcnt(0)
	v_lshlrev_b32_e32 v21, 16, v10
.LBB852_4:
	s_or_b32 exec_lo, exec_lo, s2
	v_or_b32_e32 v9, 0x80, v4
	v_dual_mov_b32 v11, 0 :: v_dual_mov_b32 v20, 0
	v_mov_b32_e32 v19, 0
	s_delay_alu instid0(VALU_DEP_3) | instskip(NEXT) | instid1(VALU_DEP_1)
	v_cmp_gt_i32_e64 s6, s10, v9
	s_and_b32 s3, s9, s6
	s_delay_alu instid0(SALU_CYCLE_1)
	s_and_saveexec_b32 s2, s3
	s_cbranch_execz .LBB852_6
; %bb.5:
	global_load_u16 v9, v[5:6], off offset:256
	global_load_u16 v10, v[7:8], off offset:256
	s_waitcnt vmcnt(1)
	v_lshlrev_b32_e32 v19, 16, v9
	s_waitcnt vmcnt(0)
	v_lshlrev_b32_e32 v20, 16, v10
.LBB852_6:
	s_or_b32 exec_lo, exec_lo, s2
	v_or_b32_e32 v9, 0xc0, v4
	v_mov_b32_e32 v18, 0
	s_delay_alu instid0(VALU_DEP_2) | instskip(NEXT) | instid1(VALU_DEP_1)
	v_cmp_gt_i32_e64 s5, s10, v9
	s_and_b32 s3, s9, s5
	s_delay_alu instid0(SALU_CYCLE_1)
	s_and_saveexec_b32 s2, s3
	s_cbranch_execz .LBB852_8
; %bb.7:
	global_load_u16 v9, v[5:6], off offset:384
	global_load_u16 v10, v[7:8], off offset:384
	s_waitcnt vmcnt(1)
	v_lshlrev_b32_e32 v11, 16, v9
	s_waitcnt vmcnt(0)
	v_lshlrev_b32_e32 v18, 16, v10
.LBB852_8:
	s_or_b32 exec_lo, exec_lo, s2
	v_or_b32_e32 v9, 0x100, v4
	v_dual_mov_b32 v10, 0 :: v_dual_mov_b32 v17, 0
	v_mov_b32_e32 v16, 0
	s_delay_alu instid0(VALU_DEP_3) | instskip(NEXT) | instid1(VALU_DEP_1)
	v_cmp_gt_i32_e64 s4, s10, v9
	s_and_b32 s3, s9, s4
	s_delay_alu instid0(SALU_CYCLE_1)
	s_and_saveexec_b32 s2, s3
	s_cbranch_execz .LBB852_10
; %bb.9:
	global_load_u16 v9, v[5:6], off offset:512
	global_load_u16 v12, v[7:8], off offset:512
	s_waitcnt vmcnt(1)
	v_lshlrev_b32_e32 v16, 16, v9
	s_waitcnt vmcnt(0)
	v_lshlrev_b32_e32 v17, 16, v12
.LBB852_10:
	s_or_b32 exec_lo, exec_lo, s2
	v_or_b32_e32 v9, 0x140, v4
	v_mov_b32_e32 v15, 0
	s_delay_alu instid0(VALU_DEP_2) | instskip(NEXT) | instid1(VALU_DEP_1)
	v_cmp_gt_i32_e64 s3, s10, v9
	s_and_b32 s11, s9, s3
	s_delay_alu instid0(SALU_CYCLE_1)
	s_and_saveexec_b32 s2, s11
	s_cbranch_execz .LBB852_12
; %bb.11:
	global_load_u16 v9, v[5:6], off offset:640
	global_load_u16 v12, v[7:8], off offset:640
	s_waitcnt vmcnt(1)
	v_lshlrev_b32_e32 v10, 16, v9
	s_waitcnt vmcnt(0)
	v_lshlrev_b32_e32 v15, 16, v12
.LBB852_12:
	s_or_b32 exec_lo, exec_lo, s2
	v_or_b32_e32 v9, 0x180, v4
	v_dual_mov_b32 v13, 0 :: v_dual_mov_b32 v12, 0
	s_delay_alu instid0(VALU_DEP_2) | instskip(SKIP_1) | instid1(VALU_DEP_2)
	v_cmp_gt_i32_e64 s2, s10, v9
	v_mov_b32_e32 v9, 0
	s_and_b32 s12, s9, s2
	s_delay_alu instid0(SALU_CYCLE_1)
	s_and_saveexec_b32 s11, s12
	s_cbranch_execz .LBB852_14
; %bb.13:
	global_load_u16 v12, v[5:6], off offset:768
	global_load_u16 v13, v[7:8], off offset:768
	s_waitcnt vmcnt(1)
	v_lshlrev_b32_e32 v12, 16, v12
	s_waitcnt vmcnt(0)
	v_lshlrev_b32_e32 v13, 16, v13
.LBB852_14:
	s_or_b32 exec_lo, exec_lo, s11
	v_or_b32_e32 v4, 0x1c0, v4
	s_delay_alu instid0(VALU_DEP_1) | instskip(SKIP_2) | instid1(SALU_CYCLE_1)
	v_cmp_gt_i32_e32 vcc_lo, s10, v4
	v_mov_b32_e32 v4, 0
	s_and_b32 s10, s9, vcc_lo
	s_and_saveexec_b32 s9, s10
	s_cbranch_execz .LBB852_16
; %bb.15:
	global_load_u16 v4, v[5:6], off offset:896
	global_load_u16 v5, v[7:8], off offset:896
	s_waitcnt vmcnt(1)
	v_lshlrev_b32_e32 v9, 16, v4
	s_waitcnt vmcnt(0)
	v_lshlrev_b32_e32 v4, 16, v5
.LBB852_16:
	s_or_b32 exec_lo, exec_lo, s9
	s_load_b64 s[0:1], s[0:1], 0x28
	s_mov_b32 s18, exec_lo
	s_waitcnt lgkmcnt(0)
	v_add_co_u32 v2, s0, s0, v2
	s_delay_alu instid0(VALU_DEP_1)
	v_add_co_ci_u32_e64 v3, s0, s1, v3, s0
	s_clause 0x7
	global_load_u8 v5, v[2:3], off
	global_load_u8 v6, v[2:3], off offset:64
	global_load_u8 v7, v[2:3], off offset:128
	;; [unrolled: 1-line block ×7, first 2 shown]
	s_waitcnt vmcnt(7)
	v_and_b32_e32 v3, 1, v5
	v_add_f32_e32 v5, 0, v22
	s_delay_alu instid0(VALU_DEP_2) | instskip(NEXT) | instid1(VALU_DEP_1)
	v_cmp_eq_u32_e64 s12, 1, v3
	v_cndmask_b32_e64 v3, v5, 0, s12
	s_waitcnt vmcnt(6)
	v_and_b32_e32 v5, 1, v6
	s_delay_alu instid0(VALU_DEP_2) | instskip(NEXT) | instid1(VALU_DEP_2)
	v_add_f32_e32 v6, v3, v14
	v_cmp_eq_u32_e64 s0, 1, v5
	s_waitcnt vmcnt(5)
	v_and_b32_e32 v5, 1, v7
	s_delay_alu instid0(VALU_DEP_2) | instskip(NEXT) | instid1(VALU_DEP_2)
	v_cndmask_b32_e64 v3, v6, v3, s0
	v_cmp_eq_u32_e64 s1, 1, v5
	s_waitcnt vmcnt(4)
	s_delay_alu instid0(VALU_DEP_2) | instskip(NEXT) | instid1(VALU_DEP_1)
	v_dual_add_f32 v6, v3, v19 :: v_dual_and_b32 v5, 1, v8
	v_cmp_eq_u32_e64 s9, 1, v5
	s_delay_alu instid0(VALU_DEP_2) | instskip(NEXT) | instid1(VALU_DEP_1)
	v_cndmask_b32_e64 v3, v6, v3, s1
	v_add_f32_e32 v6, v3, v11
	s_delay_alu instid0(VALU_DEP_1) | instskip(SKIP_1) | instid1(VALU_DEP_1)
	v_cndmask_b32_e64 v3, v6, v3, s9
	s_waitcnt vmcnt(3)
	v_dual_add_f32 v6, v3, v16 :: v_dual_and_b32 v5, 1, v25
	s_delay_alu instid0(VALU_DEP_1) | instskip(SKIP_2) | instid1(VALU_DEP_2)
	v_cmp_eq_u32_e64 s10, 1, v5
	s_waitcnt vmcnt(2)
	v_and_b32_e32 v5, 1, v26
	v_cndmask_b32_e64 v3, v6, v3, s10
	s_delay_alu instid0(VALU_DEP_2) | instskip(SKIP_1) | instid1(VALU_DEP_3)
	v_cmp_eq_u32_e64 s11, 1, v5
	v_mbcnt_lo_u32_b32 v5, -1, 0
	v_add_f32_e32 v6, v3, v10
	s_delay_alu instid0(VALU_DEP_2) | instskip(NEXT) | instid1(VALU_DEP_2)
	v_or_b32_e32 v8, 32, v5
	v_cndmask_b32_e64 v3, v6, v3, s11
	s_waitcnt vmcnt(1)
	v_and_b32_e32 v6, 1, v27
	s_delay_alu instid0(VALU_DEP_3) | instskip(NEXT) | instid1(VALU_DEP_3)
	v_cmp_gt_i32_e64 s14, 64, v8
	v_add_f32_e32 v7, v3, v12
	s_delay_alu instid0(VALU_DEP_3) | instskip(NEXT) | instid1(VALU_DEP_3)
	v_cmp_eq_u32_e64 s13, 1, v6
	v_cndmask_b32_e64 v6, v5, v8, s14
	s_delay_alu instid0(VALU_DEP_2) | instskip(SKIP_2) | instid1(VALU_DEP_2)
	v_cndmask_b32_e64 v3, v7, v3, s13
	s_waitcnt vmcnt(0)
	v_and_b32_e32 v2, 1, v2
	v_dual_add_f32 v7, v3, v9 :: v_dual_lshlrev_b32 v6, 2, v6
	s_delay_alu instid0(VALU_DEP_2) | instskip(NEXT) | instid1(VALU_DEP_1)
	v_cmp_eq_u32_e64 s14, 1, v2
	v_cndmask_b32_e64 v2, v7, v3, s14
	ds_bpermute_b32 v3, v6, v2
	v_xor_b32_e32 v6, 16, v5
	s_delay_alu instid0(VALU_DEP_1) | instskip(NEXT) | instid1(VALU_DEP_1)
	v_cmp_gt_i32_e64 s15, 64, v6
	v_cndmask_b32_e64 v6, v5, v6, s15
	s_delay_alu instid0(VALU_DEP_1) | instskip(SKIP_4) | instid1(VALU_DEP_1)
	v_lshlrev_b32_e32 v6, 2, v6
	s_waitcnt lgkmcnt(0)
	v_add_f32_e32 v2, v2, v3
	ds_bpermute_b32 v3, v6, v2
	v_xor_b32_e32 v6, 8, v5
	v_cmp_gt_i32_e64 s15, 64, v6
	s_delay_alu instid0(VALU_DEP_1) | instskip(NEXT) | instid1(VALU_DEP_1)
	v_cndmask_b32_e64 v6, v5, v6, s15
	v_lshlrev_b32_e32 v6, 2, v6
	s_waitcnt lgkmcnt(0)
	v_add_f32_e32 v2, v2, v3
	ds_bpermute_b32 v3, v6, v2
	v_xor_b32_e32 v6, 4, v5
	s_delay_alu instid0(VALU_DEP_1) | instskip(NEXT) | instid1(VALU_DEP_1)
	v_cmp_gt_i32_e64 s15, 64, v6
	v_cndmask_b32_e64 v6, v5, v6, s15
	s_delay_alu instid0(VALU_DEP_1) | instskip(SKIP_4) | instid1(VALU_DEP_1)
	v_lshlrev_b32_e32 v6, 2, v6
	s_waitcnt lgkmcnt(0)
	v_add_f32_e32 v2, v2, v3
	ds_bpermute_b32 v3, v6, v2
	v_xor_b32_e32 v6, 2, v5
	v_cmp_gt_i32_e64 s15, 64, v6
	s_delay_alu instid0(VALU_DEP_1) | instskip(NEXT) | instid1(VALU_DEP_1)
	v_cndmask_b32_e64 v6, v5, v6, s15
	v_lshlrev_b32_e32 v6, 2, v6
	s_waitcnt lgkmcnt(0)
	v_add_f32_e32 v2, v2, v3
	ds_bpermute_b32 v3, v6, v2
	v_xor_b32_e32 v6, 1, v5
	s_delay_alu instid0(VALU_DEP_1) | instskip(NEXT) | instid1(VALU_DEP_1)
	v_cmp_gt_i32_e64 s15, 64, v6
	v_cndmask_b32_e64 v5, v5, v6, s15
	s_waitcnt lgkmcnt(0)
	s_delay_alu instid0(VALU_DEP_1)
	v_dual_add_f32 v2, v2, v3 :: v_dual_lshlrev_b32 v3, 2, v5
	ds_bpermute_b32 v3, v3, v2
	v_cmpx_lt_i32_e32 0, v23
	s_cbranch_execz .LBB852_28
; %bb.17:
	v_add_co_u32 v0, s15, s16, v0
	s_waitcnt lgkmcnt(0)
	v_add_f32_e32 v2, v2, v3
	v_add_co_ci_u32_e64 v1, s15, s17, v1, s15
	s_and_saveexec_b32 s15, s8
	s_cbranch_execz .LBB852_21
; %bb.18:
	v_mov_b32_e32 v3, 0
	s_xor_b32 s8, s12, -1
	s_delay_alu instid0(SALU_CYCLE_1)
	s_and_saveexec_b32 s12, s8
; %bb.19:
	v_fma_f32 v3, -v2, v24, v22
	s_delay_alu instid0(VALU_DEP_1) | instskip(SKIP_1) | instid1(VALU_DEP_2)
	v_bfe_u32 v5, v3, 16, 1
	v_cmp_o_f32_e64 s8, v3, v3
	v_add3_u32 v5, v3, v5, 0x7fff
	s_delay_alu instid0(VALU_DEP_1) | instskip(NEXT) | instid1(VALU_DEP_1)
	v_lshrrev_b32_e32 v5, 16, v5
	v_cndmask_b32_e64 v3, 0x7fc0, v5, s8
; %bb.20:
	s_or_b32 exec_lo, exec_lo, s12
	global_store_b16 v[0:1], v3, off
.LBB852_21:
	s_or_b32 exec_lo, exec_lo, s15
	s_xor_b32 s0, s0, -1
	s_xor_b32 s15, s1, -1
	;; [unrolled: 1-line block ×7, first 2 shown]
	s_and_saveexec_b32 s11, s7
	s_cbranch_execnz .LBB852_29
; %bb.22:
	s_or_b32 exec_lo, exec_lo, s11
	s_and_saveexec_b32 s7, s6
	s_cbranch_execnz .LBB852_32
.LBB852_23:
	s_or_b32 exec_lo, exec_lo, s7
	s_and_saveexec_b32 s6, s5
	s_cbranch_execnz .LBB852_35
.LBB852_24:
	s_or_b32 exec_lo, exec_lo, s6
	s_and_saveexec_b32 s5, s4
	s_cbranch_execnz .LBB852_38
.LBB852_25:
	s_or_b32 exec_lo, exec_lo, s5
	s_and_saveexec_b32 s4, s3
	s_cbranch_execnz .LBB852_41
.LBB852_26:
	s_or_b32 exec_lo, exec_lo, s4
	s_and_saveexec_b32 s3, s2
	s_cbranch_execnz .LBB852_44
.LBB852_27:
	s_or_b32 exec_lo, exec_lo, s3
	s_delay_alu instid0(SALU_CYCLE_1)
	s_and_b32 exec_lo, exec_lo, vcc_lo
	s_cbranch_execnz .LBB852_47
.LBB852_28:
	s_nop 0
	s_sendmsg sendmsg(MSG_DEALLOC_VGPRS)
	s_endpgm
.LBB852_29:
	v_mov_b32_e32 v3, 0
	s_and_saveexec_b32 s7, s0
; %bb.30:
	v_fma_f32 v3, -v2, v21, v14
	s_delay_alu instid0(VALU_DEP_1) | instskip(SKIP_1) | instid1(VALU_DEP_2)
	v_bfe_u32 v5, v3, 16, 1
	v_cmp_o_f32_e64 s0, v3, v3
	v_add3_u32 v5, v3, v5, 0x7fff
	s_delay_alu instid0(VALU_DEP_1) | instskip(NEXT) | instid1(VALU_DEP_1)
	v_lshrrev_b32_e32 v5, 16, v5
	v_cndmask_b32_e64 v3, 0x7fc0, v5, s0
; %bb.31:
	s_or_b32 exec_lo, exec_lo, s7
	global_store_b16 v[0:1], v3, off offset:128
	s_or_b32 exec_lo, exec_lo, s11
	s_and_saveexec_b32 s7, s6
	s_cbranch_execz .LBB852_23
.LBB852_32:
	v_mov_b32_e32 v3, 0
	s_and_saveexec_b32 s6, s15
; %bb.33:
	v_fma_f32 v3, -v2, v20, v19
	s_delay_alu instid0(VALU_DEP_1) | instskip(SKIP_1) | instid1(VALU_DEP_2)
	v_bfe_u32 v5, v3, 16, 1
	v_cmp_o_f32_e64 s0, v3, v3
	v_add3_u32 v5, v3, v5, 0x7fff
	s_delay_alu instid0(VALU_DEP_1) | instskip(NEXT) | instid1(VALU_DEP_1)
	v_lshrrev_b32_e32 v5, 16, v5
	v_cndmask_b32_e64 v3, 0x7fc0, v5, s0
; %bb.34:
	s_or_b32 exec_lo, exec_lo, s6
	global_store_b16 v[0:1], v3, off offset:256
	s_or_b32 exec_lo, exec_lo, s7
	s_and_saveexec_b32 s6, s5
	s_cbranch_execz .LBB852_24
.LBB852_35:
	v_mov_b32_e32 v3, 0
	s_and_saveexec_b32 s5, s12
; %bb.36:
	v_fma_f32 v3, -v2, v18, v11
	s_delay_alu instid0(VALU_DEP_1) | instskip(SKIP_1) | instid1(VALU_DEP_2)
	v_bfe_u32 v5, v3, 16, 1
	v_cmp_o_f32_e64 s0, v3, v3
	v_add3_u32 v5, v3, v5, 0x7fff
	s_delay_alu instid0(VALU_DEP_1) | instskip(NEXT) | instid1(VALU_DEP_1)
	v_lshrrev_b32_e32 v5, 16, v5
	v_cndmask_b32_e64 v3, 0x7fc0, v5, s0
; %bb.37:
	s_or_b32 exec_lo, exec_lo, s5
	global_store_b16 v[0:1], v3, off offset:384
	s_or_b32 exec_lo, exec_lo, s6
	s_and_saveexec_b32 s5, s4
	s_cbranch_execz .LBB852_25
.LBB852_38:
	v_mov_b32_e32 v3, 0
	s_and_saveexec_b32 s4, s10
; %bb.39:
	v_fma_f32 v3, -v2, v17, v16
	s_delay_alu instid0(VALU_DEP_1) | instskip(SKIP_1) | instid1(VALU_DEP_2)
	v_bfe_u32 v5, v3, 16, 1
	v_cmp_o_f32_e64 s0, v3, v3
	v_add3_u32 v5, v3, v5, 0x7fff
	s_delay_alu instid0(VALU_DEP_1) | instskip(NEXT) | instid1(VALU_DEP_1)
	v_lshrrev_b32_e32 v5, 16, v5
	v_cndmask_b32_e64 v3, 0x7fc0, v5, s0
; %bb.40:
	s_or_b32 exec_lo, exec_lo, s4
	global_store_b16 v[0:1], v3, off offset:512
	s_or_b32 exec_lo, exec_lo, s5
	s_and_saveexec_b32 s4, s3
	s_cbranch_execz .LBB852_26
.LBB852_41:
	v_mov_b32_e32 v3, 0
	s_and_saveexec_b32 s3, s9
; %bb.42:
	v_fma_f32 v3, -v2, v15, v10
	s_delay_alu instid0(VALU_DEP_1) | instskip(SKIP_1) | instid1(VALU_DEP_2)
	v_bfe_u32 v5, v3, 16, 1
	v_cmp_o_f32_e64 s0, v3, v3
	v_add3_u32 v5, v3, v5, 0x7fff
	s_delay_alu instid0(VALU_DEP_1) | instskip(NEXT) | instid1(VALU_DEP_1)
	v_lshrrev_b32_e32 v5, 16, v5
	v_cndmask_b32_e64 v3, 0x7fc0, v5, s0
; %bb.43:
	s_or_b32 exec_lo, exec_lo, s3
	global_store_b16 v[0:1], v3, off offset:640
	s_or_b32 exec_lo, exec_lo, s4
	s_and_saveexec_b32 s3, s2
	s_cbranch_execz .LBB852_27
.LBB852_44:
	v_mov_b32_e32 v3, 0
	s_and_saveexec_b32 s2, s8
; %bb.45:
	v_fma_f32 v3, -v2, v13, v12
	s_delay_alu instid0(VALU_DEP_1) | instskip(SKIP_1) | instid1(VALU_DEP_2)
	v_bfe_u32 v5, v3, 16, 1
	v_cmp_o_f32_e64 s0, v3, v3
	v_add3_u32 v5, v3, v5, 0x7fff
	s_delay_alu instid0(VALU_DEP_1) | instskip(NEXT) | instid1(VALU_DEP_1)
	v_lshrrev_b32_e32 v5, 16, v5
	v_cndmask_b32_e64 v3, 0x7fc0, v5, s0
; %bb.46:
	s_or_b32 exec_lo, exec_lo, s2
	global_store_b16 v[0:1], v3, off offset:768
	s_or_b32 exec_lo, exec_lo, s3
	s_delay_alu instid0(SALU_CYCLE_1)
	s_and_b32 exec_lo, exec_lo, vcc_lo
	s_cbranch_execz .LBB852_28
.LBB852_47:
	v_mov_b32_e32 v3, 0
	s_and_saveexec_b32 s0, s1
; %bb.48:
	v_fma_f32 v2, -v2, v4, v9
	s_delay_alu instid0(VALU_DEP_1) | instskip(SKIP_1) | instid1(VALU_DEP_2)
	v_bfe_u32 v3, v2, 16, 1
	v_cmp_o_f32_e32 vcc_lo, v2, v2
	v_add3_u32 v3, v2, v3, 0x7fff
	s_delay_alu instid0(VALU_DEP_1) | instskip(NEXT) | instid1(VALU_DEP_1)
	v_lshrrev_b32_e32 v3, 16, v3
	v_cndmask_b32_e32 v3, 0x7fc0, v3, vcc_lo
; %bb.49:
	s_or_b32 exec_lo, exec_lo, s0
	global_store_b16 v[0:1], v3, off offset:896
	s_nop 0
	s_sendmsg sendmsg(MSG_DEALLOC_VGPRS)
	s_endpgm
	.section	.rodata,"a",@progbits
	.p2align	6, 0x0
	.amdhsa_kernel _ZN12_GLOBAL__N_121softmax_warp_backwardIN3c108BFloat16ES2_fLi9ELb0ELb1ELi64EEEvPT0_PKT_S7_iiiPKb
		.amdhsa_group_segment_fixed_size 0
		.amdhsa_private_segment_fixed_size 0
		.amdhsa_kernarg_size 304
		.amdhsa_user_sgpr_count 15
		.amdhsa_user_sgpr_dispatch_ptr 0
		.amdhsa_user_sgpr_queue_ptr 0
		.amdhsa_user_sgpr_kernarg_segment_ptr 1
		.amdhsa_user_sgpr_dispatch_id 0
		.amdhsa_user_sgpr_private_segment_size 0
		.amdhsa_wavefront_size32 1
		.amdhsa_uses_dynamic_stack 0
		.amdhsa_enable_private_segment 0
		.amdhsa_system_sgpr_workgroup_id_x 1
		.amdhsa_system_sgpr_workgroup_id_y 0
		.amdhsa_system_sgpr_workgroup_id_z 0
		.amdhsa_system_sgpr_workgroup_info 0
		.amdhsa_system_vgpr_workitem_id 1
		.amdhsa_next_free_vgpr 28
		.amdhsa_next_free_sgpr 20
		.amdhsa_reserve_vcc 1
		.amdhsa_float_round_mode_32 0
		.amdhsa_float_round_mode_16_64 0
		.amdhsa_float_denorm_mode_32 3
		.amdhsa_float_denorm_mode_16_64 3
		.amdhsa_dx10_clamp 1
		.amdhsa_ieee_mode 1
		.amdhsa_fp16_overflow 0
		.amdhsa_workgroup_processor_mode 1
		.amdhsa_memory_ordered 1
		.amdhsa_forward_progress 0
		.amdhsa_shared_vgpr_count 0
		.amdhsa_exception_fp_ieee_invalid_op 0
		.amdhsa_exception_fp_denorm_src 0
		.amdhsa_exception_fp_ieee_div_zero 0
		.amdhsa_exception_fp_ieee_overflow 0
		.amdhsa_exception_fp_ieee_underflow 0
		.amdhsa_exception_fp_ieee_inexact 0
		.amdhsa_exception_int_div_zero 0
	.end_amdhsa_kernel
	.section	.text._ZN12_GLOBAL__N_121softmax_warp_backwardIN3c108BFloat16ES2_fLi9ELb0ELb1ELi64EEEvPT0_PKT_S7_iiiPKb,"axG",@progbits,_ZN12_GLOBAL__N_121softmax_warp_backwardIN3c108BFloat16ES2_fLi9ELb0ELb1ELi64EEEvPT0_PKT_S7_iiiPKb,comdat
.Lfunc_end852:
	.size	_ZN12_GLOBAL__N_121softmax_warp_backwardIN3c108BFloat16ES2_fLi9ELb0ELb1ELi64EEEvPT0_PKT_S7_iiiPKb, .Lfunc_end852-_ZN12_GLOBAL__N_121softmax_warp_backwardIN3c108BFloat16ES2_fLi9ELb0ELb1ELi64EEEvPT0_PKT_S7_iiiPKb
                                        ; -- End function
	.section	.AMDGPU.csdata,"",@progbits
; Kernel info:
; codeLenInByte = 2300
; NumSgprs: 22
; NumVgprs: 28
; ScratchSize: 0
; MemoryBound: 0
; FloatMode: 240
; IeeeMode: 1
; LDSByteSize: 0 bytes/workgroup (compile time only)
; SGPRBlocks: 2
; VGPRBlocks: 3
; NumSGPRsForWavesPerEU: 22
; NumVGPRsForWavesPerEU: 28
; Occupancy: 16
; WaveLimiterHint : 0
; COMPUTE_PGM_RSRC2:SCRATCH_EN: 0
; COMPUTE_PGM_RSRC2:USER_SGPR: 15
; COMPUTE_PGM_RSRC2:TRAP_HANDLER: 0
; COMPUTE_PGM_RSRC2:TGID_X_EN: 1
; COMPUTE_PGM_RSRC2:TGID_Y_EN: 0
; COMPUTE_PGM_RSRC2:TGID_Z_EN: 0
; COMPUTE_PGM_RSRC2:TIDIG_COMP_CNT: 1
	.section	.text._ZN12_GLOBAL__N_121softmax_warp_backwardIN3c108BFloat16ES2_fLi9ELb0ELb1ELi32EEEvPT0_PKT_S7_iiiPKb,"axG",@progbits,_ZN12_GLOBAL__N_121softmax_warp_backwardIN3c108BFloat16ES2_fLi9ELb0ELb1ELi32EEEvPT0_PKT_S7_iiiPKb,comdat
	.globl	_ZN12_GLOBAL__N_121softmax_warp_backwardIN3c108BFloat16ES2_fLi9ELb0ELb1ELi32EEEvPT0_PKT_S7_iiiPKb ; -- Begin function _ZN12_GLOBAL__N_121softmax_warp_backwardIN3c108BFloat16ES2_fLi9ELb0ELb1ELi32EEEvPT0_PKT_S7_iiiPKb
	.p2align	8
	.type	_ZN12_GLOBAL__N_121softmax_warp_backwardIN3c108BFloat16ES2_fLi9ELb0ELb1ELi32EEEvPT0_PKT_S7_iiiPKb,@function
_ZN12_GLOBAL__N_121softmax_warp_backwardIN3c108BFloat16ES2_fLi9ELb0ELb1ELi32EEEvPT0_PKT_S7_iiiPKb: ; @_ZN12_GLOBAL__N_121softmax_warp_backwardIN3c108BFloat16ES2_fLi9ELb0ELb1ELi32EEEvPT0_PKT_S7_iiiPKb
; %bb.0:
	s_clause 0x1
	s_load_b32 s2, s[0:1], 0x3c
	s_load_b128 s[16:19], s[0:1], 0x18
	v_bfe_u32 v1, v0, 10, 10
	v_and_b32_e32 v4, 31, v0
	s_load_b128 s[36:39], s[0:1], 0x0
	v_mov_b32_e32 v30, 0
	v_mov_b32_e32 v38, 0
	;; [unrolled: 1-line block ×3, first 2 shown]
	s_waitcnt lgkmcnt(0)
	s_lshr_b32 s2, s2, 16
	s_delay_alu instid0(SALU_CYCLE_1) | instskip(SKIP_1) | instid1(VALU_DEP_1)
	v_mad_u64_u32 v[5:6], null, s15, s2, v[1:2]
	s_load_b64 s[2:3], s[0:1], 0x10
	v_mad_u64_u32 v[2:3], null, v5, s17, v[4:5]
	v_sub_nc_u32_e32 v39, s16, v5
	v_cmp_gt_i32_e64 s16, s18, v4
	s_delay_alu instid0(VALU_DEP_2) | instskip(NEXT) | instid1(VALU_DEP_4)
	v_cmp_lt_i32_e64 s17, 0, v39
	v_ashrrev_i32_e32 v3, 31, v2
	s_delay_alu instid0(VALU_DEP_1) | instskip(NEXT) | instid1(VALU_DEP_1)
	v_lshlrev_b64 v[0:1], 1, v[2:3]
	v_add_co_u32 v5, vcc_lo, s38, v0
	s_delay_alu instid0(VALU_DEP_2) | instskip(SKIP_4) | instid1(SALU_CYCLE_1)
	v_add_co_ci_u32_e32 v6, vcc_lo, s39, v1, vcc_lo
	s_waitcnt lgkmcnt(0)
	v_add_co_u32 v7, vcc_lo, s2, v0
	v_add_co_ci_u32_e32 v8, vcc_lo, s3, v1, vcc_lo
	s_and_b32 s3, s17, s16
	s_and_saveexec_b32 s2, s3
	s_cbranch_execz .LBB853_2
; %bb.1:
	global_load_u16 v9, v[5:6], off
	global_load_u16 v10, v[7:8], off
	s_waitcnt vmcnt(1)
	v_lshlrev_b32_e32 v38, 16, v9
	s_waitcnt vmcnt(0)
	v_lshlrev_b32_e32 v40, 16, v10
.LBB853_2:
	s_or_b32 exec_lo, exec_lo, s2
	v_or_b32_e32 v9, 32, v4
	v_mov_b32_e32 v37, 0
	s_delay_alu instid0(VALU_DEP_2) | instskip(NEXT) | instid1(VALU_DEP_1)
	v_cmp_gt_i32_e64 s15, s18, v9
	s_and_b32 s3, s17, s15
	s_delay_alu instid0(SALU_CYCLE_1)
	s_and_saveexec_b32 s2, s3
	s_cbranch_execz .LBB853_4
; %bb.3:
	global_load_u16 v9, v[5:6], off offset:64
	global_load_u16 v10, v[7:8], off offset:64
	s_waitcnt vmcnt(1)
	v_lshlrev_b32_e32 v30, 16, v9
	s_waitcnt vmcnt(0)
	v_lshlrev_b32_e32 v37, 16, v10
.LBB853_4:
	s_or_b32 exec_lo, exec_lo, s2
	v_or_b32_e32 v9, 64, v4
	v_dual_mov_b32 v27, 0 :: v_dual_mov_b32 v36, 0
	v_mov_b32_e32 v35, 0
	s_delay_alu instid0(VALU_DEP_3) | instskip(NEXT) | instid1(VALU_DEP_1)
	v_cmp_gt_i32_e64 s14, s18, v9
	s_and_b32 s3, s17, s14
	s_delay_alu instid0(SALU_CYCLE_1)
	s_and_saveexec_b32 s2, s3
	s_cbranch_execz .LBB853_6
; %bb.5:
	global_load_u16 v9, v[5:6], off offset:128
	global_load_u16 v10, v[7:8], off offset:128
	s_waitcnt vmcnt(1)
	v_lshlrev_b32_e32 v35, 16, v9
	s_waitcnt vmcnt(0)
	v_lshlrev_b32_e32 v36, 16, v10
.LBB853_6:
	s_or_b32 exec_lo, exec_lo, s2
	v_or_b32_e32 v9, 0x60, v4
	v_mov_b32_e32 v34, 0
	s_delay_alu instid0(VALU_DEP_2) | instskip(NEXT) | instid1(VALU_DEP_1)
	v_cmp_gt_i32_e64 s13, s18, v9
	s_and_b32 s3, s17, s13
	s_delay_alu instid0(SALU_CYCLE_1)
	s_and_saveexec_b32 s2, s3
	s_cbranch_execz .LBB853_8
; %bb.7:
	global_load_u16 v9, v[5:6], off offset:192
	global_load_u16 v10, v[7:8], off offset:192
	s_waitcnt vmcnt(1)
	v_lshlrev_b32_e32 v27, 16, v9
	s_waitcnt vmcnt(0)
	v_lshlrev_b32_e32 v34, 16, v10
.LBB853_8:
	s_or_b32 exec_lo, exec_lo, s2
	v_or_b32_e32 v9, 0x80, v4
	v_dual_mov_b32 v23, 0 :: v_dual_mov_b32 v32, 0
	v_mov_b32_e32 v33, 0
	s_delay_alu instid0(VALU_DEP_3) | instskip(NEXT) | instid1(VALU_DEP_1)
	v_cmp_gt_i32_e64 s12, s18, v9
	s_and_b32 s3, s17, s12
	s_delay_alu instid0(SALU_CYCLE_1)
	s_and_saveexec_b32 s2, s3
	s_cbranch_execz .LBB853_10
; %bb.9:
	global_load_u16 v9, v[5:6], off offset:256
	global_load_u16 v10, v[7:8], off offset:256
	s_waitcnt vmcnt(1)
	v_lshlrev_b32_e32 v32, 16, v9
	s_waitcnt vmcnt(0)
	v_lshlrev_b32_e32 v33, 16, v10
.LBB853_10:
	;; [unrolled: 35-line block ×6, first 2 shown]
	s_or_b32 exec_lo, exec_lo, s2
	v_or_b32_e32 v9, 0x1a0, v4
	v_mov_b32_e32 v14, 0
	s_delay_alu instid0(VALU_DEP_2) | instskip(NEXT) | instid1(VALU_DEP_1)
	v_cmp_gt_i32_e64 s3, s18, v9
	s_and_b32 s19, s17, s3
	s_delay_alu instid0(SALU_CYCLE_1)
	s_and_saveexec_b32 s2, s19
	s_cbranch_execz .LBB853_28
; %bb.27:
	global_load_u16 v9, v[5:6], off offset:832
	global_load_u16 v12, v[7:8], off offset:832
	s_waitcnt vmcnt(1)
	v_lshlrev_b32_e32 v10, 16, v9
	s_waitcnt vmcnt(0)
	v_lshlrev_b32_e32 v14, 16, v12
.LBB853_28:
	s_or_b32 exec_lo, exec_lo, s2
	v_or_b32_e32 v9, 0x1c0, v4
	v_dual_mov_b32 v13, 0 :: v_dual_mov_b32 v12, 0
	s_delay_alu instid0(VALU_DEP_2) | instskip(SKIP_1) | instid1(VALU_DEP_2)
	v_cmp_gt_i32_e64 s2, s18, v9
	v_mov_b32_e32 v9, 0
	s_and_b32 s20, s17, s2
	s_delay_alu instid0(SALU_CYCLE_1)
	s_and_saveexec_b32 s19, s20
	s_cbranch_execz .LBB853_30
; %bb.29:
	global_load_u16 v12, v[5:6], off offset:896
	global_load_u16 v13, v[7:8], off offset:896
	s_waitcnt vmcnt(1)
	v_lshlrev_b32_e32 v12, 16, v12
	s_waitcnt vmcnt(0)
	v_lshlrev_b32_e32 v13, 16, v13
.LBB853_30:
	s_or_b32 exec_lo, exec_lo, s19
	v_or_b32_e32 v4, 0x1e0, v4
	s_delay_alu instid0(VALU_DEP_1) | instskip(SKIP_2) | instid1(SALU_CYCLE_1)
	v_cmp_gt_i32_e32 vcc_lo, s18, v4
	v_mov_b32_e32 v4, 0
	s_and_b32 s18, s17, vcc_lo
	s_and_saveexec_b32 s17, s18
	s_cbranch_execz .LBB853_32
; %bb.31:
	global_load_u16 v4, v[5:6], off offset:960
	global_load_u16 v5, v[7:8], off offset:960
	s_waitcnt vmcnt(1)
	v_lshlrev_b32_e32 v9, 16, v4
	s_waitcnt vmcnt(0)
	v_lshlrev_b32_e32 v4, 16, v5
.LBB853_32:
	s_or_b32 exec_lo, exec_lo, s17
	s_load_b64 s[0:1], s[0:1], 0x28
	s_mov_b32 s33, exec_lo
	s_waitcnt lgkmcnt(0)
	v_add_co_u32 v2, s0, s0, v2
	s_delay_alu instid0(VALU_DEP_1)
	v_add_co_ci_u32_e64 v3, s0, s1, v3, s0
	s_clause 0xf
	global_load_u8 v5, v[2:3], off
	global_load_u8 v6, v[2:3], off offset:32
	global_load_u8 v7, v[2:3], off offset:64
	;; [unrolled: 1-line block ×15, first 2 shown]
	s_waitcnt vmcnt(15)
	v_and_b32_e32 v3, 1, v5
	v_add_f32_e32 v5, 0, v38
	s_delay_alu instid0(VALU_DEP_2) | instskip(NEXT) | instid1(VALU_DEP_1)
	v_cmp_eq_u32_e64 s22, 1, v3
	v_cndmask_b32_e64 v3, v5, 0, s22
	s_waitcnt vmcnt(14)
	v_and_b32_e32 v5, 1, v6
	s_delay_alu instid0(VALU_DEP_2) | instskip(NEXT) | instid1(VALU_DEP_2)
	v_add_f32_e32 v6, v3, v30
	v_cmp_eq_u32_e64 s0, 1, v5
	s_waitcnt vmcnt(13)
	v_and_b32_e32 v5, 1, v7
	s_delay_alu instid0(VALU_DEP_2) | instskip(NEXT) | instid1(VALU_DEP_2)
	v_cndmask_b32_e64 v3, v6, v3, s0
	v_cmp_eq_u32_e64 s1, 1, v5
	s_waitcnt vmcnt(12)
	s_delay_alu instid0(VALU_DEP_2) | instskip(NEXT) | instid1(VALU_DEP_1)
	v_dual_add_f32 v6, v3, v35 :: v_dual_and_b32 v5, 1, v8
	v_cmp_eq_u32_e64 s17, 1, v5
	s_delay_alu instid0(VALU_DEP_2) | instskip(NEXT) | instid1(VALU_DEP_1)
	v_cndmask_b32_e64 v3, v6, v3, s1
	v_add_f32_e32 v6, v3, v27
	s_delay_alu instid0(VALU_DEP_1) | instskip(SKIP_1) | instid1(VALU_DEP_1)
	v_cndmask_b32_e64 v3, v6, v3, s17
	s_waitcnt vmcnt(11)
	v_dual_add_f32 v6, v3, v32 :: v_dual_and_b32 v5, 1, v41
	s_delay_alu instid0(VALU_DEP_1) | instskip(SKIP_2) | instid1(VALU_DEP_2)
	v_cmp_eq_u32_e64 s18, 1, v5
	s_waitcnt vmcnt(10)
	v_and_b32_e32 v5, 1, v42
	v_cndmask_b32_e64 v3, v6, v3, s18
	s_delay_alu instid0(VALU_DEP_2) | instskip(SKIP_2) | instid1(VALU_DEP_3)
	v_cmp_eq_u32_e64 s19, 1, v5
	s_waitcnt vmcnt(9)
	v_and_b32_e32 v5, 1, v43
	v_add_f32_e32 v6, v3, v23
	s_delay_alu instid0(VALU_DEP_2) | instskip(NEXT) | instid1(VALU_DEP_2)
	v_cmp_eq_u32_e64 s20, 1, v5
	v_cndmask_b32_e64 v3, v6, v3, s19
	s_delay_alu instid0(VALU_DEP_1) | instskip(NEXT) | instid1(VALU_DEP_1)
	v_add_f32_e32 v6, v3, v28
	v_cndmask_b32_e64 v3, v6, v3, s20
	s_waitcnt vmcnt(8)
	s_delay_alu instid0(VALU_DEP_1) | instskip(NEXT) | instid1(VALU_DEP_1)
	v_dual_add_f32 v6, v3, v19 :: v_dual_and_b32 v5, 1, v44
	v_cmp_eq_u32_e64 s21, 1, v5
	s_waitcnt vmcnt(7)
	v_and_b32_e32 v5, 1, v45
	s_delay_alu instid0(VALU_DEP_2) | instskip(NEXT) | instid1(VALU_DEP_2)
	v_cndmask_b32_e64 v3, v6, v3, s21
	v_cmp_eq_u32_e64 s23, 1, v5
	s_waitcnt vmcnt(6)
	s_delay_alu instid0(VALU_DEP_2) | instskip(NEXT) | instid1(VALU_DEP_1)
	v_dual_add_f32 v6, v3, v24 :: v_dual_and_b32 v5, 1, v46
	v_cmp_eq_u32_e64 s24, 1, v5
	s_waitcnt vmcnt(5)
	v_and_b32_e32 v5, 1, v47
	s_delay_alu instid0(VALU_DEP_3) | instskip(NEXT) | instid1(VALU_DEP_2)
	v_cndmask_b32_e64 v3, v6, v3, s23
	v_cmp_eq_u32_e64 s25, 1, v5
	s_delay_alu instid0(VALU_DEP_2) | instskip(NEXT) | instid1(VALU_DEP_1)
	v_add_f32_e32 v6, v3, v15
	v_cndmask_b32_e64 v3, v6, v3, s24
	s_delay_alu instid0(VALU_DEP_1) | instskip(NEXT) | instid1(VALU_DEP_1)
	v_add_f32_e32 v6, v3, v20
	v_cndmask_b32_e64 v3, v6, v3, s25
	s_waitcnt vmcnt(4)
	s_delay_alu instid0(VALU_DEP_1) | instskip(NEXT) | instid1(VALU_DEP_1)
	v_dual_add_f32 v6, v3, v11 :: v_dual_and_b32 v5, 1, v48
	v_cmp_eq_u32_e64 s26, 1, v5
	s_waitcnt vmcnt(3)
	v_and_b32_e32 v5, 1, v49
	s_delay_alu instid0(VALU_DEP_2) | instskip(NEXT) | instid1(VALU_DEP_2)
	v_cndmask_b32_e64 v3, v6, v3, s26
	v_cmp_eq_u32_e64 s27, 1, v5
	s_waitcnt vmcnt(2)
	s_delay_alu instid0(VALU_DEP_2) | instskip(NEXT) | instid1(VALU_DEP_1)
	v_dual_add_f32 v6, v3, v16 :: v_dual_and_b32 v5, 1, v50
	v_cmp_eq_u32_e64 s28, 1, v5
	v_mbcnt_lo_u32_b32 v5, -1, 0
	s_delay_alu instid0(VALU_DEP_3) | instskip(NEXT) | instid1(VALU_DEP_2)
	v_cndmask_b32_e64 v3, v6, v3, s27
	v_xor_b32_e32 v8, 16, v5
	s_delay_alu instid0(VALU_DEP_2) | instskip(NEXT) | instid1(VALU_DEP_2)
	v_add_f32_e32 v6, v3, v10
	v_cmp_gt_i32_e64 s30, 32, v8
	s_delay_alu instid0(VALU_DEP_2) | instskip(SKIP_1) | instid1(VALU_DEP_1)
	v_cndmask_b32_e64 v3, v6, v3, s28
	s_waitcnt vmcnt(1)
	v_dual_add_f32 v7, v3, v12 :: v_dual_and_b32 v6, 1, v51
	s_delay_alu instid0(VALU_DEP_1) | instskip(SKIP_1) | instid1(VALU_DEP_2)
	v_cmp_eq_u32_e64 s29, 1, v6
	v_cndmask_b32_e64 v6, v5, v8, s30
	v_cndmask_b32_e64 v3, v7, v3, s29
	s_waitcnt vmcnt(0)
	v_and_b32_e32 v2, 1, v2
	s_delay_alu instid0(VALU_DEP_2) | instskip(NEXT) | instid1(VALU_DEP_2)
	v_dual_add_f32 v7, v3, v9 :: v_dual_lshlrev_b32 v6, 2, v6
	v_cmp_eq_u32_e64 s30, 1, v2
	s_delay_alu instid0(VALU_DEP_1) | instskip(SKIP_2) | instid1(VALU_DEP_1)
	v_cndmask_b32_e64 v2, v7, v3, s30
	ds_bpermute_b32 v3, v6, v2
	v_xor_b32_e32 v6, 8, v5
	v_cmp_gt_i32_e64 s31, 32, v6
	s_delay_alu instid0(VALU_DEP_1) | instskip(NEXT) | instid1(VALU_DEP_1)
	v_cndmask_b32_e64 v6, v5, v6, s31
	v_lshlrev_b32_e32 v6, 2, v6
	s_waitcnt lgkmcnt(0)
	v_add_f32_e32 v2, v2, v3
	ds_bpermute_b32 v3, v6, v2
	v_xor_b32_e32 v6, 4, v5
	s_delay_alu instid0(VALU_DEP_1) | instskip(NEXT) | instid1(VALU_DEP_1)
	v_cmp_gt_i32_e64 s31, 32, v6
	v_cndmask_b32_e64 v6, v5, v6, s31
	s_delay_alu instid0(VALU_DEP_1) | instskip(SKIP_4) | instid1(VALU_DEP_1)
	v_lshlrev_b32_e32 v6, 2, v6
	s_waitcnt lgkmcnt(0)
	v_add_f32_e32 v2, v2, v3
	ds_bpermute_b32 v3, v6, v2
	v_xor_b32_e32 v6, 2, v5
	v_cmp_gt_i32_e64 s31, 32, v6
	s_delay_alu instid0(VALU_DEP_1) | instskip(NEXT) | instid1(VALU_DEP_1)
	v_cndmask_b32_e64 v6, v5, v6, s31
	v_lshlrev_b32_e32 v6, 2, v6
	s_waitcnt lgkmcnt(0)
	v_add_f32_e32 v2, v2, v3
	ds_bpermute_b32 v3, v6, v2
	v_xor_b32_e32 v6, 1, v5
	s_delay_alu instid0(VALU_DEP_1) | instskip(NEXT) | instid1(VALU_DEP_1)
	v_cmp_gt_i32_e64 s31, 32, v6
	v_cndmask_b32_e64 v5, v5, v6, s31
	s_waitcnt lgkmcnt(0)
	s_delay_alu instid0(VALU_DEP_1)
	v_dual_add_f32 v2, v2, v3 :: v_dual_lshlrev_b32 v3, 2, v5
	ds_bpermute_b32 v3, v3, v2
	v_cmpx_lt_i32_e32 0, v39
	s_cbranch_execz .LBB853_52
; %bb.33:
	v_add_co_u32 v0, s31, s36, v0
	s_waitcnt lgkmcnt(0)
	v_add_f32_e32 v2, v2, v3
	v_add_co_ci_u32_e64 v1, s31, s37, v1, s31
	s_and_saveexec_b32 s31, s16
	s_cbranch_execz .LBB853_37
; %bb.34:
	v_mov_b32_e32 v3, 0
	s_xor_b32 s16, s22, -1
	s_delay_alu instid0(SALU_CYCLE_1)
	s_and_saveexec_b32 s22, s16
; %bb.35:
	v_fma_f32 v3, -v2, v40, v38
	s_delay_alu instid0(VALU_DEP_1) | instskip(SKIP_1) | instid1(VALU_DEP_2)
	v_bfe_u32 v5, v3, 16, 1
	v_cmp_o_f32_e64 s16, v3, v3
	v_add3_u32 v5, v3, v5, 0x7fff
	s_delay_alu instid0(VALU_DEP_1) | instskip(NEXT) | instid1(VALU_DEP_1)
	v_lshrrev_b32_e32 v5, 16, v5
	v_cndmask_b32_e64 v3, 0x7fc0, v5, s16
; %bb.36:
	s_or_b32 exec_lo, exec_lo, s22
	global_store_b16 v[0:1], v3, off
.LBB853_37:
	s_or_b32 exec_lo, exec_lo, s31
	s_xor_b32 s0, s0, -1
	s_xor_b32 s37, s1, -1
	s_xor_b32 s36, s17, -1
	s_xor_b32 s35, s18, -1
	s_xor_b32 s34, s19, -1
	s_xor_b32 s33, s20, -1
	s_xor_b32 s31, s21, -1
	s_xor_b32 s22, s23, -1
	s_xor_b32 s21, s24, -1
	s_xor_b32 s20, s25, -1
	s_xor_b32 s19, s26, -1
	s_xor_b32 s18, s27, -1
	s_xor_b32 s17, s28, -1
	s_xor_b32 s16, s29, -1
	s_xor_b32 s1, s30, -1
	s_and_saveexec_b32 s23, s15
	s_cbranch_execnz .LBB853_53
; %bb.38:
	s_or_b32 exec_lo, exec_lo, s23
	s_and_saveexec_b32 s15, s14
	s_cbranch_execnz .LBB853_56
.LBB853_39:
	s_or_b32 exec_lo, exec_lo, s15
	s_and_saveexec_b32 s14, s13
	s_cbranch_execnz .LBB853_59
.LBB853_40:
	s_or_b32 exec_lo, exec_lo, s14
	s_and_saveexec_b32 s13, s12
	s_cbranch_execnz .LBB853_62
.LBB853_41:
	s_or_b32 exec_lo, exec_lo, s13
	s_and_saveexec_b32 s12, s11
	s_cbranch_execnz .LBB853_65
.LBB853_42:
	s_or_b32 exec_lo, exec_lo, s12
	s_and_saveexec_b32 s11, s10
	s_cbranch_execnz .LBB853_68
.LBB853_43:
	s_or_b32 exec_lo, exec_lo, s11
	s_and_saveexec_b32 s10, s9
	s_cbranch_execnz .LBB853_71
.LBB853_44:
	s_or_b32 exec_lo, exec_lo, s10
	s_and_saveexec_b32 s9, s8
	s_cbranch_execnz .LBB853_74
.LBB853_45:
	s_or_b32 exec_lo, exec_lo, s9
	s_and_saveexec_b32 s8, s7
	s_cbranch_execnz .LBB853_77
.LBB853_46:
	s_or_b32 exec_lo, exec_lo, s8
	s_and_saveexec_b32 s7, s6
	s_cbranch_execnz .LBB853_80
.LBB853_47:
	s_or_b32 exec_lo, exec_lo, s7
	s_and_saveexec_b32 s6, s5
	s_cbranch_execnz .LBB853_83
.LBB853_48:
	s_or_b32 exec_lo, exec_lo, s6
	s_and_saveexec_b32 s5, s4
	s_cbranch_execnz .LBB853_86
.LBB853_49:
	s_or_b32 exec_lo, exec_lo, s5
	s_and_saveexec_b32 s4, s3
	s_cbranch_execnz .LBB853_89
.LBB853_50:
	s_or_b32 exec_lo, exec_lo, s4
	s_and_saveexec_b32 s3, s2
	s_cbranch_execnz .LBB853_92
.LBB853_51:
	s_or_b32 exec_lo, exec_lo, s3
	s_delay_alu instid0(SALU_CYCLE_1)
	s_and_b32 exec_lo, exec_lo, vcc_lo
	s_cbranch_execnz .LBB853_95
.LBB853_52:
	s_nop 0
	s_sendmsg sendmsg(MSG_DEALLOC_VGPRS)
	s_endpgm
.LBB853_53:
	v_mov_b32_e32 v3, 0
	s_and_saveexec_b32 s15, s0
; %bb.54:
	v_fma_f32 v3, -v2, v37, v30
	s_delay_alu instid0(VALU_DEP_1) | instskip(SKIP_1) | instid1(VALU_DEP_2)
	v_bfe_u32 v5, v3, 16, 1
	v_cmp_o_f32_e64 s0, v3, v3
	v_add3_u32 v5, v3, v5, 0x7fff
	s_delay_alu instid0(VALU_DEP_1) | instskip(NEXT) | instid1(VALU_DEP_1)
	v_lshrrev_b32_e32 v5, 16, v5
	v_cndmask_b32_e64 v3, 0x7fc0, v5, s0
; %bb.55:
	s_or_b32 exec_lo, exec_lo, s15
	global_store_b16 v[0:1], v3, off offset:64
	s_or_b32 exec_lo, exec_lo, s23
	s_and_saveexec_b32 s15, s14
	s_cbranch_execz .LBB853_39
.LBB853_56:
	v_mov_b32_e32 v3, 0
	s_and_saveexec_b32 s14, s37
; %bb.57:
	v_fma_f32 v3, -v2, v36, v35
	s_delay_alu instid0(VALU_DEP_1) | instskip(SKIP_1) | instid1(VALU_DEP_2)
	v_bfe_u32 v5, v3, 16, 1
	v_cmp_o_f32_e64 s0, v3, v3
	v_add3_u32 v5, v3, v5, 0x7fff
	s_delay_alu instid0(VALU_DEP_1) | instskip(NEXT) | instid1(VALU_DEP_1)
	v_lshrrev_b32_e32 v5, 16, v5
	v_cndmask_b32_e64 v3, 0x7fc0, v5, s0
; %bb.58:
	s_or_b32 exec_lo, exec_lo, s14
	global_store_b16 v[0:1], v3, off offset:128
	s_or_b32 exec_lo, exec_lo, s15
	s_and_saveexec_b32 s14, s13
	s_cbranch_execz .LBB853_40
.LBB853_59:
	v_mov_b32_e32 v3, 0
	s_and_saveexec_b32 s13, s36
; %bb.60:
	v_fma_f32 v3, -v2, v34, v27
	s_delay_alu instid0(VALU_DEP_1) | instskip(SKIP_1) | instid1(VALU_DEP_2)
	v_bfe_u32 v5, v3, 16, 1
	v_cmp_o_f32_e64 s0, v3, v3
	v_add3_u32 v5, v3, v5, 0x7fff
	s_delay_alu instid0(VALU_DEP_1) | instskip(NEXT) | instid1(VALU_DEP_1)
	v_lshrrev_b32_e32 v5, 16, v5
	v_cndmask_b32_e64 v3, 0x7fc0, v5, s0
; %bb.61:
	s_or_b32 exec_lo, exec_lo, s13
	global_store_b16 v[0:1], v3, off offset:192
	s_or_b32 exec_lo, exec_lo, s14
	s_and_saveexec_b32 s13, s12
	s_cbranch_execz .LBB853_41
.LBB853_62:
	v_mov_b32_e32 v3, 0
	s_and_saveexec_b32 s12, s35
; %bb.63:
	v_fma_f32 v3, -v2, v33, v32
	s_delay_alu instid0(VALU_DEP_1) | instskip(SKIP_1) | instid1(VALU_DEP_2)
	v_bfe_u32 v5, v3, 16, 1
	v_cmp_o_f32_e64 s0, v3, v3
	v_add3_u32 v5, v3, v5, 0x7fff
	s_delay_alu instid0(VALU_DEP_1) | instskip(NEXT) | instid1(VALU_DEP_1)
	v_lshrrev_b32_e32 v5, 16, v5
	v_cndmask_b32_e64 v3, 0x7fc0, v5, s0
; %bb.64:
	s_or_b32 exec_lo, exec_lo, s12
	global_store_b16 v[0:1], v3, off offset:256
	s_or_b32 exec_lo, exec_lo, s13
	s_and_saveexec_b32 s12, s11
	s_cbranch_execz .LBB853_42
.LBB853_65:
	v_mov_b32_e32 v3, 0
	s_and_saveexec_b32 s11, s34
; %bb.66:
	v_fma_f32 v3, -v2, v31, v23
	s_delay_alu instid0(VALU_DEP_1) | instskip(SKIP_1) | instid1(VALU_DEP_2)
	v_bfe_u32 v5, v3, 16, 1
	v_cmp_o_f32_e64 s0, v3, v3
	v_add3_u32 v5, v3, v5, 0x7fff
	s_delay_alu instid0(VALU_DEP_1) | instskip(NEXT) | instid1(VALU_DEP_1)
	v_lshrrev_b32_e32 v5, 16, v5
	v_cndmask_b32_e64 v3, 0x7fc0, v5, s0
; %bb.67:
	s_or_b32 exec_lo, exec_lo, s11
	global_store_b16 v[0:1], v3, off offset:320
	s_or_b32 exec_lo, exec_lo, s12
	s_and_saveexec_b32 s11, s10
	s_cbranch_execz .LBB853_43
.LBB853_68:
	v_mov_b32_e32 v3, 0
	s_and_saveexec_b32 s10, s33
; %bb.69:
	v_fma_f32 v3, -v2, v29, v28
	s_delay_alu instid0(VALU_DEP_1) | instskip(SKIP_1) | instid1(VALU_DEP_2)
	v_bfe_u32 v5, v3, 16, 1
	v_cmp_o_f32_e64 s0, v3, v3
	v_add3_u32 v5, v3, v5, 0x7fff
	s_delay_alu instid0(VALU_DEP_1) | instskip(NEXT) | instid1(VALU_DEP_1)
	v_lshrrev_b32_e32 v5, 16, v5
	v_cndmask_b32_e64 v3, 0x7fc0, v5, s0
; %bb.70:
	s_or_b32 exec_lo, exec_lo, s10
	global_store_b16 v[0:1], v3, off offset:384
	s_or_b32 exec_lo, exec_lo, s11
	s_and_saveexec_b32 s10, s9
	s_cbranch_execz .LBB853_44
.LBB853_71:
	v_mov_b32_e32 v3, 0
	s_and_saveexec_b32 s9, s31
; %bb.72:
	v_fma_f32 v3, -v2, v26, v19
	s_delay_alu instid0(VALU_DEP_1) | instskip(SKIP_1) | instid1(VALU_DEP_2)
	v_bfe_u32 v5, v3, 16, 1
	v_cmp_o_f32_e64 s0, v3, v3
	v_add3_u32 v5, v3, v5, 0x7fff
	s_delay_alu instid0(VALU_DEP_1) | instskip(NEXT) | instid1(VALU_DEP_1)
	v_lshrrev_b32_e32 v5, 16, v5
	v_cndmask_b32_e64 v3, 0x7fc0, v5, s0
; %bb.73:
	s_or_b32 exec_lo, exec_lo, s9
	global_store_b16 v[0:1], v3, off offset:448
	s_or_b32 exec_lo, exec_lo, s10
	s_and_saveexec_b32 s9, s8
	s_cbranch_execz .LBB853_45
.LBB853_74:
	v_mov_b32_e32 v3, 0
	s_and_saveexec_b32 s8, s22
; %bb.75:
	v_fma_f32 v3, -v2, v25, v24
	s_delay_alu instid0(VALU_DEP_1) | instskip(SKIP_1) | instid1(VALU_DEP_2)
	v_bfe_u32 v5, v3, 16, 1
	v_cmp_o_f32_e64 s0, v3, v3
	v_add3_u32 v5, v3, v5, 0x7fff
	s_delay_alu instid0(VALU_DEP_1) | instskip(NEXT) | instid1(VALU_DEP_1)
	v_lshrrev_b32_e32 v5, 16, v5
	v_cndmask_b32_e64 v3, 0x7fc0, v5, s0
; %bb.76:
	s_or_b32 exec_lo, exec_lo, s8
	global_store_b16 v[0:1], v3, off offset:512
	s_or_b32 exec_lo, exec_lo, s9
	s_and_saveexec_b32 s8, s7
	s_cbranch_execz .LBB853_46
.LBB853_77:
	v_mov_b32_e32 v3, 0
	s_and_saveexec_b32 s7, s21
; %bb.78:
	v_fma_f32 v3, -v2, v22, v15
	s_delay_alu instid0(VALU_DEP_1) | instskip(SKIP_1) | instid1(VALU_DEP_2)
	v_bfe_u32 v5, v3, 16, 1
	v_cmp_o_f32_e64 s0, v3, v3
	v_add3_u32 v5, v3, v5, 0x7fff
	s_delay_alu instid0(VALU_DEP_1) | instskip(NEXT) | instid1(VALU_DEP_1)
	v_lshrrev_b32_e32 v5, 16, v5
	v_cndmask_b32_e64 v3, 0x7fc0, v5, s0
; %bb.79:
	s_or_b32 exec_lo, exec_lo, s7
	global_store_b16 v[0:1], v3, off offset:576
	s_or_b32 exec_lo, exec_lo, s8
	s_and_saveexec_b32 s7, s6
	s_cbranch_execz .LBB853_47
.LBB853_80:
	v_mov_b32_e32 v3, 0
	s_and_saveexec_b32 s6, s20
; %bb.81:
	v_fma_f32 v3, -v2, v21, v20
	s_delay_alu instid0(VALU_DEP_1) | instskip(SKIP_1) | instid1(VALU_DEP_2)
	v_bfe_u32 v5, v3, 16, 1
	v_cmp_o_f32_e64 s0, v3, v3
	v_add3_u32 v5, v3, v5, 0x7fff
	s_delay_alu instid0(VALU_DEP_1) | instskip(NEXT) | instid1(VALU_DEP_1)
	v_lshrrev_b32_e32 v5, 16, v5
	v_cndmask_b32_e64 v3, 0x7fc0, v5, s0
; %bb.82:
	s_or_b32 exec_lo, exec_lo, s6
	global_store_b16 v[0:1], v3, off offset:640
	s_or_b32 exec_lo, exec_lo, s7
	s_and_saveexec_b32 s6, s5
	s_cbranch_execz .LBB853_48
.LBB853_83:
	v_mov_b32_e32 v3, 0
	s_and_saveexec_b32 s5, s19
; %bb.84:
	v_fma_f32 v3, -v2, v18, v11
	s_delay_alu instid0(VALU_DEP_1) | instskip(SKIP_1) | instid1(VALU_DEP_2)
	v_bfe_u32 v5, v3, 16, 1
	v_cmp_o_f32_e64 s0, v3, v3
	v_add3_u32 v5, v3, v5, 0x7fff
	s_delay_alu instid0(VALU_DEP_1) | instskip(NEXT) | instid1(VALU_DEP_1)
	v_lshrrev_b32_e32 v5, 16, v5
	v_cndmask_b32_e64 v3, 0x7fc0, v5, s0
; %bb.85:
	s_or_b32 exec_lo, exec_lo, s5
	global_store_b16 v[0:1], v3, off offset:704
	s_or_b32 exec_lo, exec_lo, s6
	s_and_saveexec_b32 s5, s4
	s_cbranch_execz .LBB853_49
.LBB853_86:
	v_mov_b32_e32 v3, 0
	s_and_saveexec_b32 s4, s18
; %bb.87:
	v_fma_f32 v3, -v2, v17, v16
	s_delay_alu instid0(VALU_DEP_1) | instskip(SKIP_1) | instid1(VALU_DEP_2)
	v_bfe_u32 v5, v3, 16, 1
	v_cmp_o_f32_e64 s0, v3, v3
	v_add3_u32 v5, v3, v5, 0x7fff
	s_delay_alu instid0(VALU_DEP_1) | instskip(NEXT) | instid1(VALU_DEP_1)
	v_lshrrev_b32_e32 v5, 16, v5
	v_cndmask_b32_e64 v3, 0x7fc0, v5, s0
; %bb.88:
	s_or_b32 exec_lo, exec_lo, s4
	global_store_b16 v[0:1], v3, off offset:768
	s_or_b32 exec_lo, exec_lo, s5
	s_and_saveexec_b32 s4, s3
	s_cbranch_execz .LBB853_50
.LBB853_89:
	v_mov_b32_e32 v3, 0
	s_and_saveexec_b32 s3, s17
; %bb.90:
	v_fma_f32 v3, -v2, v14, v10
	s_delay_alu instid0(VALU_DEP_1) | instskip(SKIP_1) | instid1(VALU_DEP_2)
	v_bfe_u32 v5, v3, 16, 1
	v_cmp_o_f32_e64 s0, v3, v3
	v_add3_u32 v5, v3, v5, 0x7fff
	s_delay_alu instid0(VALU_DEP_1) | instskip(NEXT) | instid1(VALU_DEP_1)
	v_lshrrev_b32_e32 v5, 16, v5
	v_cndmask_b32_e64 v3, 0x7fc0, v5, s0
; %bb.91:
	s_or_b32 exec_lo, exec_lo, s3
	global_store_b16 v[0:1], v3, off offset:832
	s_or_b32 exec_lo, exec_lo, s4
	s_and_saveexec_b32 s3, s2
	s_cbranch_execz .LBB853_51
.LBB853_92:
	v_mov_b32_e32 v3, 0
	s_and_saveexec_b32 s2, s16
; %bb.93:
	v_fma_f32 v3, -v2, v13, v12
	s_delay_alu instid0(VALU_DEP_1) | instskip(SKIP_1) | instid1(VALU_DEP_2)
	v_bfe_u32 v5, v3, 16, 1
	v_cmp_o_f32_e64 s0, v3, v3
	v_add3_u32 v5, v3, v5, 0x7fff
	s_delay_alu instid0(VALU_DEP_1) | instskip(NEXT) | instid1(VALU_DEP_1)
	v_lshrrev_b32_e32 v5, 16, v5
	v_cndmask_b32_e64 v3, 0x7fc0, v5, s0
; %bb.94:
	s_or_b32 exec_lo, exec_lo, s2
	global_store_b16 v[0:1], v3, off offset:896
	s_or_b32 exec_lo, exec_lo, s3
	s_delay_alu instid0(SALU_CYCLE_1)
	s_and_b32 exec_lo, exec_lo, vcc_lo
	s_cbranch_execz .LBB853_52
.LBB853_95:
	v_mov_b32_e32 v3, 0
	s_and_saveexec_b32 s0, s1
; %bb.96:
	v_fma_f32 v2, -v2, v4, v9
	s_delay_alu instid0(VALU_DEP_1) | instskip(SKIP_1) | instid1(VALU_DEP_2)
	v_bfe_u32 v3, v2, 16, 1
	v_cmp_o_f32_e32 vcc_lo, v2, v2
	v_add3_u32 v3, v2, v3, 0x7fff
	s_delay_alu instid0(VALU_DEP_1) | instskip(NEXT) | instid1(VALU_DEP_1)
	v_lshrrev_b32_e32 v3, 16, v3
	v_cndmask_b32_e32 v3, 0x7fc0, v3, vcc_lo
; %bb.97:
	s_or_b32 exec_lo, exec_lo, s0
	global_store_b16 v[0:1], v3, off offset:960
	s_nop 0
	s_sendmsg sendmsg(MSG_DEALLOC_VGPRS)
	s_endpgm
	.section	.rodata,"a",@progbits
	.p2align	6, 0x0
	.amdhsa_kernel _ZN12_GLOBAL__N_121softmax_warp_backwardIN3c108BFloat16ES2_fLi9ELb0ELb1ELi32EEEvPT0_PKT_S7_iiiPKb
		.amdhsa_group_segment_fixed_size 0
		.amdhsa_private_segment_fixed_size 0
		.amdhsa_kernarg_size 304
		.amdhsa_user_sgpr_count 15
		.amdhsa_user_sgpr_dispatch_ptr 0
		.amdhsa_user_sgpr_queue_ptr 0
		.amdhsa_user_sgpr_kernarg_segment_ptr 1
		.amdhsa_user_sgpr_dispatch_id 0
		.amdhsa_user_sgpr_private_segment_size 0
		.amdhsa_wavefront_size32 1
		.amdhsa_uses_dynamic_stack 0
		.amdhsa_enable_private_segment 0
		.amdhsa_system_sgpr_workgroup_id_x 1
		.amdhsa_system_sgpr_workgroup_id_y 0
		.amdhsa_system_sgpr_workgroup_id_z 0
		.amdhsa_system_sgpr_workgroup_info 0
		.amdhsa_system_vgpr_workitem_id 1
		.amdhsa_next_free_vgpr 52
		.amdhsa_next_free_sgpr 40
		.amdhsa_reserve_vcc 1
		.amdhsa_float_round_mode_32 0
		.amdhsa_float_round_mode_16_64 0
		.amdhsa_float_denorm_mode_32 3
		.amdhsa_float_denorm_mode_16_64 3
		.amdhsa_dx10_clamp 1
		.amdhsa_ieee_mode 1
		.amdhsa_fp16_overflow 0
		.amdhsa_workgroup_processor_mode 1
		.amdhsa_memory_ordered 1
		.amdhsa_forward_progress 0
		.amdhsa_shared_vgpr_count 0
		.amdhsa_exception_fp_ieee_invalid_op 0
		.amdhsa_exception_fp_denorm_src 0
		.amdhsa_exception_fp_ieee_div_zero 0
		.amdhsa_exception_fp_ieee_overflow 0
		.amdhsa_exception_fp_ieee_underflow 0
		.amdhsa_exception_fp_ieee_inexact 0
		.amdhsa_exception_int_div_zero 0
	.end_amdhsa_kernel
	.section	.text._ZN12_GLOBAL__N_121softmax_warp_backwardIN3c108BFloat16ES2_fLi9ELb0ELb1ELi32EEEvPT0_PKT_S7_iiiPKb,"axG",@progbits,_ZN12_GLOBAL__N_121softmax_warp_backwardIN3c108BFloat16ES2_fLi9ELb0ELb1ELi32EEEvPT0_PKT_S7_iiiPKb,comdat
.Lfunc_end853:
	.size	_ZN12_GLOBAL__N_121softmax_warp_backwardIN3c108BFloat16ES2_fLi9ELb0ELb1ELi32EEEvPT0_PKT_S7_iiiPKb, .Lfunc_end853-_ZN12_GLOBAL__N_121softmax_warp_backwardIN3c108BFloat16ES2_fLi9ELb0ELb1ELi32EEEvPT0_PKT_S7_iiiPKb
                                        ; -- End function
	.section	.AMDGPU.csdata,"",@progbits
; Kernel info:
; codeLenInByte = 4088
; NumSgprs: 42
; NumVgprs: 52
; ScratchSize: 0
; MemoryBound: 0
; FloatMode: 240
; IeeeMode: 1
; LDSByteSize: 0 bytes/workgroup (compile time only)
; SGPRBlocks: 5
; VGPRBlocks: 6
; NumSGPRsForWavesPerEU: 42
; NumVGPRsForWavesPerEU: 52
; Occupancy: 16
; WaveLimiterHint : 0
; COMPUTE_PGM_RSRC2:SCRATCH_EN: 0
; COMPUTE_PGM_RSRC2:USER_SGPR: 15
; COMPUTE_PGM_RSRC2:TRAP_HANDLER: 0
; COMPUTE_PGM_RSRC2:TGID_X_EN: 1
; COMPUTE_PGM_RSRC2:TGID_Y_EN: 0
; COMPUTE_PGM_RSRC2:TGID_Z_EN: 0
; COMPUTE_PGM_RSRC2:TIDIG_COMP_CNT: 1
	.section	.text._ZN12_GLOBAL__N_121softmax_warp_backwardIN3c108BFloat16ES2_fLi10ELb0ELb1ELi64EEEvPT0_PKT_S7_iiiPKb,"axG",@progbits,_ZN12_GLOBAL__N_121softmax_warp_backwardIN3c108BFloat16ES2_fLi10ELb0ELb1ELi64EEEvPT0_PKT_S7_iiiPKb,comdat
	.globl	_ZN12_GLOBAL__N_121softmax_warp_backwardIN3c108BFloat16ES2_fLi10ELb0ELb1ELi64EEEvPT0_PKT_S7_iiiPKb ; -- Begin function _ZN12_GLOBAL__N_121softmax_warp_backwardIN3c108BFloat16ES2_fLi10ELb0ELb1ELi64EEEvPT0_PKT_S7_iiiPKb
	.p2align	8
	.type	_ZN12_GLOBAL__N_121softmax_warp_backwardIN3c108BFloat16ES2_fLi10ELb0ELb1ELi64EEEvPT0_PKT_S7_iiiPKb,@function
_ZN12_GLOBAL__N_121softmax_warp_backwardIN3c108BFloat16ES2_fLi10ELb0ELb1ELi64EEEvPT0_PKT_S7_iiiPKb: ; @_ZN12_GLOBAL__N_121softmax_warp_backwardIN3c108BFloat16ES2_fLi10ELb0ELb1ELi64EEEvPT0_PKT_S7_iiiPKb
; %bb.0:
	s_clause 0x1
	s_load_b32 s2, s[0:1], 0x3c
	s_load_b128 s[16:19], s[0:1], 0x18
	v_bfe_u32 v1, v0, 10, 10
	v_and_b32_e32 v10, 0x3ff, v0
	s_load_b128 s[36:39], s[0:1], 0x0
	v_mov_b32_e32 v30, 0
	v_mov_b32_e32 v38, 0
	;; [unrolled: 1-line block ×3, first 2 shown]
	v_and_b32_e32 v8, 63, v10
	s_waitcnt lgkmcnt(0)
	s_lshr_b32 s2, s2, 16
	s_delay_alu instid0(SALU_CYCLE_1) | instskip(SKIP_1) | instid1(VALU_DEP_1)
	v_mad_u64_u32 v[4:5], null, s15, s2, v[1:2]
	s_load_b64 s[2:3], s[0:1], 0x10
	v_mad_u64_u32 v[2:3], null, v4, s17, v[8:9]
	v_sub_nc_u32_e32 v39, s16, v4
	v_cmp_gt_i32_e64 s16, s18, v8
	s_delay_alu instid0(VALU_DEP_2) | instskip(NEXT) | instid1(VALU_DEP_4)
	v_cmp_lt_i32_e64 s17, 0, v39
	v_ashrrev_i32_e32 v3, 31, v2
	s_delay_alu instid0(VALU_DEP_1) | instskip(NEXT) | instid1(VALU_DEP_1)
	v_lshlrev_b64 v[0:1], 1, v[2:3]
	v_add_co_u32 v4, vcc_lo, s38, v0
	s_delay_alu instid0(VALU_DEP_2) | instskip(SKIP_4) | instid1(SALU_CYCLE_1)
	v_add_co_ci_u32_e32 v5, vcc_lo, s39, v1, vcc_lo
	s_waitcnt lgkmcnt(0)
	v_add_co_u32 v6, vcc_lo, s2, v0
	v_add_co_ci_u32_e32 v7, vcc_lo, s3, v1, vcc_lo
	s_and_b32 s3, s17, s16
	s_and_saveexec_b32 s2, s3
	s_cbranch_execz .LBB854_2
; %bb.1:
	global_load_u16 v9, v[4:5], off
	global_load_u16 v11, v[6:7], off
	s_waitcnt vmcnt(1)
	v_lshlrev_b32_e32 v38, 16, v9
	s_waitcnt vmcnt(0)
	v_lshlrev_b32_e32 v40, 16, v11
.LBB854_2:
	s_or_b32 exec_lo, exec_lo, s2
	v_or_b32_e32 v9, 64, v8
	v_mov_b32_e32 v37, 0
	s_delay_alu instid0(VALU_DEP_2) | instskip(NEXT) | instid1(VALU_DEP_1)
	v_cmp_gt_i32_e64 s15, s18, v9
	s_and_b32 s3, s17, s15
	s_delay_alu instid0(SALU_CYCLE_1)
	s_and_saveexec_b32 s2, s3
	s_cbranch_execz .LBB854_4
; %bb.3:
	global_load_u16 v9, v[4:5], off offset:128
	global_load_u16 v11, v[6:7], off offset:128
	s_waitcnt vmcnt(1)
	v_lshlrev_b32_e32 v30, 16, v9
	s_waitcnt vmcnt(0)
	v_lshlrev_b32_e32 v37, 16, v11
.LBB854_4:
	s_or_b32 exec_lo, exec_lo, s2
	v_or_b32_e32 v9, 0x80, v8
	v_dual_mov_b32 v27, 0 :: v_dual_mov_b32 v36, 0
	v_mov_b32_e32 v35, 0
	s_delay_alu instid0(VALU_DEP_3) | instskip(NEXT) | instid1(VALU_DEP_1)
	v_cmp_gt_i32_e64 s14, s18, v9
	s_and_b32 s3, s17, s14
	s_delay_alu instid0(SALU_CYCLE_1)
	s_and_saveexec_b32 s2, s3
	s_cbranch_execz .LBB854_6
; %bb.5:
	global_load_u16 v9, v[4:5], off offset:256
	global_load_u16 v11, v[6:7], off offset:256
	s_waitcnt vmcnt(1)
	v_lshlrev_b32_e32 v35, 16, v9
	s_waitcnt vmcnt(0)
	v_lshlrev_b32_e32 v36, 16, v11
.LBB854_6:
	s_or_b32 exec_lo, exec_lo, s2
	v_or_b32_e32 v9, 0xc0, v8
	v_mov_b32_e32 v34, 0
	s_delay_alu instid0(VALU_DEP_2) | instskip(NEXT) | instid1(VALU_DEP_1)
	v_cmp_gt_i32_e64 s13, s18, v9
	s_and_b32 s3, s17, s13
	s_delay_alu instid0(SALU_CYCLE_1)
	s_and_saveexec_b32 s2, s3
	s_cbranch_execz .LBB854_8
; %bb.7:
	global_load_u16 v9, v[4:5], off offset:384
	global_load_u16 v11, v[6:7], off offset:384
	s_waitcnt vmcnt(1)
	v_lshlrev_b32_e32 v27, 16, v9
	s_waitcnt vmcnt(0)
	v_lshlrev_b32_e32 v34, 16, v11
.LBB854_8:
	s_or_b32 exec_lo, exec_lo, s2
	v_or_b32_e32 v9, 0x100, v8
	v_dual_mov_b32 v23, 0 :: v_dual_mov_b32 v32, 0
	v_mov_b32_e32 v33, 0
	s_delay_alu instid0(VALU_DEP_3) | instskip(NEXT) | instid1(VALU_DEP_1)
	v_cmp_gt_i32_e64 s12, s18, v9
	s_and_b32 s3, s17, s12
	s_delay_alu instid0(SALU_CYCLE_1)
	s_and_saveexec_b32 s2, s3
	s_cbranch_execz .LBB854_10
; %bb.9:
	global_load_u16 v9, v[4:5], off offset:512
	global_load_u16 v11, v[6:7], off offset:512
	s_waitcnt vmcnt(1)
	v_lshlrev_b32_e32 v32, 16, v9
	s_waitcnt vmcnt(0)
	v_lshlrev_b32_e32 v33, 16, v11
.LBB854_10:
	;; [unrolled: 35-line block ×5, first 2 shown]
	s_or_b32 exec_lo, exec_lo, s2
	v_or_b32_e32 v9, 0x2c0, v8
	v_mov_b32_e32 v18, 0
	s_delay_alu instid0(VALU_DEP_2) | instskip(NEXT) | instid1(VALU_DEP_1)
	v_cmp_gt_i32_e64 s5, s18, v9
	s_and_b32 s3, s17, s5
	s_delay_alu instid0(SALU_CYCLE_1)
	s_and_saveexec_b32 s2, s3
	s_cbranch_execz .LBB854_24
; %bb.23:
	global_load_u16 v9, v[4:5], off offset:1408
	global_load_u16 v12, v[6:7], off offset:1408
	s_waitcnt vmcnt(1)
	v_lshlrev_b32_e32 v11, 16, v9
	s_waitcnt vmcnt(0)
	v_lshlrev_b32_e32 v18, 16, v12
.LBB854_24:
	s_or_b32 exec_lo, exec_lo, s2
	v_or_b32_e32 v9, 0x300, v8
	v_dual_mov_b32 v17, 0 :: v_dual_mov_b32 v16, 0
	s_delay_alu instid0(VALU_DEP_2) | instskip(SKIP_1) | instid1(VALU_DEP_2)
	v_cmp_gt_i32_e64 s4, s18, v9
	v_mov_b32_e32 v9, 0
	s_and_b32 s3, s17, s4
	s_delay_alu instid0(SALU_CYCLE_1)
	s_and_saveexec_b32 s2, s3
	s_cbranch_execz .LBB854_26
; %bb.25:
	global_load_u16 v12, v[4:5], off offset:1536
	global_load_u16 v13, v[6:7], off offset:1536
	s_waitcnt vmcnt(1)
	v_lshlrev_b32_e32 v16, 16, v12
	s_waitcnt vmcnt(0)
	v_lshlrev_b32_e32 v17, 16, v13
.LBB854_26:
	s_or_b32 exec_lo, exec_lo, s2
	v_or_b32_e32 v12, 0x340, v8
	v_mov_b32_e32 v14, 0
	s_delay_alu instid0(VALU_DEP_2) | instskip(NEXT) | instid1(VALU_DEP_1)
	v_cmp_gt_i32_e64 s3, s18, v12
	s_and_b32 s19, s17, s3
	s_delay_alu instid0(SALU_CYCLE_1)
	s_and_saveexec_b32 s2, s19
	s_cbranch_execz .LBB854_28
; %bb.27:
	global_load_u16 v9, v[4:5], off offset:1664
	global_load_u16 v12, v[6:7], off offset:1664
	s_waitcnt vmcnt(1)
	v_lshlrev_b32_e32 v9, 16, v9
	s_waitcnt vmcnt(0)
	v_lshlrev_b32_e32 v14, 16, v12
.LBB854_28:
	s_or_b32 exec_lo, exec_lo, s2
	v_or_b32_e32 v8, 0x380, v8
	v_dual_mov_b32 v12, 0 :: v_dual_mov_b32 v13, 0
	s_delay_alu instid0(VALU_DEP_2) | instskip(SKIP_1) | instid1(VALU_DEP_2)
	v_cmp_gt_i32_e64 s2, s18, v8
	v_mov_b32_e32 v8, 0
	s_and_b32 s20, s17, s2
	s_delay_alu instid0(SALU_CYCLE_1)
	s_and_saveexec_b32 s19, s20
	s_cbranch_execz .LBB854_30
; %bb.29:
	global_load_u16 v12, v[4:5], off offset:1792
	global_load_u16 v13, v[6:7], off offset:1792
	s_waitcnt vmcnt(1)
	v_lshlrev_b32_e32 v12, 16, v12
	s_waitcnt vmcnt(0)
	v_lshlrev_b32_e32 v13, 16, v13
.LBB854_30:
	s_or_b32 exec_lo, exec_lo, s19
	v_or_b32_e32 v10, 0x3c0, v10
	s_delay_alu instid0(VALU_DEP_1) | instskip(SKIP_2) | instid1(SALU_CYCLE_1)
	v_cmp_gt_i32_e32 vcc_lo, s18, v10
	v_mov_b32_e32 v10, 0
	s_and_b32 s18, s17, vcc_lo
	s_and_saveexec_b32 s17, s18
	s_cbranch_execz .LBB854_32
; %bb.31:
	global_load_u16 v4, v[4:5], off offset:1920
	global_load_u16 v5, v[6:7], off offset:1920
	s_waitcnt vmcnt(1)
	v_lshlrev_b32_e32 v8, 16, v4
	s_waitcnt vmcnt(0)
	v_lshlrev_b32_e32 v10, 16, v5
.LBB854_32:
	s_or_b32 exec_lo, exec_lo, s17
	s_load_b64 s[0:1], s[0:1], 0x28
	s_mov_b32 s33, exec_lo
	s_waitcnt lgkmcnt(0)
	v_add_co_u32 v2, s0, s0, v2
	s_delay_alu instid0(VALU_DEP_1)
	v_add_co_ci_u32_e64 v3, s0, s1, v3, s0
	s_clause 0xf
	global_load_u8 v4, v[2:3], off
	global_load_u8 v5, v[2:3], off offset:64
	global_load_u8 v6, v[2:3], off offset:128
	;; [unrolled: 1-line block ×15, first 2 shown]
	s_waitcnt vmcnt(15)
	v_dual_add_f32 v4, 0, v38 :: v_dual_and_b32 v3, 1, v4
	s_delay_alu instid0(VALU_DEP_1) | instskip(NEXT) | instid1(VALU_DEP_1)
	v_cmp_eq_u32_e64 s22, 1, v3
	v_cndmask_b32_e64 v3, v4, 0, s22
	s_waitcnt vmcnt(14)
	s_delay_alu instid0(VALU_DEP_1) | instskip(NEXT) | instid1(VALU_DEP_1)
	v_dual_add_f32 v5, v3, v30 :: v_dual_and_b32 v4, 1, v5
	v_cmp_eq_u32_e64 s0, 1, v4
	s_waitcnt vmcnt(0)
	v_and_b32_e32 v2, 1, v2
	s_delay_alu instid0(VALU_DEP_2) | instskip(NEXT) | instid1(VALU_DEP_1)
	v_cndmask_b32_e64 v3, v5, v3, s0
	v_dual_add_f32 v5, v3, v35 :: v_dual_and_b32 v4, 1, v6
	s_delay_alu instid0(VALU_DEP_1) | instskip(SKIP_1) | instid1(VALU_DEP_2)
	v_cmp_eq_u32_e64 s1, 1, v4
	v_and_b32_e32 v4, 1, v7
	v_cndmask_b32_e64 v3, v5, v3, s1
	s_delay_alu instid0(VALU_DEP_2) | instskip(NEXT) | instid1(VALU_DEP_2)
	v_cmp_eq_u32_e64 s17, 1, v4
	v_dual_add_f32 v5, v3, v27 :: v_dual_and_b32 v4, 1, v41
	s_delay_alu instid0(VALU_DEP_1) | instskip(NEXT) | instid1(VALU_DEP_2)
	v_cmp_eq_u32_e64 s18, 1, v4
	v_cndmask_b32_e64 v3, v5, v3, s17
	s_delay_alu instid0(VALU_DEP_1) | instskip(NEXT) | instid1(VALU_DEP_1)
	v_add_f32_e32 v5, v3, v32
	v_cndmask_b32_e64 v3, v5, v3, s18
	s_delay_alu instid0(VALU_DEP_1) | instskip(NEXT) | instid1(VALU_DEP_1)
	v_dual_add_f32 v5, v3, v23 :: v_dual_and_b32 v4, 1, v42
	v_cmp_eq_u32_e64 s19, 1, v4
	s_delay_alu instid0(VALU_DEP_1) | instskip(NEXT) | instid1(VALU_DEP_1)
	v_cndmask_b32_e64 v3, v5, v3, s19
	v_dual_add_f32 v5, v3, v28 :: v_dual_and_b32 v4, 1, v43
	s_delay_alu instid0(VALU_DEP_1) | instskip(NEXT) | instid1(VALU_DEP_1)
	v_cmp_eq_u32_e64 s20, 1, v4
	v_cndmask_b32_e64 v3, v5, v3, s20
	s_delay_alu instid0(VALU_DEP_1) | instskip(NEXT) | instid1(VALU_DEP_1)
	v_dual_add_f32 v5, v3, v19 :: v_dual_and_b32 v4, 1, v44
	v_cmp_eq_u32_e64 s21, 1, v4
	s_delay_alu instid0(VALU_DEP_1) | instskip(NEXT) | instid1(VALU_DEP_1)
	v_cndmask_b32_e64 v3, v5, v3, s21
	v_dual_add_f32 v5, v3, v24 :: v_dual_and_b32 v4, 1, v45
	s_delay_alu instid0(VALU_DEP_1) | instskip(NEXT) | instid1(VALU_DEP_1)
	v_cmp_eq_u32_e64 s23, 1, v4
	;; [unrolled: 9-line block ×4, first 2 shown]
	v_cndmask_b32_e64 v3, v5, v3, s27
	s_delay_alu instid0(VALU_DEP_1) | instskip(NEXT) | instid1(VALU_DEP_1)
	v_dual_add_f32 v5, v3, v9 :: v_dual_and_b32 v4, 1, v50
	v_cmp_eq_u32_e64 s28, 1, v4
	v_mbcnt_lo_u32_b32 v4, -1, 0
	s_delay_alu instid0(VALU_DEP_2) | instskip(SKIP_1) | instid1(VALU_DEP_3)
	v_cndmask_b32_e64 v3, v5, v3, s28
	v_and_b32_e32 v5, 1, v51
	v_or_b32_e32 v7, 32, v4
	s_delay_alu instid0(VALU_DEP_3) | instskip(NEXT) | instid1(VALU_DEP_3)
	v_add_f32_e32 v6, v3, v12
	v_cmp_eq_u32_e64 s29, 1, v5
	s_delay_alu instid0(VALU_DEP_3) | instskip(NEXT) | instid1(VALU_DEP_2)
	v_cmp_gt_i32_e64 s30, 64, v7
	v_cndmask_b32_e64 v3, v6, v3, s29
	s_delay_alu instid0(VALU_DEP_2) | instskip(SKIP_1) | instid1(VALU_DEP_2)
	v_cndmask_b32_e64 v5, v4, v7, s30
	v_cmp_eq_u32_e64 s30, 1, v2
	v_dual_add_f32 v6, v3, v8 :: v_dual_lshlrev_b32 v5, 2, v5
	s_delay_alu instid0(VALU_DEP_1) | instskip(SKIP_2) | instid1(VALU_DEP_1)
	v_cndmask_b32_e64 v2, v6, v3, s30
	ds_bpermute_b32 v3, v5, v2
	v_xor_b32_e32 v5, 16, v4
	v_cmp_gt_i32_e64 s31, 64, v5
	s_delay_alu instid0(VALU_DEP_1) | instskip(SKIP_1) | instid1(VALU_DEP_1)
	v_cndmask_b32_e64 v5, v4, v5, s31
	s_waitcnt lgkmcnt(0)
	v_dual_add_f32 v2, v2, v3 :: v_dual_lshlrev_b32 v5, 2, v5
	ds_bpermute_b32 v3, v5, v2
	v_xor_b32_e32 v5, 8, v4
	s_delay_alu instid0(VALU_DEP_1) | instskip(NEXT) | instid1(VALU_DEP_1)
	v_cmp_gt_i32_e64 s31, 64, v5
	v_cndmask_b32_e64 v5, v4, v5, s31
	s_waitcnt lgkmcnt(0)
	s_delay_alu instid0(VALU_DEP_1) | instskip(SKIP_2) | instid1(VALU_DEP_1)
	v_dual_add_f32 v2, v2, v3 :: v_dual_lshlrev_b32 v5, 2, v5
	ds_bpermute_b32 v3, v5, v2
	v_xor_b32_e32 v5, 4, v4
	v_cmp_gt_i32_e64 s31, 64, v5
	s_delay_alu instid0(VALU_DEP_1) | instskip(SKIP_1) | instid1(VALU_DEP_1)
	v_cndmask_b32_e64 v5, v4, v5, s31
	s_waitcnt lgkmcnt(0)
	v_dual_add_f32 v2, v2, v3 :: v_dual_lshlrev_b32 v5, 2, v5
	ds_bpermute_b32 v3, v5, v2
	v_xor_b32_e32 v5, 2, v4
	s_delay_alu instid0(VALU_DEP_1) | instskip(NEXT) | instid1(VALU_DEP_1)
	v_cmp_gt_i32_e64 s31, 64, v5
	v_cndmask_b32_e64 v5, v4, v5, s31
	s_waitcnt lgkmcnt(0)
	s_delay_alu instid0(VALU_DEP_1) | instskip(SKIP_2) | instid1(VALU_DEP_1)
	v_dual_add_f32 v2, v2, v3 :: v_dual_lshlrev_b32 v5, 2, v5
	ds_bpermute_b32 v3, v5, v2
	v_xor_b32_e32 v5, 1, v4
	v_cmp_gt_i32_e64 s31, 64, v5
	s_delay_alu instid0(VALU_DEP_1) | instskip(SKIP_1) | instid1(VALU_DEP_1)
	v_cndmask_b32_e64 v4, v4, v5, s31
	s_waitcnt lgkmcnt(0)
	v_dual_add_f32 v2, v2, v3 :: v_dual_lshlrev_b32 v3, 2, v4
	ds_bpermute_b32 v3, v3, v2
	v_cmpx_lt_i32_e32 0, v39
	s_cbranch_execz .LBB854_52
; %bb.33:
	v_add_co_u32 v0, s31, s36, v0
	s_waitcnt lgkmcnt(0)
	v_add_f32_e32 v2, v2, v3
	v_add_co_ci_u32_e64 v1, s31, s37, v1, s31
	s_and_saveexec_b32 s31, s16
	s_cbranch_execz .LBB854_37
; %bb.34:
	v_mov_b32_e32 v3, 0
	s_xor_b32 s16, s22, -1
	s_delay_alu instid0(SALU_CYCLE_1)
	s_and_saveexec_b32 s22, s16
; %bb.35:
	v_fma_f32 v3, -v2, v40, v38
	s_delay_alu instid0(VALU_DEP_1) | instskip(SKIP_1) | instid1(VALU_DEP_2)
	v_bfe_u32 v4, v3, 16, 1
	v_cmp_o_f32_e64 s16, v3, v3
	v_add3_u32 v4, v3, v4, 0x7fff
	s_delay_alu instid0(VALU_DEP_1) | instskip(NEXT) | instid1(VALU_DEP_1)
	v_lshrrev_b32_e32 v4, 16, v4
	v_cndmask_b32_e64 v3, 0x7fc0, v4, s16
; %bb.36:
	s_or_b32 exec_lo, exec_lo, s22
	global_store_b16 v[0:1], v3, off
.LBB854_37:
	s_or_b32 exec_lo, exec_lo, s31
	s_xor_b32 s0, s0, -1
	s_xor_b32 s37, s1, -1
	;; [unrolled: 1-line block ×15, first 2 shown]
	s_and_saveexec_b32 s23, s15
	s_cbranch_execnz .LBB854_53
; %bb.38:
	s_or_b32 exec_lo, exec_lo, s23
	s_and_saveexec_b32 s15, s14
	s_cbranch_execnz .LBB854_56
.LBB854_39:
	s_or_b32 exec_lo, exec_lo, s15
	s_and_saveexec_b32 s14, s13
	s_cbranch_execnz .LBB854_59
.LBB854_40:
	s_or_b32 exec_lo, exec_lo, s14
	s_and_saveexec_b32 s13, s12
	s_cbranch_execnz .LBB854_62
.LBB854_41:
	s_or_b32 exec_lo, exec_lo, s13
	s_and_saveexec_b32 s12, s11
	s_cbranch_execnz .LBB854_65
.LBB854_42:
	s_or_b32 exec_lo, exec_lo, s12
	s_and_saveexec_b32 s11, s10
	s_cbranch_execnz .LBB854_68
.LBB854_43:
	s_or_b32 exec_lo, exec_lo, s11
	s_and_saveexec_b32 s10, s9
	s_cbranch_execnz .LBB854_71
.LBB854_44:
	s_or_b32 exec_lo, exec_lo, s10
	s_and_saveexec_b32 s9, s8
	s_cbranch_execnz .LBB854_74
.LBB854_45:
	s_or_b32 exec_lo, exec_lo, s9
	s_and_saveexec_b32 s8, s7
	s_cbranch_execnz .LBB854_77
.LBB854_46:
	s_or_b32 exec_lo, exec_lo, s8
	s_and_saveexec_b32 s7, s6
	s_cbranch_execnz .LBB854_80
.LBB854_47:
	s_or_b32 exec_lo, exec_lo, s7
	s_and_saveexec_b32 s6, s5
	s_cbranch_execnz .LBB854_83
.LBB854_48:
	s_or_b32 exec_lo, exec_lo, s6
	s_and_saveexec_b32 s5, s4
	s_cbranch_execnz .LBB854_86
.LBB854_49:
	s_or_b32 exec_lo, exec_lo, s5
	s_and_saveexec_b32 s4, s3
	s_cbranch_execnz .LBB854_89
.LBB854_50:
	s_or_b32 exec_lo, exec_lo, s4
	s_and_saveexec_b32 s3, s2
	s_cbranch_execnz .LBB854_92
.LBB854_51:
	s_or_b32 exec_lo, exec_lo, s3
	s_delay_alu instid0(SALU_CYCLE_1)
	s_and_b32 exec_lo, exec_lo, vcc_lo
	s_cbranch_execnz .LBB854_95
.LBB854_52:
	s_nop 0
	s_sendmsg sendmsg(MSG_DEALLOC_VGPRS)
	s_endpgm
.LBB854_53:
	v_mov_b32_e32 v3, 0
	s_and_saveexec_b32 s15, s0
; %bb.54:
	v_fma_f32 v3, -v2, v37, v30
	s_delay_alu instid0(VALU_DEP_1) | instskip(SKIP_1) | instid1(VALU_DEP_2)
	v_bfe_u32 v4, v3, 16, 1
	v_cmp_o_f32_e64 s0, v3, v3
	v_add3_u32 v4, v3, v4, 0x7fff
	s_delay_alu instid0(VALU_DEP_1) | instskip(NEXT) | instid1(VALU_DEP_1)
	v_lshrrev_b32_e32 v4, 16, v4
	v_cndmask_b32_e64 v3, 0x7fc0, v4, s0
; %bb.55:
	s_or_b32 exec_lo, exec_lo, s15
	global_store_b16 v[0:1], v3, off offset:128
	s_or_b32 exec_lo, exec_lo, s23
	s_and_saveexec_b32 s15, s14
	s_cbranch_execz .LBB854_39
.LBB854_56:
	v_mov_b32_e32 v3, 0
	s_and_saveexec_b32 s14, s37
; %bb.57:
	v_fma_f32 v3, -v2, v36, v35
	s_delay_alu instid0(VALU_DEP_1) | instskip(SKIP_1) | instid1(VALU_DEP_2)
	v_bfe_u32 v4, v3, 16, 1
	v_cmp_o_f32_e64 s0, v3, v3
	v_add3_u32 v4, v3, v4, 0x7fff
	s_delay_alu instid0(VALU_DEP_1) | instskip(NEXT) | instid1(VALU_DEP_1)
	v_lshrrev_b32_e32 v4, 16, v4
	v_cndmask_b32_e64 v3, 0x7fc0, v4, s0
; %bb.58:
	s_or_b32 exec_lo, exec_lo, s14
	global_store_b16 v[0:1], v3, off offset:256
	s_or_b32 exec_lo, exec_lo, s15
	s_and_saveexec_b32 s14, s13
	s_cbranch_execz .LBB854_40
.LBB854_59:
	v_mov_b32_e32 v3, 0
	s_and_saveexec_b32 s13, s36
; %bb.60:
	v_fma_f32 v3, -v2, v34, v27
	s_delay_alu instid0(VALU_DEP_1) | instskip(SKIP_1) | instid1(VALU_DEP_2)
	v_bfe_u32 v4, v3, 16, 1
	v_cmp_o_f32_e64 s0, v3, v3
	v_add3_u32 v4, v3, v4, 0x7fff
	s_delay_alu instid0(VALU_DEP_1) | instskip(NEXT) | instid1(VALU_DEP_1)
	v_lshrrev_b32_e32 v4, 16, v4
	v_cndmask_b32_e64 v3, 0x7fc0, v4, s0
; %bb.61:
	s_or_b32 exec_lo, exec_lo, s13
	global_store_b16 v[0:1], v3, off offset:384
	s_or_b32 exec_lo, exec_lo, s14
	s_and_saveexec_b32 s13, s12
	s_cbranch_execz .LBB854_41
.LBB854_62:
	v_mov_b32_e32 v3, 0
	s_and_saveexec_b32 s12, s35
; %bb.63:
	v_fma_f32 v3, -v2, v33, v32
	s_delay_alu instid0(VALU_DEP_1) | instskip(SKIP_1) | instid1(VALU_DEP_2)
	v_bfe_u32 v4, v3, 16, 1
	v_cmp_o_f32_e64 s0, v3, v3
	v_add3_u32 v4, v3, v4, 0x7fff
	s_delay_alu instid0(VALU_DEP_1) | instskip(NEXT) | instid1(VALU_DEP_1)
	v_lshrrev_b32_e32 v4, 16, v4
	v_cndmask_b32_e64 v3, 0x7fc0, v4, s0
; %bb.64:
	s_or_b32 exec_lo, exec_lo, s12
	global_store_b16 v[0:1], v3, off offset:512
	s_or_b32 exec_lo, exec_lo, s13
	s_and_saveexec_b32 s12, s11
	s_cbranch_execz .LBB854_42
.LBB854_65:
	v_mov_b32_e32 v3, 0
	s_and_saveexec_b32 s11, s34
; %bb.66:
	v_fma_f32 v3, -v2, v31, v23
	s_delay_alu instid0(VALU_DEP_1) | instskip(SKIP_1) | instid1(VALU_DEP_2)
	v_bfe_u32 v4, v3, 16, 1
	v_cmp_o_f32_e64 s0, v3, v3
	v_add3_u32 v4, v3, v4, 0x7fff
	s_delay_alu instid0(VALU_DEP_1) | instskip(NEXT) | instid1(VALU_DEP_1)
	v_lshrrev_b32_e32 v4, 16, v4
	v_cndmask_b32_e64 v3, 0x7fc0, v4, s0
; %bb.67:
	s_or_b32 exec_lo, exec_lo, s11
	global_store_b16 v[0:1], v3, off offset:640
	s_or_b32 exec_lo, exec_lo, s12
	s_and_saveexec_b32 s11, s10
	s_cbranch_execz .LBB854_43
.LBB854_68:
	v_mov_b32_e32 v3, 0
	s_and_saveexec_b32 s10, s33
; %bb.69:
	v_fma_f32 v3, -v2, v29, v28
	s_delay_alu instid0(VALU_DEP_1) | instskip(SKIP_1) | instid1(VALU_DEP_2)
	v_bfe_u32 v4, v3, 16, 1
	v_cmp_o_f32_e64 s0, v3, v3
	v_add3_u32 v4, v3, v4, 0x7fff
	s_delay_alu instid0(VALU_DEP_1) | instskip(NEXT) | instid1(VALU_DEP_1)
	v_lshrrev_b32_e32 v4, 16, v4
	v_cndmask_b32_e64 v3, 0x7fc0, v4, s0
; %bb.70:
	s_or_b32 exec_lo, exec_lo, s10
	global_store_b16 v[0:1], v3, off offset:768
	s_or_b32 exec_lo, exec_lo, s11
	s_and_saveexec_b32 s10, s9
	s_cbranch_execz .LBB854_44
.LBB854_71:
	v_mov_b32_e32 v3, 0
	s_and_saveexec_b32 s9, s31
; %bb.72:
	v_fma_f32 v3, -v2, v26, v19
	s_delay_alu instid0(VALU_DEP_1) | instskip(SKIP_1) | instid1(VALU_DEP_2)
	v_bfe_u32 v4, v3, 16, 1
	v_cmp_o_f32_e64 s0, v3, v3
	v_add3_u32 v4, v3, v4, 0x7fff
	s_delay_alu instid0(VALU_DEP_1) | instskip(NEXT) | instid1(VALU_DEP_1)
	v_lshrrev_b32_e32 v4, 16, v4
	v_cndmask_b32_e64 v3, 0x7fc0, v4, s0
; %bb.73:
	s_or_b32 exec_lo, exec_lo, s9
	global_store_b16 v[0:1], v3, off offset:896
	s_or_b32 exec_lo, exec_lo, s10
	s_and_saveexec_b32 s9, s8
	s_cbranch_execz .LBB854_45
.LBB854_74:
	v_mov_b32_e32 v3, 0
	s_and_saveexec_b32 s8, s22
; %bb.75:
	v_fma_f32 v3, -v2, v25, v24
	s_delay_alu instid0(VALU_DEP_1) | instskip(SKIP_1) | instid1(VALU_DEP_2)
	v_bfe_u32 v4, v3, 16, 1
	v_cmp_o_f32_e64 s0, v3, v3
	v_add3_u32 v4, v3, v4, 0x7fff
	s_delay_alu instid0(VALU_DEP_1) | instskip(NEXT) | instid1(VALU_DEP_1)
	v_lshrrev_b32_e32 v4, 16, v4
	v_cndmask_b32_e64 v3, 0x7fc0, v4, s0
; %bb.76:
	s_or_b32 exec_lo, exec_lo, s8
	global_store_b16 v[0:1], v3, off offset:1024
	s_or_b32 exec_lo, exec_lo, s9
	s_and_saveexec_b32 s8, s7
	s_cbranch_execz .LBB854_46
.LBB854_77:
	v_mov_b32_e32 v3, 0
	s_and_saveexec_b32 s7, s21
; %bb.78:
	v_fma_f32 v3, -v2, v22, v15
	s_delay_alu instid0(VALU_DEP_1) | instskip(SKIP_1) | instid1(VALU_DEP_2)
	v_bfe_u32 v4, v3, 16, 1
	v_cmp_o_f32_e64 s0, v3, v3
	v_add3_u32 v4, v3, v4, 0x7fff
	s_delay_alu instid0(VALU_DEP_1) | instskip(NEXT) | instid1(VALU_DEP_1)
	v_lshrrev_b32_e32 v4, 16, v4
	v_cndmask_b32_e64 v3, 0x7fc0, v4, s0
; %bb.79:
	s_or_b32 exec_lo, exec_lo, s7
	global_store_b16 v[0:1], v3, off offset:1152
	s_or_b32 exec_lo, exec_lo, s8
	s_and_saveexec_b32 s7, s6
	s_cbranch_execz .LBB854_47
.LBB854_80:
	v_mov_b32_e32 v3, 0
	s_and_saveexec_b32 s6, s20
; %bb.81:
	v_fma_f32 v3, -v2, v21, v20
	s_delay_alu instid0(VALU_DEP_1) | instskip(SKIP_1) | instid1(VALU_DEP_2)
	v_bfe_u32 v4, v3, 16, 1
	v_cmp_o_f32_e64 s0, v3, v3
	v_add3_u32 v4, v3, v4, 0x7fff
	s_delay_alu instid0(VALU_DEP_1) | instskip(NEXT) | instid1(VALU_DEP_1)
	v_lshrrev_b32_e32 v4, 16, v4
	v_cndmask_b32_e64 v3, 0x7fc0, v4, s0
; %bb.82:
	s_or_b32 exec_lo, exec_lo, s6
	global_store_b16 v[0:1], v3, off offset:1280
	s_or_b32 exec_lo, exec_lo, s7
	s_and_saveexec_b32 s6, s5
	s_cbranch_execz .LBB854_48
.LBB854_83:
	v_mov_b32_e32 v3, 0
	s_and_saveexec_b32 s5, s19
; %bb.84:
	v_fma_f32 v3, -v2, v18, v11
	s_delay_alu instid0(VALU_DEP_1) | instskip(SKIP_1) | instid1(VALU_DEP_2)
	v_bfe_u32 v4, v3, 16, 1
	v_cmp_o_f32_e64 s0, v3, v3
	v_add3_u32 v4, v3, v4, 0x7fff
	s_delay_alu instid0(VALU_DEP_1) | instskip(NEXT) | instid1(VALU_DEP_1)
	v_lshrrev_b32_e32 v4, 16, v4
	v_cndmask_b32_e64 v3, 0x7fc0, v4, s0
; %bb.85:
	s_or_b32 exec_lo, exec_lo, s5
	global_store_b16 v[0:1], v3, off offset:1408
	s_or_b32 exec_lo, exec_lo, s6
	s_and_saveexec_b32 s5, s4
	s_cbranch_execz .LBB854_49
.LBB854_86:
	v_mov_b32_e32 v3, 0
	s_and_saveexec_b32 s4, s18
; %bb.87:
	v_fma_f32 v3, -v2, v17, v16
	s_delay_alu instid0(VALU_DEP_1) | instskip(SKIP_1) | instid1(VALU_DEP_2)
	v_bfe_u32 v4, v3, 16, 1
	v_cmp_o_f32_e64 s0, v3, v3
	v_add3_u32 v4, v3, v4, 0x7fff
	s_delay_alu instid0(VALU_DEP_1) | instskip(NEXT) | instid1(VALU_DEP_1)
	v_lshrrev_b32_e32 v4, 16, v4
	v_cndmask_b32_e64 v3, 0x7fc0, v4, s0
; %bb.88:
	s_or_b32 exec_lo, exec_lo, s4
	global_store_b16 v[0:1], v3, off offset:1536
	s_or_b32 exec_lo, exec_lo, s5
	s_and_saveexec_b32 s4, s3
	s_cbranch_execz .LBB854_50
.LBB854_89:
	v_mov_b32_e32 v3, 0
	s_and_saveexec_b32 s3, s17
; %bb.90:
	v_fma_f32 v3, -v2, v14, v9
	s_delay_alu instid0(VALU_DEP_1) | instskip(SKIP_1) | instid1(VALU_DEP_2)
	v_bfe_u32 v4, v3, 16, 1
	v_cmp_o_f32_e64 s0, v3, v3
	v_add3_u32 v4, v3, v4, 0x7fff
	s_delay_alu instid0(VALU_DEP_1) | instskip(NEXT) | instid1(VALU_DEP_1)
	v_lshrrev_b32_e32 v4, 16, v4
	v_cndmask_b32_e64 v3, 0x7fc0, v4, s0
; %bb.91:
	s_or_b32 exec_lo, exec_lo, s3
	global_store_b16 v[0:1], v3, off offset:1664
	s_or_b32 exec_lo, exec_lo, s4
	s_and_saveexec_b32 s3, s2
	s_cbranch_execz .LBB854_51
.LBB854_92:
	v_mov_b32_e32 v3, 0
	s_and_saveexec_b32 s2, s16
; %bb.93:
	v_fma_f32 v3, -v2, v13, v12
	s_delay_alu instid0(VALU_DEP_1) | instskip(SKIP_1) | instid1(VALU_DEP_2)
	v_bfe_u32 v4, v3, 16, 1
	v_cmp_o_f32_e64 s0, v3, v3
	v_add3_u32 v4, v3, v4, 0x7fff
	s_delay_alu instid0(VALU_DEP_1) | instskip(NEXT) | instid1(VALU_DEP_1)
	v_lshrrev_b32_e32 v4, 16, v4
	v_cndmask_b32_e64 v3, 0x7fc0, v4, s0
; %bb.94:
	s_or_b32 exec_lo, exec_lo, s2
	global_store_b16 v[0:1], v3, off offset:1792
	s_or_b32 exec_lo, exec_lo, s3
	s_delay_alu instid0(SALU_CYCLE_1)
	s_and_b32 exec_lo, exec_lo, vcc_lo
	s_cbranch_execz .LBB854_52
.LBB854_95:
	v_mov_b32_e32 v3, 0
	s_and_saveexec_b32 s0, s1
; %bb.96:
	v_fma_f32 v2, -v2, v10, v8
	s_delay_alu instid0(VALU_DEP_1) | instskip(SKIP_1) | instid1(VALU_DEP_2)
	v_bfe_u32 v3, v2, 16, 1
	v_cmp_o_f32_e32 vcc_lo, v2, v2
	v_add3_u32 v3, v2, v3, 0x7fff
	s_delay_alu instid0(VALU_DEP_1) | instskip(NEXT) | instid1(VALU_DEP_1)
	v_lshrrev_b32_e32 v3, 16, v3
	v_cndmask_b32_e32 v3, 0x7fc0, v3, vcc_lo
; %bb.97:
	s_or_b32 exec_lo, exec_lo, s0
	global_store_b16 v[0:1], v3, off offset:1920
	s_nop 0
	s_sendmsg sendmsg(MSG_DEALLOC_VGPRS)
	s_endpgm
	.section	.rodata,"a",@progbits
	.p2align	6, 0x0
	.amdhsa_kernel _ZN12_GLOBAL__N_121softmax_warp_backwardIN3c108BFloat16ES2_fLi10ELb0ELb1ELi64EEEvPT0_PKT_S7_iiiPKb
		.amdhsa_group_segment_fixed_size 0
		.amdhsa_private_segment_fixed_size 0
		.amdhsa_kernarg_size 304
		.amdhsa_user_sgpr_count 15
		.amdhsa_user_sgpr_dispatch_ptr 0
		.amdhsa_user_sgpr_queue_ptr 0
		.amdhsa_user_sgpr_kernarg_segment_ptr 1
		.amdhsa_user_sgpr_dispatch_id 0
		.amdhsa_user_sgpr_private_segment_size 0
		.amdhsa_wavefront_size32 1
		.amdhsa_uses_dynamic_stack 0
		.amdhsa_enable_private_segment 0
		.amdhsa_system_sgpr_workgroup_id_x 1
		.amdhsa_system_sgpr_workgroup_id_y 0
		.amdhsa_system_sgpr_workgroup_id_z 0
		.amdhsa_system_sgpr_workgroup_info 0
		.amdhsa_system_vgpr_workitem_id 1
		.amdhsa_next_free_vgpr 52
		.amdhsa_next_free_sgpr 40
		.amdhsa_reserve_vcc 1
		.amdhsa_float_round_mode_32 0
		.amdhsa_float_round_mode_16_64 0
		.amdhsa_float_denorm_mode_32 3
		.amdhsa_float_denorm_mode_16_64 3
		.amdhsa_dx10_clamp 1
		.amdhsa_ieee_mode 1
		.amdhsa_fp16_overflow 0
		.amdhsa_workgroup_processor_mode 1
		.amdhsa_memory_ordered 1
		.amdhsa_forward_progress 0
		.amdhsa_shared_vgpr_count 0
		.amdhsa_exception_fp_ieee_invalid_op 0
		.amdhsa_exception_fp_denorm_src 0
		.amdhsa_exception_fp_ieee_div_zero 0
		.amdhsa_exception_fp_ieee_overflow 0
		.amdhsa_exception_fp_ieee_underflow 0
		.amdhsa_exception_fp_ieee_inexact 0
		.amdhsa_exception_int_div_zero 0
	.end_amdhsa_kernel
	.section	.text._ZN12_GLOBAL__N_121softmax_warp_backwardIN3c108BFloat16ES2_fLi10ELb0ELb1ELi64EEEvPT0_PKT_S7_iiiPKb,"axG",@progbits,_ZN12_GLOBAL__N_121softmax_warp_backwardIN3c108BFloat16ES2_fLi10ELb0ELb1ELi64EEEvPT0_PKT_S7_iiiPKb,comdat
.Lfunc_end854:
	.size	_ZN12_GLOBAL__N_121softmax_warp_backwardIN3c108BFloat16ES2_fLi10ELb0ELb1ELi64EEEvPT0_PKT_S7_iiiPKb, .Lfunc_end854-_ZN12_GLOBAL__N_121softmax_warp_backwardIN3c108BFloat16ES2_fLi10ELb0ELb1ELi64EEEvPT0_PKT_S7_iiiPKb
                                        ; -- End function
	.section	.AMDGPU.csdata,"",@progbits
; Kernel info:
; codeLenInByte = 4092
; NumSgprs: 42
; NumVgprs: 52
; ScratchSize: 0
; MemoryBound: 0
; FloatMode: 240
; IeeeMode: 1
; LDSByteSize: 0 bytes/workgroup (compile time only)
; SGPRBlocks: 5
; VGPRBlocks: 6
; NumSGPRsForWavesPerEU: 42
; NumVGPRsForWavesPerEU: 52
; Occupancy: 16
; WaveLimiterHint : 0
; COMPUTE_PGM_RSRC2:SCRATCH_EN: 0
; COMPUTE_PGM_RSRC2:USER_SGPR: 15
; COMPUTE_PGM_RSRC2:TRAP_HANDLER: 0
; COMPUTE_PGM_RSRC2:TGID_X_EN: 1
; COMPUTE_PGM_RSRC2:TGID_Y_EN: 0
; COMPUTE_PGM_RSRC2:TGID_Z_EN: 0
; COMPUTE_PGM_RSRC2:TIDIG_COMP_CNT: 1
	.section	.text._ZN12_GLOBAL__N_121softmax_warp_backwardIN3c108BFloat16ES2_fLi10ELb0ELb1ELi32EEEvPT0_PKT_S7_iiiPKb,"axG",@progbits,_ZN12_GLOBAL__N_121softmax_warp_backwardIN3c108BFloat16ES2_fLi10ELb0ELb1ELi32EEEvPT0_PKT_S7_iiiPKb,comdat
	.globl	_ZN12_GLOBAL__N_121softmax_warp_backwardIN3c108BFloat16ES2_fLi10ELb0ELb1ELi32EEEvPT0_PKT_S7_iiiPKb ; -- Begin function _ZN12_GLOBAL__N_121softmax_warp_backwardIN3c108BFloat16ES2_fLi10ELb0ELb1ELi32EEEvPT0_PKT_S7_iiiPKb
	.p2align	8
	.type	_ZN12_GLOBAL__N_121softmax_warp_backwardIN3c108BFloat16ES2_fLi10ELb0ELb1ELi32EEEvPT0_PKT_S7_iiiPKb,@function
_ZN12_GLOBAL__N_121softmax_warp_backwardIN3c108BFloat16ES2_fLi10ELb0ELb1ELi32EEEvPT0_PKT_S7_iiiPKb: ; @_ZN12_GLOBAL__N_121softmax_warp_backwardIN3c108BFloat16ES2_fLi10ELb0ELb1ELi32EEEvPT0_PKT_S7_iiiPKb
; %bb.0:
	s_clause 0x1
	s_load_b32 s2, s[0:1], 0x3c
	s_load_b128 s[36:39], s[0:1], 0x18
	v_bfe_u32 v1, v0, 10, 10
	v_and_b32_e32 v10, 0x3ff, v0
	s_load_b128 s[68:71], s[0:1], 0x0
	v_mov_b32_e32 v62, 0
	v_mov_b32_e32 v70, 0
	;; [unrolled: 1-line block ×3, first 2 shown]
	v_and_b32_e32 v8, 31, v10
	s_waitcnt lgkmcnt(0)
	s_lshr_b32 s2, s2, 16
	s_delay_alu instid0(VALU_DEP_1) | instskip(SKIP_2) | instid1(VALU_DEP_1)
	v_cmp_gt_i32_e64 s33, s38, v8
	v_mad_u64_u32 v[4:5], null, s15, s2, v[1:2]
	s_load_b64 s[2:3], s[0:1], 0x10
	v_mad_u64_u32 v[2:3], null, v4, s37, v[8:9]
	v_sub_nc_u32_e32 v71, s36, v4
	s_delay_alu instid0(VALU_DEP_1) | instskip(NEXT) | instid1(VALU_DEP_3)
	v_cmp_lt_i32_e64 s34, 0, v71
	v_ashrrev_i32_e32 v3, 31, v2
	s_delay_alu instid0(VALU_DEP_1) | instskip(NEXT) | instid1(VALU_DEP_1)
	v_lshlrev_b64 v[0:1], 1, v[2:3]
	v_add_co_u32 v4, vcc_lo, s70, v0
	s_delay_alu instid0(VALU_DEP_2) | instskip(SKIP_4) | instid1(SALU_CYCLE_1)
	v_add_co_ci_u32_e32 v5, vcc_lo, s71, v1, vcc_lo
	s_waitcnt lgkmcnt(0)
	v_add_co_u32 v6, vcc_lo, s2, v0
	v_add_co_ci_u32_e32 v7, vcc_lo, s3, v1, vcc_lo
	s_and_b32 s3, s34, s33
	s_and_saveexec_b32 s2, s3
	s_cbranch_execz .LBB855_2
; %bb.1:
	global_load_u16 v9, v[4:5], off
	global_load_u16 v11, v[6:7], off
	s_waitcnt vmcnt(1)
	v_lshlrev_b32_e32 v70, 16, v9
	s_waitcnt vmcnt(0)
	v_lshlrev_b32_e32 v72, 16, v11
.LBB855_2:
	s_or_b32 exec_lo, exec_lo, s2
	v_or_b32_e32 v9, 32, v8
	v_mov_b32_e32 v69, 0
	s_delay_alu instid0(VALU_DEP_2) | instskip(NEXT) | instid1(VALU_DEP_1)
	v_cmp_gt_i32_e64 s31, s38, v9
	s_and_b32 s3, s34, s31
	s_delay_alu instid0(SALU_CYCLE_1)
	s_and_saveexec_b32 s2, s3
	s_cbranch_execz .LBB855_4
; %bb.3:
	global_load_u16 v9, v[4:5], off offset:64
	global_load_u16 v11, v[6:7], off offset:64
	s_waitcnt vmcnt(1)
	v_lshlrev_b32_e32 v62, 16, v9
	s_waitcnt vmcnt(0)
	v_lshlrev_b32_e32 v69, 16, v11
.LBB855_4:
	s_or_b32 exec_lo, exec_lo, s2
	v_or_b32_e32 v9, 64, v8
	v_dual_mov_b32 v59, 0 :: v_dual_mov_b32 v68, 0
	v_mov_b32_e32 v67, 0
	s_delay_alu instid0(VALU_DEP_3) | instskip(NEXT) | instid1(VALU_DEP_1)
	v_cmp_gt_i32_e64 s30, s38, v9
	s_and_b32 s3, s34, s30
	s_delay_alu instid0(SALU_CYCLE_1)
	s_and_saveexec_b32 s2, s3
	s_cbranch_execz .LBB855_6
; %bb.5:
	global_load_u16 v9, v[4:5], off offset:128
	global_load_u16 v11, v[6:7], off offset:128
	s_waitcnt vmcnt(1)
	v_lshlrev_b32_e32 v67, 16, v9
	s_waitcnt vmcnt(0)
	v_lshlrev_b32_e32 v68, 16, v11
.LBB855_6:
	s_or_b32 exec_lo, exec_lo, s2
	v_or_b32_e32 v9, 0x60, v8
	v_mov_b32_e32 v66, 0
	s_delay_alu instid0(VALU_DEP_2) | instskip(NEXT) | instid1(VALU_DEP_1)
	v_cmp_gt_i32_e64 s29, s38, v9
	s_and_b32 s3, s34, s29
	s_delay_alu instid0(SALU_CYCLE_1)
	s_and_saveexec_b32 s2, s3
	s_cbranch_execz .LBB855_8
; %bb.7:
	global_load_u16 v9, v[4:5], off offset:192
	global_load_u16 v11, v[6:7], off offset:192
	s_waitcnt vmcnt(1)
	v_lshlrev_b32_e32 v59, 16, v9
	s_waitcnt vmcnt(0)
	v_lshlrev_b32_e32 v66, 16, v11
.LBB855_8:
	s_or_b32 exec_lo, exec_lo, s2
	v_or_b32_e32 v9, 0x80, v8
	v_dual_mov_b32 v55, 0 :: v_dual_mov_b32 v64, 0
	v_mov_b32_e32 v65, 0
	s_delay_alu instid0(VALU_DEP_3) | instskip(NEXT) | instid1(VALU_DEP_1)
	v_cmp_gt_i32_e64 s28, s38, v9
	s_and_b32 s3, s34, s28
	s_delay_alu instid0(SALU_CYCLE_1)
	s_and_saveexec_b32 s2, s3
	s_cbranch_execz .LBB855_10
; %bb.9:
	global_load_u16 v9, v[4:5], off offset:256
	global_load_u16 v11, v[6:7], off offset:256
	s_waitcnt vmcnt(1)
	v_lshlrev_b32_e32 v64, 16, v9
	s_waitcnt vmcnt(0)
	v_lshlrev_b32_e32 v65, 16, v11
.LBB855_10:
	;; [unrolled: 35-line block ×13, first 2 shown]
	s_or_b32 exec_lo, exec_lo, s2
	v_or_b32_e32 v9, 0x360, v8
	v_mov_b32_e32 v18, 0
	s_delay_alu instid0(VALU_DEP_2) | instskip(NEXT) | instid1(VALU_DEP_1)
	v_cmp_gt_i32_e64 s5, s38, v9
	s_and_b32 s3, s34, s5
	s_delay_alu instid0(SALU_CYCLE_1)
	s_and_saveexec_b32 s2, s3
	s_cbranch_execz .LBB855_56
; %bb.55:
	global_load_u16 v9, v[4:5], off offset:1728
	global_load_u16 v12, v[6:7], off offset:1728
	s_waitcnt vmcnt(1)
	v_lshlrev_b32_e32 v11, 16, v9
	s_waitcnt vmcnt(0)
	v_lshlrev_b32_e32 v18, 16, v12
.LBB855_56:
	s_or_b32 exec_lo, exec_lo, s2
	v_or_b32_e32 v9, 0x380, v8
	v_dual_mov_b32 v17, 0 :: v_dual_mov_b32 v16, 0
	s_delay_alu instid0(VALU_DEP_2) | instskip(SKIP_1) | instid1(VALU_DEP_2)
	v_cmp_gt_i32_e64 s4, s38, v9
	v_mov_b32_e32 v9, 0
	s_and_b32 s3, s34, s4
	s_delay_alu instid0(SALU_CYCLE_1)
	s_and_saveexec_b32 s2, s3
	s_cbranch_execz .LBB855_58
; %bb.57:
	global_load_u16 v12, v[4:5], off offset:1792
	global_load_u16 v13, v[6:7], off offset:1792
	s_waitcnt vmcnt(1)
	v_lshlrev_b32_e32 v16, 16, v12
	s_waitcnt vmcnt(0)
	v_lshlrev_b32_e32 v17, 16, v13
.LBB855_58:
	s_or_b32 exec_lo, exec_lo, s2
	v_or_b32_e32 v12, 0x3a0, v8
	v_mov_b32_e32 v14, 0
	s_delay_alu instid0(VALU_DEP_2) | instskip(NEXT) | instid1(VALU_DEP_1)
	v_cmp_gt_i32_e64 s3, s38, v12
	s_and_b32 s35, s34, s3
	s_delay_alu instid0(SALU_CYCLE_1)
	s_and_saveexec_b32 s2, s35
	s_cbranch_execz .LBB855_60
; %bb.59:
	global_load_u16 v9, v[4:5], off offset:1856
	global_load_u16 v12, v[6:7], off offset:1856
	s_waitcnt vmcnt(1)
	v_lshlrev_b32_e32 v9, 16, v9
	s_waitcnt vmcnt(0)
	v_lshlrev_b32_e32 v14, 16, v12
.LBB855_60:
	s_or_b32 exec_lo, exec_lo, s2
	v_or_b32_e32 v8, 0x3c0, v8
	v_dual_mov_b32 v12, 0 :: v_dual_mov_b32 v13, 0
	s_delay_alu instid0(VALU_DEP_2) | instskip(SKIP_1) | instid1(VALU_DEP_2)
	v_cmp_gt_i32_e64 s2, s38, v8
	v_mov_b32_e32 v8, 0
	s_and_b32 s36, s34, s2
	s_delay_alu instid0(SALU_CYCLE_1)
	s_and_saveexec_b32 s35, s36
	s_cbranch_execz .LBB855_62
; %bb.61:
	global_load_u16 v12, v[4:5], off offset:1920
	global_load_u16 v13, v[6:7], off offset:1920
	s_waitcnt vmcnt(1)
	v_lshlrev_b32_e32 v12, 16, v12
	s_waitcnt vmcnt(0)
	v_lshlrev_b32_e32 v13, 16, v13
.LBB855_62:
	s_or_b32 exec_lo, exec_lo, s35
	v_or_b32_e32 v10, 0x3e0, v10
	s_delay_alu instid0(VALU_DEP_1) | instskip(SKIP_2) | instid1(SALU_CYCLE_1)
	v_cmp_gt_i32_e32 vcc_lo, s38, v10
	v_mov_b32_e32 v10, 0
	s_and_b32 s35, s34, vcc_lo
	s_and_saveexec_b32 s34, s35
	s_cbranch_execz .LBB855_64
; %bb.63:
	global_load_u16 v4, v[4:5], off offset:1984
	global_load_u16 v5, v[6:7], off offset:1984
	s_waitcnt vmcnt(1)
	v_lshlrev_b32_e32 v8, 16, v4
	s_waitcnt vmcnt(0)
	v_lshlrev_b32_e32 v10, 16, v5
.LBB855_64:
	s_or_b32 exec_lo, exec_lo, s34
	s_load_b64 s[0:1], s[0:1], 0x28
	s_mov_b32 s65, exec_lo
	s_waitcnt lgkmcnt(0)
	v_add_co_u32 v2, s0, s0, v2
	s_delay_alu instid0(VALU_DEP_1)
	v_add_co_ci_u32_e64 v3, s0, s1, v3, s0
	s_clause 0x1
	global_load_u8 v4, v[2:3], off
	global_load_u8 v5, v[2:3], off offset:32
	s_waitcnt vmcnt(1)
	v_and_b32_e32 v4, 1, v4
	s_waitcnt vmcnt(0)
	v_and_b32_e32 v5, 1, v5
	s_delay_alu instid0(VALU_DEP_2) | instskip(SKIP_1) | instid1(VALU_DEP_3)
	v_cmp_eq_u32_e64 s34, 1, v4
	v_add_f32_e32 v4, 0, v70
	v_cmp_eq_u32_e64 s0, 1, v5
	s_delay_alu instid0(VALU_DEP_2) | instskip(NEXT) | instid1(VALU_DEP_1)
	v_cndmask_b32_e64 v4, v4, 0, s34
	v_add_f32_e32 v5, v4, v62
	s_delay_alu instid0(VALU_DEP_1) | instskip(SKIP_3) | instid1(VALU_DEP_1)
	v_cndmask_b32_e64 v4, v5, v4, s0
	global_load_u8 v5, v[2:3], off offset:64
	s_waitcnt vmcnt(0)
	v_and_b32_e32 v5, 1, v5
	v_cmp_eq_u32_e64 s1, 1, v5
	v_add_f32_e32 v5, v4, v67
	s_delay_alu instid0(VALU_DEP_1) | instskip(SKIP_3) | instid1(VALU_DEP_1)
	v_cndmask_b32_e64 v4, v5, v4, s1
	global_load_u8 v5, v[2:3], off offset:96
	s_waitcnt vmcnt(0)
	v_and_b32_e32 v5, 1, v5
	v_cmp_eq_u32_e64 s35, 1, v5
	;; [unrolled: 7-line block ×28, first 2 shown]
	v_add_f32_e32 v5, v4, v9
	s_delay_alu instid0(VALU_DEP_1)
	v_cndmask_b32_e64 v4, v5, v4, s61
	s_clause 0x1
	global_load_u8 v5, v[2:3], off offset:960
	global_load_u8 v2, v[2:3], off offset:992
	v_mbcnt_lo_u32_b32 v3, -1, 0
	s_waitcnt vmcnt(1)
	v_and_b32_e32 v5, 1, v5
	s_waitcnt vmcnt(0)
	v_and_b32_e32 v2, 1, v2
	s_delay_alu instid0(VALU_DEP_2) | instskip(SKIP_1) | instid1(VALU_DEP_3)
	v_cmp_eq_u32_e64 s62, 1, v5
	v_add_f32_e32 v5, v4, v12
	v_cmp_eq_u32_e64 s63, 1, v2
	s_delay_alu instid0(VALU_DEP_2) | instskip(NEXT) | instid1(VALU_DEP_1)
	v_cndmask_b32_e64 v4, v5, v4, s62
	v_add_f32_e32 v2, v4, v8
	s_delay_alu instid0(VALU_DEP_1) | instskip(SKIP_1) | instid1(VALU_DEP_1)
	v_cndmask_b32_e64 v2, v2, v4, s63
	v_xor_b32_e32 v4, 16, v3
	v_cmp_gt_i32_e64 s64, 32, v4
	s_delay_alu instid0(VALU_DEP_1) | instskip(NEXT) | instid1(VALU_DEP_1)
	v_cndmask_b32_e64 v4, v3, v4, s64
	v_lshlrev_b32_e32 v4, 2, v4
	ds_bpermute_b32 v4, v4, v2
	s_waitcnt lgkmcnt(0)
	v_add_f32_e32 v2, v2, v4
	v_xor_b32_e32 v4, 8, v3
	s_delay_alu instid0(VALU_DEP_1) | instskip(NEXT) | instid1(VALU_DEP_1)
	v_cmp_gt_i32_e64 s64, 32, v4
	v_cndmask_b32_e64 v4, v3, v4, s64
	s_delay_alu instid0(VALU_DEP_1) | instskip(SKIP_4) | instid1(VALU_DEP_1)
	v_lshlrev_b32_e32 v4, 2, v4
	ds_bpermute_b32 v4, v4, v2
	s_waitcnt lgkmcnt(0)
	v_add_f32_e32 v2, v2, v4
	v_xor_b32_e32 v4, 4, v3
	v_cmp_gt_i32_e64 s64, 32, v4
	s_delay_alu instid0(VALU_DEP_1) | instskip(NEXT) | instid1(VALU_DEP_1)
	v_cndmask_b32_e64 v4, v3, v4, s64
	v_lshlrev_b32_e32 v4, 2, v4
	ds_bpermute_b32 v4, v4, v2
	s_waitcnt lgkmcnt(0)
	v_add_f32_e32 v2, v2, v4
	v_xor_b32_e32 v4, 2, v3
	s_delay_alu instid0(VALU_DEP_1) | instskip(NEXT) | instid1(VALU_DEP_1)
	v_cmp_gt_i32_e64 s64, 32, v4
	v_cndmask_b32_e64 v4, v3, v4, s64
	s_delay_alu instid0(VALU_DEP_1) | instskip(SKIP_4) | instid1(VALU_DEP_1)
	v_lshlrev_b32_e32 v4, 2, v4
	ds_bpermute_b32 v4, v4, v2
	s_waitcnt lgkmcnt(0)
	v_add_f32_e32 v2, v2, v4
	v_xor_b32_e32 v4, 1, v3
	v_cmp_gt_i32_e64 s64, 32, v4
	s_delay_alu instid0(VALU_DEP_1) | instskip(NEXT) | instid1(VALU_DEP_1)
	v_cndmask_b32_e64 v3, v3, v4, s64
	v_lshlrev_b32_e32 v3, 2, v3
	ds_bpermute_b32 v3, v3, v2
	v_cmpx_lt_i32_e32 0, v71
	s_cbranch_execz .LBB855_100
; %bb.65:
	v_add_co_u32 v0, s64, s68, v0
	s_waitcnt lgkmcnt(0)
	v_add_f32_e32 v2, v2, v3
	v_add_co_ci_u32_e64 v1, s64, s69, v1, s64
	s_and_saveexec_b32 s64, s33
	s_cbranch_execz .LBB855_69
; %bb.66:
	v_mov_b32_e32 v3, 0
	s_xor_b32 s33, s34, -1
	s_delay_alu instid0(SALU_CYCLE_1)
	s_and_saveexec_b32 s34, s33
; %bb.67:
	v_fma_f32 v3, -v2, v72, v70
	s_delay_alu instid0(VALU_DEP_1) | instskip(SKIP_1) | instid1(VALU_DEP_2)
	v_bfe_u32 v4, v3, 16, 1
	v_cmp_o_f32_e64 s33, v3, v3
	v_add3_u32 v4, v3, v4, 0x7fff
	s_delay_alu instid0(VALU_DEP_1) | instskip(NEXT) | instid1(VALU_DEP_1)
	v_lshrrev_b32_e32 v4, 16, v4
	v_cndmask_b32_e64 v3, 0x7fc0, v4, s33
; %bb.68:
	s_or_b32 exec_lo, exec_lo, s34
	global_store_b16 v[0:1], v3, off
.LBB855_69:
	s_or_b32 exec_lo, exec_lo, s64
	s_xor_b32 s0, s0, -1
	s_xor_b32 s77, s1, -1
	;; [unrolled: 1-line block ×31, first 2 shown]
	s_and_saveexec_b32 s48, s31
	s_cbranch_execnz .LBB855_101
; %bb.70:
	s_or_b32 exec_lo, exec_lo, s48
	s_and_saveexec_b32 s31, s30
	s_cbranch_execnz .LBB855_104
.LBB855_71:
	s_or_b32 exec_lo, exec_lo, s31
	s_and_saveexec_b32 s30, s29
	s_cbranch_execnz .LBB855_107
.LBB855_72:
	s_or_b32 exec_lo, exec_lo, s30
	s_and_saveexec_b32 s29, s28
	s_cbranch_execnz .LBB855_110
.LBB855_73:
	s_or_b32 exec_lo, exec_lo, s29
	s_and_saveexec_b32 s28, s27
	s_cbranch_execnz .LBB855_113
.LBB855_74:
	s_or_b32 exec_lo, exec_lo, s28
	s_and_saveexec_b32 s27, s26
	s_cbranch_execnz .LBB855_116
.LBB855_75:
	s_or_b32 exec_lo, exec_lo, s27
	s_and_saveexec_b32 s26, s25
	s_cbranch_execnz .LBB855_119
.LBB855_76:
	s_or_b32 exec_lo, exec_lo, s26
	s_and_saveexec_b32 s25, s24
	s_cbranch_execnz .LBB855_122
.LBB855_77:
	s_or_b32 exec_lo, exec_lo, s25
	s_and_saveexec_b32 s24, s23
	s_cbranch_execnz .LBB855_125
.LBB855_78:
	s_or_b32 exec_lo, exec_lo, s24
	s_and_saveexec_b32 s23, s22
	s_cbranch_execnz .LBB855_128
.LBB855_79:
	s_or_b32 exec_lo, exec_lo, s23
	s_and_saveexec_b32 s22, s21
	s_cbranch_execnz .LBB855_131
.LBB855_80:
	s_or_b32 exec_lo, exec_lo, s22
	s_and_saveexec_b32 s21, s20
	s_cbranch_execnz .LBB855_134
.LBB855_81:
	s_or_b32 exec_lo, exec_lo, s21
	s_and_saveexec_b32 s20, s19
	s_cbranch_execnz .LBB855_137
.LBB855_82:
	s_or_b32 exec_lo, exec_lo, s20
	s_and_saveexec_b32 s19, s18
	s_cbranch_execnz .LBB855_140
.LBB855_83:
	s_or_b32 exec_lo, exec_lo, s19
	s_and_saveexec_b32 s18, s17
	s_cbranch_execnz .LBB855_143
.LBB855_84:
	s_or_b32 exec_lo, exec_lo, s18
	s_and_saveexec_b32 s17, s16
	s_cbranch_execnz .LBB855_146
.LBB855_85:
	s_or_b32 exec_lo, exec_lo, s17
	s_and_saveexec_b32 s16, s15
	s_cbranch_execnz .LBB855_149
.LBB855_86:
	s_or_b32 exec_lo, exec_lo, s16
	s_and_saveexec_b32 s15, s14
	s_cbranch_execnz .LBB855_152
.LBB855_87:
	s_or_b32 exec_lo, exec_lo, s15
	s_and_saveexec_b32 s14, s13
	s_cbranch_execnz .LBB855_155
.LBB855_88:
	s_or_b32 exec_lo, exec_lo, s14
	s_and_saveexec_b32 s13, s12
	s_cbranch_execnz .LBB855_158
.LBB855_89:
	s_or_b32 exec_lo, exec_lo, s13
	s_and_saveexec_b32 s12, s11
	s_cbranch_execnz .LBB855_161
.LBB855_90:
	s_or_b32 exec_lo, exec_lo, s12
	s_and_saveexec_b32 s11, s10
	s_cbranch_execnz .LBB855_164
.LBB855_91:
	s_or_b32 exec_lo, exec_lo, s11
	s_and_saveexec_b32 s10, s9
	s_cbranch_execnz .LBB855_167
.LBB855_92:
	s_or_b32 exec_lo, exec_lo, s10
	s_and_saveexec_b32 s9, s8
	s_cbranch_execnz .LBB855_170
.LBB855_93:
	s_or_b32 exec_lo, exec_lo, s9
	s_and_saveexec_b32 s8, s7
	s_cbranch_execnz .LBB855_173
.LBB855_94:
	s_or_b32 exec_lo, exec_lo, s8
	s_and_saveexec_b32 s7, s6
	s_cbranch_execnz .LBB855_176
.LBB855_95:
	s_or_b32 exec_lo, exec_lo, s7
	s_and_saveexec_b32 s6, s5
	s_cbranch_execnz .LBB855_179
.LBB855_96:
	s_or_b32 exec_lo, exec_lo, s6
	s_and_saveexec_b32 s5, s4
	s_cbranch_execnz .LBB855_182
.LBB855_97:
	s_or_b32 exec_lo, exec_lo, s5
	s_and_saveexec_b32 s4, s3
	s_cbranch_execnz .LBB855_185
.LBB855_98:
	s_or_b32 exec_lo, exec_lo, s4
	s_and_saveexec_b32 s3, s2
	s_cbranch_execnz .LBB855_188
.LBB855_99:
	s_or_b32 exec_lo, exec_lo, s3
	s_delay_alu instid0(SALU_CYCLE_1)
	s_and_b32 exec_lo, exec_lo, vcc_lo
	s_cbranch_execnz .LBB855_191
.LBB855_100:
	s_nop 0
	s_sendmsg sendmsg(MSG_DEALLOC_VGPRS)
	s_endpgm
.LBB855_101:
	v_mov_b32_e32 v3, 0
	s_and_saveexec_b32 s31, s0
; %bb.102:
	v_fma_f32 v3, -v2, v69, v62
	s_delay_alu instid0(VALU_DEP_1) | instskip(SKIP_1) | instid1(VALU_DEP_2)
	v_bfe_u32 v4, v3, 16, 1
	v_cmp_o_f32_e64 s0, v3, v3
	v_add3_u32 v4, v3, v4, 0x7fff
	s_delay_alu instid0(VALU_DEP_1) | instskip(NEXT) | instid1(VALU_DEP_1)
	v_lshrrev_b32_e32 v4, 16, v4
	v_cndmask_b32_e64 v3, 0x7fc0, v4, s0
; %bb.103:
	s_or_b32 exec_lo, exec_lo, s31
	global_store_b16 v[0:1], v3, off offset:64
	s_or_b32 exec_lo, exec_lo, s48
	s_and_saveexec_b32 s31, s30
	s_cbranch_execz .LBB855_71
.LBB855_104:
	v_mov_b32_e32 v3, 0
	s_and_saveexec_b32 s30, s77
; %bb.105:
	v_fma_f32 v3, -v2, v68, v67
	s_delay_alu instid0(VALU_DEP_1) | instskip(SKIP_1) | instid1(VALU_DEP_2)
	v_bfe_u32 v4, v3, 16, 1
	v_cmp_o_f32_e64 s0, v3, v3
	v_add3_u32 v4, v3, v4, 0x7fff
	s_delay_alu instid0(VALU_DEP_1) | instskip(NEXT) | instid1(VALU_DEP_1)
	v_lshrrev_b32_e32 v4, 16, v4
	v_cndmask_b32_e64 v3, 0x7fc0, v4, s0
; %bb.106:
	s_or_b32 exec_lo, exec_lo, s30
	global_store_b16 v[0:1], v3, off offset:128
	s_or_b32 exec_lo, exec_lo, s31
	s_and_saveexec_b32 s30, s29
	s_cbranch_execz .LBB855_72
.LBB855_107:
	v_mov_b32_e32 v3, 0
	s_and_saveexec_b32 s29, s76
; %bb.108:
	v_fma_f32 v3, -v2, v66, v59
	s_delay_alu instid0(VALU_DEP_1) | instskip(SKIP_1) | instid1(VALU_DEP_2)
	v_bfe_u32 v4, v3, 16, 1
	v_cmp_o_f32_e64 s0, v3, v3
	v_add3_u32 v4, v3, v4, 0x7fff
	s_delay_alu instid0(VALU_DEP_1) | instskip(NEXT) | instid1(VALU_DEP_1)
	v_lshrrev_b32_e32 v4, 16, v4
	v_cndmask_b32_e64 v3, 0x7fc0, v4, s0
; %bb.109:
	s_or_b32 exec_lo, exec_lo, s29
	global_store_b16 v[0:1], v3, off offset:192
	s_or_b32 exec_lo, exec_lo, s30
	s_and_saveexec_b32 s29, s28
	s_cbranch_execz .LBB855_73
.LBB855_110:
	v_mov_b32_e32 v3, 0
	s_and_saveexec_b32 s28, s75
; %bb.111:
	v_fma_f32 v3, -v2, v65, v64
	s_delay_alu instid0(VALU_DEP_1) | instskip(SKIP_1) | instid1(VALU_DEP_2)
	v_bfe_u32 v4, v3, 16, 1
	v_cmp_o_f32_e64 s0, v3, v3
	v_add3_u32 v4, v3, v4, 0x7fff
	s_delay_alu instid0(VALU_DEP_1) | instskip(NEXT) | instid1(VALU_DEP_1)
	v_lshrrev_b32_e32 v4, 16, v4
	v_cndmask_b32_e64 v3, 0x7fc0, v4, s0
; %bb.112:
	s_or_b32 exec_lo, exec_lo, s28
	global_store_b16 v[0:1], v3, off offset:256
	s_or_b32 exec_lo, exec_lo, s29
	s_and_saveexec_b32 s28, s27
	s_cbranch_execz .LBB855_74
.LBB855_113:
	v_mov_b32_e32 v3, 0
	s_and_saveexec_b32 s27, s74
; %bb.114:
	v_fma_f32 v3, -v2, v63, v55
	s_delay_alu instid0(VALU_DEP_1) | instskip(SKIP_1) | instid1(VALU_DEP_2)
	v_bfe_u32 v4, v3, 16, 1
	v_cmp_o_f32_e64 s0, v3, v3
	v_add3_u32 v4, v3, v4, 0x7fff
	s_delay_alu instid0(VALU_DEP_1) | instskip(NEXT) | instid1(VALU_DEP_1)
	v_lshrrev_b32_e32 v4, 16, v4
	v_cndmask_b32_e64 v3, 0x7fc0, v4, s0
; %bb.115:
	s_or_b32 exec_lo, exec_lo, s27
	global_store_b16 v[0:1], v3, off offset:320
	s_or_b32 exec_lo, exec_lo, s28
	s_and_saveexec_b32 s27, s26
	s_cbranch_execz .LBB855_75
.LBB855_116:
	v_mov_b32_e32 v3, 0
	s_and_saveexec_b32 s26, s73
; %bb.117:
	v_fma_f32 v3, -v2, v61, v60
	s_delay_alu instid0(VALU_DEP_1) | instskip(SKIP_1) | instid1(VALU_DEP_2)
	v_bfe_u32 v4, v3, 16, 1
	v_cmp_o_f32_e64 s0, v3, v3
	v_add3_u32 v4, v3, v4, 0x7fff
	s_delay_alu instid0(VALU_DEP_1) | instskip(NEXT) | instid1(VALU_DEP_1)
	v_lshrrev_b32_e32 v4, 16, v4
	v_cndmask_b32_e64 v3, 0x7fc0, v4, s0
; %bb.118:
	s_or_b32 exec_lo, exec_lo, s26
	global_store_b16 v[0:1], v3, off offset:384
	s_or_b32 exec_lo, exec_lo, s27
	s_and_saveexec_b32 s26, s25
	s_cbranch_execz .LBB855_76
.LBB855_119:
	v_mov_b32_e32 v3, 0
	s_and_saveexec_b32 s25, s72
; %bb.120:
	v_fma_f32 v3, -v2, v58, v51
	s_delay_alu instid0(VALU_DEP_1) | instskip(SKIP_1) | instid1(VALU_DEP_2)
	v_bfe_u32 v4, v3, 16, 1
	v_cmp_o_f32_e64 s0, v3, v3
	v_add3_u32 v4, v3, v4, 0x7fff
	s_delay_alu instid0(VALU_DEP_1) | instskip(NEXT) | instid1(VALU_DEP_1)
	v_lshrrev_b32_e32 v4, 16, v4
	v_cndmask_b32_e64 v3, 0x7fc0, v4, s0
; %bb.121:
	s_or_b32 exec_lo, exec_lo, s25
	global_store_b16 v[0:1], v3, off offset:448
	s_or_b32 exec_lo, exec_lo, s26
	s_and_saveexec_b32 s25, s24
	s_cbranch_execz .LBB855_77
.LBB855_122:
	v_mov_b32_e32 v3, 0
	s_and_saveexec_b32 s24, s71
; %bb.123:
	v_fma_f32 v3, -v2, v57, v56
	s_delay_alu instid0(VALU_DEP_1) | instskip(SKIP_1) | instid1(VALU_DEP_2)
	v_bfe_u32 v4, v3, 16, 1
	v_cmp_o_f32_e64 s0, v3, v3
	v_add3_u32 v4, v3, v4, 0x7fff
	s_delay_alu instid0(VALU_DEP_1) | instskip(NEXT) | instid1(VALU_DEP_1)
	v_lshrrev_b32_e32 v4, 16, v4
	v_cndmask_b32_e64 v3, 0x7fc0, v4, s0
; %bb.124:
	s_or_b32 exec_lo, exec_lo, s24
	global_store_b16 v[0:1], v3, off offset:512
	s_or_b32 exec_lo, exec_lo, s25
	s_and_saveexec_b32 s24, s23
	s_cbranch_execz .LBB855_78
.LBB855_125:
	v_mov_b32_e32 v3, 0
	s_and_saveexec_b32 s23, s70
; %bb.126:
	v_fma_f32 v3, -v2, v54, v47
	s_delay_alu instid0(VALU_DEP_1) | instskip(SKIP_1) | instid1(VALU_DEP_2)
	v_bfe_u32 v4, v3, 16, 1
	v_cmp_o_f32_e64 s0, v3, v3
	v_add3_u32 v4, v3, v4, 0x7fff
	s_delay_alu instid0(VALU_DEP_1) | instskip(NEXT) | instid1(VALU_DEP_1)
	v_lshrrev_b32_e32 v4, 16, v4
	v_cndmask_b32_e64 v3, 0x7fc0, v4, s0
; %bb.127:
	s_or_b32 exec_lo, exec_lo, s23
	global_store_b16 v[0:1], v3, off offset:576
	s_or_b32 exec_lo, exec_lo, s24
	s_and_saveexec_b32 s23, s22
	s_cbranch_execz .LBB855_79
.LBB855_128:
	v_mov_b32_e32 v3, 0
	s_and_saveexec_b32 s22, s69
; %bb.129:
	v_fma_f32 v3, -v2, v53, v52
	s_delay_alu instid0(VALU_DEP_1) | instskip(SKIP_1) | instid1(VALU_DEP_2)
	v_bfe_u32 v4, v3, 16, 1
	v_cmp_o_f32_e64 s0, v3, v3
	v_add3_u32 v4, v3, v4, 0x7fff
	s_delay_alu instid0(VALU_DEP_1) | instskip(NEXT) | instid1(VALU_DEP_1)
	v_lshrrev_b32_e32 v4, 16, v4
	v_cndmask_b32_e64 v3, 0x7fc0, v4, s0
; %bb.130:
	s_or_b32 exec_lo, exec_lo, s22
	global_store_b16 v[0:1], v3, off offset:640
	s_or_b32 exec_lo, exec_lo, s23
	s_and_saveexec_b32 s22, s21
	s_cbranch_execz .LBB855_80
.LBB855_131:
	v_mov_b32_e32 v3, 0
	s_and_saveexec_b32 s21, s68
; %bb.132:
	v_fma_f32 v3, -v2, v50, v43
	s_delay_alu instid0(VALU_DEP_1) | instskip(SKIP_1) | instid1(VALU_DEP_2)
	v_bfe_u32 v4, v3, 16, 1
	v_cmp_o_f32_e64 s0, v3, v3
	v_add3_u32 v4, v3, v4, 0x7fff
	s_delay_alu instid0(VALU_DEP_1) | instskip(NEXT) | instid1(VALU_DEP_1)
	v_lshrrev_b32_e32 v4, 16, v4
	v_cndmask_b32_e64 v3, 0x7fc0, v4, s0
; %bb.133:
	s_or_b32 exec_lo, exec_lo, s21
	global_store_b16 v[0:1], v3, off offset:704
	s_or_b32 exec_lo, exec_lo, s22
	s_and_saveexec_b32 s21, s20
	s_cbranch_execz .LBB855_81
.LBB855_134:
	v_mov_b32_e32 v3, 0
	s_and_saveexec_b32 s20, s67
; %bb.135:
	v_fma_f32 v3, -v2, v49, v48
	s_delay_alu instid0(VALU_DEP_1) | instskip(SKIP_1) | instid1(VALU_DEP_2)
	v_bfe_u32 v4, v3, 16, 1
	v_cmp_o_f32_e64 s0, v3, v3
	v_add3_u32 v4, v3, v4, 0x7fff
	s_delay_alu instid0(VALU_DEP_1) | instskip(NEXT) | instid1(VALU_DEP_1)
	v_lshrrev_b32_e32 v4, 16, v4
	v_cndmask_b32_e64 v3, 0x7fc0, v4, s0
; %bb.136:
	s_or_b32 exec_lo, exec_lo, s20
	global_store_b16 v[0:1], v3, off offset:768
	s_or_b32 exec_lo, exec_lo, s21
	s_and_saveexec_b32 s20, s19
	s_cbranch_execz .LBB855_82
.LBB855_137:
	v_mov_b32_e32 v3, 0
	s_and_saveexec_b32 s19, s66
; %bb.138:
	v_fma_f32 v3, -v2, v46, v39
	s_delay_alu instid0(VALU_DEP_1) | instskip(SKIP_1) | instid1(VALU_DEP_2)
	v_bfe_u32 v4, v3, 16, 1
	v_cmp_o_f32_e64 s0, v3, v3
	v_add3_u32 v4, v3, v4, 0x7fff
	s_delay_alu instid0(VALU_DEP_1) | instskip(NEXT) | instid1(VALU_DEP_1)
	v_lshrrev_b32_e32 v4, 16, v4
	v_cndmask_b32_e64 v3, 0x7fc0, v4, s0
; %bb.139:
	s_or_b32 exec_lo, exec_lo, s19
	global_store_b16 v[0:1], v3, off offset:832
	s_or_b32 exec_lo, exec_lo, s20
	s_and_saveexec_b32 s19, s18
	s_cbranch_execz .LBB855_83
.LBB855_140:
	v_mov_b32_e32 v3, 0
	s_and_saveexec_b32 s18, s65
; %bb.141:
	v_fma_f32 v3, -v2, v45, v44
	s_delay_alu instid0(VALU_DEP_1) | instskip(SKIP_1) | instid1(VALU_DEP_2)
	v_bfe_u32 v4, v3, 16, 1
	v_cmp_o_f32_e64 s0, v3, v3
	v_add3_u32 v4, v3, v4, 0x7fff
	s_delay_alu instid0(VALU_DEP_1) | instskip(NEXT) | instid1(VALU_DEP_1)
	v_lshrrev_b32_e32 v4, 16, v4
	v_cndmask_b32_e64 v3, 0x7fc0, v4, s0
; %bb.142:
	s_or_b32 exec_lo, exec_lo, s18
	global_store_b16 v[0:1], v3, off offset:896
	s_or_b32 exec_lo, exec_lo, s19
	s_and_saveexec_b32 s18, s17
	s_cbranch_execz .LBB855_84
.LBB855_143:
	v_mov_b32_e32 v3, 0
	s_and_saveexec_b32 s17, s64
; %bb.144:
	v_fma_f32 v3, -v2, v42, v35
	s_delay_alu instid0(VALU_DEP_1) | instskip(SKIP_1) | instid1(VALU_DEP_2)
	v_bfe_u32 v4, v3, 16, 1
	v_cmp_o_f32_e64 s0, v3, v3
	v_add3_u32 v4, v3, v4, 0x7fff
	s_delay_alu instid0(VALU_DEP_1) | instskip(NEXT) | instid1(VALU_DEP_1)
	v_lshrrev_b32_e32 v4, 16, v4
	v_cndmask_b32_e64 v3, 0x7fc0, v4, s0
; %bb.145:
	s_or_b32 exec_lo, exec_lo, s17
	global_store_b16 v[0:1], v3, off offset:960
	s_or_b32 exec_lo, exec_lo, s18
	s_and_saveexec_b32 s17, s16
	s_cbranch_execz .LBB855_85
.LBB855_146:
	v_mov_b32_e32 v3, 0
	s_and_saveexec_b32 s16, s47
; %bb.147:
	v_fma_f32 v3, -v2, v41, v40
	s_delay_alu instid0(VALU_DEP_1) | instskip(SKIP_1) | instid1(VALU_DEP_2)
	v_bfe_u32 v4, v3, 16, 1
	v_cmp_o_f32_e64 s0, v3, v3
	v_add3_u32 v4, v3, v4, 0x7fff
	s_delay_alu instid0(VALU_DEP_1) | instskip(NEXT) | instid1(VALU_DEP_1)
	v_lshrrev_b32_e32 v4, 16, v4
	v_cndmask_b32_e64 v3, 0x7fc0, v4, s0
; %bb.148:
	s_or_b32 exec_lo, exec_lo, s16
	global_store_b16 v[0:1], v3, off offset:1024
	s_or_b32 exec_lo, exec_lo, s17
	s_and_saveexec_b32 s16, s15
	s_cbranch_execz .LBB855_86
.LBB855_149:
	v_mov_b32_e32 v3, 0
	s_and_saveexec_b32 s15, s46
; %bb.150:
	v_fma_f32 v3, -v2, v38, v31
	s_delay_alu instid0(VALU_DEP_1) | instskip(SKIP_1) | instid1(VALU_DEP_2)
	v_bfe_u32 v4, v3, 16, 1
	v_cmp_o_f32_e64 s0, v3, v3
	v_add3_u32 v4, v3, v4, 0x7fff
	s_delay_alu instid0(VALU_DEP_1) | instskip(NEXT) | instid1(VALU_DEP_1)
	v_lshrrev_b32_e32 v4, 16, v4
	v_cndmask_b32_e64 v3, 0x7fc0, v4, s0
; %bb.151:
	s_or_b32 exec_lo, exec_lo, s15
	global_store_b16 v[0:1], v3, off offset:1088
	s_or_b32 exec_lo, exec_lo, s16
	s_and_saveexec_b32 s15, s14
	s_cbranch_execz .LBB855_87
.LBB855_152:
	v_mov_b32_e32 v3, 0
	s_and_saveexec_b32 s14, s45
; %bb.153:
	v_fma_f32 v3, -v2, v37, v36
	s_delay_alu instid0(VALU_DEP_1) | instskip(SKIP_1) | instid1(VALU_DEP_2)
	v_bfe_u32 v4, v3, 16, 1
	v_cmp_o_f32_e64 s0, v3, v3
	v_add3_u32 v4, v3, v4, 0x7fff
	s_delay_alu instid0(VALU_DEP_1) | instskip(NEXT) | instid1(VALU_DEP_1)
	v_lshrrev_b32_e32 v4, 16, v4
	v_cndmask_b32_e64 v3, 0x7fc0, v4, s0
; %bb.154:
	s_or_b32 exec_lo, exec_lo, s14
	global_store_b16 v[0:1], v3, off offset:1152
	s_or_b32 exec_lo, exec_lo, s15
	s_and_saveexec_b32 s14, s13
	s_cbranch_execz .LBB855_88
.LBB855_155:
	v_mov_b32_e32 v3, 0
	s_and_saveexec_b32 s13, s44
; %bb.156:
	v_fma_f32 v3, -v2, v34, v27
	s_delay_alu instid0(VALU_DEP_1) | instskip(SKIP_1) | instid1(VALU_DEP_2)
	v_bfe_u32 v4, v3, 16, 1
	v_cmp_o_f32_e64 s0, v3, v3
	v_add3_u32 v4, v3, v4, 0x7fff
	s_delay_alu instid0(VALU_DEP_1) | instskip(NEXT) | instid1(VALU_DEP_1)
	v_lshrrev_b32_e32 v4, 16, v4
	v_cndmask_b32_e64 v3, 0x7fc0, v4, s0
; %bb.157:
	s_or_b32 exec_lo, exec_lo, s13
	global_store_b16 v[0:1], v3, off offset:1216
	s_or_b32 exec_lo, exec_lo, s14
	s_and_saveexec_b32 s13, s12
	s_cbranch_execz .LBB855_89
.LBB855_158:
	v_mov_b32_e32 v3, 0
	s_and_saveexec_b32 s12, s43
; %bb.159:
	v_fma_f32 v3, -v2, v33, v32
	s_delay_alu instid0(VALU_DEP_1) | instskip(SKIP_1) | instid1(VALU_DEP_2)
	v_bfe_u32 v4, v3, 16, 1
	v_cmp_o_f32_e64 s0, v3, v3
	v_add3_u32 v4, v3, v4, 0x7fff
	s_delay_alu instid0(VALU_DEP_1) | instskip(NEXT) | instid1(VALU_DEP_1)
	v_lshrrev_b32_e32 v4, 16, v4
	v_cndmask_b32_e64 v3, 0x7fc0, v4, s0
; %bb.160:
	s_or_b32 exec_lo, exec_lo, s12
	global_store_b16 v[0:1], v3, off offset:1280
	s_or_b32 exec_lo, exec_lo, s13
	s_and_saveexec_b32 s12, s11
	s_cbranch_execz .LBB855_90
.LBB855_161:
	v_mov_b32_e32 v3, 0
	s_and_saveexec_b32 s11, s42
; %bb.162:
	v_fma_f32 v3, -v2, v30, v23
	s_delay_alu instid0(VALU_DEP_1) | instskip(SKIP_1) | instid1(VALU_DEP_2)
	v_bfe_u32 v4, v3, 16, 1
	v_cmp_o_f32_e64 s0, v3, v3
	v_add3_u32 v4, v3, v4, 0x7fff
	s_delay_alu instid0(VALU_DEP_1) | instskip(NEXT) | instid1(VALU_DEP_1)
	v_lshrrev_b32_e32 v4, 16, v4
	v_cndmask_b32_e64 v3, 0x7fc0, v4, s0
; %bb.163:
	s_or_b32 exec_lo, exec_lo, s11
	global_store_b16 v[0:1], v3, off offset:1344
	s_or_b32 exec_lo, exec_lo, s12
	s_and_saveexec_b32 s11, s10
	s_cbranch_execz .LBB855_91
.LBB855_164:
	v_mov_b32_e32 v3, 0
	s_and_saveexec_b32 s10, s41
; %bb.165:
	v_fma_f32 v3, -v2, v29, v28
	s_delay_alu instid0(VALU_DEP_1) | instskip(SKIP_1) | instid1(VALU_DEP_2)
	v_bfe_u32 v4, v3, 16, 1
	v_cmp_o_f32_e64 s0, v3, v3
	v_add3_u32 v4, v3, v4, 0x7fff
	s_delay_alu instid0(VALU_DEP_1) | instskip(NEXT) | instid1(VALU_DEP_1)
	v_lshrrev_b32_e32 v4, 16, v4
	v_cndmask_b32_e64 v3, 0x7fc0, v4, s0
; %bb.166:
	s_or_b32 exec_lo, exec_lo, s10
	global_store_b16 v[0:1], v3, off offset:1408
	s_or_b32 exec_lo, exec_lo, s11
	s_and_saveexec_b32 s10, s9
	s_cbranch_execz .LBB855_92
.LBB855_167:
	v_mov_b32_e32 v3, 0
	s_and_saveexec_b32 s9, s40
; %bb.168:
	v_fma_f32 v3, -v2, v26, v19
	s_delay_alu instid0(VALU_DEP_1) | instskip(SKIP_1) | instid1(VALU_DEP_2)
	v_bfe_u32 v4, v3, 16, 1
	v_cmp_o_f32_e64 s0, v3, v3
	v_add3_u32 v4, v3, v4, 0x7fff
	s_delay_alu instid0(VALU_DEP_1) | instskip(NEXT) | instid1(VALU_DEP_1)
	v_lshrrev_b32_e32 v4, 16, v4
	v_cndmask_b32_e64 v3, 0x7fc0, v4, s0
; %bb.169:
	s_or_b32 exec_lo, exec_lo, s9
	global_store_b16 v[0:1], v3, off offset:1472
	s_or_b32 exec_lo, exec_lo, s10
	s_and_saveexec_b32 s9, s8
	s_cbranch_execz .LBB855_93
.LBB855_170:
	v_mov_b32_e32 v3, 0
	s_and_saveexec_b32 s8, s39
; %bb.171:
	v_fma_f32 v3, -v2, v25, v24
	s_delay_alu instid0(VALU_DEP_1) | instskip(SKIP_1) | instid1(VALU_DEP_2)
	v_bfe_u32 v4, v3, 16, 1
	v_cmp_o_f32_e64 s0, v3, v3
	v_add3_u32 v4, v3, v4, 0x7fff
	s_delay_alu instid0(VALU_DEP_1) | instskip(NEXT) | instid1(VALU_DEP_1)
	v_lshrrev_b32_e32 v4, 16, v4
	v_cndmask_b32_e64 v3, 0x7fc0, v4, s0
; %bb.172:
	s_or_b32 exec_lo, exec_lo, s8
	global_store_b16 v[0:1], v3, off offset:1536
	s_or_b32 exec_lo, exec_lo, s9
	s_and_saveexec_b32 s8, s7
	s_cbranch_execz .LBB855_94
.LBB855_173:
	v_mov_b32_e32 v3, 0
	s_and_saveexec_b32 s7, s38
; %bb.174:
	v_fma_f32 v3, -v2, v22, v15
	s_delay_alu instid0(VALU_DEP_1) | instskip(SKIP_1) | instid1(VALU_DEP_2)
	v_bfe_u32 v4, v3, 16, 1
	v_cmp_o_f32_e64 s0, v3, v3
	v_add3_u32 v4, v3, v4, 0x7fff
	s_delay_alu instid0(VALU_DEP_1) | instskip(NEXT) | instid1(VALU_DEP_1)
	v_lshrrev_b32_e32 v4, 16, v4
	v_cndmask_b32_e64 v3, 0x7fc0, v4, s0
; %bb.175:
	s_or_b32 exec_lo, exec_lo, s7
	global_store_b16 v[0:1], v3, off offset:1600
	s_or_b32 exec_lo, exec_lo, s8
	s_and_saveexec_b32 s7, s6
	s_cbranch_execz .LBB855_95
.LBB855_176:
	v_mov_b32_e32 v3, 0
	s_and_saveexec_b32 s6, s37
; %bb.177:
	v_fma_f32 v3, -v2, v21, v20
	s_delay_alu instid0(VALU_DEP_1) | instskip(SKIP_1) | instid1(VALU_DEP_2)
	v_bfe_u32 v4, v3, 16, 1
	v_cmp_o_f32_e64 s0, v3, v3
	v_add3_u32 v4, v3, v4, 0x7fff
	s_delay_alu instid0(VALU_DEP_1) | instskip(NEXT) | instid1(VALU_DEP_1)
	v_lshrrev_b32_e32 v4, 16, v4
	v_cndmask_b32_e64 v3, 0x7fc0, v4, s0
; %bb.178:
	s_or_b32 exec_lo, exec_lo, s6
	global_store_b16 v[0:1], v3, off offset:1664
	s_or_b32 exec_lo, exec_lo, s7
	s_and_saveexec_b32 s6, s5
	s_cbranch_execz .LBB855_96
.LBB855_179:
	v_mov_b32_e32 v3, 0
	s_and_saveexec_b32 s5, s36
; %bb.180:
	v_fma_f32 v3, -v2, v18, v11
	s_delay_alu instid0(VALU_DEP_1) | instskip(SKIP_1) | instid1(VALU_DEP_2)
	v_bfe_u32 v4, v3, 16, 1
	v_cmp_o_f32_e64 s0, v3, v3
	v_add3_u32 v4, v3, v4, 0x7fff
	s_delay_alu instid0(VALU_DEP_1) | instskip(NEXT) | instid1(VALU_DEP_1)
	v_lshrrev_b32_e32 v4, 16, v4
	v_cndmask_b32_e64 v3, 0x7fc0, v4, s0
; %bb.181:
	s_or_b32 exec_lo, exec_lo, s5
	global_store_b16 v[0:1], v3, off offset:1728
	s_or_b32 exec_lo, exec_lo, s6
	s_and_saveexec_b32 s5, s4
	s_cbranch_execz .LBB855_97
.LBB855_182:
	v_mov_b32_e32 v3, 0
	s_and_saveexec_b32 s4, s35
; %bb.183:
	v_fma_f32 v3, -v2, v17, v16
	s_delay_alu instid0(VALU_DEP_1) | instskip(SKIP_1) | instid1(VALU_DEP_2)
	v_bfe_u32 v4, v3, 16, 1
	v_cmp_o_f32_e64 s0, v3, v3
	v_add3_u32 v4, v3, v4, 0x7fff
	s_delay_alu instid0(VALU_DEP_1) | instskip(NEXT) | instid1(VALU_DEP_1)
	v_lshrrev_b32_e32 v4, 16, v4
	v_cndmask_b32_e64 v3, 0x7fc0, v4, s0
; %bb.184:
	s_or_b32 exec_lo, exec_lo, s4
	global_store_b16 v[0:1], v3, off offset:1792
	s_or_b32 exec_lo, exec_lo, s5
	s_and_saveexec_b32 s4, s3
	s_cbranch_execz .LBB855_98
.LBB855_185:
	v_mov_b32_e32 v3, 0
	s_and_saveexec_b32 s3, s34
; %bb.186:
	v_fma_f32 v3, -v2, v14, v9
	s_delay_alu instid0(VALU_DEP_1) | instskip(SKIP_1) | instid1(VALU_DEP_2)
	v_bfe_u32 v4, v3, 16, 1
	v_cmp_o_f32_e64 s0, v3, v3
	v_add3_u32 v4, v3, v4, 0x7fff
	s_delay_alu instid0(VALU_DEP_1) | instskip(NEXT) | instid1(VALU_DEP_1)
	v_lshrrev_b32_e32 v4, 16, v4
	v_cndmask_b32_e64 v3, 0x7fc0, v4, s0
; %bb.187:
	s_or_b32 exec_lo, exec_lo, s3
	global_store_b16 v[0:1], v3, off offset:1856
	s_or_b32 exec_lo, exec_lo, s4
	s_and_saveexec_b32 s3, s2
	s_cbranch_execz .LBB855_99
.LBB855_188:
	v_mov_b32_e32 v3, 0
	s_and_saveexec_b32 s2, s33
; %bb.189:
	v_fma_f32 v3, -v2, v13, v12
	s_delay_alu instid0(VALU_DEP_1) | instskip(SKIP_1) | instid1(VALU_DEP_2)
	v_bfe_u32 v4, v3, 16, 1
	v_cmp_o_f32_e64 s0, v3, v3
	v_add3_u32 v4, v3, v4, 0x7fff
	s_delay_alu instid0(VALU_DEP_1) | instskip(NEXT) | instid1(VALU_DEP_1)
	v_lshrrev_b32_e32 v4, 16, v4
	v_cndmask_b32_e64 v3, 0x7fc0, v4, s0
; %bb.190:
	s_or_b32 exec_lo, exec_lo, s2
	global_store_b16 v[0:1], v3, off offset:1920
	s_or_b32 exec_lo, exec_lo, s3
	s_delay_alu instid0(SALU_CYCLE_1)
	s_and_b32 exec_lo, exec_lo, vcc_lo
	s_cbranch_execz .LBB855_100
.LBB855_191:
	v_mov_b32_e32 v3, 0
	s_and_saveexec_b32 s0, s1
; %bb.192:
	v_fma_f32 v2, -v2, v10, v8
	s_delay_alu instid0(VALU_DEP_1) | instskip(SKIP_1) | instid1(VALU_DEP_2)
	v_bfe_u32 v3, v2, 16, 1
	v_cmp_o_f32_e32 vcc_lo, v2, v2
	v_add3_u32 v3, v2, v3, 0x7fff
	s_delay_alu instid0(VALU_DEP_1) | instskip(NEXT) | instid1(VALU_DEP_1)
	v_lshrrev_b32_e32 v3, 16, v3
	v_cndmask_b32_e32 v3, 0x7fc0, v3, vcc_lo
; %bb.193:
	s_or_b32 exec_lo, exec_lo, s0
	global_store_b16 v[0:1], v3, off offset:1984
	s_nop 0
	s_sendmsg sendmsg(MSG_DEALLOC_VGPRS)
	s_endpgm
	.section	.rodata,"a",@progbits
	.p2align	6, 0x0
	.amdhsa_kernel _ZN12_GLOBAL__N_121softmax_warp_backwardIN3c108BFloat16ES2_fLi10ELb0ELb1ELi32EEEvPT0_PKT_S7_iiiPKb
		.amdhsa_group_segment_fixed_size 0
		.amdhsa_private_segment_fixed_size 0
		.amdhsa_kernarg_size 304
		.amdhsa_user_sgpr_count 15
		.amdhsa_user_sgpr_dispatch_ptr 0
		.amdhsa_user_sgpr_queue_ptr 0
		.amdhsa_user_sgpr_kernarg_segment_ptr 1
		.amdhsa_user_sgpr_dispatch_id 0
		.amdhsa_user_sgpr_private_segment_size 0
		.amdhsa_wavefront_size32 1
		.amdhsa_uses_dynamic_stack 0
		.amdhsa_enable_private_segment 0
		.amdhsa_system_sgpr_workgroup_id_x 1
		.amdhsa_system_sgpr_workgroup_id_y 0
		.amdhsa_system_sgpr_workgroup_id_z 0
		.amdhsa_system_sgpr_workgroup_info 0
		.amdhsa_system_vgpr_workitem_id 1
		.amdhsa_next_free_vgpr 73
		.amdhsa_next_free_sgpr 78
		.amdhsa_reserve_vcc 1
		.amdhsa_float_round_mode_32 0
		.amdhsa_float_round_mode_16_64 0
		.amdhsa_float_denorm_mode_32 3
		.amdhsa_float_denorm_mode_16_64 3
		.amdhsa_dx10_clamp 1
		.amdhsa_ieee_mode 1
		.amdhsa_fp16_overflow 0
		.amdhsa_workgroup_processor_mode 1
		.amdhsa_memory_ordered 1
		.amdhsa_forward_progress 0
		.amdhsa_shared_vgpr_count 0
		.amdhsa_exception_fp_ieee_invalid_op 0
		.amdhsa_exception_fp_denorm_src 0
		.amdhsa_exception_fp_ieee_div_zero 0
		.amdhsa_exception_fp_ieee_overflow 0
		.amdhsa_exception_fp_ieee_underflow 0
		.amdhsa_exception_fp_ieee_inexact 0
		.amdhsa_exception_int_div_zero 0
	.end_amdhsa_kernel
	.section	.text._ZN12_GLOBAL__N_121softmax_warp_backwardIN3c108BFloat16ES2_fLi10ELb0ELb1ELi32EEEvPT0_PKT_S7_iiiPKb,"axG",@progbits,_ZN12_GLOBAL__N_121softmax_warp_backwardIN3c108BFloat16ES2_fLi10ELb0ELb1ELi32EEEvPT0_PKT_S7_iiiPKb,comdat
.Lfunc_end855:
	.size	_ZN12_GLOBAL__N_121softmax_warp_backwardIN3c108BFloat16ES2_fLi10ELb0ELb1ELi32EEEvPT0_PKT_S7_iiiPKb, .Lfunc_end855-_ZN12_GLOBAL__N_121softmax_warp_backwardIN3c108BFloat16ES2_fLi10ELb0ELb1ELi32EEEvPT0_PKT_S7_iiiPKb
                                        ; -- End function
	.section	.AMDGPU.csdata,"",@progbits
; Kernel info:
; codeLenInByte = 7724
; NumSgprs: 80
; NumVgprs: 73
; ScratchSize: 0
; MemoryBound: 0
; FloatMode: 240
; IeeeMode: 1
; LDSByteSize: 0 bytes/workgroup (compile time only)
; SGPRBlocks: 9
; VGPRBlocks: 9
; NumSGPRsForWavesPerEU: 80
; NumVGPRsForWavesPerEU: 73
; Occupancy: 16
; WaveLimiterHint : 0
; COMPUTE_PGM_RSRC2:SCRATCH_EN: 0
; COMPUTE_PGM_RSRC2:USER_SGPR: 15
; COMPUTE_PGM_RSRC2:TRAP_HANDLER: 0
; COMPUTE_PGM_RSRC2:TGID_X_EN: 1
; COMPUTE_PGM_RSRC2:TGID_Y_EN: 0
; COMPUTE_PGM_RSRC2:TGID_Z_EN: 0
; COMPUTE_PGM_RSRC2:TIDIG_COMP_CNT: 1
	.text
	.p2alignl 7, 3214868480
	.fill 96, 4, 3214868480
	.type	__hip_cuid_b0dc83a17c257886,@object ; @__hip_cuid_b0dc83a17c257886
	.section	.bss,"aw",@nobits
	.globl	__hip_cuid_b0dc83a17c257886
__hip_cuid_b0dc83a17c257886:
	.byte	0                               ; 0x0
	.size	__hip_cuid_b0dc83a17c257886, 1

	.ident	"AMD clang version 19.0.0git (https://github.com/RadeonOpenCompute/llvm-project roc-6.4.0 25133 c7fe45cf4b819c5991fe208aaa96edf142730f1d)"
	.section	".note.GNU-stack","",@progbits
	.addrsig
	.addrsig_sym __hip_cuid_b0dc83a17c257886
	.amdgpu_metadata
---
amdhsa.kernels:
  - .args:
      - .address_space:  global
        .offset:         0
        .size:           8
        .value_kind:     global_buffer
      - .address_space:  global
        .offset:         8
        .size:           8
        .value_kind:     global_buffer
      - .offset:         16
        .size:           4
        .value_kind:     by_value
      - .offset:         20
        .size:           4
        .value_kind:     by_value
      - .offset:         24
        .size:           4
        .value_kind:     by_value
      - .address_space:  global
        .offset:         32
        .size:           8
        .value_kind:     global_buffer
      - .offset:         40
        .size:           4
        .value_kind:     by_value
      - .offset:         44
        .size:           1
        .value_kind:     by_value
      - .offset:         48
        .size:           4
        .value_kind:     hidden_block_count_x
      - .offset:         52
        .size:           4
        .value_kind:     hidden_block_count_y
      - .offset:         56
        .size:           4
        .value_kind:     hidden_block_count_z
      - .offset:         60
        .size:           2
        .value_kind:     hidden_group_size_x
      - .offset:         62
        .size:           2
        .value_kind:     hidden_group_size_y
      - .offset:         64
        .size:           2
        .value_kind:     hidden_group_size_z
      - .offset:         66
        .size:           2
        .value_kind:     hidden_remainder_x
      - .offset:         68
        .size:           2
        .value_kind:     hidden_remainder_y
      - .offset:         70
        .size:           2
        .value_kind:     hidden_remainder_z
      - .offset:         88
        .size:           8
        .value_kind:     hidden_global_offset_x
      - .offset:         96
        .size:           8
        .value_kind:     hidden_global_offset_y
      - .offset:         104
        .size:           8
        .value_kind:     hidden_global_offset_z
      - .offset:         112
        .size:           2
        .value_kind:     hidden_grid_dims
    .group_segment_fixed_size: 0
    .kernarg_segment_align: 8
    .kernarg_segment_size: 304
    .language:       OpenCL C
    .language_version:
      - 2
      - 0
    .max_flat_workgroup_size: 1024
    .name:           _ZN12_GLOBAL__N_120softmax_warp_forwardIdddLi0ELb1ELb0ELi64EEEvPT0_PKT_iiiPKbib
    .private_segment_fixed_size: 0
    .sgpr_count:     18
    .sgpr_spill_count: 0
    .symbol:         _ZN12_GLOBAL__N_120softmax_warp_forwardIdddLi0ELb1ELb0ELi64EEEvPT0_PKT_iiiPKbib.kd
    .uniform_work_group_size: 1
    .uses_dynamic_stack: false
    .vgpr_count:     29
    .vgpr_spill_count: 0
    .wavefront_size: 32
    .workgroup_processor_mode: 1
  - .args:
      - .address_space:  global
        .offset:         0
        .size:           8
        .value_kind:     global_buffer
      - .address_space:  global
        .offset:         8
        .size:           8
        .value_kind:     global_buffer
      - .offset:         16
        .size:           4
        .value_kind:     by_value
      - .offset:         20
        .size:           4
        .value_kind:     by_value
      - .offset:         24
        .size:           4
        .value_kind:     by_value
      - .address_space:  global
        .offset:         32
        .size:           8
        .value_kind:     global_buffer
      - .offset:         40
        .size:           4
        .value_kind:     by_value
      - .offset:         44
        .size:           1
        .value_kind:     by_value
      - .offset:         48
        .size:           4
        .value_kind:     hidden_block_count_x
      - .offset:         52
        .size:           4
        .value_kind:     hidden_block_count_y
      - .offset:         56
        .size:           4
        .value_kind:     hidden_block_count_z
      - .offset:         60
        .size:           2
        .value_kind:     hidden_group_size_x
      - .offset:         62
        .size:           2
        .value_kind:     hidden_group_size_y
      - .offset:         64
        .size:           2
        .value_kind:     hidden_group_size_z
      - .offset:         66
        .size:           2
        .value_kind:     hidden_remainder_x
      - .offset:         68
        .size:           2
        .value_kind:     hidden_remainder_y
      - .offset:         70
        .size:           2
        .value_kind:     hidden_remainder_z
      - .offset:         88
        .size:           8
        .value_kind:     hidden_global_offset_x
      - .offset:         96
        .size:           8
        .value_kind:     hidden_global_offset_y
      - .offset:         104
        .size:           8
        .value_kind:     hidden_global_offset_z
      - .offset:         112
        .size:           2
        .value_kind:     hidden_grid_dims
    .group_segment_fixed_size: 0
    .kernarg_segment_align: 8
    .kernarg_segment_size: 304
    .language:       OpenCL C
    .language_version:
      - 2
      - 0
    .max_flat_workgroup_size: 1024
    .name:           _ZN12_GLOBAL__N_120softmax_warp_forwardIdddLi0ELb1ELb0ELi32EEEvPT0_PKT_iiiPKbib
    .private_segment_fixed_size: 0
    .sgpr_count:     18
    .sgpr_spill_count: 0
    .symbol:         _ZN12_GLOBAL__N_120softmax_warp_forwardIdddLi0ELb1ELb0ELi32EEEvPT0_PKT_iiiPKbib.kd
    .uniform_work_group_size: 1
    .uses_dynamic_stack: false
    .vgpr_count:     29
    .vgpr_spill_count: 0
    .wavefront_size: 32
    .workgroup_processor_mode: 1
  - .args:
      - .address_space:  global
        .offset:         0
        .size:           8
        .value_kind:     global_buffer
      - .address_space:  global
        .offset:         8
        .size:           8
        .value_kind:     global_buffer
      - .offset:         16
        .size:           4
        .value_kind:     by_value
      - .offset:         20
        .size:           4
        .value_kind:     by_value
      - .offset:         24
        .size:           4
        .value_kind:     by_value
      - .address_space:  global
        .offset:         32
        .size:           8
        .value_kind:     global_buffer
      - .offset:         40
        .size:           4
        .value_kind:     by_value
      - .offset:         44
        .size:           1
        .value_kind:     by_value
      - .offset:         48
        .size:           4
        .value_kind:     hidden_block_count_x
      - .offset:         52
        .size:           4
        .value_kind:     hidden_block_count_y
      - .offset:         56
        .size:           4
        .value_kind:     hidden_block_count_z
      - .offset:         60
        .size:           2
        .value_kind:     hidden_group_size_x
      - .offset:         62
        .size:           2
        .value_kind:     hidden_group_size_y
      - .offset:         64
        .size:           2
        .value_kind:     hidden_group_size_z
      - .offset:         66
        .size:           2
        .value_kind:     hidden_remainder_x
      - .offset:         68
        .size:           2
        .value_kind:     hidden_remainder_y
      - .offset:         70
        .size:           2
        .value_kind:     hidden_remainder_z
      - .offset:         88
        .size:           8
        .value_kind:     hidden_global_offset_x
      - .offset:         96
        .size:           8
        .value_kind:     hidden_global_offset_y
      - .offset:         104
        .size:           8
        .value_kind:     hidden_global_offset_z
      - .offset:         112
        .size:           2
        .value_kind:     hidden_grid_dims
    .group_segment_fixed_size: 0
    .kernarg_segment_align: 8
    .kernarg_segment_size: 304
    .language:       OpenCL C
    .language_version:
      - 2
      - 0
    .max_flat_workgroup_size: 1024
    .name:           _ZN12_GLOBAL__N_120softmax_warp_forwardIdddLi1ELb1ELb0ELi64EEEvPT0_PKT_iiiPKbib
    .private_segment_fixed_size: 0
    .sgpr_count:     26
    .sgpr_spill_count: 0
    .symbol:         _ZN12_GLOBAL__N_120softmax_warp_forwardIdddLi1ELb1ELb0ELi64EEEvPT0_PKT_iiiPKbib.kd
    .uniform_work_group_size: 1
    .uses_dynamic_stack: false
    .vgpr_count:     31
    .vgpr_spill_count: 0
    .wavefront_size: 32
    .workgroup_processor_mode: 1
  - .args:
      - .address_space:  global
        .offset:         0
        .size:           8
        .value_kind:     global_buffer
      - .address_space:  global
        .offset:         8
        .size:           8
        .value_kind:     global_buffer
      - .offset:         16
        .size:           4
        .value_kind:     by_value
      - .offset:         20
        .size:           4
        .value_kind:     by_value
      - .offset:         24
        .size:           4
        .value_kind:     by_value
      - .address_space:  global
        .offset:         32
        .size:           8
        .value_kind:     global_buffer
      - .offset:         40
        .size:           4
        .value_kind:     by_value
      - .offset:         44
        .size:           1
        .value_kind:     by_value
      - .offset:         48
        .size:           4
        .value_kind:     hidden_block_count_x
      - .offset:         52
        .size:           4
        .value_kind:     hidden_block_count_y
      - .offset:         56
        .size:           4
        .value_kind:     hidden_block_count_z
      - .offset:         60
        .size:           2
        .value_kind:     hidden_group_size_x
      - .offset:         62
        .size:           2
        .value_kind:     hidden_group_size_y
      - .offset:         64
        .size:           2
        .value_kind:     hidden_group_size_z
      - .offset:         66
        .size:           2
        .value_kind:     hidden_remainder_x
      - .offset:         68
        .size:           2
        .value_kind:     hidden_remainder_y
      - .offset:         70
        .size:           2
        .value_kind:     hidden_remainder_z
      - .offset:         88
        .size:           8
        .value_kind:     hidden_global_offset_x
      - .offset:         96
        .size:           8
        .value_kind:     hidden_global_offset_y
      - .offset:         104
        .size:           8
        .value_kind:     hidden_global_offset_z
      - .offset:         112
        .size:           2
        .value_kind:     hidden_grid_dims
    .group_segment_fixed_size: 0
    .kernarg_segment_align: 8
    .kernarg_segment_size: 304
    .language:       OpenCL C
    .language_version:
      - 2
      - 0
    .max_flat_workgroup_size: 1024
    .name:           _ZN12_GLOBAL__N_120softmax_warp_forwardIdddLi1ELb1ELb0ELi32EEEvPT0_PKT_iiiPKbib
    .private_segment_fixed_size: 0
    .sgpr_count:     26
    .sgpr_spill_count: 0
    .symbol:         _ZN12_GLOBAL__N_120softmax_warp_forwardIdddLi1ELb1ELb0ELi32EEEvPT0_PKT_iiiPKbib.kd
    .uniform_work_group_size: 1
    .uses_dynamic_stack: false
    .vgpr_count:     31
    .vgpr_spill_count: 0
    .wavefront_size: 32
    .workgroup_processor_mode: 1
  - .args:
      - .address_space:  global
        .offset:         0
        .size:           8
        .value_kind:     global_buffer
      - .address_space:  global
        .offset:         8
        .size:           8
        .value_kind:     global_buffer
      - .offset:         16
        .size:           4
        .value_kind:     by_value
      - .offset:         20
        .size:           4
        .value_kind:     by_value
      - .offset:         24
        .size:           4
        .value_kind:     by_value
      - .address_space:  global
        .offset:         32
        .size:           8
        .value_kind:     global_buffer
      - .offset:         40
        .size:           4
        .value_kind:     by_value
      - .offset:         44
        .size:           1
        .value_kind:     by_value
      - .offset:         48
        .size:           4
        .value_kind:     hidden_block_count_x
      - .offset:         52
        .size:           4
        .value_kind:     hidden_block_count_y
      - .offset:         56
        .size:           4
        .value_kind:     hidden_block_count_z
      - .offset:         60
        .size:           2
        .value_kind:     hidden_group_size_x
      - .offset:         62
        .size:           2
        .value_kind:     hidden_group_size_y
      - .offset:         64
        .size:           2
        .value_kind:     hidden_group_size_z
      - .offset:         66
        .size:           2
        .value_kind:     hidden_remainder_x
      - .offset:         68
        .size:           2
        .value_kind:     hidden_remainder_y
      - .offset:         70
        .size:           2
        .value_kind:     hidden_remainder_z
      - .offset:         88
        .size:           8
        .value_kind:     hidden_global_offset_x
      - .offset:         96
        .size:           8
        .value_kind:     hidden_global_offset_y
      - .offset:         104
        .size:           8
        .value_kind:     hidden_global_offset_z
      - .offset:         112
        .size:           2
        .value_kind:     hidden_grid_dims
    .group_segment_fixed_size: 0
    .kernarg_segment_align: 8
    .kernarg_segment_size: 304
    .language:       OpenCL C
    .language_version:
      - 2
      - 0
    .max_flat_workgroup_size: 1024
    .name:           _ZN12_GLOBAL__N_120softmax_warp_forwardIdddLi2ELb1ELb0ELi64EEEvPT0_PKT_iiiPKbib
    .private_segment_fixed_size: 0
    .sgpr_count:     26
    .sgpr_spill_count: 0
    .symbol:         _ZN12_GLOBAL__N_120softmax_warp_forwardIdddLi2ELb1ELb0ELi64EEEvPT0_PKT_iiiPKbib.kd
    .uniform_work_group_size: 1
    .uses_dynamic_stack: false
    .vgpr_count:     31
    .vgpr_spill_count: 0
    .wavefront_size: 32
    .workgroup_processor_mode: 1
  - .args:
      - .address_space:  global
        .offset:         0
        .size:           8
        .value_kind:     global_buffer
      - .address_space:  global
        .offset:         8
        .size:           8
        .value_kind:     global_buffer
      - .offset:         16
        .size:           4
        .value_kind:     by_value
      - .offset:         20
        .size:           4
        .value_kind:     by_value
      - .offset:         24
        .size:           4
        .value_kind:     by_value
      - .address_space:  global
        .offset:         32
        .size:           8
        .value_kind:     global_buffer
      - .offset:         40
        .size:           4
        .value_kind:     by_value
      - .offset:         44
        .size:           1
        .value_kind:     by_value
      - .offset:         48
        .size:           4
        .value_kind:     hidden_block_count_x
      - .offset:         52
        .size:           4
        .value_kind:     hidden_block_count_y
      - .offset:         56
        .size:           4
        .value_kind:     hidden_block_count_z
      - .offset:         60
        .size:           2
        .value_kind:     hidden_group_size_x
      - .offset:         62
        .size:           2
        .value_kind:     hidden_group_size_y
      - .offset:         64
        .size:           2
        .value_kind:     hidden_group_size_z
      - .offset:         66
        .size:           2
        .value_kind:     hidden_remainder_x
      - .offset:         68
        .size:           2
        .value_kind:     hidden_remainder_y
      - .offset:         70
        .size:           2
        .value_kind:     hidden_remainder_z
      - .offset:         88
        .size:           8
        .value_kind:     hidden_global_offset_x
      - .offset:         96
        .size:           8
        .value_kind:     hidden_global_offset_y
      - .offset:         104
        .size:           8
        .value_kind:     hidden_global_offset_z
      - .offset:         112
        .size:           2
        .value_kind:     hidden_grid_dims
    .group_segment_fixed_size: 0
    .kernarg_segment_align: 8
    .kernarg_segment_size: 304
    .language:       OpenCL C
    .language_version:
      - 2
      - 0
    .max_flat_workgroup_size: 1024
    .name:           _ZN12_GLOBAL__N_120softmax_warp_forwardIdddLi2ELb1ELb0ELi32EEEvPT0_PKT_iiiPKbib
    .private_segment_fixed_size: 0
    .sgpr_count:     26
    .sgpr_spill_count: 0
    .symbol:         _ZN12_GLOBAL__N_120softmax_warp_forwardIdddLi2ELb1ELb0ELi32EEEvPT0_PKT_iiiPKbib.kd
    .uniform_work_group_size: 1
    .uses_dynamic_stack: false
    .vgpr_count:     31
    .vgpr_spill_count: 0
    .wavefront_size: 32
    .workgroup_processor_mode: 1
  - .args:
      - .address_space:  global
        .offset:         0
        .size:           8
        .value_kind:     global_buffer
      - .address_space:  global
        .offset:         8
        .size:           8
        .value_kind:     global_buffer
      - .offset:         16
        .size:           4
        .value_kind:     by_value
      - .offset:         20
        .size:           4
        .value_kind:     by_value
      - .offset:         24
        .size:           4
        .value_kind:     by_value
      - .address_space:  global
        .offset:         32
        .size:           8
        .value_kind:     global_buffer
      - .offset:         40
        .size:           4
        .value_kind:     by_value
      - .offset:         44
        .size:           1
        .value_kind:     by_value
      - .offset:         48
        .size:           4
        .value_kind:     hidden_block_count_x
      - .offset:         52
        .size:           4
        .value_kind:     hidden_block_count_y
      - .offset:         56
        .size:           4
        .value_kind:     hidden_block_count_z
      - .offset:         60
        .size:           2
        .value_kind:     hidden_group_size_x
      - .offset:         62
        .size:           2
        .value_kind:     hidden_group_size_y
      - .offset:         64
        .size:           2
        .value_kind:     hidden_group_size_z
      - .offset:         66
        .size:           2
        .value_kind:     hidden_remainder_x
      - .offset:         68
        .size:           2
        .value_kind:     hidden_remainder_y
      - .offset:         70
        .size:           2
        .value_kind:     hidden_remainder_z
      - .offset:         88
        .size:           8
        .value_kind:     hidden_global_offset_x
      - .offset:         96
        .size:           8
        .value_kind:     hidden_global_offset_y
      - .offset:         104
        .size:           8
        .value_kind:     hidden_global_offset_z
      - .offset:         112
        .size:           2
        .value_kind:     hidden_grid_dims
    .group_segment_fixed_size: 0
    .kernarg_segment_align: 8
    .kernarg_segment_size: 304
    .language:       OpenCL C
    .language_version:
      - 2
      - 0
    .max_flat_workgroup_size: 1024
    .name:           _ZN12_GLOBAL__N_120softmax_warp_forwardIdddLi3ELb1ELb0ELi64EEEvPT0_PKT_iiiPKbib
    .private_segment_fixed_size: 0
    .sgpr_count:     26
    .sgpr_spill_count: 0
    .symbol:         _ZN12_GLOBAL__N_120softmax_warp_forwardIdddLi3ELb1ELb0ELi64EEEvPT0_PKT_iiiPKbib.kd
    .uniform_work_group_size: 1
    .uses_dynamic_stack: false
    .vgpr_count:     31
    .vgpr_spill_count: 0
    .wavefront_size: 32
    .workgroup_processor_mode: 1
  - .args:
      - .address_space:  global
        .offset:         0
        .size:           8
        .value_kind:     global_buffer
      - .address_space:  global
        .offset:         8
        .size:           8
        .value_kind:     global_buffer
      - .offset:         16
        .size:           4
        .value_kind:     by_value
      - .offset:         20
        .size:           4
        .value_kind:     by_value
      - .offset:         24
        .size:           4
        .value_kind:     by_value
      - .address_space:  global
        .offset:         32
        .size:           8
        .value_kind:     global_buffer
      - .offset:         40
        .size:           4
        .value_kind:     by_value
      - .offset:         44
        .size:           1
        .value_kind:     by_value
      - .offset:         48
        .size:           4
        .value_kind:     hidden_block_count_x
      - .offset:         52
        .size:           4
        .value_kind:     hidden_block_count_y
      - .offset:         56
        .size:           4
        .value_kind:     hidden_block_count_z
      - .offset:         60
        .size:           2
        .value_kind:     hidden_group_size_x
      - .offset:         62
        .size:           2
        .value_kind:     hidden_group_size_y
      - .offset:         64
        .size:           2
        .value_kind:     hidden_group_size_z
      - .offset:         66
        .size:           2
        .value_kind:     hidden_remainder_x
      - .offset:         68
        .size:           2
        .value_kind:     hidden_remainder_y
      - .offset:         70
        .size:           2
        .value_kind:     hidden_remainder_z
      - .offset:         88
        .size:           8
        .value_kind:     hidden_global_offset_x
      - .offset:         96
        .size:           8
        .value_kind:     hidden_global_offset_y
      - .offset:         104
        .size:           8
        .value_kind:     hidden_global_offset_z
      - .offset:         112
        .size:           2
        .value_kind:     hidden_grid_dims
    .group_segment_fixed_size: 0
    .kernarg_segment_align: 8
    .kernarg_segment_size: 304
    .language:       OpenCL C
    .language_version:
      - 2
      - 0
    .max_flat_workgroup_size: 1024
    .name:           _ZN12_GLOBAL__N_120softmax_warp_forwardIdddLi3ELb1ELb0ELi32EEEvPT0_PKT_iiiPKbib
    .private_segment_fixed_size: 0
    .sgpr_count:     26
    .sgpr_spill_count: 0
    .symbol:         _ZN12_GLOBAL__N_120softmax_warp_forwardIdddLi3ELb1ELb0ELi32EEEvPT0_PKT_iiiPKbib.kd
    .uniform_work_group_size: 1
    .uses_dynamic_stack: false
    .vgpr_count:     31
    .vgpr_spill_count: 0
    .wavefront_size: 32
    .workgroup_processor_mode: 1
  - .args:
      - .address_space:  global
        .offset:         0
        .size:           8
        .value_kind:     global_buffer
      - .address_space:  global
        .offset:         8
        .size:           8
        .value_kind:     global_buffer
      - .offset:         16
        .size:           4
        .value_kind:     by_value
      - .offset:         20
        .size:           4
        .value_kind:     by_value
      - .offset:         24
        .size:           4
        .value_kind:     by_value
      - .address_space:  global
        .offset:         32
        .size:           8
        .value_kind:     global_buffer
      - .offset:         40
        .size:           4
        .value_kind:     by_value
      - .offset:         44
        .size:           1
        .value_kind:     by_value
      - .offset:         48
        .size:           4
        .value_kind:     hidden_block_count_x
      - .offset:         52
        .size:           4
        .value_kind:     hidden_block_count_y
      - .offset:         56
        .size:           4
        .value_kind:     hidden_block_count_z
      - .offset:         60
        .size:           2
        .value_kind:     hidden_group_size_x
      - .offset:         62
        .size:           2
        .value_kind:     hidden_group_size_y
      - .offset:         64
        .size:           2
        .value_kind:     hidden_group_size_z
      - .offset:         66
        .size:           2
        .value_kind:     hidden_remainder_x
      - .offset:         68
        .size:           2
        .value_kind:     hidden_remainder_y
      - .offset:         70
        .size:           2
        .value_kind:     hidden_remainder_z
      - .offset:         88
        .size:           8
        .value_kind:     hidden_global_offset_x
      - .offset:         96
        .size:           8
        .value_kind:     hidden_global_offset_y
      - .offset:         104
        .size:           8
        .value_kind:     hidden_global_offset_z
      - .offset:         112
        .size:           2
        .value_kind:     hidden_grid_dims
    .group_segment_fixed_size: 0
    .kernarg_segment_align: 8
    .kernarg_segment_size: 304
    .language:       OpenCL C
    .language_version:
      - 2
      - 0
    .max_flat_workgroup_size: 1024
    .name:           _ZN12_GLOBAL__N_120softmax_warp_forwardIdddLi4ELb1ELb0ELi64EEEvPT0_PKT_iiiPKbib
    .private_segment_fixed_size: 0
    .sgpr_count:     26
    .sgpr_spill_count: 0
    .symbol:         _ZN12_GLOBAL__N_120softmax_warp_forwardIdddLi4ELb1ELb0ELi64EEEvPT0_PKT_iiiPKbib.kd
    .uniform_work_group_size: 1
    .uses_dynamic_stack: false
    .vgpr_count:     31
    .vgpr_spill_count: 0
    .wavefront_size: 32
    .workgroup_processor_mode: 1
  - .args:
      - .address_space:  global
        .offset:         0
        .size:           8
        .value_kind:     global_buffer
      - .address_space:  global
        .offset:         8
        .size:           8
        .value_kind:     global_buffer
      - .offset:         16
        .size:           4
        .value_kind:     by_value
      - .offset:         20
        .size:           4
        .value_kind:     by_value
      - .offset:         24
        .size:           4
        .value_kind:     by_value
      - .address_space:  global
        .offset:         32
        .size:           8
        .value_kind:     global_buffer
      - .offset:         40
        .size:           4
        .value_kind:     by_value
      - .offset:         44
        .size:           1
        .value_kind:     by_value
      - .offset:         48
        .size:           4
        .value_kind:     hidden_block_count_x
      - .offset:         52
        .size:           4
        .value_kind:     hidden_block_count_y
      - .offset:         56
        .size:           4
        .value_kind:     hidden_block_count_z
      - .offset:         60
        .size:           2
        .value_kind:     hidden_group_size_x
      - .offset:         62
        .size:           2
        .value_kind:     hidden_group_size_y
      - .offset:         64
        .size:           2
        .value_kind:     hidden_group_size_z
      - .offset:         66
        .size:           2
        .value_kind:     hidden_remainder_x
      - .offset:         68
        .size:           2
        .value_kind:     hidden_remainder_y
      - .offset:         70
        .size:           2
        .value_kind:     hidden_remainder_z
      - .offset:         88
        .size:           8
        .value_kind:     hidden_global_offset_x
      - .offset:         96
        .size:           8
        .value_kind:     hidden_global_offset_y
      - .offset:         104
        .size:           8
        .value_kind:     hidden_global_offset_z
      - .offset:         112
        .size:           2
        .value_kind:     hidden_grid_dims
    .group_segment_fixed_size: 0
    .kernarg_segment_align: 8
    .kernarg_segment_size: 304
    .language:       OpenCL C
    .language_version:
      - 2
      - 0
    .max_flat_workgroup_size: 1024
    .name:           _ZN12_GLOBAL__N_120softmax_warp_forwardIdddLi4ELb1ELb0ELi32EEEvPT0_PKT_iiiPKbib
    .private_segment_fixed_size: 0
    .sgpr_count:     26
    .sgpr_spill_count: 0
    .symbol:         _ZN12_GLOBAL__N_120softmax_warp_forwardIdddLi4ELb1ELb0ELi32EEEvPT0_PKT_iiiPKbib.kd
    .uniform_work_group_size: 1
    .uses_dynamic_stack: false
    .vgpr_count:     31
    .vgpr_spill_count: 0
    .wavefront_size: 32
    .workgroup_processor_mode: 1
  - .args:
      - .address_space:  global
        .offset:         0
        .size:           8
        .value_kind:     global_buffer
      - .address_space:  global
        .offset:         8
        .size:           8
        .value_kind:     global_buffer
      - .offset:         16
        .size:           4
        .value_kind:     by_value
      - .offset:         20
        .size:           4
        .value_kind:     by_value
      - .offset:         24
        .size:           4
        .value_kind:     by_value
      - .address_space:  global
        .offset:         32
        .size:           8
        .value_kind:     global_buffer
      - .offset:         40
        .size:           4
        .value_kind:     by_value
      - .offset:         44
        .size:           1
        .value_kind:     by_value
      - .offset:         48
        .size:           4
        .value_kind:     hidden_block_count_x
      - .offset:         52
        .size:           4
        .value_kind:     hidden_block_count_y
      - .offset:         56
        .size:           4
        .value_kind:     hidden_block_count_z
      - .offset:         60
        .size:           2
        .value_kind:     hidden_group_size_x
      - .offset:         62
        .size:           2
        .value_kind:     hidden_group_size_y
      - .offset:         64
        .size:           2
        .value_kind:     hidden_group_size_z
      - .offset:         66
        .size:           2
        .value_kind:     hidden_remainder_x
      - .offset:         68
        .size:           2
        .value_kind:     hidden_remainder_y
      - .offset:         70
        .size:           2
        .value_kind:     hidden_remainder_z
      - .offset:         88
        .size:           8
        .value_kind:     hidden_global_offset_x
      - .offset:         96
        .size:           8
        .value_kind:     hidden_global_offset_y
      - .offset:         104
        .size:           8
        .value_kind:     hidden_global_offset_z
      - .offset:         112
        .size:           2
        .value_kind:     hidden_grid_dims
    .group_segment_fixed_size: 0
    .kernarg_segment_align: 8
    .kernarg_segment_size: 304
    .language:       OpenCL C
    .language_version:
      - 2
      - 0
    .max_flat_workgroup_size: 1024
    .name:           _ZN12_GLOBAL__N_120softmax_warp_forwardIdddLi5ELb1ELb0ELi64EEEvPT0_PKT_iiiPKbib
    .private_segment_fixed_size: 0
    .sgpr_count:     26
    .sgpr_spill_count: 0
    .symbol:         _ZN12_GLOBAL__N_120softmax_warp_forwardIdddLi5ELb1ELb0ELi64EEEvPT0_PKT_iiiPKbib.kd
    .uniform_work_group_size: 1
    .uses_dynamic_stack: false
    .vgpr_count:     31
    .vgpr_spill_count: 0
    .wavefront_size: 32
    .workgroup_processor_mode: 1
  - .args:
      - .address_space:  global
        .offset:         0
        .size:           8
        .value_kind:     global_buffer
      - .address_space:  global
        .offset:         8
        .size:           8
        .value_kind:     global_buffer
      - .offset:         16
        .size:           4
        .value_kind:     by_value
      - .offset:         20
        .size:           4
        .value_kind:     by_value
      - .offset:         24
        .size:           4
        .value_kind:     by_value
      - .address_space:  global
        .offset:         32
        .size:           8
        .value_kind:     global_buffer
      - .offset:         40
        .size:           4
        .value_kind:     by_value
      - .offset:         44
        .size:           1
        .value_kind:     by_value
      - .offset:         48
        .size:           4
        .value_kind:     hidden_block_count_x
      - .offset:         52
        .size:           4
        .value_kind:     hidden_block_count_y
      - .offset:         56
        .size:           4
        .value_kind:     hidden_block_count_z
      - .offset:         60
        .size:           2
        .value_kind:     hidden_group_size_x
      - .offset:         62
        .size:           2
        .value_kind:     hidden_group_size_y
      - .offset:         64
        .size:           2
        .value_kind:     hidden_group_size_z
      - .offset:         66
        .size:           2
        .value_kind:     hidden_remainder_x
      - .offset:         68
        .size:           2
        .value_kind:     hidden_remainder_y
      - .offset:         70
        .size:           2
        .value_kind:     hidden_remainder_z
      - .offset:         88
        .size:           8
        .value_kind:     hidden_global_offset_x
      - .offset:         96
        .size:           8
        .value_kind:     hidden_global_offset_y
      - .offset:         104
        .size:           8
        .value_kind:     hidden_global_offset_z
      - .offset:         112
        .size:           2
        .value_kind:     hidden_grid_dims
    .group_segment_fixed_size: 0
    .kernarg_segment_align: 8
    .kernarg_segment_size: 304
    .language:       OpenCL C
    .language_version:
      - 2
      - 0
    .max_flat_workgroup_size: 1024
    .name:           _ZN12_GLOBAL__N_120softmax_warp_forwardIdddLi5ELb1ELb0ELi32EEEvPT0_PKT_iiiPKbib
    .private_segment_fixed_size: 0
    .sgpr_count:     26
    .sgpr_spill_count: 0
    .symbol:         _ZN12_GLOBAL__N_120softmax_warp_forwardIdddLi5ELb1ELb0ELi32EEEvPT0_PKT_iiiPKbib.kd
    .uniform_work_group_size: 1
    .uses_dynamic_stack: false
    .vgpr_count:     31
    .vgpr_spill_count: 0
    .wavefront_size: 32
    .workgroup_processor_mode: 1
  - .args:
      - .address_space:  global
        .offset:         0
        .size:           8
        .value_kind:     global_buffer
      - .address_space:  global
        .offset:         8
        .size:           8
        .value_kind:     global_buffer
      - .offset:         16
        .size:           4
        .value_kind:     by_value
      - .offset:         20
        .size:           4
        .value_kind:     by_value
      - .offset:         24
        .size:           4
        .value_kind:     by_value
      - .address_space:  global
        .offset:         32
        .size:           8
        .value_kind:     global_buffer
      - .offset:         40
        .size:           4
        .value_kind:     by_value
      - .offset:         44
        .size:           1
        .value_kind:     by_value
      - .offset:         48
        .size:           4
        .value_kind:     hidden_block_count_x
      - .offset:         52
        .size:           4
        .value_kind:     hidden_block_count_y
      - .offset:         56
        .size:           4
        .value_kind:     hidden_block_count_z
      - .offset:         60
        .size:           2
        .value_kind:     hidden_group_size_x
      - .offset:         62
        .size:           2
        .value_kind:     hidden_group_size_y
      - .offset:         64
        .size:           2
        .value_kind:     hidden_group_size_z
      - .offset:         66
        .size:           2
        .value_kind:     hidden_remainder_x
      - .offset:         68
        .size:           2
        .value_kind:     hidden_remainder_y
      - .offset:         70
        .size:           2
        .value_kind:     hidden_remainder_z
      - .offset:         88
        .size:           8
        .value_kind:     hidden_global_offset_x
      - .offset:         96
        .size:           8
        .value_kind:     hidden_global_offset_y
      - .offset:         104
        .size:           8
        .value_kind:     hidden_global_offset_z
      - .offset:         112
        .size:           2
        .value_kind:     hidden_grid_dims
    .group_segment_fixed_size: 0
    .kernarg_segment_align: 8
    .kernarg_segment_size: 304
    .language:       OpenCL C
    .language_version:
      - 2
      - 0
    .max_flat_workgroup_size: 1024
    .name:           _ZN12_GLOBAL__N_120softmax_warp_forwardIdddLi6ELb1ELb0ELi64EEEvPT0_PKT_iiiPKbib
    .private_segment_fixed_size: 0
    .sgpr_count:     26
    .sgpr_spill_count: 0
    .symbol:         _ZN12_GLOBAL__N_120softmax_warp_forwardIdddLi6ELb1ELb0ELi64EEEvPT0_PKT_iiiPKbib.kd
    .uniform_work_group_size: 1
    .uses_dynamic_stack: false
    .vgpr_count:     31
    .vgpr_spill_count: 0
    .wavefront_size: 32
    .workgroup_processor_mode: 1
  - .args:
      - .address_space:  global
        .offset:         0
        .size:           8
        .value_kind:     global_buffer
      - .address_space:  global
        .offset:         8
        .size:           8
        .value_kind:     global_buffer
      - .offset:         16
        .size:           4
        .value_kind:     by_value
      - .offset:         20
        .size:           4
        .value_kind:     by_value
      - .offset:         24
        .size:           4
        .value_kind:     by_value
      - .address_space:  global
        .offset:         32
        .size:           8
        .value_kind:     global_buffer
      - .offset:         40
        .size:           4
        .value_kind:     by_value
      - .offset:         44
        .size:           1
        .value_kind:     by_value
      - .offset:         48
        .size:           4
        .value_kind:     hidden_block_count_x
      - .offset:         52
        .size:           4
        .value_kind:     hidden_block_count_y
      - .offset:         56
        .size:           4
        .value_kind:     hidden_block_count_z
      - .offset:         60
        .size:           2
        .value_kind:     hidden_group_size_x
      - .offset:         62
        .size:           2
        .value_kind:     hidden_group_size_y
      - .offset:         64
        .size:           2
        .value_kind:     hidden_group_size_z
      - .offset:         66
        .size:           2
        .value_kind:     hidden_remainder_x
      - .offset:         68
        .size:           2
        .value_kind:     hidden_remainder_y
      - .offset:         70
        .size:           2
        .value_kind:     hidden_remainder_z
      - .offset:         88
        .size:           8
        .value_kind:     hidden_global_offset_x
      - .offset:         96
        .size:           8
        .value_kind:     hidden_global_offset_y
      - .offset:         104
        .size:           8
        .value_kind:     hidden_global_offset_z
      - .offset:         112
        .size:           2
        .value_kind:     hidden_grid_dims
    .group_segment_fixed_size: 0
    .kernarg_segment_align: 8
    .kernarg_segment_size: 304
    .language:       OpenCL C
    .language_version:
      - 2
      - 0
    .max_flat_workgroup_size: 1024
    .name:           _ZN12_GLOBAL__N_120softmax_warp_forwardIdddLi6ELb1ELb0ELi32EEEvPT0_PKT_iiiPKbib
    .private_segment_fixed_size: 0
    .sgpr_count:     26
    .sgpr_spill_count: 0
    .symbol:         _ZN12_GLOBAL__N_120softmax_warp_forwardIdddLi6ELb1ELb0ELi32EEEvPT0_PKT_iiiPKbib.kd
    .uniform_work_group_size: 1
    .uses_dynamic_stack: false
    .vgpr_count:     41
    .vgpr_spill_count: 0
    .wavefront_size: 32
    .workgroup_processor_mode: 1
  - .args:
      - .address_space:  global
        .offset:         0
        .size:           8
        .value_kind:     global_buffer
      - .address_space:  global
        .offset:         8
        .size:           8
        .value_kind:     global_buffer
      - .offset:         16
        .size:           4
        .value_kind:     by_value
      - .offset:         20
        .size:           4
        .value_kind:     by_value
      - .offset:         24
        .size:           4
        .value_kind:     by_value
      - .address_space:  global
        .offset:         32
        .size:           8
        .value_kind:     global_buffer
      - .offset:         40
        .size:           4
        .value_kind:     by_value
      - .offset:         44
        .size:           1
        .value_kind:     by_value
      - .offset:         48
        .size:           4
        .value_kind:     hidden_block_count_x
      - .offset:         52
        .size:           4
        .value_kind:     hidden_block_count_y
      - .offset:         56
        .size:           4
        .value_kind:     hidden_block_count_z
      - .offset:         60
        .size:           2
        .value_kind:     hidden_group_size_x
      - .offset:         62
        .size:           2
        .value_kind:     hidden_group_size_y
      - .offset:         64
        .size:           2
        .value_kind:     hidden_group_size_z
      - .offset:         66
        .size:           2
        .value_kind:     hidden_remainder_x
      - .offset:         68
        .size:           2
        .value_kind:     hidden_remainder_y
      - .offset:         70
        .size:           2
        .value_kind:     hidden_remainder_z
      - .offset:         88
        .size:           8
        .value_kind:     hidden_global_offset_x
      - .offset:         96
        .size:           8
        .value_kind:     hidden_global_offset_y
      - .offset:         104
        .size:           8
        .value_kind:     hidden_global_offset_z
      - .offset:         112
        .size:           2
        .value_kind:     hidden_grid_dims
    .group_segment_fixed_size: 0
    .kernarg_segment_align: 8
    .kernarg_segment_size: 304
    .language:       OpenCL C
    .language_version:
      - 2
      - 0
    .max_flat_workgroup_size: 1024
    .name:           _ZN12_GLOBAL__N_120softmax_warp_forwardIdddLi7ELb1ELb0ELi64EEEvPT0_PKT_iiiPKbib
    .private_segment_fixed_size: 0
    .sgpr_count:     26
    .sgpr_spill_count: 0
    .symbol:         _ZN12_GLOBAL__N_120softmax_warp_forwardIdddLi7ELb1ELb0ELi64EEEvPT0_PKT_iiiPKbib.kd
    .uniform_work_group_size: 1
    .uses_dynamic_stack: false
    .vgpr_count:     42
    .vgpr_spill_count: 0
    .wavefront_size: 32
    .workgroup_processor_mode: 1
  - .args:
      - .address_space:  global
        .offset:         0
        .size:           8
        .value_kind:     global_buffer
      - .address_space:  global
        .offset:         8
        .size:           8
        .value_kind:     global_buffer
      - .offset:         16
        .size:           4
        .value_kind:     by_value
      - .offset:         20
        .size:           4
        .value_kind:     by_value
      - .offset:         24
        .size:           4
        .value_kind:     by_value
      - .address_space:  global
        .offset:         32
        .size:           8
        .value_kind:     global_buffer
      - .offset:         40
        .size:           4
        .value_kind:     by_value
      - .offset:         44
        .size:           1
        .value_kind:     by_value
      - .offset:         48
        .size:           4
        .value_kind:     hidden_block_count_x
      - .offset:         52
        .size:           4
        .value_kind:     hidden_block_count_y
      - .offset:         56
        .size:           4
        .value_kind:     hidden_block_count_z
      - .offset:         60
        .size:           2
        .value_kind:     hidden_group_size_x
      - .offset:         62
        .size:           2
        .value_kind:     hidden_group_size_y
      - .offset:         64
        .size:           2
        .value_kind:     hidden_group_size_z
      - .offset:         66
        .size:           2
        .value_kind:     hidden_remainder_x
      - .offset:         68
        .size:           2
        .value_kind:     hidden_remainder_y
      - .offset:         70
        .size:           2
        .value_kind:     hidden_remainder_z
      - .offset:         88
        .size:           8
        .value_kind:     hidden_global_offset_x
      - .offset:         96
        .size:           8
        .value_kind:     hidden_global_offset_y
      - .offset:         104
        .size:           8
        .value_kind:     hidden_global_offset_z
      - .offset:         112
        .size:           2
        .value_kind:     hidden_grid_dims
    .group_segment_fixed_size: 0
    .kernarg_segment_align: 8
    .kernarg_segment_size: 304
    .language:       OpenCL C
    .language_version:
      - 2
      - 0
    .max_flat_workgroup_size: 1024
    .name:           _ZN12_GLOBAL__N_120softmax_warp_forwardIdddLi7ELb1ELb0ELi32EEEvPT0_PKT_iiiPKbib
    .private_segment_fixed_size: 0
    .sgpr_count:     26
    .sgpr_spill_count: 0
    .symbol:         _ZN12_GLOBAL__N_120softmax_warp_forwardIdddLi7ELb1ELb0ELi32EEEvPT0_PKT_iiiPKbib.kd
    .uniform_work_group_size: 1
    .uses_dynamic_stack: false
    .vgpr_count:     74
    .vgpr_spill_count: 0
    .wavefront_size: 32
    .workgroup_processor_mode: 1
  - .args:
      - .address_space:  global
        .offset:         0
        .size:           8
        .value_kind:     global_buffer
      - .address_space:  global
        .offset:         8
        .size:           8
        .value_kind:     global_buffer
      - .offset:         16
        .size:           4
        .value_kind:     by_value
      - .offset:         20
        .size:           4
        .value_kind:     by_value
      - .offset:         24
        .size:           4
        .value_kind:     by_value
      - .address_space:  global
        .offset:         32
        .size:           8
        .value_kind:     global_buffer
      - .offset:         40
        .size:           4
        .value_kind:     by_value
      - .offset:         44
        .size:           1
        .value_kind:     by_value
      - .offset:         48
        .size:           4
        .value_kind:     hidden_block_count_x
      - .offset:         52
        .size:           4
        .value_kind:     hidden_block_count_y
      - .offset:         56
        .size:           4
        .value_kind:     hidden_block_count_z
      - .offset:         60
        .size:           2
        .value_kind:     hidden_group_size_x
      - .offset:         62
        .size:           2
        .value_kind:     hidden_group_size_y
      - .offset:         64
        .size:           2
        .value_kind:     hidden_group_size_z
      - .offset:         66
        .size:           2
        .value_kind:     hidden_remainder_x
      - .offset:         68
        .size:           2
        .value_kind:     hidden_remainder_y
      - .offset:         70
        .size:           2
        .value_kind:     hidden_remainder_z
      - .offset:         88
        .size:           8
        .value_kind:     hidden_global_offset_x
      - .offset:         96
        .size:           8
        .value_kind:     hidden_global_offset_y
      - .offset:         104
        .size:           8
        .value_kind:     hidden_global_offset_z
      - .offset:         112
        .size:           2
        .value_kind:     hidden_grid_dims
    .group_segment_fixed_size: 0
    .kernarg_segment_align: 8
    .kernarg_segment_size: 304
    .language:       OpenCL C
    .language_version:
      - 2
      - 0
    .max_flat_workgroup_size: 1024
    .name:           _ZN12_GLOBAL__N_120softmax_warp_forwardIdddLi8ELb1ELb0ELi64EEEvPT0_PKT_iiiPKbib
    .private_segment_fixed_size: 0
    .sgpr_count:     26
    .sgpr_spill_count: 0
    .symbol:         _ZN12_GLOBAL__N_120softmax_warp_forwardIdddLi8ELb1ELb0ELi64EEEvPT0_PKT_iiiPKbib.kd
    .uniform_work_group_size: 1
    .uses_dynamic_stack: false
    .vgpr_count:     42
    .vgpr_spill_count: 0
    .wavefront_size: 32
    .workgroup_processor_mode: 1
  - .args:
      - .address_space:  global
        .offset:         0
        .size:           8
        .value_kind:     global_buffer
      - .address_space:  global
        .offset:         8
        .size:           8
        .value_kind:     global_buffer
      - .offset:         16
        .size:           4
        .value_kind:     by_value
      - .offset:         20
        .size:           4
        .value_kind:     by_value
      - .offset:         24
        .size:           4
        .value_kind:     by_value
      - .address_space:  global
        .offset:         32
        .size:           8
        .value_kind:     global_buffer
      - .offset:         40
        .size:           4
        .value_kind:     by_value
      - .offset:         44
        .size:           1
        .value_kind:     by_value
      - .offset:         48
        .size:           4
        .value_kind:     hidden_block_count_x
      - .offset:         52
        .size:           4
        .value_kind:     hidden_block_count_y
      - .offset:         56
        .size:           4
        .value_kind:     hidden_block_count_z
      - .offset:         60
        .size:           2
        .value_kind:     hidden_group_size_x
      - .offset:         62
        .size:           2
        .value_kind:     hidden_group_size_y
      - .offset:         64
        .size:           2
        .value_kind:     hidden_group_size_z
      - .offset:         66
        .size:           2
        .value_kind:     hidden_remainder_x
      - .offset:         68
        .size:           2
        .value_kind:     hidden_remainder_y
      - .offset:         70
        .size:           2
        .value_kind:     hidden_remainder_z
      - .offset:         88
        .size:           8
        .value_kind:     hidden_global_offset_x
      - .offset:         96
        .size:           8
        .value_kind:     hidden_global_offset_y
      - .offset:         104
        .size:           8
        .value_kind:     hidden_global_offset_z
      - .offset:         112
        .size:           2
        .value_kind:     hidden_grid_dims
    .group_segment_fixed_size: 0
    .kernarg_segment_align: 8
    .kernarg_segment_size: 304
    .language:       OpenCL C
    .language_version:
      - 2
      - 0
    .max_flat_workgroup_size: 1024
    .name:           _ZN12_GLOBAL__N_120softmax_warp_forwardIdddLi8ELb1ELb0ELi32EEEvPT0_PKT_iiiPKbib
    .private_segment_fixed_size: 0
    .sgpr_count:     28
    .sgpr_spill_count: 0
    .symbol:         _ZN12_GLOBAL__N_120softmax_warp_forwardIdddLi8ELb1ELb0ELi32EEEvPT0_PKT_iiiPKbib.kd
    .uniform_work_group_size: 1
    .uses_dynamic_stack: false
    .vgpr_count:     74
    .vgpr_spill_count: 0
    .wavefront_size: 32
    .workgroup_processor_mode: 1
  - .args:
      - .address_space:  global
        .offset:         0
        .size:           8
        .value_kind:     global_buffer
      - .address_space:  global
        .offset:         8
        .size:           8
        .value_kind:     global_buffer
      - .offset:         16
        .size:           4
        .value_kind:     by_value
      - .offset:         20
        .size:           4
        .value_kind:     by_value
      - .offset:         24
        .size:           4
        .value_kind:     by_value
      - .address_space:  global
        .offset:         32
        .size:           8
        .value_kind:     global_buffer
      - .offset:         40
        .size:           4
        .value_kind:     by_value
      - .offset:         44
        .size:           1
        .value_kind:     by_value
      - .offset:         48
        .size:           4
        .value_kind:     hidden_block_count_x
      - .offset:         52
        .size:           4
        .value_kind:     hidden_block_count_y
      - .offset:         56
        .size:           4
        .value_kind:     hidden_block_count_z
      - .offset:         60
        .size:           2
        .value_kind:     hidden_group_size_x
      - .offset:         62
        .size:           2
        .value_kind:     hidden_group_size_y
      - .offset:         64
        .size:           2
        .value_kind:     hidden_group_size_z
      - .offset:         66
        .size:           2
        .value_kind:     hidden_remainder_x
      - .offset:         68
        .size:           2
        .value_kind:     hidden_remainder_y
      - .offset:         70
        .size:           2
        .value_kind:     hidden_remainder_z
      - .offset:         88
        .size:           8
        .value_kind:     hidden_global_offset_x
      - .offset:         96
        .size:           8
        .value_kind:     hidden_global_offset_y
      - .offset:         104
        .size:           8
        .value_kind:     hidden_global_offset_z
      - .offset:         112
        .size:           2
        .value_kind:     hidden_grid_dims
    .group_segment_fixed_size: 0
    .kernarg_segment_align: 8
    .kernarg_segment_size: 304
    .language:       OpenCL C
    .language_version:
      - 2
      - 0
    .max_flat_workgroup_size: 1024
    .name:           _ZN12_GLOBAL__N_120softmax_warp_forwardIdddLi9ELb1ELb0ELi64EEEvPT0_PKT_iiiPKbib
    .private_segment_fixed_size: 0
    .sgpr_count:     28
    .sgpr_spill_count: 0
    .symbol:         _ZN12_GLOBAL__N_120softmax_warp_forwardIdddLi9ELb1ELb0ELi64EEEvPT0_PKT_iiiPKbib.kd
    .uniform_work_group_size: 1
    .uses_dynamic_stack: false
    .vgpr_count:     74
    .vgpr_spill_count: 0
    .wavefront_size: 32
    .workgroup_processor_mode: 1
  - .args:
      - .address_space:  global
        .offset:         0
        .size:           8
        .value_kind:     global_buffer
      - .address_space:  global
        .offset:         8
        .size:           8
        .value_kind:     global_buffer
      - .offset:         16
        .size:           4
        .value_kind:     by_value
      - .offset:         20
        .size:           4
        .value_kind:     by_value
      - .offset:         24
        .size:           4
        .value_kind:     by_value
      - .address_space:  global
        .offset:         32
        .size:           8
        .value_kind:     global_buffer
      - .offset:         40
        .size:           4
        .value_kind:     by_value
      - .offset:         44
        .size:           1
        .value_kind:     by_value
      - .offset:         48
        .size:           4
        .value_kind:     hidden_block_count_x
      - .offset:         52
        .size:           4
        .value_kind:     hidden_block_count_y
      - .offset:         56
        .size:           4
        .value_kind:     hidden_block_count_z
      - .offset:         60
        .size:           2
        .value_kind:     hidden_group_size_x
      - .offset:         62
        .size:           2
        .value_kind:     hidden_group_size_y
      - .offset:         64
        .size:           2
        .value_kind:     hidden_group_size_z
      - .offset:         66
        .size:           2
        .value_kind:     hidden_remainder_x
      - .offset:         68
        .size:           2
        .value_kind:     hidden_remainder_y
      - .offset:         70
        .size:           2
        .value_kind:     hidden_remainder_z
      - .offset:         88
        .size:           8
        .value_kind:     hidden_global_offset_x
      - .offset:         96
        .size:           8
        .value_kind:     hidden_global_offset_y
      - .offset:         104
        .size:           8
        .value_kind:     hidden_global_offset_z
      - .offset:         112
        .size:           2
        .value_kind:     hidden_grid_dims
    .group_segment_fixed_size: 0
    .kernarg_segment_align: 8
    .kernarg_segment_size: 304
    .language:       OpenCL C
    .language_version:
      - 2
      - 0
    .max_flat_workgroup_size: 1024
    .name:           _ZN12_GLOBAL__N_120softmax_warp_forwardIdddLi9ELb1ELb0ELi32EEEvPT0_PKT_iiiPKbib
    .private_segment_fixed_size: 0
    .sgpr_count:     52
    .sgpr_spill_count: 0
    .symbol:         _ZN12_GLOBAL__N_120softmax_warp_forwardIdddLi9ELb1ELb0ELi32EEEvPT0_PKT_iiiPKbib.kd
    .uniform_work_group_size: 1
    .uses_dynamic_stack: false
    .vgpr_count:     97
    .vgpr_spill_count: 0
    .wavefront_size: 32
    .workgroup_processor_mode: 1
  - .args:
      - .address_space:  global
        .offset:         0
        .size:           8
        .value_kind:     global_buffer
      - .address_space:  global
        .offset:         8
        .size:           8
        .value_kind:     global_buffer
      - .offset:         16
        .size:           4
        .value_kind:     by_value
      - .offset:         20
        .size:           4
        .value_kind:     by_value
      - .offset:         24
        .size:           4
        .value_kind:     by_value
      - .address_space:  global
        .offset:         32
        .size:           8
        .value_kind:     global_buffer
      - .offset:         40
        .size:           4
        .value_kind:     by_value
      - .offset:         44
        .size:           1
        .value_kind:     by_value
      - .offset:         48
        .size:           4
        .value_kind:     hidden_block_count_x
      - .offset:         52
        .size:           4
        .value_kind:     hidden_block_count_y
      - .offset:         56
        .size:           4
        .value_kind:     hidden_block_count_z
      - .offset:         60
        .size:           2
        .value_kind:     hidden_group_size_x
      - .offset:         62
        .size:           2
        .value_kind:     hidden_group_size_y
      - .offset:         64
        .size:           2
        .value_kind:     hidden_group_size_z
      - .offset:         66
        .size:           2
        .value_kind:     hidden_remainder_x
      - .offset:         68
        .size:           2
        .value_kind:     hidden_remainder_y
      - .offset:         70
        .size:           2
        .value_kind:     hidden_remainder_z
      - .offset:         88
        .size:           8
        .value_kind:     hidden_global_offset_x
      - .offset:         96
        .size:           8
        .value_kind:     hidden_global_offset_y
      - .offset:         104
        .size:           8
        .value_kind:     hidden_global_offset_z
      - .offset:         112
        .size:           2
        .value_kind:     hidden_grid_dims
    .group_segment_fixed_size: 0
    .kernarg_segment_align: 8
    .kernarg_segment_size: 304
    .language:       OpenCL C
    .language_version:
      - 2
      - 0
    .max_flat_workgroup_size: 1024
    .name:           _ZN12_GLOBAL__N_120softmax_warp_forwardIdddLi10ELb1ELb0ELi64EEEvPT0_PKT_iiiPKbib
    .private_segment_fixed_size: 0
    .sgpr_count:     52
    .sgpr_spill_count: 0
    .symbol:         _ZN12_GLOBAL__N_120softmax_warp_forwardIdddLi10ELb1ELb0ELi64EEEvPT0_PKT_iiiPKbib.kd
    .uniform_work_group_size: 1
    .uses_dynamic_stack: false
    .vgpr_count:     97
    .vgpr_spill_count: 0
    .wavefront_size: 32
    .workgroup_processor_mode: 1
  - .args:
      - .address_space:  global
        .offset:         0
        .size:           8
        .value_kind:     global_buffer
      - .address_space:  global
        .offset:         8
        .size:           8
        .value_kind:     global_buffer
      - .offset:         16
        .size:           4
        .value_kind:     by_value
      - .offset:         20
        .size:           4
        .value_kind:     by_value
      - .offset:         24
        .size:           4
        .value_kind:     by_value
      - .address_space:  global
        .offset:         32
        .size:           8
        .value_kind:     global_buffer
      - .offset:         40
        .size:           4
        .value_kind:     by_value
      - .offset:         44
        .size:           1
        .value_kind:     by_value
      - .offset:         48
        .size:           4
        .value_kind:     hidden_block_count_x
      - .offset:         52
        .size:           4
        .value_kind:     hidden_block_count_y
      - .offset:         56
        .size:           4
        .value_kind:     hidden_block_count_z
      - .offset:         60
        .size:           2
        .value_kind:     hidden_group_size_x
      - .offset:         62
        .size:           2
        .value_kind:     hidden_group_size_y
      - .offset:         64
        .size:           2
        .value_kind:     hidden_group_size_z
      - .offset:         66
        .size:           2
        .value_kind:     hidden_remainder_x
      - .offset:         68
        .size:           2
        .value_kind:     hidden_remainder_y
      - .offset:         70
        .size:           2
        .value_kind:     hidden_remainder_z
      - .offset:         88
        .size:           8
        .value_kind:     hidden_global_offset_x
      - .offset:         96
        .size:           8
        .value_kind:     hidden_global_offset_y
      - .offset:         104
        .size:           8
        .value_kind:     hidden_global_offset_z
      - .offset:         112
        .size:           2
        .value_kind:     hidden_grid_dims
    .group_segment_fixed_size: 0
    .kernarg_segment_align: 8
    .kernarg_segment_size: 304
    .language:       OpenCL C
    .language_version:
      - 2
      - 0
    .max_flat_workgroup_size: 1024
    .name:           _ZN12_GLOBAL__N_120softmax_warp_forwardIdddLi10ELb1ELb0ELi32EEEvPT0_PKT_iiiPKbib
    .private_segment_fixed_size: 0
    .sgpr_count:     64
    .sgpr_spill_count: 0
    .symbol:         _ZN12_GLOBAL__N_120softmax_warp_forwardIdddLi10ELb1ELb0ELi32EEEvPT0_PKT_iiiPKbib.kd
    .uniform_work_group_size: 1
    .uses_dynamic_stack: false
    .vgpr_count:     86
    .vgpr_spill_count: 0
    .wavefront_size: 32
    .workgroup_processor_mode: 1
  - .args:
      - .address_space:  global
        .offset:         0
        .size:           8
        .value_kind:     global_buffer
      - .address_space:  global
        .offset:         8
        .size:           8
        .value_kind:     global_buffer
      - .offset:         16
        .size:           4
        .value_kind:     by_value
      - .offset:         20
        .size:           4
        .value_kind:     by_value
      - .offset:         24
        .size:           4
        .value_kind:     by_value
      - .address_space:  global
        .offset:         32
        .size:           8
        .value_kind:     global_buffer
      - .offset:         40
        .size:           4
        .value_kind:     by_value
      - .offset:         44
        .size:           1
        .value_kind:     by_value
      - .offset:         48
        .size:           4
        .value_kind:     hidden_block_count_x
      - .offset:         52
        .size:           4
        .value_kind:     hidden_block_count_y
      - .offset:         56
        .size:           4
        .value_kind:     hidden_block_count_z
      - .offset:         60
        .size:           2
        .value_kind:     hidden_group_size_x
      - .offset:         62
        .size:           2
        .value_kind:     hidden_group_size_y
      - .offset:         64
        .size:           2
        .value_kind:     hidden_group_size_z
      - .offset:         66
        .size:           2
        .value_kind:     hidden_remainder_x
      - .offset:         68
        .size:           2
        .value_kind:     hidden_remainder_y
      - .offset:         70
        .size:           2
        .value_kind:     hidden_remainder_z
      - .offset:         88
        .size:           8
        .value_kind:     hidden_global_offset_x
      - .offset:         96
        .size:           8
        .value_kind:     hidden_global_offset_y
      - .offset:         104
        .size:           8
        .value_kind:     hidden_global_offset_z
      - .offset:         112
        .size:           2
        .value_kind:     hidden_grid_dims
    .group_segment_fixed_size: 0
    .kernarg_segment_align: 8
    .kernarg_segment_size: 304
    .language:       OpenCL C
    .language_version:
      - 2
      - 0
    .max_flat_workgroup_size: 1024
    .name:           _ZN12_GLOBAL__N_120softmax_warp_forwardIdddLi11ELb1ELb0ELi64EEEvPT0_PKT_iiiPKbib
    .private_segment_fixed_size: 0
    .sgpr_count:     64
    .sgpr_spill_count: 0
    .symbol:         _ZN12_GLOBAL__N_120softmax_warp_forwardIdddLi11ELb1ELb0ELi64EEEvPT0_PKT_iiiPKbib.kd
    .uniform_work_group_size: 1
    .uses_dynamic_stack: false
    .vgpr_count:     86
    .vgpr_spill_count: 0
    .wavefront_size: 32
    .workgroup_processor_mode: 1
  - .args:
      - .address_space:  global
        .offset:         0
        .size:           8
        .value_kind:     global_buffer
      - .address_space:  global
        .offset:         8
        .size:           8
        .value_kind:     global_buffer
      - .offset:         16
        .size:           4
        .value_kind:     by_value
      - .offset:         20
        .size:           4
        .value_kind:     by_value
      - .offset:         24
        .size:           4
        .value_kind:     by_value
      - .address_space:  global
        .offset:         32
        .size:           8
        .value_kind:     global_buffer
      - .offset:         40
        .size:           4
        .value_kind:     by_value
      - .offset:         44
        .size:           1
        .value_kind:     by_value
      - .offset:         48
        .size:           4
        .value_kind:     hidden_block_count_x
      - .offset:         52
        .size:           4
        .value_kind:     hidden_block_count_y
      - .offset:         56
        .size:           4
        .value_kind:     hidden_block_count_z
      - .offset:         60
        .size:           2
        .value_kind:     hidden_group_size_x
      - .offset:         62
        .size:           2
        .value_kind:     hidden_group_size_y
      - .offset:         64
        .size:           2
        .value_kind:     hidden_group_size_z
      - .offset:         66
        .size:           2
        .value_kind:     hidden_remainder_x
      - .offset:         68
        .size:           2
        .value_kind:     hidden_remainder_y
      - .offset:         70
        .size:           2
        .value_kind:     hidden_remainder_z
      - .offset:         88
        .size:           8
        .value_kind:     hidden_global_offset_x
      - .offset:         96
        .size:           8
        .value_kind:     hidden_global_offset_y
      - .offset:         104
        .size:           8
        .value_kind:     hidden_global_offset_z
      - .offset:         112
        .size:           2
        .value_kind:     hidden_grid_dims
    .group_segment_fixed_size: 0
    .kernarg_segment_align: 8
    .kernarg_segment_size: 304
    .language:       OpenCL C
    .language_version:
      - 2
      - 0
    .max_flat_workgroup_size: 1024
    .name:           _ZN12_GLOBAL__N_120softmax_warp_forwardIdddLi11ELb1ELb0ELi32EEEvPT0_PKT_iiiPKbib
    .private_segment_fixed_size: 0
    .sgpr_count:     96
    .sgpr_spill_count: 0
    .symbol:         _ZN12_GLOBAL__N_120softmax_warp_forwardIdddLi11ELb1ELb0ELi32EEEvPT0_PKT_iiiPKbib.kd
    .uniform_work_group_size: 1
    .uses_dynamic_stack: false
    .vgpr_count:     150
    .vgpr_spill_count: 0
    .wavefront_size: 32
    .workgroup_processor_mode: 1
  - .args:
      - .address_space:  global
        .offset:         0
        .size:           8
        .value_kind:     global_buffer
      - .address_space:  global
        .offset:         8
        .size:           8
        .value_kind:     global_buffer
      - .offset:         16
        .size:           8
        .value_kind:     by_value
      - .offset:         24
        .size:           4
        .value_kind:     hidden_block_count_x
      - .offset:         28
        .size:           4
        .value_kind:     hidden_block_count_y
      - .offset:         32
        .size:           4
        .value_kind:     hidden_block_count_z
      - .offset:         36
        .size:           2
        .value_kind:     hidden_group_size_x
      - .offset:         38
        .size:           2
        .value_kind:     hidden_group_size_y
      - .offset:         40
        .size:           2
        .value_kind:     hidden_group_size_z
      - .offset:         42
        .size:           2
        .value_kind:     hidden_remainder_x
      - .offset:         44
        .size:           2
        .value_kind:     hidden_remainder_y
      - .offset:         46
        .size:           2
        .value_kind:     hidden_remainder_z
      - .offset:         64
        .size:           8
        .value_kind:     hidden_global_offset_x
      - .offset:         72
        .size:           8
        .value_kind:     hidden_global_offset_y
      - .offset:         80
        .size:           8
        .value_kind:     hidden_global_offset_z
      - .offset:         88
        .size:           2
        .value_kind:     hidden_grid_dims
      - .offset:         144
        .size:           4
        .value_kind:     hidden_dynamic_lds_size
    .group_segment_fixed_size: 0
    .kernarg_segment_align: 8
    .kernarg_segment_size: 280
    .language:       OpenCL C
    .language_version:
      - 2
      - 0
    .max_flat_workgroup_size: 1024
    .name:           _ZN2at6native12_GLOBAL__N_122cunn_SoftMaxForwardRegIdddNS1_25LogSoftMaxForwardEpilogueElLi1EEEvPT1_PKT_T3_
    .private_segment_fixed_size: 0
    .sgpr_count:     18
    .sgpr_spill_count: 0
    .symbol:         _ZN2at6native12_GLOBAL__N_122cunn_SoftMaxForwardRegIdddNS1_25LogSoftMaxForwardEpilogueElLi1EEEvPT1_PKT_T3_.kd
    .uniform_work_group_size: 1
    .uses_dynamic_stack: false
    .vgpr_count:     24
    .vgpr_spill_count: 0
    .wavefront_size: 32
    .workgroup_processor_mode: 1
  - .args:
      - .address_space:  global
        .offset:         0
        .size:           8
        .value_kind:     global_buffer
      - .address_space:  global
        .offset:         8
        .size:           8
        .value_kind:     global_buffer
      - .offset:         16
        .size:           8
        .value_kind:     by_value
      - .offset:         24
        .size:           4
        .value_kind:     hidden_block_count_x
      - .offset:         28
        .size:           4
        .value_kind:     hidden_block_count_y
      - .offset:         32
        .size:           4
        .value_kind:     hidden_block_count_z
      - .offset:         36
        .size:           2
        .value_kind:     hidden_group_size_x
      - .offset:         38
        .size:           2
        .value_kind:     hidden_group_size_y
      - .offset:         40
        .size:           2
        .value_kind:     hidden_group_size_z
      - .offset:         42
        .size:           2
        .value_kind:     hidden_remainder_x
      - .offset:         44
        .size:           2
        .value_kind:     hidden_remainder_y
      - .offset:         46
        .size:           2
        .value_kind:     hidden_remainder_z
      - .offset:         64
        .size:           8
        .value_kind:     hidden_global_offset_x
      - .offset:         72
        .size:           8
        .value_kind:     hidden_global_offset_y
      - .offset:         80
        .size:           8
        .value_kind:     hidden_global_offset_z
      - .offset:         88
        .size:           2
        .value_kind:     hidden_grid_dims
      - .offset:         144
        .size:           4
        .value_kind:     hidden_dynamic_lds_size
    .group_segment_fixed_size: 0
    .kernarg_segment_align: 8
    .kernarg_segment_size: 280
    .language:       OpenCL C
    .language_version:
      - 2
      - 0
    .max_flat_workgroup_size: 1024
    .name:           _ZN2at6native12_GLOBAL__N_122cunn_SoftMaxForwardRegIdddNS1_25LogSoftMaxForwardEpilogueElLi2EEEvPT1_PKT_T3_
    .private_segment_fixed_size: 0
    .sgpr_count:     18
    .sgpr_spill_count: 0
    .symbol:         _ZN2at6native12_GLOBAL__N_122cunn_SoftMaxForwardRegIdddNS1_25LogSoftMaxForwardEpilogueElLi2EEEvPT1_PKT_T3_.kd
    .uniform_work_group_size: 1
    .uses_dynamic_stack: false
    .vgpr_count:     30
    .vgpr_spill_count: 0
    .wavefront_size: 32
    .workgroup_processor_mode: 1
  - .args:
      - .address_space:  global
        .offset:         0
        .size:           8
        .value_kind:     global_buffer
      - .address_space:  global
        .offset:         8
        .size:           8
        .value_kind:     global_buffer
      - .offset:         16
        .size:           8
        .value_kind:     by_value
      - .offset:         24
        .size:           4
        .value_kind:     hidden_block_count_x
      - .offset:         28
        .size:           4
        .value_kind:     hidden_block_count_y
      - .offset:         32
        .size:           4
        .value_kind:     hidden_block_count_z
      - .offset:         36
        .size:           2
        .value_kind:     hidden_group_size_x
      - .offset:         38
        .size:           2
        .value_kind:     hidden_group_size_y
      - .offset:         40
        .size:           2
        .value_kind:     hidden_group_size_z
      - .offset:         42
        .size:           2
        .value_kind:     hidden_remainder_x
      - .offset:         44
        .size:           2
        .value_kind:     hidden_remainder_y
      - .offset:         46
        .size:           2
        .value_kind:     hidden_remainder_z
      - .offset:         64
        .size:           8
        .value_kind:     hidden_global_offset_x
      - .offset:         72
        .size:           8
        .value_kind:     hidden_global_offset_y
      - .offset:         80
        .size:           8
        .value_kind:     hidden_global_offset_z
      - .offset:         88
        .size:           2
        .value_kind:     hidden_grid_dims
      - .offset:         144
        .size:           4
        .value_kind:     hidden_dynamic_lds_size
    .group_segment_fixed_size: 0
    .kernarg_segment_align: 8
    .kernarg_segment_size: 280
    .language:       OpenCL C
    .language_version:
      - 2
      - 0
    .max_flat_workgroup_size: 1024
    .name:           _ZN2at6native12_GLOBAL__N_122cunn_SoftMaxForwardRegIdddNS1_25LogSoftMaxForwardEpilogueElLi3EEEvPT1_PKT_T3_
    .private_segment_fixed_size: 0
    .sgpr_count:     18
    .sgpr_spill_count: 0
    .symbol:         _ZN2at6native12_GLOBAL__N_122cunn_SoftMaxForwardRegIdddNS1_25LogSoftMaxForwardEpilogueElLi3EEEvPT1_PKT_T3_.kd
    .uniform_work_group_size: 1
    .uses_dynamic_stack: false
    .vgpr_count:     34
    .vgpr_spill_count: 0
    .wavefront_size: 32
    .workgroup_processor_mode: 1
  - .args:
      - .address_space:  global
        .offset:         0
        .size:           8
        .value_kind:     global_buffer
      - .address_space:  global
        .offset:         8
        .size:           8
        .value_kind:     global_buffer
      - .offset:         16
        .size:           8
        .value_kind:     by_value
      - .offset:         24
        .size:           4
        .value_kind:     hidden_block_count_x
      - .offset:         28
        .size:           4
        .value_kind:     hidden_block_count_y
      - .offset:         32
        .size:           4
        .value_kind:     hidden_block_count_z
      - .offset:         36
        .size:           2
        .value_kind:     hidden_group_size_x
      - .offset:         38
        .size:           2
        .value_kind:     hidden_group_size_y
      - .offset:         40
        .size:           2
        .value_kind:     hidden_group_size_z
      - .offset:         42
        .size:           2
        .value_kind:     hidden_remainder_x
      - .offset:         44
        .size:           2
        .value_kind:     hidden_remainder_y
      - .offset:         46
        .size:           2
        .value_kind:     hidden_remainder_z
      - .offset:         64
        .size:           8
        .value_kind:     hidden_global_offset_x
      - .offset:         72
        .size:           8
        .value_kind:     hidden_global_offset_y
      - .offset:         80
        .size:           8
        .value_kind:     hidden_global_offset_z
      - .offset:         88
        .size:           2
        .value_kind:     hidden_grid_dims
      - .offset:         144
        .size:           4
        .value_kind:     hidden_dynamic_lds_size
    .group_segment_fixed_size: 0
    .kernarg_segment_align: 8
    .kernarg_segment_size: 280
    .language:       OpenCL C
    .language_version:
      - 2
      - 0
    .max_flat_workgroup_size: 1024
    .name:           _ZN2at6native12_GLOBAL__N_122cunn_SoftMaxForwardRegIdddNS1_25LogSoftMaxForwardEpilogueElLi4EEEvPT1_PKT_T3_
    .private_segment_fixed_size: 0
    .sgpr_count:     22
    .sgpr_spill_count: 0
    .symbol:         _ZN2at6native12_GLOBAL__N_122cunn_SoftMaxForwardRegIdddNS1_25LogSoftMaxForwardEpilogueElLi4EEEvPT1_PKT_T3_.kd
    .uniform_work_group_size: 1
    .uses_dynamic_stack: false
    .vgpr_count:     37
    .vgpr_spill_count: 0
    .wavefront_size: 32
    .workgroup_processor_mode: 1
  - .args:
      - .address_space:  global
        .offset:         0
        .size:           8
        .value_kind:     global_buffer
      - .address_space:  global
        .offset:         8
        .size:           8
        .value_kind:     global_buffer
      - .offset:         16
        .size:           8
        .value_kind:     by_value
      - .offset:         24
        .size:           4
        .value_kind:     hidden_block_count_x
      - .offset:         28
        .size:           4
        .value_kind:     hidden_block_count_y
      - .offset:         32
        .size:           4
        .value_kind:     hidden_block_count_z
      - .offset:         36
        .size:           2
        .value_kind:     hidden_group_size_x
      - .offset:         38
        .size:           2
        .value_kind:     hidden_group_size_y
      - .offset:         40
        .size:           2
        .value_kind:     hidden_group_size_z
      - .offset:         42
        .size:           2
        .value_kind:     hidden_remainder_x
      - .offset:         44
        .size:           2
        .value_kind:     hidden_remainder_y
      - .offset:         46
        .size:           2
        .value_kind:     hidden_remainder_z
      - .offset:         64
        .size:           8
        .value_kind:     hidden_global_offset_x
      - .offset:         72
        .size:           8
        .value_kind:     hidden_global_offset_y
      - .offset:         80
        .size:           8
        .value_kind:     hidden_global_offset_z
      - .offset:         88
        .size:           2
        .value_kind:     hidden_grid_dims
      - .offset:         144
        .size:           4
        .value_kind:     hidden_dynamic_lds_size
    .group_segment_fixed_size: 0
    .kernarg_segment_align: 8
    .kernarg_segment_size: 280
    .language:       OpenCL C
    .language_version:
      - 2
      - 0
    .max_flat_workgroup_size: 1024
    .name:           _ZN2at6native12_GLOBAL__N_122cunn_SoftMaxForwardRegIdddNS1_25LogSoftMaxForwardEpilogueElLi5EEEvPT1_PKT_T3_
    .private_segment_fixed_size: 0
    .sgpr_count:     22
    .sgpr_spill_count: 0
    .symbol:         _ZN2at6native12_GLOBAL__N_122cunn_SoftMaxForwardRegIdddNS1_25LogSoftMaxForwardEpilogueElLi5EEEvPT1_PKT_T3_.kd
    .uniform_work_group_size: 1
    .uses_dynamic_stack: false
    .vgpr_count:     40
    .vgpr_spill_count: 0
    .wavefront_size: 32
    .workgroup_processor_mode: 1
  - .args:
      - .address_space:  global
        .offset:         0
        .size:           8
        .value_kind:     global_buffer
      - .address_space:  global
        .offset:         8
        .size:           8
        .value_kind:     global_buffer
      - .offset:         16
        .size:           8
        .value_kind:     by_value
      - .offset:         24
        .size:           4
        .value_kind:     hidden_block_count_x
      - .offset:         28
        .size:           4
        .value_kind:     hidden_block_count_y
      - .offset:         32
        .size:           4
        .value_kind:     hidden_block_count_z
      - .offset:         36
        .size:           2
        .value_kind:     hidden_group_size_x
      - .offset:         38
        .size:           2
        .value_kind:     hidden_group_size_y
      - .offset:         40
        .size:           2
        .value_kind:     hidden_group_size_z
      - .offset:         42
        .size:           2
        .value_kind:     hidden_remainder_x
      - .offset:         44
        .size:           2
        .value_kind:     hidden_remainder_y
      - .offset:         46
        .size:           2
        .value_kind:     hidden_remainder_z
      - .offset:         64
        .size:           8
        .value_kind:     hidden_global_offset_x
      - .offset:         72
        .size:           8
        .value_kind:     hidden_global_offset_y
      - .offset:         80
        .size:           8
        .value_kind:     hidden_global_offset_z
      - .offset:         88
        .size:           2
        .value_kind:     hidden_grid_dims
      - .offset:         144
        .size:           4
        .value_kind:     hidden_dynamic_lds_size
    .group_segment_fixed_size: 0
    .kernarg_segment_align: 8
    .kernarg_segment_size: 280
    .language:       OpenCL C
    .language_version:
      - 2
      - 0
    .max_flat_workgroup_size: 1024
    .name:           _ZN2at6native12_GLOBAL__N_122cunn_SoftMaxForwardRegIdddNS1_25LogSoftMaxForwardEpilogueElLi6EEEvPT1_PKT_T3_
    .private_segment_fixed_size: 0
    .sgpr_count:     22
    .sgpr_spill_count: 0
    .symbol:         _ZN2at6native12_GLOBAL__N_122cunn_SoftMaxForwardRegIdddNS1_25LogSoftMaxForwardEpilogueElLi6EEEvPT1_PKT_T3_.kd
    .uniform_work_group_size: 1
    .uses_dynamic_stack: false
    .vgpr_count:     43
    .vgpr_spill_count: 0
    .wavefront_size: 32
    .workgroup_processor_mode: 1
  - .args:
      - .address_space:  global
        .offset:         0
        .size:           8
        .value_kind:     global_buffer
      - .address_space:  global
        .offset:         8
        .size:           8
        .value_kind:     global_buffer
      - .offset:         16
        .size:           8
        .value_kind:     by_value
      - .offset:         24
        .size:           4
        .value_kind:     hidden_block_count_x
      - .offset:         28
        .size:           4
        .value_kind:     hidden_block_count_y
      - .offset:         32
        .size:           4
        .value_kind:     hidden_block_count_z
      - .offset:         36
        .size:           2
        .value_kind:     hidden_group_size_x
      - .offset:         38
        .size:           2
        .value_kind:     hidden_group_size_y
      - .offset:         40
        .size:           2
        .value_kind:     hidden_group_size_z
      - .offset:         42
        .size:           2
        .value_kind:     hidden_remainder_x
      - .offset:         44
        .size:           2
        .value_kind:     hidden_remainder_y
      - .offset:         46
        .size:           2
        .value_kind:     hidden_remainder_z
      - .offset:         64
        .size:           8
        .value_kind:     hidden_global_offset_x
      - .offset:         72
        .size:           8
        .value_kind:     hidden_global_offset_y
      - .offset:         80
        .size:           8
        .value_kind:     hidden_global_offset_z
      - .offset:         88
        .size:           2
        .value_kind:     hidden_grid_dims
      - .offset:         144
        .size:           4
        .value_kind:     hidden_dynamic_lds_size
    .group_segment_fixed_size: 0
    .kernarg_segment_align: 8
    .kernarg_segment_size: 280
    .language:       OpenCL C
    .language_version:
      - 2
      - 0
    .max_flat_workgroup_size: 1024
    .name:           _ZN2at6native12_GLOBAL__N_122cunn_SoftMaxForwardRegIdddNS1_25LogSoftMaxForwardEpilogueElLi7EEEvPT1_PKT_T3_
    .private_segment_fixed_size: 0
    .sgpr_count:     22
    .sgpr_spill_count: 0
    .symbol:         _ZN2at6native12_GLOBAL__N_122cunn_SoftMaxForwardRegIdddNS1_25LogSoftMaxForwardEpilogueElLi7EEEvPT1_PKT_T3_.kd
    .uniform_work_group_size: 1
    .uses_dynamic_stack: false
    .vgpr_count:     46
    .vgpr_spill_count: 0
    .wavefront_size: 32
    .workgroup_processor_mode: 1
  - .args:
      - .address_space:  global
        .offset:         0
        .size:           8
        .value_kind:     global_buffer
      - .address_space:  global
        .offset:         8
        .size:           8
        .value_kind:     global_buffer
      - .offset:         16
        .size:           8
        .value_kind:     by_value
      - .offset:         24
        .size:           4
        .value_kind:     hidden_block_count_x
      - .offset:         28
        .size:           4
        .value_kind:     hidden_block_count_y
      - .offset:         32
        .size:           4
        .value_kind:     hidden_block_count_z
      - .offset:         36
        .size:           2
        .value_kind:     hidden_group_size_x
      - .offset:         38
        .size:           2
        .value_kind:     hidden_group_size_y
      - .offset:         40
        .size:           2
        .value_kind:     hidden_group_size_z
      - .offset:         42
        .size:           2
        .value_kind:     hidden_remainder_x
      - .offset:         44
        .size:           2
        .value_kind:     hidden_remainder_y
      - .offset:         46
        .size:           2
        .value_kind:     hidden_remainder_z
      - .offset:         64
        .size:           8
        .value_kind:     hidden_global_offset_x
      - .offset:         72
        .size:           8
        .value_kind:     hidden_global_offset_y
      - .offset:         80
        .size:           8
        .value_kind:     hidden_global_offset_z
      - .offset:         88
        .size:           2
        .value_kind:     hidden_grid_dims
      - .offset:         144
        .size:           4
        .value_kind:     hidden_dynamic_lds_size
    .group_segment_fixed_size: 0
    .kernarg_segment_align: 8
    .kernarg_segment_size: 280
    .language:       OpenCL C
    .language_version:
      - 2
      - 0
    .max_flat_workgroup_size: 1024
    .name:           _ZN2at6native12_GLOBAL__N_122cunn_SoftMaxForwardRegIdddNS1_25LogSoftMaxForwardEpilogueElLi8EEEvPT1_PKT_T3_
    .private_segment_fixed_size: 0
    .sgpr_count:     24
    .sgpr_spill_count: 0
    .symbol:         _ZN2at6native12_GLOBAL__N_122cunn_SoftMaxForwardRegIdddNS1_25LogSoftMaxForwardEpilogueElLi8EEEvPT1_PKT_T3_.kd
    .uniform_work_group_size: 1
    .uses_dynamic_stack: false
    .vgpr_count:     49
    .vgpr_spill_count: 0
    .wavefront_size: 32
    .workgroup_processor_mode: 1
  - .args:
      - .address_space:  global
        .offset:         0
        .size:           8
        .value_kind:     global_buffer
      - .address_space:  global
        .offset:         8
        .size:           8
        .value_kind:     global_buffer
      - .offset:         16
        .size:           8
        .value_kind:     by_value
      - .offset:         24
        .size:           4
        .value_kind:     hidden_block_count_x
      - .offset:         28
        .size:           4
        .value_kind:     hidden_block_count_y
      - .offset:         32
        .size:           4
        .value_kind:     hidden_block_count_z
      - .offset:         36
        .size:           2
        .value_kind:     hidden_group_size_x
      - .offset:         38
        .size:           2
        .value_kind:     hidden_group_size_y
      - .offset:         40
        .size:           2
        .value_kind:     hidden_group_size_z
      - .offset:         42
        .size:           2
        .value_kind:     hidden_remainder_x
      - .offset:         44
        .size:           2
        .value_kind:     hidden_remainder_y
      - .offset:         46
        .size:           2
        .value_kind:     hidden_remainder_z
      - .offset:         64
        .size:           8
        .value_kind:     hidden_global_offset_x
      - .offset:         72
        .size:           8
        .value_kind:     hidden_global_offset_y
      - .offset:         80
        .size:           8
        .value_kind:     hidden_global_offset_z
      - .offset:         88
        .size:           2
        .value_kind:     hidden_grid_dims
      - .offset:         144
        .size:           4
        .value_kind:     hidden_dynamic_lds_size
    .group_segment_fixed_size: 0
    .kernarg_segment_align: 8
    .kernarg_segment_size: 280
    .language:       OpenCL C
    .language_version:
      - 2
      - 0
    .max_flat_workgroup_size: 1024
    .name:           _ZN2at6native12_GLOBAL__N_122cunn_SoftMaxForwardRegIdddNS1_25LogSoftMaxForwardEpilogueElLi9EEEvPT1_PKT_T3_
    .private_segment_fixed_size: 0
    .sgpr_count:     24
    .sgpr_spill_count: 0
    .symbol:         _ZN2at6native12_GLOBAL__N_122cunn_SoftMaxForwardRegIdddNS1_25LogSoftMaxForwardEpilogueElLi9EEEvPT1_PKT_T3_.kd
    .uniform_work_group_size: 1
    .uses_dynamic_stack: false
    .vgpr_count:     52
    .vgpr_spill_count: 0
    .wavefront_size: 32
    .workgroup_processor_mode: 1
  - .args:
      - .address_space:  global
        .offset:         0
        .size:           8
        .value_kind:     global_buffer
      - .address_space:  global
        .offset:         8
        .size:           8
        .value_kind:     global_buffer
      - .offset:         16
        .size:           8
        .value_kind:     by_value
      - .offset:         24
        .size:           4
        .value_kind:     hidden_block_count_x
      - .offset:         28
        .size:           4
        .value_kind:     hidden_block_count_y
      - .offset:         32
        .size:           4
        .value_kind:     hidden_block_count_z
      - .offset:         36
        .size:           2
        .value_kind:     hidden_group_size_x
      - .offset:         38
        .size:           2
        .value_kind:     hidden_group_size_y
      - .offset:         40
        .size:           2
        .value_kind:     hidden_group_size_z
      - .offset:         42
        .size:           2
        .value_kind:     hidden_remainder_x
      - .offset:         44
        .size:           2
        .value_kind:     hidden_remainder_y
      - .offset:         46
        .size:           2
        .value_kind:     hidden_remainder_z
      - .offset:         64
        .size:           8
        .value_kind:     hidden_global_offset_x
      - .offset:         72
        .size:           8
        .value_kind:     hidden_global_offset_y
      - .offset:         80
        .size:           8
        .value_kind:     hidden_global_offset_z
      - .offset:         88
        .size:           2
        .value_kind:     hidden_grid_dims
      - .offset:         144
        .size:           4
        .value_kind:     hidden_dynamic_lds_size
    .group_segment_fixed_size: 0
    .kernarg_segment_align: 8
    .kernarg_segment_size: 280
    .language:       OpenCL C
    .language_version:
      - 2
      - 0
    .max_flat_workgroup_size: 1024
    .name:           _ZN2at6native12_GLOBAL__N_123cunn_SoftMaxForwardSmemILi2EdddNS1_25LogSoftMaxForwardEpilogueElEEvPT2_PKT0_T4_
    .private_segment_fixed_size: 0
    .sgpr_count:     49
    .sgpr_spill_count: 0
    .symbol:         _ZN2at6native12_GLOBAL__N_123cunn_SoftMaxForwardSmemILi2EdddNS1_25LogSoftMaxForwardEpilogueElEEvPT2_PKT0_T4_.kd
    .uniform_work_group_size: 1
    .uses_dynamic_stack: false
    .vgpr_count:     34
    .vgpr_spill_count: 0
    .wavefront_size: 32
    .workgroup_processor_mode: 1
  - .args:
      - .address_space:  global
        .offset:         0
        .size:           8
        .value_kind:     global_buffer
      - .address_space:  global
        .offset:         8
        .size:           8
        .value_kind:     global_buffer
      - .offset:         16
        .size:           4
        .value_kind:     by_value
      - .offset:         24
        .size:           4
        .value_kind:     hidden_block_count_x
      - .offset:         28
        .size:           4
        .value_kind:     hidden_block_count_y
      - .offset:         32
        .size:           4
        .value_kind:     hidden_block_count_z
      - .offset:         36
        .size:           2
        .value_kind:     hidden_group_size_x
      - .offset:         38
        .size:           2
        .value_kind:     hidden_group_size_y
      - .offset:         40
        .size:           2
        .value_kind:     hidden_group_size_z
      - .offset:         42
        .size:           2
        .value_kind:     hidden_remainder_x
      - .offset:         44
        .size:           2
        .value_kind:     hidden_remainder_y
      - .offset:         46
        .size:           2
        .value_kind:     hidden_remainder_z
      - .offset:         64
        .size:           8
        .value_kind:     hidden_global_offset_x
      - .offset:         72
        .size:           8
        .value_kind:     hidden_global_offset_y
      - .offset:         80
        .size:           8
        .value_kind:     hidden_global_offset_z
      - .offset:         88
        .size:           2
        .value_kind:     hidden_grid_dims
      - .offset:         144
        .size:           4
        .value_kind:     hidden_dynamic_lds_size
    .group_segment_fixed_size: 0
    .kernarg_segment_align: 8
    .kernarg_segment_size: 280
    .language:       OpenCL C
    .language_version:
      - 2
      - 0
    .max_flat_workgroup_size: 1024
    .name:           _ZN2at6native12_GLOBAL__N_119cunn_SoftMaxForwardILi2EdddNS1_25LogSoftMaxForwardEpilogueEEEvPT2_PKT0_i
    .private_segment_fixed_size: 0
    .sgpr_count:     53
    .sgpr_spill_count: 0
    .symbol:         _ZN2at6native12_GLOBAL__N_119cunn_SoftMaxForwardILi2EdddNS1_25LogSoftMaxForwardEpilogueEEEvPT2_PKT0_i.kd
    .uniform_work_group_size: 1
    .uses_dynamic_stack: false
    .vgpr_count:     33
    .vgpr_spill_count: 0
    .wavefront_size: 32
    .workgroup_processor_mode: 1
  - .args:
      - .address_space:  global
        .offset:         0
        .size:           8
        .value_kind:     global_buffer
      - .address_space:  global
        .offset:         8
        .size:           8
        .value_kind:     global_buffer
      - .offset:         16
        .size:           4
        .value_kind:     by_value
      - .offset:         20
        .size:           4
        .value_kind:     by_value
      - .offset:         24
        .size:           4
        .value_kind:     by_value
      - .address_space:  global
        .offset:         32
        .size:           8
        .value_kind:     global_buffer
      - .offset:         40
        .size:           4
        .value_kind:     by_value
      - .offset:         44
        .size:           1
        .value_kind:     by_value
      - .offset:         48
        .size:           4
        .value_kind:     hidden_block_count_x
      - .offset:         52
        .size:           4
        .value_kind:     hidden_block_count_y
      - .offset:         56
        .size:           4
        .value_kind:     hidden_block_count_z
      - .offset:         60
        .size:           2
        .value_kind:     hidden_group_size_x
      - .offset:         62
        .size:           2
        .value_kind:     hidden_group_size_y
      - .offset:         64
        .size:           2
        .value_kind:     hidden_group_size_z
      - .offset:         66
        .size:           2
        .value_kind:     hidden_remainder_x
      - .offset:         68
        .size:           2
        .value_kind:     hidden_remainder_y
      - .offset:         70
        .size:           2
        .value_kind:     hidden_remainder_z
      - .offset:         88
        .size:           8
        .value_kind:     hidden_global_offset_x
      - .offset:         96
        .size:           8
        .value_kind:     hidden_global_offset_y
      - .offset:         104
        .size:           8
        .value_kind:     hidden_global_offset_z
      - .offset:         112
        .size:           2
        .value_kind:     hidden_grid_dims
    .group_segment_fixed_size: 0
    .kernarg_segment_align: 8
    .kernarg_segment_size: 304
    .language:       OpenCL C
    .language_version:
      - 2
      - 0
    .max_flat_workgroup_size: 1024
    .name:           _ZN12_GLOBAL__N_120softmax_warp_forwardIfffLi0ELb1ELb0ELi64EEEvPT0_PKT_iiiPKbib
    .private_segment_fixed_size: 0
    .sgpr_count:     18
    .sgpr_spill_count: 0
    .symbol:         _ZN12_GLOBAL__N_120softmax_warp_forwardIfffLi0ELb1ELb0ELi64EEEvPT0_PKT_iiiPKbib.kd
    .uniform_work_group_size: 1
    .uses_dynamic_stack: false
    .vgpr_count:     8
    .vgpr_spill_count: 0
    .wavefront_size: 32
    .workgroup_processor_mode: 1
  - .args:
      - .address_space:  global
        .offset:         0
        .size:           8
        .value_kind:     global_buffer
      - .address_space:  global
        .offset:         8
        .size:           8
        .value_kind:     global_buffer
      - .offset:         16
        .size:           4
        .value_kind:     by_value
      - .offset:         20
        .size:           4
        .value_kind:     by_value
      - .offset:         24
        .size:           4
        .value_kind:     by_value
      - .address_space:  global
        .offset:         32
        .size:           8
        .value_kind:     global_buffer
      - .offset:         40
        .size:           4
        .value_kind:     by_value
      - .offset:         44
        .size:           1
        .value_kind:     by_value
      - .offset:         48
        .size:           4
        .value_kind:     hidden_block_count_x
      - .offset:         52
        .size:           4
        .value_kind:     hidden_block_count_y
      - .offset:         56
        .size:           4
        .value_kind:     hidden_block_count_z
      - .offset:         60
        .size:           2
        .value_kind:     hidden_group_size_x
      - .offset:         62
        .size:           2
        .value_kind:     hidden_group_size_y
      - .offset:         64
        .size:           2
        .value_kind:     hidden_group_size_z
      - .offset:         66
        .size:           2
        .value_kind:     hidden_remainder_x
      - .offset:         68
        .size:           2
        .value_kind:     hidden_remainder_y
      - .offset:         70
        .size:           2
        .value_kind:     hidden_remainder_z
      - .offset:         88
        .size:           8
        .value_kind:     hidden_global_offset_x
      - .offset:         96
        .size:           8
        .value_kind:     hidden_global_offset_y
      - .offset:         104
        .size:           8
        .value_kind:     hidden_global_offset_z
      - .offset:         112
        .size:           2
        .value_kind:     hidden_grid_dims
    .group_segment_fixed_size: 0
    .kernarg_segment_align: 8
    .kernarg_segment_size: 304
    .language:       OpenCL C
    .language_version:
      - 2
      - 0
    .max_flat_workgroup_size: 1024
    .name:           _ZN12_GLOBAL__N_120softmax_warp_forwardIfffLi0ELb1ELb0ELi32EEEvPT0_PKT_iiiPKbib
    .private_segment_fixed_size: 0
    .sgpr_count:     18
    .sgpr_spill_count: 0
    .symbol:         _ZN12_GLOBAL__N_120softmax_warp_forwardIfffLi0ELb1ELb0ELi32EEEvPT0_PKT_iiiPKbib.kd
    .uniform_work_group_size: 1
    .uses_dynamic_stack: false
    .vgpr_count:     8
    .vgpr_spill_count: 0
    .wavefront_size: 32
    .workgroup_processor_mode: 1
  - .args:
      - .address_space:  global
        .offset:         0
        .size:           8
        .value_kind:     global_buffer
      - .address_space:  global
        .offset:         8
        .size:           8
        .value_kind:     global_buffer
      - .offset:         16
        .size:           4
        .value_kind:     by_value
      - .offset:         20
        .size:           4
        .value_kind:     by_value
      - .offset:         24
        .size:           4
        .value_kind:     by_value
      - .address_space:  global
        .offset:         32
        .size:           8
        .value_kind:     global_buffer
      - .offset:         40
        .size:           4
        .value_kind:     by_value
      - .offset:         44
        .size:           1
        .value_kind:     by_value
      - .offset:         48
        .size:           4
        .value_kind:     hidden_block_count_x
      - .offset:         52
        .size:           4
        .value_kind:     hidden_block_count_y
      - .offset:         56
        .size:           4
        .value_kind:     hidden_block_count_z
      - .offset:         60
        .size:           2
        .value_kind:     hidden_group_size_x
      - .offset:         62
        .size:           2
        .value_kind:     hidden_group_size_y
      - .offset:         64
        .size:           2
        .value_kind:     hidden_group_size_z
      - .offset:         66
        .size:           2
        .value_kind:     hidden_remainder_x
      - .offset:         68
        .size:           2
        .value_kind:     hidden_remainder_y
      - .offset:         70
        .size:           2
        .value_kind:     hidden_remainder_z
      - .offset:         88
        .size:           8
        .value_kind:     hidden_global_offset_x
      - .offset:         96
        .size:           8
        .value_kind:     hidden_global_offset_y
      - .offset:         104
        .size:           8
        .value_kind:     hidden_global_offset_z
      - .offset:         112
        .size:           2
        .value_kind:     hidden_grid_dims
    .group_segment_fixed_size: 0
    .kernarg_segment_align: 8
    .kernarg_segment_size: 304
    .language:       OpenCL C
    .language_version:
      - 2
      - 0
    .max_flat_workgroup_size: 1024
    .name:           _ZN12_GLOBAL__N_120softmax_warp_forwardIfffLi1ELb1ELb0ELi64EEEvPT0_PKT_iiiPKbib
    .private_segment_fixed_size: 0
    .sgpr_count:     18
    .sgpr_spill_count: 0
    .symbol:         _ZN12_GLOBAL__N_120softmax_warp_forwardIfffLi1ELb1ELb0ELi64EEEvPT0_PKT_iiiPKbib.kd
    .uniform_work_group_size: 1
    .uses_dynamic_stack: false
    .vgpr_count:     12
    .vgpr_spill_count: 0
    .wavefront_size: 32
    .workgroup_processor_mode: 1
  - .args:
      - .address_space:  global
        .offset:         0
        .size:           8
        .value_kind:     global_buffer
      - .address_space:  global
        .offset:         8
        .size:           8
        .value_kind:     global_buffer
      - .offset:         16
        .size:           4
        .value_kind:     by_value
      - .offset:         20
        .size:           4
        .value_kind:     by_value
      - .offset:         24
        .size:           4
        .value_kind:     by_value
      - .address_space:  global
        .offset:         32
        .size:           8
        .value_kind:     global_buffer
      - .offset:         40
        .size:           4
        .value_kind:     by_value
      - .offset:         44
        .size:           1
        .value_kind:     by_value
      - .offset:         48
        .size:           4
        .value_kind:     hidden_block_count_x
      - .offset:         52
        .size:           4
        .value_kind:     hidden_block_count_y
      - .offset:         56
        .size:           4
        .value_kind:     hidden_block_count_z
      - .offset:         60
        .size:           2
        .value_kind:     hidden_group_size_x
      - .offset:         62
        .size:           2
        .value_kind:     hidden_group_size_y
      - .offset:         64
        .size:           2
        .value_kind:     hidden_group_size_z
      - .offset:         66
        .size:           2
        .value_kind:     hidden_remainder_x
      - .offset:         68
        .size:           2
        .value_kind:     hidden_remainder_y
      - .offset:         70
        .size:           2
        .value_kind:     hidden_remainder_z
      - .offset:         88
        .size:           8
        .value_kind:     hidden_global_offset_x
      - .offset:         96
        .size:           8
        .value_kind:     hidden_global_offset_y
      - .offset:         104
        .size:           8
        .value_kind:     hidden_global_offset_z
      - .offset:         112
        .size:           2
        .value_kind:     hidden_grid_dims
    .group_segment_fixed_size: 0
    .kernarg_segment_align: 8
    .kernarg_segment_size: 304
    .language:       OpenCL C
    .language_version:
      - 2
      - 0
    .max_flat_workgroup_size: 1024
    .name:           _ZN12_GLOBAL__N_120softmax_warp_forwardIfffLi1ELb1ELb0ELi32EEEvPT0_PKT_iiiPKbib
    .private_segment_fixed_size: 0
    .sgpr_count:     18
    .sgpr_spill_count: 0
    .symbol:         _ZN12_GLOBAL__N_120softmax_warp_forwardIfffLi1ELb1ELb0ELi32EEEvPT0_PKT_iiiPKbib.kd
    .uniform_work_group_size: 1
    .uses_dynamic_stack: false
    .vgpr_count:     12
    .vgpr_spill_count: 0
    .wavefront_size: 32
    .workgroup_processor_mode: 1
  - .args:
      - .address_space:  global
        .offset:         0
        .size:           8
        .value_kind:     global_buffer
      - .address_space:  global
        .offset:         8
        .size:           8
        .value_kind:     global_buffer
      - .offset:         16
        .size:           4
        .value_kind:     by_value
      - .offset:         20
        .size:           4
        .value_kind:     by_value
      - .offset:         24
        .size:           4
        .value_kind:     by_value
      - .address_space:  global
        .offset:         32
        .size:           8
        .value_kind:     global_buffer
      - .offset:         40
        .size:           4
        .value_kind:     by_value
      - .offset:         44
        .size:           1
        .value_kind:     by_value
      - .offset:         48
        .size:           4
        .value_kind:     hidden_block_count_x
      - .offset:         52
        .size:           4
        .value_kind:     hidden_block_count_y
      - .offset:         56
        .size:           4
        .value_kind:     hidden_block_count_z
      - .offset:         60
        .size:           2
        .value_kind:     hidden_group_size_x
      - .offset:         62
        .size:           2
        .value_kind:     hidden_group_size_y
      - .offset:         64
        .size:           2
        .value_kind:     hidden_group_size_z
      - .offset:         66
        .size:           2
        .value_kind:     hidden_remainder_x
      - .offset:         68
        .size:           2
        .value_kind:     hidden_remainder_y
      - .offset:         70
        .size:           2
        .value_kind:     hidden_remainder_z
      - .offset:         88
        .size:           8
        .value_kind:     hidden_global_offset_x
      - .offset:         96
        .size:           8
        .value_kind:     hidden_global_offset_y
      - .offset:         104
        .size:           8
        .value_kind:     hidden_global_offset_z
      - .offset:         112
        .size:           2
        .value_kind:     hidden_grid_dims
    .group_segment_fixed_size: 0
    .kernarg_segment_align: 8
    .kernarg_segment_size: 304
    .language:       OpenCL C
    .language_version:
      - 2
      - 0
    .max_flat_workgroup_size: 1024
    .name:           _ZN12_GLOBAL__N_120softmax_warp_forwardIfffLi2ELb1ELb0ELi64EEEvPT0_PKT_iiiPKbib
    .private_segment_fixed_size: 0
    .sgpr_count:     18
    .sgpr_spill_count: 0
    .symbol:         _ZN12_GLOBAL__N_120softmax_warp_forwardIfffLi2ELb1ELb0ELi64EEEvPT0_PKT_iiiPKbib.kd
    .uniform_work_group_size: 1
    .uses_dynamic_stack: false
    .vgpr_count:     13
    .vgpr_spill_count: 0
    .wavefront_size: 32
    .workgroup_processor_mode: 1
  - .args:
      - .address_space:  global
        .offset:         0
        .size:           8
        .value_kind:     global_buffer
      - .address_space:  global
        .offset:         8
        .size:           8
        .value_kind:     global_buffer
      - .offset:         16
        .size:           4
        .value_kind:     by_value
      - .offset:         20
        .size:           4
        .value_kind:     by_value
      - .offset:         24
        .size:           4
        .value_kind:     by_value
      - .address_space:  global
        .offset:         32
        .size:           8
        .value_kind:     global_buffer
      - .offset:         40
        .size:           4
        .value_kind:     by_value
      - .offset:         44
        .size:           1
        .value_kind:     by_value
      - .offset:         48
        .size:           4
        .value_kind:     hidden_block_count_x
      - .offset:         52
        .size:           4
        .value_kind:     hidden_block_count_y
      - .offset:         56
        .size:           4
        .value_kind:     hidden_block_count_z
      - .offset:         60
        .size:           2
        .value_kind:     hidden_group_size_x
      - .offset:         62
        .size:           2
        .value_kind:     hidden_group_size_y
      - .offset:         64
        .size:           2
        .value_kind:     hidden_group_size_z
      - .offset:         66
        .size:           2
        .value_kind:     hidden_remainder_x
      - .offset:         68
        .size:           2
        .value_kind:     hidden_remainder_y
      - .offset:         70
        .size:           2
        .value_kind:     hidden_remainder_z
      - .offset:         88
        .size:           8
        .value_kind:     hidden_global_offset_x
      - .offset:         96
        .size:           8
        .value_kind:     hidden_global_offset_y
      - .offset:         104
        .size:           8
        .value_kind:     hidden_global_offset_z
      - .offset:         112
        .size:           2
        .value_kind:     hidden_grid_dims
    .group_segment_fixed_size: 0
    .kernarg_segment_align: 8
    .kernarg_segment_size: 304
    .language:       OpenCL C
    .language_version:
      - 2
      - 0
    .max_flat_workgroup_size: 1024
    .name:           _ZN12_GLOBAL__N_120softmax_warp_forwardIfffLi2ELb1ELb0ELi32EEEvPT0_PKT_iiiPKbib
    .private_segment_fixed_size: 0
    .sgpr_count:     18
    .sgpr_spill_count: 0
    .symbol:         _ZN12_GLOBAL__N_120softmax_warp_forwardIfffLi2ELb1ELb0ELi32EEEvPT0_PKT_iiiPKbib.kd
    .uniform_work_group_size: 1
    .uses_dynamic_stack: false
    .vgpr_count:     13
    .vgpr_spill_count: 0
    .wavefront_size: 32
    .workgroup_processor_mode: 1
  - .args:
      - .address_space:  global
        .offset:         0
        .size:           8
        .value_kind:     global_buffer
      - .address_space:  global
        .offset:         8
        .size:           8
        .value_kind:     global_buffer
      - .offset:         16
        .size:           4
        .value_kind:     by_value
      - .offset:         20
        .size:           4
        .value_kind:     by_value
      - .offset:         24
        .size:           4
        .value_kind:     by_value
      - .address_space:  global
        .offset:         32
        .size:           8
        .value_kind:     global_buffer
      - .offset:         40
        .size:           4
        .value_kind:     by_value
      - .offset:         44
        .size:           1
        .value_kind:     by_value
      - .offset:         48
        .size:           4
        .value_kind:     hidden_block_count_x
      - .offset:         52
        .size:           4
        .value_kind:     hidden_block_count_y
      - .offset:         56
        .size:           4
        .value_kind:     hidden_block_count_z
      - .offset:         60
        .size:           2
        .value_kind:     hidden_group_size_x
      - .offset:         62
        .size:           2
        .value_kind:     hidden_group_size_y
      - .offset:         64
        .size:           2
        .value_kind:     hidden_group_size_z
      - .offset:         66
        .size:           2
        .value_kind:     hidden_remainder_x
      - .offset:         68
        .size:           2
        .value_kind:     hidden_remainder_y
      - .offset:         70
        .size:           2
        .value_kind:     hidden_remainder_z
      - .offset:         88
        .size:           8
        .value_kind:     hidden_global_offset_x
      - .offset:         96
        .size:           8
        .value_kind:     hidden_global_offset_y
      - .offset:         104
        .size:           8
        .value_kind:     hidden_global_offset_z
      - .offset:         112
        .size:           2
        .value_kind:     hidden_grid_dims
    .group_segment_fixed_size: 0
    .kernarg_segment_align: 8
    .kernarg_segment_size: 304
    .language:       OpenCL C
    .language_version:
      - 2
      - 0
    .max_flat_workgroup_size: 1024
    .name:           _ZN12_GLOBAL__N_120softmax_warp_forwardIfffLi3ELb1ELb0ELi64EEEvPT0_PKT_iiiPKbib
    .private_segment_fixed_size: 0
    .sgpr_count:     18
    .sgpr_spill_count: 0
    .symbol:         _ZN12_GLOBAL__N_120softmax_warp_forwardIfffLi3ELb1ELb0ELi64EEEvPT0_PKT_iiiPKbib.kd
    .uniform_work_group_size: 1
    .uses_dynamic_stack: false
    .vgpr_count:     14
    .vgpr_spill_count: 0
    .wavefront_size: 32
    .workgroup_processor_mode: 1
  - .args:
      - .address_space:  global
        .offset:         0
        .size:           8
        .value_kind:     global_buffer
      - .address_space:  global
        .offset:         8
        .size:           8
        .value_kind:     global_buffer
      - .offset:         16
        .size:           4
        .value_kind:     by_value
      - .offset:         20
        .size:           4
        .value_kind:     by_value
      - .offset:         24
        .size:           4
        .value_kind:     by_value
      - .address_space:  global
        .offset:         32
        .size:           8
        .value_kind:     global_buffer
      - .offset:         40
        .size:           4
        .value_kind:     by_value
      - .offset:         44
        .size:           1
        .value_kind:     by_value
      - .offset:         48
        .size:           4
        .value_kind:     hidden_block_count_x
      - .offset:         52
        .size:           4
        .value_kind:     hidden_block_count_y
      - .offset:         56
        .size:           4
        .value_kind:     hidden_block_count_z
      - .offset:         60
        .size:           2
        .value_kind:     hidden_group_size_x
      - .offset:         62
        .size:           2
        .value_kind:     hidden_group_size_y
      - .offset:         64
        .size:           2
        .value_kind:     hidden_group_size_z
      - .offset:         66
        .size:           2
        .value_kind:     hidden_remainder_x
      - .offset:         68
        .size:           2
        .value_kind:     hidden_remainder_y
      - .offset:         70
        .size:           2
        .value_kind:     hidden_remainder_z
      - .offset:         88
        .size:           8
        .value_kind:     hidden_global_offset_x
      - .offset:         96
        .size:           8
        .value_kind:     hidden_global_offset_y
      - .offset:         104
        .size:           8
        .value_kind:     hidden_global_offset_z
      - .offset:         112
        .size:           2
        .value_kind:     hidden_grid_dims
    .group_segment_fixed_size: 0
    .kernarg_segment_align: 8
    .kernarg_segment_size: 304
    .language:       OpenCL C
    .language_version:
      - 2
      - 0
    .max_flat_workgroup_size: 1024
    .name:           _ZN12_GLOBAL__N_120softmax_warp_forwardIfffLi3ELb1ELb0ELi32EEEvPT0_PKT_iiiPKbib
    .private_segment_fixed_size: 0
    .sgpr_count:     18
    .sgpr_spill_count: 0
    .symbol:         _ZN12_GLOBAL__N_120softmax_warp_forwardIfffLi3ELb1ELb0ELi32EEEvPT0_PKT_iiiPKbib.kd
    .uniform_work_group_size: 1
    .uses_dynamic_stack: false
    .vgpr_count:     14
    .vgpr_spill_count: 0
    .wavefront_size: 32
    .workgroup_processor_mode: 1
  - .args:
      - .address_space:  global
        .offset:         0
        .size:           8
        .value_kind:     global_buffer
      - .address_space:  global
        .offset:         8
        .size:           8
        .value_kind:     global_buffer
      - .offset:         16
        .size:           4
        .value_kind:     by_value
      - .offset:         20
        .size:           4
        .value_kind:     by_value
      - .offset:         24
        .size:           4
        .value_kind:     by_value
      - .address_space:  global
        .offset:         32
        .size:           8
        .value_kind:     global_buffer
      - .offset:         40
        .size:           4
        .value_kind:     by_value
      - .offset:         44
        .size:           1
        .value_kind:     by_value
      - .offset:         48
        .size:           4
        .value_kind:     hidden_block_count_x
      - .offset:         52
        .size:           4
        .value_kind:     hidden_block_count_y
      - .offset:         56
        .size:           4
        .value_kind:     hidden_block_count_z
      - .offset:         60
        .size:           2
        .value_kind:     hidden_group_size_x
      - .offset:         62
        .size:           2
        .value_kind:     hidden_group_size_y
      - .offset:         64
        .size:           2
        .value_kind:     hidden_group_size_z
      - .offset:         66
        .size:           2
        .value_kind:     hidden_remainder_x
      - .offset:         68
        .size:           2
        .value_kind:     hidden_remainder_y
      - .offset:         70
        .size:           2
        .value_kind:     hidden_remainder_z
      - .offset:         88
        .size:           8
        .value_kind:     hidden_global_offset_x
      - .offset:         96
        .size:           8
        .value_kind:     hidden_global_offset_y
      - .offset:         104
        .size:           8
        .value_kind:     hidden_global_offset_z
      - .offset:         112
        .size:           2
        .value_kind:     hidden_grid_dims
    .group_segment_fixed_size: 0
    .kernarg_segment_align: 8
    .kernarg_segment_size: 304
    .language:       OpenCL C
    .language_version:
      - 2
      - 0
    .max_flat_workgroup_size: 1024
    .name:           _ZN12_GLOBAL__N_120softmax_warp_forwardIfffLi4ELb1ELb0ELi64EEEvPT0_PKT_iiiPKbib
    .private_segment_fixed_size: 0
    .sgpr_count:     18
    .sgpr_spill_count: 0
    .symbol:         _ZN12_GLOBAL__N_120softmax_warp_forwardIfffLi4ELb1ELb0ELi64EEEvPT0_PKT_iiiPKbib.kd
    .uniform_work_group_size: 1
    .uses_dynamic_stack: false
    .vgpr_count:     15
    .vgpr_spill_count: 0
    .wavefront_size: 32
    .workgroup_processor_mode: 1
  - .args:
      - .address_space:  global
        .offset:         0
        .size:           8
        .value_kind:     global_buffer
      - .address_space:  global
        .offset:         8
        .size:           8
        .value_kind:     global_buffer
      - .offset:         16
        .size:           4
        .value_kind:     by_value
      - .offset:         20
        .size:           4
        .value_kind:     by_value
      - .offset:         24
        .size:           4
        .value_kind:     by_value
      - .address_space:  global
        .offset:         32
        .size:           8
        .value_kind:     global_buffer
      - .offset:         40
        .size:           4
        .value_kind:     by_value
      - .offset:         44
        .size:           1
        .value_kind:     by_value
      - .offset:         48
        .size:           4
        .value_kind:     hidden_block_count_x
      - .offset:         52
        .size:           4
        .value_kind:     hidden_block_count_y
      - .offset:         56
        .size:           4
        .value_kind:     hidden_block_count_z
      - .offset:         60
        .size:           2
        .value_kind:     hidden_group_size_x
      - .offset:         62
        .size:           2
        .value_kind:     hidden_group_size_y
      - .offset:         64
        .size:           2
        .value_kind:     hidden_group_size_z
      - .offset:         66
        .size:           2
        .value_kind:     hidden_remainder_x
      - .offset:         68
        .size:           2
        .value_kind:     hidden_remainder_y
      - .offset:         70
        .size:           2
        .value_kind:     hidden_remainder_z
      - .offset:         88
        .size:           8
        .value_kind:     hidden_global_offset_x
      - .offset:         96
        .size:           8
        .value_kind:     hidden_global_offset_y
      - .offset:         104
        .size:           8
        .value_kind:     hidden_global_offset_z
      - .offset:         112
        .size:           2
        .value_kind:     hidden_grid_dims
    .group_segment_fixed_size: 0
    .kernarg_segment_align: 8
    .kernarg_segment_size: 304
    .language:       OpenCL C
    .language_version:
      - 2
      - 0
    .max_flat_workgroup_size: 1024
    .name:           _ZN12_GLOBAL__N_120softmax_warp_forwardIfffLi4ELb1ELb0ELi32EEEvPT0_PKT_iiiPKbib
    .private_segment_fixed_size: 0
    .sgpr_count:     18
    .sgpr_spill_count: 0
    .symbol:         _ZN12_GLOBAL__N_120softmax_warp_forwardIfffLi4ELb1ELb0ELi32EEEvPT0_PKT_iiiPKbib.kd
    .uniform_work_group_size: 1
    .uses_dynamic_stack: false
    .vgpr_count:     15
    .vgpr_spill_count: 0
    .wavefront_size: 32
    .workgroup_processor_mode: 1
  - .args:
      - .address_space:  global
        .offset:         0
        .size:           8
        .value_kind:     global_buffer
      - .address_space:  global
        .offset:         8
        .size:           8
        .value_kind:     global_buffer
      - .offset:         16
        .size:           4
        .value_kind:     by_value
      - .offset:         20
        .size:           4
        .value_kind:     by_value
      - .offset:         24
        .size:           4
        .value_kind:     by_value
      - .address_space:  global
        .offset:         32
        .size:           8
        .value_kind:     global_buffer
      - .offset:         40
        .size:           4
        .value_kind:     by_value
      - .offset:         44
        .size:           1
        .value_kind:     by_value
      - .offset:         48
        .size:           4
        .value_kind:     hidden_block_count_x
      - .offset:         52
        .size:           4
        .value_kind:     hidden_block_count_y
      - .offset:         56
        .size:           4
        .value_kind:     hidden_block_count_z
      - .offset:         60
        .size:           2
        .value_kind:     hidden_group_size_x
      - .offset:         62
        .size:           2
        .value_kind:     hidden_group_size_y
      - .offset:         64
        .size:           2
        .value_kind:     hidden_group_size_z
      - .offset:         66
        .size:           2
        .value_kind:     hidden_remainder_x
      - .offset:         68
        .size:           2
        .value_kind:     hidden_remainder_y
      - .offset:         70
        .size:           2
        .value_kind:     hidden_remainder_z
      - .offset:         88
        .size:           8
        .value_kind:     hidden_global_offset_x
      - .offset:         96
        .size:           8
        .value_kind:     hidden_global_offset_y
      - .offset:         104
        .size:           8
        .value_kind:     hidden_global_offset_z
      - .offset:         112
        .size:           2
        .value_kind:     hidden_grid_dims
    .group_segment_fixed_size: 0
    .kernarg_segment_align: 8
    .kernarg_segment_size: 304
    .language:       OpenCL C
    .language_version:
      - 2
      - 0
    .max_flat_workgroup_size: 1024
    .name:           _ZN12_GLOBAL__N_120softmax_warp_forwardIfffLi5ELb1ELb0ELi64EEEvPT0_PKT_iiiPKbib
    .private_segment_fixed_size: 0
    .sgpr_count:     18
    .sgpr_spill_count: 0
    .symbol:         _ZN12_GLOBAL__N_120softmax_warp_forwardIfffLi5ELb1ELb0ELi64EEEvPT0_PKT_iiiPKbib.kd
    .uniform_work_group_size: 1
    .uses_dynamic_stack: false
    .vgpr_count:     16
    .vgpr_spill_count: 0
    .wavefront_size: 32
    .workgroup_processor_mode: 1
  - .args:
      - .address_space:  global
        .offset:         0
        .size:           8
        .value_kind:     global_buffer
      - .address_space:  global
        .offset:         8
        .size:           8
        .value_kind:     global_buffer
      - .offset:         16
        .size:           4
        .value_kind:     by_value
      - .offset:         20
        .size:           4
        .value_kind:     by_value
      - .offset:         24
        .size:           4
        .value_kind:     by_value
      - .address_space:  global
        .offset:         32
        .size:           8
        .value_kind:     global_buffer
      - .offset:         40
        .size:           4
        .value_kind:     by_value
      - .offset:         44
        .size:           1
        .value_kind:     by_value
      - .offset:         48
        .size:           4
        .value_kind:     hidden_block_count_x
      - .offset:         52
        .size:           4
        .value_kind:     hidden_block_count_y
      - .offset:         56
        .size:           4
        .value_kind:     hidden_block_count_z
      - .offset:         60
        .size:           2
        .value_kind:     hidden_group_size_x
      - .offset:         62
        .size:           2
        .value_kind:     hidden_group_size_y
      - .offset:         64
        .size:           2
        .value_kind:     hidden_group_size_z
      - .offset:         66
        .size:           2
        .value_kind:     hidden_remainder_x
      - .offset:         68
        .size:           2
        .value_kind:     hidden_remainder_y
      - .offset:         70
        .size:           2
        .value_kind:     hidden_remainder_z
      - .offset:         88
        .size:           8
        .value_kind:     hidden_global_offset_x
      - .offset:         96
        .size:           8
        .value_kind:     hidden_global_offset_y
      - .offset:         104
        .size:           8
        .value_kind:     hidden_global_offset_z
      - .offset:         112
        .size:           2
        .value_kind:     hidden_grid_dims
    .group_segment_fixed_size: 0
    .kernarg_segment_align: 8
    .kernarg_segment_size: 304
    .language:       OpenCL C
    .language_version:
      - 2
      - 0
    .max_flat_workgroup_size: 1024
    .name:           _ZN12_GLOBAL__N_120softmax_warp_forwardIfffLi5ELb1ELb0ELi32EEEvPT0_PKT_iiiPKbib
    .private_segment_fixed_size: 0
    .sgpr_count:     18
    .sgpr_spill_count: 0
    .symbol:         _ZN12_GLOBAL__N_120softmax_warp_forwardIfffLi5ELb1ELb0ELi32EEEvPT0_PKT_iiiPKbib.kd
    .uniform_work_group_size: 1
    .uses_dynamic_stack: false
    .vgpr_count:     16
    .vgpr_spill_count: 0
    .wavefront_size: 32
    .workgroup_processor_mode: 1
  - .args:
      - .address_space:  global
        .offset:         0
        .size:           8
        .value_kind:     global_buffer
      - .address_space:  global
        .offset:         8
        .size:           8
        .value_kind:     global_buffer
      - .offset:         16
        .size:           4
        .value_kind:     by_value
      - .offset:         20
        .size:           4
        .value_kind:     by_value
      - .offset:         24
        .size:           4
        .value_kind:     by_value
      - .address_space:  global
        .offset:         32
        .size:           8
        .value_kind:     global_buffer
      - .offset:         40
        .size:           4
        .value_kind:     by_value
      - .offset:         44
        .size:           1
        .value_kind:     by_value
      - .offset:         48
        .size:           4
        .value_kind:     hidden_block_count_x
      - .offset:         52
        .size:           4
        .value_kind:     hidden_block_count_y
      - .offset:         56
        .size:           4
        .value_kind:     hidden_block_count_z
      - .offset:         60
        .size:           2
        .value_kind:     hidden_group_size_x
      - .offset:         62
        .size:           2
        .value_kind:     hidden_group_size_y
      - .offset:         64
        .size:           2
        .value_kind:     hidden_group_size_z
      - .offset:         66
        .size:           2
        .value_kind:     hidden_remainder_x
      - .offset:         68
        .size:           2
        .value_kind:     hidden_remainder_y
      - .offset:         70
        .size:           2
        .value_kind:     hidden_remainder_z
      - .offset:         88
        .size:           8
        .value_kind:     hidden_global_offset_x
      - .offset:         96
        .size:           8
        .value_kind:     hidden_global_offset_y
      - .offset:         104
        .size:           8
        .value_kind:     hidden_global_offset_z
      - .offset:         112
        .size:           2
        .value_kind:     hidden_grid_dims
    .group_segment_fixed_size: 0
    .kernarg_segment_align: 8
    .kernarg_segment_size: 304
    .language:       OpenCL C
    .language_version:
      - 2
      - 0
    .max_flat_workgroup_size: 1024
    .name:           _ZN12_GLOBAL__N_120softmax_warp_forwardIfffLi6ELb1ELb0ELi64EEEvPT0_PKT_iiiPKbib
    .private_segment_fixed_size: 0
    .sgpr_count:     18
    .sgpr_spill_count: 0
    .symbol:         _ZN12_GLOBAL__N_120softmax_warp_forwardIfffLi6ELb1ELb0ELi64EEEvPT0_PKT_iiiPKbib.kd
    .uniform_work_group_size: 1
    .uses_dynamic_stack: false
    .vgpr_count:     17
    .vgpr_spill_count: 0
    .wavefront_size: 32
    .workgroup_processor_mode: 1
  - .args:
      - .address_space:  global
        .offset:         0
        .size:           8
        .value_kind:     global_buffer
      - .address_space:  global
        .offset:         8
        .size:           8
        .value_kind:     global_buffer
      - .offset:         16
        .size:           4
        .value_kind:     by_value
      - .offset:         20
        .size:           4
        .value_kind:     by_value
      - .offset:         24
        .size:           4
        .value_kind:     by_value
      - .address_space:  global
        .offset:         32
        .size:           8
        .value_kind:     global_buffer
      - .offset:         40
        .size:           4
        .value_kind:     by_value
      - .offset:         44
        .size:           1
        .value_kind:     by_value
      - .offset:         48
        .size:           4
        .value_kind:     hidden_block_count_x
      - .offset:         52
        .size:           4
        .value_kind:     hidden_block_count_y
      - .offset:         56
        .size:           4
        .value_kind:     hidden_block_count_z
      - .offset:         60
        .size:           2
        .value_kind:     hidden_group_size_x
      - .offset:         62
        .size:           2
        .value_kind:     hidden_group_size_y
      - .offset:         64
        .size:           2
        .value_kind:     hidden_group_size_z
      - .offset:         66
        .size:           2
        .value_kind:     hidden_remainder_x
      - .offset:         68
        .size:           2
        .value_kind:     hidden_remainder_y
      - .offset:         70
        .size:           2
        .value_kind:     hidden_remainder_z
      - .offset:         88
        .size:           8
        .value_kind:     hidden_global_offset_x
      - .offset:         96
        .size:           8
        .value_kind:     hidden_global_offset_y
      - .offset:         104
        .size:           8
        .value_kind:     hidden_global_offset_z
      - .offset:         112
        .size:           2
        .value_kind:     hidden_grid_dims
    .group_segment_fixed_size: 0
    .kernarg_segment_align: 8
    .kernarg_segment_size: 304
    .language:       OpenCL C
    .language_version:
      - 2
      - 0
    .max_flat_workgroup_size: 1024
    .name:           _ZN12_GLOBAL__N_120softmax_warp_forwardIfffLi6ELb1ELb0ELi32EEEvPT0_PKT_iiiPKbib
    .private_segment_fixed_size: 0
    .sgpr_count:     18
    .sgpr_spill_count: 0
    .symbol:         _ZN12_GLOBAL__N_120softmax_warp_forwardIfffLi6ELb1ELb0ELi32EEEvPT0_PKT_iiiPKbib.kd
    .uniform_work_group_size: 1
    .uses_dynamic_stack: false
    .vgpr_count:     24
    .vgpr_spill_count: 0
    .wavefront_size: 32
    .workgroup_processor_mode: 1
  - .args:
      - .address_space:  global
        .offset:         0
        .size:           8
        .value_kind:     global_buffer
      - .address_space:  global
        .offset:         8
        .size:           8
        .value_kind:     global_buffer
      - .offset:         16
        .size:           4
        .value_kind:     by_value
      - .offset:         20
        .size:           4
        .value_kind:     by_value
      - .offset:         24
        .size:           4
        .value_kind:     by_value
      - .address_space:  global
        .offset:         32
        .size:           8
        .value_kind:     global_buffer
      - .offset:         40
        .size:           4
        .value_kind:     by_value
      - .offset:         44
        .size:           1
        .value_kind:     by_value
      - .offset:         48
        .size:           4
        .value_kind:     hidden_block_count_x
      - .offset:         52
        .size:           4
        .value_kind:     hidden_block_count_y
      - .offset:         56
        .size:           4
        .value_kind:     hidden_block_count_z
      - .offset:         60
        .size:           2
        .value_kind:     hidden_group_size_x
      - .offset:         62
        .size:           2
        .value_kind:     hidden_group_size_y
      - .offset:         64
        .size:           2
        .value_kind:     hidden_group_size_z
      - .offset:         66
        .size:           2
        .value_kind:     hidden_remainder_x
      - .offset:         68
        .size:           2
        .value_kind:     hidden_remainder_y
      - .offset:         70
        .size:           2
        .value_kind:     hidden_remainder_z
      - .offset:         88
        .size:           8
        .value_kind:     hidden_global_offset_x
      - .offset:         96
        .size:           8
        .value_kind:     hidden_global_offset_y
      - .offset:         104
        .size:           8
        .value_kind:     hidden_global_offset_z
      - .offset:         112
        .size:           2
        .value_kind:     hidden_grid_dims
    .group_segment_fixed_size: 0
    .kernarg_segment_align: 8
    .kernarg_segment_size: 304
    .language:       OpenCL C
    .language_version:
      - 2
      - 0
    .max_flat_workgroup_size: 1024
    .name:           _ZN12_GLOBAL__N_120softmax_warp_forwardIfffLi7ELb1ELb0ELi64EEEvPT0_PKT_iiiPKbib
    .private_segment_fixed_size: 0
    .sgpr_count:     18
    .sgpr_spill_count: 0
    .symbol:         _ZN12_GLOBAL__N_120softmax_warp_forwardIfffLi7ELb1ELb0ELi64EEEvPT0_PKT_iiiPKbib.kd
    .uniform_work_group_size: 1
    .uses_dynamic_stack: false
    .vgpr_count:     25
    .vgpr_spill_count: 0
    .wavefront_size: 32
    .workgroup_processor_mode: 1
  - .args:
      - .address_space:  global
        .offset:         0
        .size:           8
        .value_kind:     global_buffer
      - .address_space:  global
        .offset:         8
        .size:           8
        .value_kind:     global_buffer
      - .offset:         16
        .size:           4
        .value_kind:     by_value
      - .offset:         20
        .size:           4
        .value_kind:     by_value
      - .offset:         24
        .size:           4
        .value_kind:     by_value
      - .address_space:  global
        .offset:         32
        .size:           8
        .value_kind:     global_buffer
      - .offset:         40
        .size:           4
        .value_kind:     by_value
      - .offset:         44
        .size:           1
        .value_kind:     by_value
      - .offset:         48
        .size:           4
        .value_kind:     hidden_block_count_x
      - .offset:         52
        .size:           4
        .value_kind:     hidden_block_count_y
      - .offset:         56
        .size:           4
        .value_kind:     hidden_block_count_z
      - .offset:         60
        .size:           2
        .value_kind:     hidden_group_size_x
      - .offset:         62
        .size:           2
        .value_kind:     hidden_group_size_y
      - .offset:         64
        .size:           2
        .value_kind:     hidden_group_size_z
      - .offset:         66
        .size:           2
        .value_kind:     hidden_remainder_x
      - .offset:         68
        .size:           2
        .value_kind:     hidden_remainder_y
      - .offset:         70
        .size:           2
        .value_kind:     hidden_remainder_z
      - .offset:         88
        .size:           8
        .value_kind:     hidden_global_offset_x
      - .offset:         96
        .size:           8
        .value_kind:     hidden_global_offset_y
      - .offset:         104
        .size:           8
        .value_kind:     hidden_global_offset_z
      - .offset:         112
        .size:           2
        .value_kind:     hidden_grid_dims
    .group_segment_fixed_size: 0
    .kernarg_segment_align: 8
    .kernarg_segment_size: 304
    .language:       OpenCL C
    .language_version:
      - 2
      - 0
    .max_flat_workgroup_size: 1024
    .name:           _ZN12_GLOBAL__N_120softmax_warp_forwardIfffLi7ELb1ELb0ELi32EEEvPT0_PKT_iiiPKbib
    .private_segment_fixed_size: 0
    .sgpr_count:     26
    .sgpr_spill_count: 0
    .symbol:         _ZN12_GLOBAL__N_120softmax_warp_forwardIfffLi7ELb1ELb0ELi32EEEvPT0_PKT_iiiPKbib.kd
    .uniform_work_group_size: 1
    .uses_dynamic_stack: false
    .vgpr_count:     40
    .vgpr_spill_count: 0
    .wavefront_size: 32
    .workgroup_processor_mode: 1
  - .args:
      - .address_space:  global
        .offset:         0
        .size:           8
        .value_kind:     global_buffer
      - .address_space:  global
        .offset:         8
        .size:           8
        .value_kind:     global_buffer
      - .offset:         16
        .size:           4
        .value_kind:     by_value
      - .offset:         20
        .size:           4
        .value_kind:     by_value
      - .offset:         24
        .size:           4
        .value_kind:     by_value
      - .address_space:  global
        .offset:         32
        .size:           8
        .value_kind:     global_buffer
      - .offset:         40
        .size:           4
        .value_kind:     by_value
      - .offset:         44
        .size:           1
        .value_kind:     by_value
      - .offset:         48
        .size:           4
        .value_kind:     hidden_block_count_x
      - .offset:         52
        .size:           4
        .value_kind:     hidden_block_count_y
      - .offset:         56
        .size:           4
        .value_kind:     hidden_block_count_z
      - .offset:         60
        .size:           2
        .value_kind:     hidden_group_size_x
      - .offset:         62
        .size:           2
        .value_kind:     hidden_group_size_y
      - .offset:         64
        .size:           2
        .value_kind:     hidden_group_size_z
      - .offset:         66
        .size:           2
        .value_kind:     hidden_remainder_x
      - .offset:         68
        .size:           2
        .value_kind:     hidden_remainder_y
      - .offset:         70
        .size:           2
        .value_kind:     hidden_remainder_z
      - .offset:         88
        .size:           8
        .value_kind:     hidden_global_offset_x
      - .offset:         96
        .size:           8
        .value_kind:     hidden_global_offset_y
      - .offset:         104
        .size:           8
        .value_kind:     hidden_global_offset_z
      - .offset:         112
        .size:           2
        .value_kind:     hidden_grid_dims
    .group_segment_fixed_size: 0
    .kernarg_segment_align: 8
    .kernarg_segment_size: 304
    .language:       OpenCL C
    .language_version:
      - 2
      - 0
    .max_flat_workgroup_size: 1024
    .name:           _ZN12_GLOBAL__N_120softmax_warp_forwardIfffLi8ELb1ELb0ELi64EEEvPT0_PKT_iiiPKbib
    .private_segment_fixed_size: 0
    .sgpr_count:     18
    .sgpr_spill_count: 0
    .symbol:         _ZN12_GLOBAL__N_120softmax_warp_forwardIfffLi8ELb1ELb0ELi64EEEvPT0_PKT_iiiPKbib.kd
    .uniform_work_group_size: 1
    .uses_dynamic_stack: false
    .vgpr_count:     24
    .vgpr_spill_count: 0
    .wavefront_size: 32
    .workgroup_processor_mode: 1
  - .args:
      - .address_space:  global
        .offset:         0
        .size:           8
        .value_kind:     global_buffer
      - .address_space:  global
        .offset:         8
        .size:           8
        .value_kind:     global_buffer
      - .offset:         16
        .size:           4
        .value_kind:     by_value
      - .offset:         20
        .size:           4
        .value_kind:     by_value
      - .offset:         24
        .size:           4
        .value_kind:     by_value
      - .address_space:  global
        .offset:         32
        .size:           8
        .value_kind:     global_buffer
      - .offset:         40
        .size:           4
        .value_kind:     by_value
      - .offset:         44
        .size:           1
        .value_kind:     by_value
      - .offset:         48
        .size:           4
        .value_kind:     hidden_block_count_x
      - .offset:         52
        .size:           4
        .value_kind:     hidden_block_count_y
      - .offset:         56
        .size:           4
        .value_kind:     hidden_block_count_z
      - .offset:         60
        .size:           2
        .value_kind:     hidden_group_size_x
      - .offset:         62
        .size:           2
        .value_kind:     hidden_group_size_y
      - .offset:         64
        .size:           2
        .value_kind:     hidden_group_size_z
      - .offset:         66
        .size:           2
        .value_kind:     hidden_remainder_x
      - .offset:         68
        .size:           2
        .value_kind:     hidden_remainder_y
      - .offset:         70
        .size:           2
        .value_kind:     hidden_remainder_z
      - .offset:         88
        .size:           8
        .value_kind:     hidden_global_offset_x
      - .offset:         96
        .size:           8
        .value_kind:     hidden_global_offset_y
      - .offset:         104
        .size:           8
        .value_kind:     hidden_global_offset_z
      - .offset:         112
        .size:           2
        .value_kind:     hidden_grid_dims
    .group_segment_fixed_size: 0
    .kernarg_segment_align: 8
    .kernarg_segment_size: 304
    .language:       OpenCL C
    .language_version:
      - 2
      - 0
    .max_flat_workgroup_size: 1024
    .name:           _ZN12_GLOBAL__N_120softmax_warp_forwardIfffLi8ELb1ELb0ELi32EEEvPT0_PKT_iiiPKbib
    .private_segment_fixed_size: 0
    .sgpr_count:     26
    .sgpr_spill_count: 0
    .symbol:         _ZN12_GLOBAL__N_120softmax_warp_forwardIfffLi8ELb1ELb0ELi32EEEvPT0_PKT_iiiPKbib.kd
    .uniform_work_group_size: 1
    .uses_dynamic_stack: false
    .vgpr_count:     40
    .vgpr_spill_count: 0
    .wavefront_size: 32
    .workgroup_processor_mode: 1
  - .args:
      - .address_space:  global
        .offset:         0
        .size:           8
        .value_kind:     global_buffer
      - .address_space:  global
        .offset:         8
        .size:           8
        .value_kind:     global_buffer
      - .offset:         16
        .size:           4
        .value_kind:     by_value
      - .offset:         20
        .size:           4
        .value_kind:     by_value
      - .offset:         24
        .size:           4
        .value_kind:     by_value
      - .address_space:  global
        .offset:         32
        .size:           8
        .value_kind:     global_buffer
      - .offset:         40
        .size:           4
        .value_kind:     by_value
      - .offset:         44
        .size:           1
        .value_kind:     by_value
      - .offset:         48
        .size:           4
        .value_kind:     hidden_block_count_x
      - .offset:         52
        .size:           4
        .value_kind:     hidden_block_count_y
      - .offset:         56
        .size:           4
        .value_kind:     hidden_block_count_z
      - .offset:         60
        .size:           2
        .value_kind:     hidden_group_size_x
      - .offset:         62
        .size:           2
        .value_kind:     hidden_group_size_y
      - .offset:         64
        .size:           2
        .value_kind:     hidden_group_size_z
      - .offset:         66
        .size:           2
        .value_kind:     hidden_remainder_x
      - .offset:         68
        .size:           2
        .value_kind:     hidden_remainder_y
      - .offset:         70
        .size:           2
        .value_kind:     hidden_remainder_z
      - .offset:         88
        .size:           8
        .value_kind:     hidden_global_offset_x
      - .offset:         96
        .size:           8
        .value_kind:     hidden_global_offset_y
      - .offset:         104
        .size:           8
        .value_kind:     hidden_global_offset_z
      - .offset:         112
        .size:           2
        .value_kind:     hidden_grid_dims
    .group_segment_fixed_size: 0
    .kernarg_segment_align: 8
    .kernarg_segment_size: 304
    .language:       OpenCL C
    .language_version:
      - 2
      - 0
    .max_flat_workgroup_size: 1024
    .name:           _ZN12_GLOBAL__N_120softmax_warp_forwardIfffLi9ELb1ELb0ELi64EEEvPT0_PKT_iiiPKbib
    .private_segment_fixed_size: 0
    .sgpr_count:     26
    .sgpr_spill_count: 0
    .symbol:         _ZN12_GLOBAL__N_120softmax_warp_forwardIfffLi9ELb1ELb0ELi64EEEvPT0_PKT_iiiPKbib.kd
    .uniform_work_group_size: 1
    .uses_dynamic_stack: false
    .vgpr_count:     41
    .vgpr_spill_count: 0
    .wavefront_size: 32
    .workgroup_processor_mode: 1
  - .args:
      - .address_space:  global
        .offset:         0
        .size:           8
        .value_kind:     global_buffer
      - .address_space:  global
        .offset:         8
        .size:           8
        .value_kind:     global_buffer
      - .offset:         16
        .size:           4
        .value_kind:     by_value
      - .offset:         20
        .size:           4
        .value_kind:     by_value
      - .offset:         24
        .size:           4
        .value_kind:     by_value
      - .address_space:  global
        .offset:         32
        .size:           8
        .value_kind:     global_buffer
      - .offset:         40
        .size:           4
        .value_kind:     by_value
      - .offset:         44
        .size:           1
        .value_kind:     by_value
      - .offset:         48
        .size:           4
        .value_kind:     hidden_block_count_x
      - .offset:         52
        .size:           4
        .value_kind:     hidden_block_count_y
      - .offset:         56
        .size:           4
        .value_kind:     hidden_block_count_z
      - .offset:         60
        .size:           2
        .value_kind:     hidden_group_size_x
      - .offset:         62
        .size:           2
        .value_kind:     hidden_group_size_y
      - .offset:         64
        .size:           2
        .value_kind:     hidden_group_size_z
      - .offset:         66
        .size:           2
        .value_kind:     hidden_remainder_x
      - .offset:         68
        .size:           2
        .value_kind:     hidden_remainder_y
      - .offset:         70
        .size:           2
        .value_kind:     hidden_remainder_z
      - .offset:         88
        .size:           8
        .value_kind:     hidden_global_offset_x
      - .offset:         96
        .size:           8
        .value_kind:     hidden_global_offset_y
      - .offset:         104
        .size:           8
        .value_kind:     hidden_global_offset_z
      - .offset:         112
        .size:           2
        .value_kind:     hidden_grid_dims
    .group_segment_fixed_size: 0
    .kernarg_segment_align: 8
    .kernarg_segment_size: 304
    .language:       OpenCL C
    .language_version:
      - 2
      - 0
    .max_flat_workgroup_size: 1024
    .name:           _ZN12_GLOBAL__N_120softmax_warp_forwardIfffLi9ELb1ELb0ELi32EEEvPT0_PKT_iiiPKbib
    .private_segment_fixed_size: 0
    .sgpr_count:     26
    .sgpr_spill_count: 0
    .symbol:         _ZN12_GLOBAL__N_120softmax_warp_forwardIfffLi9ELb1ELb0ELi32EEEvPT0_PKT_iiiPKbib.kd
    .uniform_work_group_size: 1
    .uses_dynamic_stack: false
    .vgpr_count:     72
    .vgpr_spill_count: 0
    .wavefront_size: 32
    .workgroup_processor_mode: 1
  - .args:
      - .address_space:  global
        .offset:         0
        .size:           8
        .value_kind:     global_buffer
      - .address_space:  global
        .offset:         8
        .size:           8
        .value_kind:     global_buffer
      - .offset:         16
        .size:           4
        .value_kind:     by_value
      - .offset:         20
        .size:           4
        .value_kind:     by_value
      - .offset:         24
        .size:           4
        .value_kind:     by_value
      - .address_space:  global
        .offset:         32
        .size:           8
        .value_kind:     global_buffer
      - .offset:         40
        .size:           4
        .value_kind:     by_value
      - .offset:         44
        .size:           1
        .value_kind:     by_value
      - .offset:         48
        .size:           4
        .value_kind:     hidden_block_count_x
      - .offset:         52
        .size:           4
        .value_kind:     hidden_block_count_y
      - .offset:         56
        .size:           4
        .value_kind:     hidden_block_count_z
      - .offset:         60
        .size:           2
        .value_kind:     hidden_group_size_x
      - .offset:         62
        .size:           2
        .value_kind:     hidden_group_size_y
      - .offset:         64
        .size:           2
        .value_kind:     hidden_group_size_z
      - .offset:         66
        .size:           2
        .value_kind:     hidden_remainder_x
      - .offset:         68
        .size:           2
        .value_kind:     hidden_remainder_y
      - .offset:         70
        .size:           2
        .value_kind:     hidden_remainder_z
      - .offset:         88
        .size:           8
        .value_kind:     hidden_global_offset_x
      - .offset:         96
        .size:           8
        .value_kind:     hidden_global_offset_y
      - .offset:         104
        .size:           8
        .value_kind:     hidden_global_offset_z
      - .offset:         112
        .size:           2
        .value_kind:     hidden_grid_dims
    .group_segment_fixed_size: 0
    .kernarg_segment_align: 8
    .kernarg_segment_size: 304
    .language:       OpenCL C
    .language_version:
      - 2
      - 0
    .max_flat_workgroup_size: 1024
    .name:           _ZN12_GLOBAL__N_120softmax_warp_forwardIfffLi10ELb1ELb0ELi64EEEvPT0_PKT_iiiPKbib
    .private_segment_fixed_size: 0
    .sgpr_count:     26
    .sgpr_spill_count: 0
    .symbol:         _ZN12_GLOBAL__N_120softmax_warp_forwardIfffLi10ELb1ELb0ELi64EEEvPT0_PKT_iiiPKbib.kd
    .uniform_work_group_size: 1
    .uses_dynamic_stack: false
    .vgpr_count:     73
    .vgpr_spill_count: 0
    .wavefront_size: 32
    .workgroup_processor_mode: 1
  - .args:
      - .address_space:  global
        .offset:         0
        .size:           8
        .value_kind:     global_buffer
      - .address_space:  global
        .offset:         8
        .size:           8
        .value_kind:     global_buffer
      - .offset:         16
        .size:           4
        .value_kind:     by_value
      - .offset:         20
        .size:           4
        .value_kind:     by_value
      - .offset:         24
        .size:           4
        .value_kind:     by_value
      - .address_space:  global
        .offset:         32
        .size:           8
        .value_kind:     global_buffer
      - .offset:         40
        .size:           4
        .value_kind:     by_value
      - .offset:         44
        .size:           1
        .value_kind:     by_value
      - .offset:         48
        .size:           4
        .value_kind:     hidden_block_count_x
      - .offset:         52
        .size:           4
        .value_kind:     hidden_block_count_y
      - .offset:         56
        .size:           4
        .value_kind:     hidden_block_count_z
      - .offset:         60
        .size:           2
        .value_kind:     hidden_group_size_x
      - .offset:         62
        .size:           2
        .value_kind:     hidden_group_size_y
      - .offset:         64
        .size:           2
        .value_kind:     hidden_group_size_z
      - .offset:         66
        .size:           2
        .value_kind:     hidden_remainder_x
      - .offset:         68
        .size:           2
        .value_kind:     hidden_remainder_y
      - .offset:         70
        .size:           2
        .value_kind:     hidden_remainder_z
      - .offset:         88
        .size:           8
        .value_kind:     hidden_global_offset_x
      - .offset:         96
        .size:           8
        .value_kind:     hidden_global_offset_y
      - .offset:         104
        .size:           8
        .value_kind:     hidden_global_offset_z
      - .offset:         112
        .size:           2
        .value_kind:     hidden_grid_dims
    .group_segment_fixed_size: 0
    .kernarg_segment_align: 8
    .kernarg_segment_size: 304
    .language:       OpenCL C
    .language_version:
      - 2
      - 0
    .max_flat_workgroup_size: 1024
    .name:           _ZN12_GLOBAL__N_120softmax_warp_forwardIfffLi10ELb1ELb0ELi32EEEvPT0_PKT_iiiPKbib
    .private_segment_fixed_size: 0
    .sgpr_count:     46
    .sgpr_spill_count: 0
    .symbol:         _ZN12_GLOBAL__N_120softmax_warp_forwardIfffLi10ELb1ELb0ELi32EEEvPT0_PKT_iiiPKbib.kd
    .uniform_work_group_size: 1
    .uses_dynamic_stack: false
    .vgpr_count:     94
    .vgpr_spill_count: 0
    .wavefront_size: 32
    .workgroup_processor_mode: 1
  - .args:
      - .address_space:  global
        .offset:         0
        .size:           8
        .value_kind:     global_buffer
      - .address_space:  global
        .offset:         8
        .size:           8
        .value_kind:     global_buffer
      - .offset:         16
        .size:           4
        .value_kind:     by_value
      - .offset:         20
        .size:           4
        .value_kind:     by_value
      - .offset:         24
        .size:           4
        .value_kind:     by_value
      - .address_space:  global
        .offset:         32
        .size:           8
        .value_kind:     global_buffer
      - .offset:         40
        .size:           4
        .value_kind:     by_value
      - .offset:         44
        .size:           1
        .value_kind:     by_value
      - .offset:         48
        .size:           4
        .value_kind:     hidden_block_count_x
      - .offset:         52
        .size:           4
        .value_kind:     hidden_block_count_y
      - .offset:         56
        .size:           4
        .value_kind:     hidden_block_count_z
      - .offset:         60
        .size:           2
        .value_kind:     hidden_group_size_x
      - .offset:         62
        .size:           2
        .value_kind:     hidden_group_size_y
      - .offset:         64
        .size:           2
        .value_kind:     hidden_group_size_z
      - .offset:         66
        .size:           2
        .value_kind:     hidden_remainder_x
      - .offset:         68
        .size:           2
        .value_kind:     hidden_remainder_y
      - .offset:         70
        .size:           2
        .value_kind:     hidden_remainder_z
      - .offset:         88
        .size:           8
        .value_kind:     hidden_global_offset_x
      - .offset:         96
        .size:           8
        .value_kind:     hidden_global_offset_y
      - .offset:         104
        .size:           8
        .value_kind:     hidden_global_offset_z
      - .offset:         112
        .size:           2
        .value_kind:     hidden_grid_dims
    .group_segment_fixed_size: 0
    .kernarg_segment_align: 8
    .kernarg_segment_size: 304
    .language:       OpenCL C
    .language_version:
      - 2
      - 0
    .max_flat_workgroup_size: 1024
    .name:           _ZN12_GLOBAL__N_120softmax_warp_forwardIfffLi11ELb1ELb0ELi64EEEvPT0_PKT_iiiPKbib
    .private_segment_fixed_size: 0
    .sgpr_count:     46
    .sgpr_spill_count: 0
    .symbol:         _ZN12_GLOBAL__N_120softmax_warp_forwardIfffLi11ELb1ELb0ELi64EEEvPT0_PKT_iiiPKbib.kd
    .uniform_work_group_size: 1
    .uses_dynamic_stack: false
    .vgpr_count:     94
    .vgpr_spill_count: 0
    .wavefront_size: 32
    .workgroup_processor_mode: 1
  - .args:
      - .address_space:  global
        .offset:         0
        .size:           8
        .value_kind:     global_buffer
      - .address_space:  global
        .offset:         8
        .size:           8
        .value_kind:     global_buffer
      - .offset:         16
        .size:           4
        .value_kind:     by_value
      - .offset:         20
        .size:           4
        .value_kind:     by_value
      - .offset:         24
        .size:           4
        .value_kind:     by_value
      - .address_space:  global
        .offset:         32
        .size:           8
        .value_kind:     global_buffer
      - .offset:         40
        .size:           4
        .value_kind:     by_value
      - .offset:         44
        .size:           1
        .value_kind:     by_value
      - .offset:         48
        .size:           4
        .value_kind:     hidden_block_count_x
      - .offset:         52
        .size:           4
        .value_kind:     hidden_block_count_y
      - .offset:         56
        .size:           4
        .value_kind:     hidden_block_count_z
      - .offset:         60
        .size:           2
        .value_kind:     hidden_group_size_x
      - .offset:         62
        .size:           2
        .value_kind:     hidden_group_size_y
      - .offset:         64
        .size:           2
        .value_kind:     hidden_group_size_z
      - .offset:         66
        .size:           2
        .value_kind:     hidden_remainder_x
      - .offset:         68
        .size:           2
        .value_kind:     hidden_remainder_y
      - .offset:         70
        .size:           2
        .value_kind:     hidden_remainder_z
      - .offset:         88
        .size:           8
        .value_kind:     hidden_global_offset_x
      - .offset:         96
        .size:           8
        .value_kind:     hidden_global_offset_y
      - .offset:         104
        .size:           8
        .value_kind:     hidden_global_offset_z
      - .offset:         112
        .size:           2
        .value_kind:     hidden_grid_dims
    .group_segment_fixed_size: 0
    .kernarg_segment_align: 8
    .kernarg_segment_size: 304
    .language:       OpenCL C
    .language_version:
      - 2
      - 0
    .max_flat_workgroup_size: 1024
    .name:           _ZN12_GLOBAL__N_120softmax_warp_forwardIfffLi11ELb1ELb0ELi32EEEvPT0_PKT_iiiPKbib
    .private_segment_fixed_size: 0
    .sgpr_count:     78
    .sgpr_spill_count: 0
    .symbol:         _ZN12_GLOBAL__N_120softmax_warp_forwardIfffLi11ELb1ELb0ELi32EEEvPT0_PKT_iiiPKbib.kd
    .uniform_work_group_size: 1
    .uses_dynamic_stack: false
    .vgpr_count:     77
    .vgpr_spill_count: 0
    .wavefront_size: 32
    .workgroup_processor_mode: 1
  - .args:
      - .address_space:  global
        .offset:         0
        .size:           8
        .value_kind:     global_buffer
      - .address_space:  global
        .offset:         8
        .size:           8
        .value_kind:     global_buffer
      - .offset:         16
        .size:           8
        .value_kind:     by_value
      - .offset:         24
        .size:           4
        .value_kind:     hidden_block_count_x
      - .offset:         28
        .size:           4
        .value_kind:     hidden_block_count_y
      - .offset:         32
        .size:           4
        .value_kind:     hidden_block_count_z
      - .offset:         36
        .size:           2
        .value_kind:     hidden_group_size_x
      - .offset:         38
        .size:           2
        .value_kind:     hidden_group_size_y
      - .offset:         40
        .size:           2
        .value_kind:     hidden_group_size_z
      - .offset:         42
        .size:           2
        .value_kind:     hidden_remainder_x
      - .offset:         44
        .size:           2
        .value_kind:     hidden_remainder_y
      - .offset:         46
        .size:           2
        .value_kind:     hidden_remainder_z
      - .offset:         64
        .size:           8
        .value_kind:     hidden_global_offset_x
      - .offset:         72
        .size:           8
        .value_kind:     hidden_global_offset_y
      - .offset:         80
        .size:           8
        .value_kind:     hidden_global_offset_z
      - .offset:         88
        .size:           2
        .value_kind:     hidden_grid_dims
      - .offset:         144
        .size:           4
        .value_kind:     hidden_dynamic_lds_size
    .group_segment_fixed_size: 0
    .kernarg_segment_align: 8
    .kernarg_segment_size: 280
    .language:       OpenCL C
    .language_version:
      - 2
      - 0
    .max_flat_workgroup_size: 1024
    .name:           _ZN2at6native12_GLOBAL__N_122cunn_SoftMaxForwardRegIfffNS1_25LogSoftMaxForwardEpilogueElLi1EEEvPT1_PKT_T3_
    .private_segment_fixed_size: 0
    .sgpr_count:     18
    .sgpr_spill_count: 0
    .symbol:         _ZN2at6native12_GLOBAL__N_122cunn_SoftMaxForwardRegIfffNS1_25LogSoftMaxForwardEpilogueElLi1EEEvPT1_PKT_T3_.kd
    .uniform_work_group_size: 1
    .uses_dynamic_stack: false
    .vgpr_count:     13
    .vgpr_spill_count: 0
    .wavefront_size: 32
    .workgroup_processor_mode: 1
  - .args:
      - .address_space:  global
        .offset:         0
        .size:           8
        .value_kind:     global_buffer
      - .address_space:  global
        .offset:         8
        .size:           8
        .value_kind:     global_buffer
      - .offset:         16
        .size:           8
        .value_kind:     by_value
      - .offset:         24
        .size:           4
        .value_kind:     hidden_block_count_x
      - .offset:         28
        .size:           4
        .value_kind:     hidden_block_count_y
      - .offset:         32
        .size:           4
        .value_kind:     hidden_block_count_z
      - .offset:         36
        .size:           2
        .value_kind:     hidden_group_size_x
      - .offset:         38
        .size:           2
        .value_kind:     hidden_group_size_y
      - .offset:         40
        .size:           2
        .value_kind:     hidden_group_size_z
      - .offset:         42
        .size:           2
        .value_kind:     hidden_remainder_x
      - .offset:         44
        .size:           2
        .value_kind:     hidden_remainder_y
      - .offset:         46
        .size:           2
        .value_kind:     hidden_remainder_z
      - .offset:         64
        .size:           8
        .value_kind:     hidden_global_offset_x
      - .offset:         72
        .size:           8
        .value_kind:     hidden_global_offset_y
      - .offset:         80
        .size:           8
        .value_kind:     hidden_global_offset_z
      - .offset:         88
        .size:           2
        .value_kind:     hidden_grid_dims
      - .offset:         144
        .size:           4
        .value_kind:     hidden_dynamic_lds_size
    .group_segment_fixed_size: 0
    .kernarg_segment_align: 8
    .kernarg_segment_size: 280
    .language:       OpenCL C
    .language_version:
      - 2
      - 0
    .max_flat_workgroup_size: 1024
    .name:           _ZN2at6native12_GLOBAL__N_122cunn_SoftMaxForwardRegIfffNS1_25LogSoftMaxForwardEpilogueElLi2EEEvPT1_PKT_T3_
    .private_segment_fixed_size: 0
    .sgpr_count:     18
    .sgpr_spill_count: 0
    .symbol:         _ZN2at6native12_GLOBAL__N_122cunn_SoftMaxForwardRegIfffNS1_25LogSoftMaxForwardEpilogueElLi2EEEvPT1_PKT_T3_.kd
    .uniform_work_group_size: 1
    .uses_dynamic_stack: false
    .vgpr_count:     18
    .vgpr_spill_count: 0
    .wavefront_size: 32
    .workgroup_processor_mode: 1
  - .args:
      - .address_space:  global
        .offset:         0
        .size:           8
        .value_kind:     global_buffer
      - .address_space:  global
        .offset:         8
        .size:           8
        .value_kind:     global_buffer
      - .offset:         16
        .size:           8
        .value_kind:     by_value
      - .offset:         24
        .size:           4
        .value_kind:     hidden_block_count_x
      - .offset:         28
        .size:           4
        .value_kind:     hidden_block_count_y
      - .offset:         32
        .size:           4
        .value_kind:     hidden_block_count_z
      - .offset:         36
        .size:           2
        .value_kind:     hidden_group_size_x
      - .offset:         38
        .size:           2
        .value_kind:     hidden_group_size_y
      - .offset:         40
        .size:           2
        .value_kind:     hidden_group_size_z
      - .offset:         42
        .size:           2
        .value_kind:     hidden_remainder_x
      - .offset:         44
        .size:           2
        .value_kind:     hidden_remainder_y
      - .offset:         46
        .size:           2
        .value_kind:     hidden_remainder_z
      - .offset:         64
        .size:           8
        .value_kind:     hidden_global_offset_x
      - .offset:         72
        .size:           8
        .value_kind:     hidden_global_offset_y
      - .offset:         80
        .size:           8
        .value_kind:     hidden_global_offset_z
      - .offset:         88
        .size:           2
        .value_kind:     hidden_grid_dims
      - .offset:         144
        .size:           4
        .value_kind:     hidden_dynamic_lds_size
    .group_segment_fixed_size: 0
    .kernarg_segment_align: 8
    .kernarg_segment_size: 280
    .language:       OpenCL C
    .language_version:
      - 2
      - 0
    .max_flat_workgroup_size: 1024
    .name:           _ZN2at6native12_GLOBAL__N_122cunn_SoftMaxForwardRegIfffNS1_25LogSoftMaxForwardEpilogueElLi3EEEvPT1_PKT_T3_
    .private_segment_fixed_size: 0
    .sgpr_count:     18
    .sgpr_spill_count: 0
    .symbol:         _ZN2at6native12_GLOBAL__N_122cunn_SoftMaxForwardRegIfffNS1_25LogSoftMaxForwardEpilogueElLi3EEEvPT1_PKT_T3_.kd
    .uniform_work_group_size: 1
    .uses_dynamic_stack: false
    .vgpr_count:     21
    .vgpr_spill_count: 0
    .wavefront_size: 32
    .workgroup_processor_mode: 1
  - .args:
      - .address_space:  global
        .offset:         0
        .size:           8
        .value_kind:     global_buffer
      - .address_space:  global
        .offset:         8
        .size:           8
        .value_kind:     global_buffer
      - .offset:         16
        .size:           8
        .value_kind:     by_value
      - .offset:         24
        .size:           4
        .value_kind:     hidden_block_count_x
      - .offset:         28
        .size:           4
        .value_kind:     hidden_block_count_y
      - .offset:         32
        .size:           4
        .value_kind:     hidden_block_count_z
      - .offset:         36
        .size:           2
        .value_kind:     hidden_group_size_x
      - .offset:         38
        .size:           2
        .value_kind:     hidden_group_size_y
      - .offset:         40
        .size:           2
        .value_kind:     hidden_group_size_z
      - .offset:         42
        .size:           2
        .value_kind:     hidden_remainder_x
      - .offset:         44
        .size:           2
        .value_kind:     hidden_remainder_y
      - .offset:         46
        .size:           2
        .value_kind:     hidden_remainder_z
      - .offset:         64
        .size:           8
        .value_kind:     hidden_global_offset_x
      - .offset:         72
        .size:           8
        .value_kind:     hidden_global_offset_y
      - .offset:         80
        .size:           8
        .value_kind:     hidden_global_offset_z
      - .offset:         88
        .size:           2
        .value_kind:     hidden_grid_dims
      - .offset:         144
        .size:           4
        .value_kind:     hidden_dynamic_lds_size
    .group_segment_fixed_size: 0
    .kernarg_segment_align: 8
    .kernarg_segment_size: 280
    .language:       OpenCL C
    .language_version:
      - 2
      - 0
    .max_flat_workgroup_size: 1024
    .name:           _ZN2at6native12_GLOBAL__N_122cunn_SoftMaxForwardRegIfffNS1_25LogSoftMaxForwardEpilogueElLi4EEEvPT1_PKT_T3_
    .private_segment_fixed_size: 0
    .sgpr_count:     18
    .sgpr_spill_count: 0
    .symbol:         _ZN2at6native12_GLOBAL__N_122cunn_SoftMaxForwardRegIfffNS1_25LogSoftMaxForwardEpilogueElLi4EEEvPT1_PKT_T3_.kd
    .uniform_work_group_size: 1
    .uses_dynamic_stack: false
    .vgpr_count:     26
    .vgpr_spill_count: 0
    .wavefront_size: 32
    .workgroup_processor_mode: 1
  - .args:
      - .address_space:  global
        .offset:         0
        .size:           8
        .value_kind:     global_buffer
      - .address_space:  global
        .offset:         8
        .size:           8
        .value_kind:     global_buffer
      - .offset:         16
        .size:           8
        .value_kind:     by_value
      - .offset:         24
        .size:           4
        .value_kind:     hidden_block_count_x
      - .offset:         28
        .size:           4
        .value_kind:     hidden_block_count_y
      - .offset:         32
        .size:           4
        .value_kind:     hidden_block_count_z
      - .offset:         36
        .size:           2
        .value_kind:     hidden_group_size_x
      - .offset:         38
        .size:           2
        .value_kind:     hidden_group_size_y
      - .offset:         40
        .size:           2
        .value_kind:     hidden_group_size_z
      - .offset:         42
        .size:           2
        .value_kind:     hidden_remainder_x
      - .offset:         44
        .size:           2
        .value_kind:     hidden_remainder_y
      - .offset:         46
        .size:           2
        .value_kind:     hidden_remainder_z
      - .offset:         64
        .size:           8
        .value_kind:     hidden_global_offset_x
      - .offset:         72
        .size:           8
        .value_kind:     hidden_global_offset_y
      - .offset:         80
        .size:           8
        .value_kind:     hidden_global_offset_z
      - .offset:         88
        .size:           2
        .value_kind:     hidden_grid_dims
      - .offset:         144
        .size:           4
        .value_kind:     hidden_dynamic_lds_size
    .group_segment_fixed_size: 0
    .kernarg_segment_align: 8
    .kernarg_segment_size: 280
    .language:       OpenCL C
    .language_version:
      - 2
      - 0
    .max_flat_workgroup_size: 1024
    .name:           _ZN2at6native12_GLOBAL__N_122cunn_SoftMaxForwardRegIfffNS1_25LogSoftMaxForwardEpilogueElLi5EEEvPT1_PKT_T3_
    .private_segment_fixed_size: 0
    .sgpr_count:     22
    .sgpr_spill_count: 0
    .symbol:         _ZN2at6native12_GLOBAL__N_122cunn_SoftMaxForwardRegIfffNS1_25LogSoftMaxForwardEpilogueElLi5EEEvPT1_PKT_T3_.kd
    .uniform_work_group_size: 1
    .uses_dynamic_stack: false
    .vgpr_count:     31
    .vgpr_spill_count: 0
    .wavefront_size: 32
    .workgroup_processor_mode: 1
  - .args:
      - .address_space:  global
        .offset:         0
        .size:           8
        .value_kind:     global_buffer
      - .address_space:  global
        .offset:         8
        .size:           8
        .value_kind:     global_buffer
      - .offset:         16
        .size:           8
        .value_kind:     by_value
      - .offset:         24
        .size:           4
        .value_kind:     hidden_block_count_x
      - .offset:         28
        .size:           4
        .value_kind:     hidden_block_count_y
      - .offset:         32
        .size:           4
        .value_kind:     hidden_block_count_z
      - .offset:         36
        .size:           2
        .value_kind:     hidden_group_size_x
      - .offset:         38
        .size:           2
        .value_kind:     hidden_group_size_y
      - .offset:         40
        .size:           2
        .value_kind:     hidden_group_size_z
      - .offset:         42
        .size:           2
        .value_kind:     hidden_remainder_x
      - .offset:         44
        .size:           2
        .value_kind:     hidden_remainder_y
      - .offset:         46
        .size:           2
        .value_kind:     hidden_remainder_z
      - .offset:         64
        .size:           8
        .value_kind:     hidden_global_offset_x
      - .offset:         72
        .size:           8
        .value_kind:     hidden_global_offset_y
      - .offset:         80
        .size:           8
        .value_kind:     hidden_global_offset_z
      - .offset:         88
        .size:           2
        .value_kind:     hidden_grid_dims
      - .offset:         144
        .size:           4
        .value_kind:     hidden_dynamic_lds_size
    .group_segment_fixed_size: 0
    .kernarg_segment_align: 8
    .kernarg_segment_size: 280
    .language:       OpenCL C
    .language_version:
      - 2
      - 0
    .max_flat_workgroup_size: 1024
    .name:           _ZN2at6native12_GLOBAL__N_122cunn_SoftMaxForwardRegIfffNS1_25LogSoftMaxForwardEpilogueElLi6EEEvPT1_PKT_T3_
    .private_segment_fixed_size: 0
    .sgpr_count:     22
    .sgpr_spill_count: 0
    .symbol:         _ZN2at6native12_GLOBAL__N_122cunn_SoftMaxForwardRegIfffNS1_25LogSoftMaxForwardEpilogueElLi6EEEvPT1_PKT_T3_.kd
    .uniform_work_group_size: 1
    .uses_dynamic_stack: false
    .vgpr_count:     37
    .vgpr_spill_count: 0
    .wavefront_size: 32
    .workgroup_processor_mode: 1
  - .args:
      - .address_space:  global
        .offset:         0
        .size:           8
        .value_kind:     global_buffer
      - .address_space:  global
        .offset:         8
        .size:           8
        .value_kind:     global_buffer
      - .offset:         16
        .size:           8
        .value_kind:     by_value
      - .offset:         24
        .size:           4
        .value_kind:     hidden_block_count_x
      - .offset:         28
        .size:           4
        .value_kind:     hidden_block_count_y
      - .offset:         32
        .size:           4
        .value_kind:     hidden_block_count_z
      - .offset:         36
        .size:           2
        .value_kind:     hidden_group_size_x
      - .offset:         38
        .size:           2
        .value_kind:     hidden_group_size_y
      - .offset:         40
        .size:           2
        .value_kind:     hidden_group_size_z
      - .offset:         42
        .size:           2
        .value_kind:     hidden_remainder_x
      - .offset:         44
        .size:           2
        .value_kind:     hidden_remainder_y
      - .offset:         46
        .size:           2
        .value_kind:     hidden_remainder_z
      - .offset:         64
        .size:           8
        .value_kind:     hidden_global_offset_x
      - .offset:         72
        .size:           8
        .value_kind:     hidden_global_offset_y
      - .offset:         80
        .size:           8
        .value_kind:     hidden_global_offset_z
      - .offset:         88
        .size:           2
        .value_kind:     hidden_grid_dims
      - .offset:         144
        .size:           4
        .value_kind:     hidden_dynamic_lds_size
    .group_segment_fixed_size: 0
    .kernarg_segment_align: 8
    .kernarg_segment_size: 280
    .language:       OpenCL C
    .language_version:
      - 2
      - 0
    .max_flat_workgroup_size: 1024
    .name:           _ZN2at6native12_GLOBAL__N_122cunn_SoftMaxForwardRegIfffNS1_25LogSoftMaxForwardEpilogueElLi7EEEvPT1_PKT_T3_
    .private_segment_fixed_size: 0
    .sgpr_count:     22
    .sgpr_spill_count: 0
    .symbol:         _ZN2at6native12_GLOBAL__N_122cunn_SoftMaxForwardRegIfffNS1_25LogSoftMaxForwardEpilogueElLi7EEEvPT1_PKT_T3_.kd
    .uniform_work_group_size: 1
    .uses_dynamic_stack: false
    .vgpr_count:     43
    .vgpr_spill_count: 0
    .wavefront_size: 32
    .workgroup_processor_mode: 1
  - .args:
      - .address_space:  global
        .offset:         0
        .size:           8
        .value_kind:     global_buffer
      - .address_space:  global
        .offset:         8
        .size:           8
        .value_kind:     global_buffer
      - .offset:         16
        .size:           8
        .value_kind:     by_value
      - .offset:         24
        .size:           4
        .value_kind:     hidden_block_count_x
      - .offset:         28
        .size:           4
        .value_kind:     hidden_block_count_y
      - .offset:         32
        .size:           4
        .value_kind:     hidden_block_count_z
      - .offset:         36
        .size:           2
        .value_kind:     hidden_group_size_x
      - .offset:         38
        .size:           2
        .value_kind:     hidden_group_size_y
      - .offset:         40
        .size:           2
        .value_kind:     hidden_group_size_z
      - .offset:         42
        .size:           2
        .value_kind:     hidden_remainder_x
      - .offset:         44
        .size:           2
        .value_kind:     hidden_remainder_y
      - .offset:         46
        .size:           2
        .value_kind:     hidden_remainder_z
      - .offset:         64
        .size:           8
        .value_kind:     hidden_global_offset_x
      - .offset:         72
        .size:           8
        .value_kind:     hidden_global_offset_y
      - .offset:         80
        .size:           8
        .value_kind:     hidden_global_offset_z
      - .offset:         88
        .size:           2
        .value_kind:     hidden_grid_dims
      - .offset:         144
        .size:           4
        .value_kind:     hidden_dynamic_lds_size
    .group_segment_fixed_size: 0
    .kernarg_segment_align: 8
    .kernarg_segment_size: 280
    .language:       OpenCL C
    .language_version:
      - 2
      - 0
    .max_flat_workgroup_size: 1024
    .name:           _ZN2at6native12_GLOBAL__N_122cunn_SoftMaxForwardRegIfffNS1_25LogSoftMaxForwardEpilogueElLi8EEEvPT1_PKT_T3_
    .private_segment_fixed_size: 0
    .sgpr_count:     22
    .sgpr_spill_count: 0
    .symbol:         _ZN2at6native12_GLOBAL__N_122cunn_SoftMaxForwardRegIfffNS1_25LogSoftMaxForwardEpilogueElLi8EEEvPT1_PKT_T3_.kd
    .uniform_work_group_size: 1
    .uses_dynamic_stack: false
    .vgpr_count:     48
    .vgpr_spill_count: 0
    .wavefront_size: 32
    .workgroup_processor_mode: 1
  - .args:
      - .address_space:  global
        .offset:         0
        .size:           8
        .value_kind:     global_buffer
      - .address_space:  global
        .offset:         8
        .size:           8
        .value_kind:     global_buffer
      - .offset:         16
        .size:           8
        .value_kind:     by_value
      - .offset:         24
        .size:           4
        .value_kind:     hidden_block_count_x
      - .offset:         28
        .size:           4
        .value_kind:     hidden_block_count_y
      - .offset:         32
        .size:           4
        .value_kind:     hidden_block_count_z
      - .offset:         36
        .size:           2
        .value_kind:     hidden_group_size_x
      - .offset:         38
        .size:           2
        .value_kind:     hidden_group_size_y
      - .offset:         40
        .size:           2
        .value_kind:     hidden_group_size_z
      - .offset:         42
        .size:           2
        .value_kind:     hidden_remainder_x
      - .offset:         44
        .size:           2
        .value_kind:     hidden_remainder_y
      - .offset:         46
        .size:           2
        .value_kind:     hidden_remainder_z
      - .offset:         64
        .size:           8
        .value_kind:     hidden_global_offset_x
      - .offset:         72
        .size:           8
        .value_kind:     hidden_global_offset_y
      - .offset:         80
        .size:           8
        .value_kind:     hidden_global_offset_z
      - .offset:         88
        .size:           2
        .value_kind:     hidden_grid_dims
      - .offset:         144
        .size:           4
        .value_kind:     hidden_dynamic_lds_size
    .group_segment_fixed_size: 0
    .kernarg_segment_align: 8
    .kernarg_segment_size: 280
    .language:       OpenCL C
    .language_version:
      - 2
      - 0
    .max_flat_workgroup_size: 1024
    .name:           _ZN2at6native12_GLOBAL__N_122cunn_SoftMaxForwardRegIfffNS1_25LogSoftMaxForwardEpilogueElLi9EEEvPT1_PKT_T3_
    .private_segment_fixed_size: 0
    .sgpr_count:     22
    .sgpr_spill_count: 0
    .symbol:         _ZN2at6native12_GLOBAL__N_122cunn_SoftMaxForwardRegIfffNS1_25LogSoftMaxForwardEpilogueElLi9EEEvPT1_PKT_T3_.kd
    .uniform_work_group_size: 1
    .uses_dynamic_stack: false
    .vgpr_count:     52
    .vgpr_spill_count: 0
    .wavefront_size: 32
    .workgroup_processor_mode: 1
  - .args:
      - .address_space:  global
        .offset:         0
        .size:           8
        .value_kind:     global_buffer
      - .address_space:  global
        .offset:         8
        .size:           8
        .value_kind:     global_buffer
      - .offset:         16
        .size:           8
        .value_kind:     by_value
      - .offset:         24
        .size:           4
        .value_kind:     hidden_block_count_x
      - .offset:         28
        .size:           4
        .value_kind:     hidden_block_count_y
      - .offset:         32
        .size:           4
        .value_kind:     hidden_block_count_z
      - .offset:         36
        .size:           2
        .value_kind:     hidden_group_size_x
      - .offset:         38
        .size:           2
        .value_kind:     hidden_group_size_y
      - .offset:         40
        .size:           2
        .value_kind:     hidden_group_size_z
      - .offset:         42
        .size:           2
        .value_kind:     hidden_remainder_x
      - .offset:         44
        .size:           2
        .value_kind:     hidden_remainder_y
      - .offset:         46
        .size:           2
        .value_kind:     hidden_remainder_z
      - .offset:         64
        .size:           8
        .value_kind:     hidden_global_offset_x
      - .offset:         72
        .size:           8
        .value_kind:     hidden_global_offset_y
      - .offset:         80
        .size:           8
        .value_kind:     hidden_global_offset_z
      - .offset:         88
        .size:           2
        .value_kind:     hidden_grid_dims
      - .offset:         144
        .size:           4
        .value_kind:     hidden_dynamic_lds_size
    .group_segment_fixed_size: 0
    .kernarg_segment_align: 8
    .kernarg_segment_size: 280
    .language:       OpenCL C
    .language_version:
      - 2
      - 0
    .max_flat_workgroup_size: 1024
    .name:           _ZN2at6native12_GLOBAL__N_123cunn_SoftMaxForwardSmemILi4EfffNS1_25LogSoftMaxForwardEpilogueElEEvPT2_PKT0_T4_
    .private_segment_fixed_size: 0
    .sgpr_count:     19
    .sgpr_spill_count: 0
    .symbol:         _ZN2at6native12_GLOBAL__N_123cunn_SoftMaxForwardSmemILi4EfffNS1_25LogSoftMaxForwardEpilogueElEEvPT2_PKT0_T4_.kd
    .uniform_work_group_size: 1
    .uses_dynamic_stack: false
    .vgpr_count:     33
    .vgpr_spill_count: 0
    .wavefront_size: 32
    .workgroup_processor_mode: 1
  - .args:
      - .address_space:  global
        .offset:         0
        .size:           8
        .value_kind:     global_buffer
      - .address_space:  global
        .offset:         8
        .size:           8
        .value_kind:     global_buffer
      - .offset:         16
        .size:           4
        .value_kind:     by_value
      - .offset:         24
        .size:           4
        .value_kind:     hidden_block_count_x
      - .offset:         28
        .size:           4
        .value_kind:     hidden_block_count_y
      - .offset:         32
        .size:           4
        .value_kind:     hidden_block_count_z
      - .offset:         36
        .size:           2
        .value_kind:     hidden_group_size_x
      - .offset:         38
        .size:           2
        .value_kind:     hidden_group_size_y
      - .offset:         40
        .size:           2
        .value_kind:     hidden_group_size_z
      - .offset:         42
        .size:           2
        .value_kind:     hidden_remainder_x
      - .offset:         44
        .size:           2
        .value_kind:     hidden_remainder_y
      - .offset:         46
        .size:           2
        .value_kind:     hidden_remainder_z
      - .offset:         64
        .size:           8
        .value_kind:     hidden_global_offset_x
      - .offset:         72
        .size:           8
        .value_kind:     hidden_global_offset_y
      - .offset:         80
        .size:           8
        .value_kind:     hidden_global_offset_z
      - .offset:         88
        .size:           2
        .value_kind:     hidden_grid_dims
      - .offset:         144
        .size:           4
        .value_kind:     hidden_dynamic_lds_size
    .group_segment_fixed_size: 0
    .kernarg_segment_align: 8
    .kernarg_segment_size: 280
    .language:       OpenCL C
    .language_version:
      - 2
      - 0
    .max_flat_workgroup_size: 1024
    .name:           _ZN2at6native12_GLOBAL__N_119cunn_SoftMaxForwardILi4EfffNS1_25LogSoftMaxForwardEpilogueEEEvPT2_PKT0_i
    .private_segment_fixed_size: 0
    .sgpr_count:     23
    .sgpr_spill_count: 0
    .symbol:         _ZN2at6native12_GLOBAL__N_119cunn_SoftMaxForwardILi4EfffNS1_25LogSoftMaxForwardEpilogueEEEvPT2_PKT0_i.kd
    .uniform_work_group_size: 1
    .uses_dynamic_stack: false
    .vgpr_count:     30
    .vgpr_spill_count: 0
    .wavefront_size: 32
    .workgroup_processor_mode: 1
  - .args:
      - .address_space:  global
        .offset:         0
        .size:           8
        .value_kind:     global_buffer
      - .address_space:  global
        .offset:         8
        .size:           8
        .value_kind:     global_buffer
      - .offset:         16
        .size:           4
        .value_kind:     by_value
      - .offset:         20
        .size:           4
        .value_kind:     by_value
      - .offset:         24
        .size:           4
        .value_kind:     by_value
      - .address_space:  global
        .offset:         32
        .size:           8
        .value_kind:     global_buffer
      - .offset:         40
        .size:           4
        .value_kind:     by_value
      - .offset:         44
        .size:           1
        .value_kind:     by_value
      - .offset:         48
        .size:           4
        .value_kind:     hidden_block_count_x
      - .offset:         52
        .size:           4
        .value_kind:     hidden_block_count_y
      - .offset:         56
        .size:           4
        .value_kind:     hidden_block_count_z
      - .offset:         60
        .size:           2
        .value_kind:     hidden_group_size_x
      - .offset:         62
        .size:           2
        .value_kind:     hidden_group_size_y
      - .offset:         64
        .size:           2
        .value_kind:     hidden_group_size_z
      - .offset:         66
        .size:           2
        .value_kind:     hidden_remainder_x
      - .offset:         68
        .size:           2
        .value_kind:     hidden_remainder_y
      - .offset:         70
        .size:           2
        .value_kind:     hidden_remainder_z
      - .offset:         88
        .size:           8
        .value_kind:     hidden_global_offset_x
      - .offset:         96
        .size:           8
        .value_kind:     hidden_global_offset_y
      - .offset:         104
        .size:           8
        .value_kind:     hidden_global_offset_z
      - .offset:         112
        .size:           2
        .value_kind:     hidden_grid_dims
    .group_segment_fixed_size: 0
    .kernarg_segment_align: 8
    .kernarg_segment_size: 304
    .language:       OpenCL C
    .language_version:
      - 2
      - 0
    .max_flat_workgroup_size: 1024
    .name:           _ZN12_GLOBAL__N_120softmax_warp_forwardIN3c104HalfES2_fLi0ELb1ELb0ELi64EEEvPT0_PKT_iiiPKbib
    .private_segment_fixed_size: 0
    .sgpr_count:     18
    .sgpr_spill_count: 0
    .symbol:         _ZN12_GLOBAL__N_120softmax_warp_forwardIN3c104HalfES2_fLi0ELb1ELb0ELi64EEEvPT0_PKT_iiiPKbib.kd
    .uniform_work_group_size: 1
    .uses_dynamic_stack: false
    .vgpr_count:     8
    .vgpr_spill_count: 0
    .wavefront_size: 32
    .workgroup_processor_mode: 1
  - .args:
      - .address_space:  global
        .offset:         0
        .size:           8
        .value_kind:     global_buffer
      - .address_space:  global
        .offset:         8
        .size:           8
        .value_kind:     global_buffer
      - .offset:         16
        .size:           4
        .value_kind:     by_value
      - .offset:         20
        .size:           4
        .value_kind:     by_value
      - .offset:         24
        .size:           4
        .value_kind:     by_value
      - .address_space:  global
        .offset:         32
        .size:           8
        .value_kind:     global_buffer
      - .offset:         40
        .size:           4
        .value_kind:     by_value
      - .offset:         44
        .size:           1
        .value_kind:     by_value
      - .offset:         48
        .size:           4
        .value_kind:     hidden_block_count_x
      - .offset:         52
        .size:           4
        .value_kind:     hidden_block_count_y
      - .offset:         56
        .size:           4
        .value_kind:     hidden_block_count_z
      - .offset:         60
        .size:           2
        .value_kind:     hidden_group_size_x
      - .offset:         62
        .size:           2
        .value_kind:     hidden_group_size_y
      - .offset:         64
        .size:           2
        .value_kind:     hidden_group_size_z
      - .offset:         66
        .size:           2
        .value_kind:     hidden_remainder_x
      - .offset:         68
        .size:           2
        .value_kind:     hidden_remainder_y
      - .offset:         70
        .size:           2
        .value_kind:     hidden_remainder_z
      - .offset:         88
        .size:           8
        .value_kind:     hidden_global_offset_x
      - .offset:         96
        .size:           8
        .value_kind:     hidden_global_offset_y
      - .offset:         104
        .size:           8
        .value_kind:     hidden_global_offset_z
      - .offset:         112
        .size:           2
        .value_kind:     hidden_grid_dims
    .group_segment_fixed_size: 0
    .kernarg_segment_align: 8
    .kernarg_segment_size: 304
    .language:       OpenCL C
    .language_version:
      - 2
      - 0
    .max_flat_workgroup_size: 1024
    .name:           _ZN12_GLOBAL__N_120softmax_warp_forwardIN3c104HalfES2_fLi0ELb1ELb0ELi32EEEvPT0_PKT_iiiPKbib
    .private_segment_fixed_size: 0
    .sgpr_count:     18
    .sgpr_spill_count: 0
    .symbol:         _ZN12_GLOBAL__N_120softmax_warp_forwardIN3c104HalfES2_fLi0ELb1ELb0ELi32EEEvPT0_PKT_iiiPKbib.kd
    .uniform_work_group_size: 1
    .uses_dynamic_stack: false
    .vgpr_count:     8
    .vgpr_spill_count: 0
    .wavefront_size: 32
    .workgroup_processor_mode: 1
  - .args:
      - .address_space:  global
        .offset:         0
        .size:           8
        .value_kind:     global_buffer
      - .address_space:  global
        .offset:         8
        .size:           8
        .value_kind:     global_buffer
      - .offset:         16
        .size:           4
        .value_kind:     by_value
      - .offset:         20
        .size:           4
        .value_kind:     by_value
      - .offset:         24
        .size:           4
        .value_kind:     by_value
      - .address_space:  global
        .offset:         32
        .size:           8
        .value_kind:     global_buffer
      - .offset:         40
        .size:           4
        .value_kind:     by_value
      - .offset:         44
        .size:           1
        .value_kind:     by_value
      - .offset:         48
        .size:           4
        .value_kind:     hidden_block_count_x
      - .offset:         52
        .size:           4
        .value_kind:     hidden_block_count_y
      - .offset:         56
        .size:           4
        .value_kind:     hidden_block_count_z
      - .offset:         60
        .size:           2
        .value_kind:     hidden_group_size_x
      - .offset:         62
        .size:           2
        .value_kind:     hidden_group_size_y
      - .offset:         64
        .size:           2
        .value_kind:     hidden_group_size_z
      - .offset:         66
        .size:           2
        .value_kind:     hidden_remainder_x
      - .offset:         68
        .size:           2
        .value_kind:     hidden_remainder_y
      - .offset:         70
        .size:           2
        .value_kind:     hidden_remainder_z
      - .offset:         88
        .size:           8
        .value_kind:     hidden_global_offset_x
      - .offset:         96
        .size:           8
        .value_kind:     hidden_global_offset_y
      - .offset:         104
        .size:           8
        .value_kind:     hidden_global_offset_z
      - .offset:         112
        .size:           2
        .value_kind:     hidden_grid_dims
    .group_segment_fixed_size: 0
    .kernarg_segment_align: 8
    .kernarg_segment_size: 304
    .language:       OpenCL C
    .language_version:
      - 2
      - 0
    .max_flat_workgroup_size: 1024
    .name:           _ZN12_GLOBAL__N_120softmax_warp_forwardIN3c104HalfES2_fLi1ELb1ELb0ELi64EEEvPT0_PKT_iiiPKbib
    .private_segment_fixed_size: 0
    .sgpr_count:     18
    .sgpr_spill_count: 0
    .symbol:         _ZN12_GLOBAL__N_120softmax_warp_forwardIN3c104HalfES2_fLi1ELb1ELb0ELi64EEEvPT0_PKT_iiiPKbib.kd
    .uniform_work_group_size: 1
    .uses_dynamic_stack: false
    .vgpr_count:     12
    .vgpr_spill_count: 0
    .wavefront_size: 32
    .workgroup_processor_mode: 1
  - .args:
      - .address_space:  global
        .offset:         0
        .size:           8
        .value_kind:     global_buffer
      - .address_space:  global
        .offset:         8
        .size:           8
        .value_kind:     global_buffer
      - .offset:         16
        .size:           4
        .value_kind:     by_value
      - .offset:         20
        .size:           4
        .value_kind:     by_value
      - .offset:         24
        .size:           4
        .value_kind:     by_value
      - .address_space:  global
        .offset:         32
        .size:           8
        .value_kind:     global_buffer
      - .offset:         40
        .size:           4
        .value_kind:     by_value
      - .offset:         44
        .size:           1
        .value_kind:     by_value
      - .offset:         48
        .size:           4
        .value_kind:     hidden_block_count_x
      - .offset:         52
        .size:           4
        .value_kind:     hidden_block_count_y
      - .offset:         56
        .size:           4
        .value_kind:     hidden_block_count_z
      - .offset:         60
        .size:           2
        .value_kind:     hidden_group_size_x
      - .offset:         62
        .size:           2
        .value_kind:     hidden_group_size_y
      - .offset:         64
        .size:           2
        .value_kind:     hidden_group_size_z
      - .offset:         66
        .size:           2
        .value_kind:     hidden_remainder_x
      - .offset:         68
        .size:           2
        .value_kind:     hidden_remainder_y
      - .offset:         70
        .size:           2
        .value_kind:     hidden_remainder_z
      - .offset:         88
        .size:           8
        .value_kind:     hidden_global_offset_x
      - .offset:         96
        .size:           8
        .value_kind:     hidden_global_offset_y
      - .offset:         104
        .size:           8
        .value_kind:     hidden_global_offset_z
      - .offset:         112
        .size:           2
        .value_kind:     hidden_grid_dims
    .group_segment_fixed_size: 0
    .kernarg_segment_align: 8
    .kernarg_segment_size: 304
    .language:       OpenCL C
    .language_version:
      - 2
      - 0
    .max_flat_workgroup_size: 1024
    .name:           _ZN12_GLOBAL__N_120softmax_warp_forwardIN3c104HalfES2_fLi1ELb1ELb0ELi32EEEvPT0_PKT_iiiPKbib
    .private_segment_fixed_size: 0
    .sgpr_count:     18
    .sgpr_spill_count: 0
    .symbol:         _ZN12_GLOBAL__N_120softmax_warp_forwardIN3c104HalfES2_fLi1ELb1ELb0ELi32EEEvPT0_PKT_iiiPKbib.kd
    .uniform_work_group_size: 1
    .uses_dynamic_stack: false
    .vgpr_count:     12
    .vgpr_spill_count: 0
    .wavefront_size: 32
    .workgroup_processor_mode: 1
  - .args:
      - .address_space:  global
        .offset:         0
        .size:           8
        .value_kind:     global_buffer
      - .address_space:  global
        .offset:         8
        .size:           8
        .value_kind:     global_buffer
      - .offset:         16
        .size:           4
        .value_kind:     by_value
      - .offset:         20
        .size:           4
        .value_kind:     by_value
      - .offset:         24
        .size:           4
        .value_kind:     by_value
      - .address_space:  global
        .offset:         32
        .size:           8
        .value_kind:     global_buffer
      - .offset:         40
        .size:           4
        .value_kind:     by_value
      - .offset:         44
        .size:           1
        .value_kind:     by_value
      - .offset:         48
        .size:           4
        .value_kind:     hidden_block_count_x
      - .offset:         52
        .size:           4
        .value_kind:     hidden_block_count_y
      - .offset:         56
        .size:           4
        .value_kind:     hidden_block_count_z
      - .offset:         60
        .size:           2
        .value_kind:     hidden_group_size_x
      - .offset:         62
        .size:           2
        .value_kind:     hidden_group_size_y
      - .offset:         64
        .size:           2
        .value_kind:     hidden_group_size_z
      - .offset:         66
        .size:           2
        .value_kind:     hidden_remainder_x
      - .offset:         68
        .size:           2
        .value_kind:     hidden_remainder_y
      - .offset:         70
        .size:           2
        .value_kind:     hidden_remainder_z
      - .offset:         88
        .size:           8
        .value_kind:     hidden_global_offset_x
      - .offset:         96
        .size:           8
        .value_kind:     hidden_global_offset_y
      - .offset:         104
        .size:           8
        .value_kind:     hidden_global_offset_z
      - .offset:         112
        .size:           2
        .value_kind:     hidden_grid_dims
    .group_segment_fixed_size: 0
    .kernarg_segment_align: 8
    .kernarg_segment_size: 304
    .language:       OpenCL C
    .language_version:
      - 2
      - 0
    .max_flat_workgroup_size: 1024
    .name:           _ZN12_GLOBAL__N_120softmax_warp_forwardIN3c104HalfES2_fLi2ELb1ELb0ELi64EEEvPT0_PKT_iiiPKbib
    .private_segment_fixed_size: 0
    .sgpr_count:     18
    .sgpr_spill_count: 0
    .symbol:         _ZN12_GLOBAL__N_120softmax_warp_forwardIN3c104HalfES2_fLi2ELb1ELb0ELi64EEEvPT0_PKT_iiiPKbib.kd
    .uniform_work_group_size: 1
    .uses_dynamic_stack: false
    .vgpr_count:     13
    .vgpr_spill_count: 0
    .wavefront_size: 32
    .workgroup_processor_mode: 1
  - .args:
      - .address_space:  global
        .offset:         0
        .size:           8
        .value_kind:     global_buffer
      - .address_space:  global
        .offset:         8
        .size:           8
        .value_kind:     global_buffer
      - .offset:         16
        .size:           4
        .value_kind:     by_value
      - .offset:         20
        .size:           4
        .value_kind:     by_value
      - .offset:         24
        .size:           4
        .value_kind:     by_value
      - .address_space:  global
        .offset:         32
        .size:           8
        .value_kind:     global_buffer
      - .offset:         40
        .size:           4
        .value_kind:     by_value
      - .offset:         44
        .size:           1
        .value_kind:     by_value
      - .offset:         48
        .size:           4
        .value_kind:     hidden_block_count_x
      - .offset:         52
        .size:           4
        .value_kind:     hidden_block_count_y
      - .offset:         56
        .size:           4
        .value_kind:     hidden_block_count_z
      - .offset:         60
        .size:           2
        .value_kind:     hidden_group_size_x
      - .offset:         62
        .size:           2
        .value_kind:     hidden_group_size_y
      - .offset:         64
        .size:           2
        .value_kind:     hidden_group_size_z
      - .offset:         66
        .size:           2
        .value_kind:     hidden_remainder_x
      - .offset:         68
        .size:           2
        .value_kind:     hidden_remainder_y
      - .offset:         70
        .size:           2
        .value_kind:     hidden_remainder_z
      - .offset:         88
        .size:           8
        .value_kind:     hidden_global_offset_x
      - .offset:         96
        .size:           8
        .value_kind:     hidden_global_offset_y
      - .offset:         104
        .size:           8
        .value_kind:     hidden_global_offset_z
      - .offset:         112
        .size:           2
        .value_kind:     hidden_grid_dims
    .group_segment_fixed_size: 0
    .kernarg_segment_align: 8
    .kernarg_segment_size: 304
    .language:       OpenCL C
    .language_version:
      - 2
      - 0
    .max_flat_workgroup_size: 1024
    .name:           _ZN12_GLOBAL__N_120softmax_warp_forwardIN3c104HalfES2_fLi2ELb1ELb0ELi32EEEvPT0_PKT_iiiPKbib
    .private_segment_fixed_size: 0
    .sgpr_count:     18
    .sgpr_spill_count: 0
    .symbol:         _ZN12_GLOBAL__N_120softmax_warp_forwardIN3c104HalfES2_fLi2ELb1ELb0ELi32EEEvPT0_PKT_iiiPKbib.kd
    .uniform_work_group_size: 1
    .uses_dynamic_stack: false
    .vgpr_count:     13
    .vgpr_spill_count: 0
    .wavefront_size: 32
    .workgroup_processor_mode: 1
  - .args:
      - .address_space:  global
        .offset:         0
        .size:           8
        .value_kind:     global_buffer
      - .address_space:  global
        .offset:         8
        .size:           8
        .value_kind:     global_buffer
      - .offset:         16
        .size:           4
        .value_kind:     by_value
      - .offset:         20
        .size:           4
        .value_kind:     by_value
      - .offset:         24
        .size:           4
        .value_kind:     by_value
      - .address_space:  global
        .offset:         32
        .size:           8
        .value_kind:     global_buffer
      - .offset:         40
        .size:           4
        .value_kind:     by_value
      - .offset:         44
        .size:           1
        .value_kind:     by_value
      - .offset:         48
        .size:           4
        .value_kind:     hidden_block_count_x
      - .offset:         52
        .size:           4
        .value_kind:     hidden_block_count_y
      - .offset:         56
        .size:           4
        .value_kind:     hidden_block_count_z
      - .offset:         60
        .size:           2
        .value_kind:     hidden_group_size_x
      - .offset:         62
        .size:           2
        .value_kind:     hidden_group_size_y
      - .offset:         64
        .size:           2
        .value_kind:     hidden_group_size_z
      - .offset:         66
        .size:           2
        .value_kind:     hidden_remainder_x
      - .offset:         68
        .size:           2
        .value_kind:     hidden_remainder_y
      - .offset:         70
        .size:           2
        .value_kind:     hidden_remainder_z
      - .offset:         88
        .size:           8
        .value_kind:     hidden_global_offset_x
      - .offset:         96
        .size:           8
        .value_kind:     hidden_global_offset_y
      - .offset:         104
        .size:           8
        .value_kind:     hidden_global_offset_z
      - .offset:         112
        .size:           2
        .value_kind:     hidden_grid_dims
    .group_segment_fixed_size: 0
    .kernarg_segment_align: 8
    .kernarg_segment_size: 304
    .language:       OpenCL C
    .language_version:
      - 2
      - 0
    .max_flat_workgroup_size: 1024
    .name:           _ZN12_GLOBAL__N_120softmax_warp_forwardIN3c104HalfES2_fLi3ELb1ELb0ELi64EEEvPT0_PKT_iiiPKbib
    .private_segment_fixed_size: 0
    .sgpr_count:     18
    .sgpr_spill_count: 0
    .symbol:         _ZN12_GLOBAL__N_120softmax_warp_forwardIN3c104HalfES2_fLi3ELb1ELb0ELi64EEEvPT0_PKT_iiiPKbib.kd
    .uniform_work_group_size: 1
    .uses_dynamic_stack: false
    .vgpr_count:     14
    .vgpr_spill_count: 0
    .wavefront_size: 32
    .workgroup_processor_mode: 1
  - .args:
      - .address_space:  global
        .offset:         0
        .size:           8
        .value_kind:     global_buffer
      - .address_space:  global
        .offset:         8
        .size:           8
        .value_kind:     global_buffer
      - .offset:         16
        .size:           4
        .value_kind:     by_value
      - .offset:         20
        .size:           4
        .value_kind:     by_value
      - .offset:         24
        .size:           4
        .value_kind:     by_value
      - .address_space:  global
        .offset:         32
        .size:           8
        .value_kind:     global_buffer
      - .offset:         40
        .size:           4
        .value_kind:     by_value
      - .offset:         44
        .size:           1
        .value_kind:     by_value
      - .offset:         48
        .size:           4
        .value_kind:     hidden_block_count_x
      - .offset:         52
        .size:           4
        .value_kind:     hidden_block_count_y
      - .offset:         56
        .size:           4
        .value_kind:     hidden_block_count_z
      - .offset:         60
        .size:           2
        .value_kind:     hidden_group_size_x
      - .offset:         62
        .size:           2
        .value_kind:     hidden_group_size_y
      - .offset:         64
        .size:           2
        .value_kind:     hidden_group_size_z
      - .offset:         66
        .size:           2
        .value_kind:     hidden_remainder_x
      - .offset:         68
        .size:           2
        .value_kind:     hidden_remainder_y
      - .offset:         70
        .size:           2
        .value_kind:     hidden_remainder_z
      - .offset:         88
        .size:           8
        .value_kind:     hidden_global_offset_x
      - .offset:         96
        .size:           8
        .value_kind:     hidden_global_offset_y
      - .offset:         104
        .size:           8
        .value_kind:     hidden_global_offset_z
      - .offset:         112
        .size:           2
        .value_kind:     hidden_grid_dims
    .group_segment_fixed_size: 0
    .kernarg_segment_align: 8
    .kernarg_segment_size: 304
    .language:       OpenCL C
    .language_version:
      - 2
      - 0
    .max_flat_workgroup_size: 1024
    .name:           _ZN12_GLOBAL__N_120softmax_warp_forwardIN3c104HalfES2_fLi3ELb1ELb0ELi32EEEvPT0_PKT_iiiPKbib
    .private_segment_fixed_size: 0
    .sgpr_count:     18
    .sgpr_spill_count: 0
    .symbol:         _ZN12_GLOBAL__N_120softmax_warp_forwardIN3c104HalfES2_fLi3ELb1ELb0ELi32EEEvPT0_PKT_iiiPKbib.kd
    .uniform_work_group_size: 1
    .uses_dynamic_stack: false
    .vgpr_count:     14
    .vgpr_spill_count: 0
    .wavefront_size: 32
    .workgroup_processor_mode: 1
  - .args:
      - .address_space:  global
        .offset:         0
        .size:           8
        .value_kind:     global_buffer
      - .address_space:  global
        .offset:         8
        .size:           8
        .value_kind:     global_buffer
      - .offset:         16
        .size:           4
        .value_kind:     by_value
      - .offset:         20
        .size:           4
        .value_kind:     by_value
      - .offset:         24
        .size:           4
        .value_kind:     by_value
      - .address_space:  global
        .offset:         32
        .size:           8
        .value_kind:     global_buffer
      - .offset:         40
        .size:           4
        .value_kind:     by_value
      - .offset:         44
        .size:           1
        .value_kind:     by_value
      - .offset:         48
        .size:           4
        .value_kind:     hidden_block_count_x
      - .offset:         52
        .size:           4
        .value_kind:     hidden_block_count_y
      - .offset:         56
        .size:           4
        .value_kind:     hidden_block_count_z
      - .offset:         60
        .size:           2
        .value_kind:     hidden_group_size_x
      - .offset:         62
        .size:           2
        .value_kind:     hidden_group_size_y
      - .offset:         64
        .size:           2
        .value_kind:     hidden_group_size_z
      - .offset:         66
        .size:           2
        .value_kind:     hidden_remainder_x
      - .offset:         68
        .size:           2
        .value_kind:     hidden_remainder_y
      - .offset:         70
        .size:           2
        .value_kind:     hidden_remainder_z
      - .offset:         88
        .size:           8
        .value_kind:     hidden_global_offset_x
      - .offset:         96
        .size:           8
        .value_kind:     hidden_global_offset_y
      - .offset:         104
        .size:           8
        .value_kind:     hidden_global_offset_z
      - .offset:         112
        .size:           2
        .value_kind:     hidden_grid_dims
    .group_segment_fixed_size: 0
    .kernarg_segment_align: 8
    .kernarg_segment_size: 304
    .language:       OpenCL C
    .language_version:
      - 2
      - 0
    .max_flat_workgroup_size: 1024
    .name:           _ZN12_GLOBAL__N_120softmax_warp_forwardIN3c104HalfES2_fLi4ELb1ELb0ELi64EEEvPT0_PKT_iiiPKbib
    .private_segment_fixed_size: 0
    .sgpr_count:     18
    .sgpr_spill_count: 0
    .symbol:         _ZN12_GLOBAL__N_120softmax_warp_forwardIN3c104HalfES2_fLi4ELb1ELb0ELi64EEEvPT0_PKT_iiiPKbib.kd
    .uniform_work_group_size: 1
    .uses_dynamic_stack: false
    .vgpr_count:     15
    .vgpr_spill_count: 0
    .wavefront_size: 32
    .workgroup_processor_mode: 1
  - .args:
      - .address_space:  global
        .offset:         0
        .size:           8
        .value_kind:     global_buffer
      - .address_space:  global
        .offset:         8
        .size:           8
        .value_kind:     global_buffer
      - .offset:         16
        .size:           4
        .value_kind:     by_value
      - .offset:         20
        .size:           4
        .value_kind:     by_value
      - .offset:         24
        .size:           4
        .value_kind:     by_value
      - .address_space:  global
        .offset:         32
        .size:           8
        .value_kind:     global_buffer
      - .offset:         40
        .size:           4
        .value_kind:     by_value
      - .offset:         44
        .size:           1
        .value_kind:     by_value
      - .offset:         48
        .size:           4
        .value_kind:     hidden_block_count_x
      - .offset:         52
        .size:           4
        .value_kind:     hidden_block_count_y
      - .offset:         56
        .size:           4
        .value_kind:     hidden_block_count_z
      - .offset:         60
        .size:           2
        .value_kind:     hidden_group_size_x
      - .offset:         62
        .size:           2
        .value_kind:     hidden_group_size_y
      - .offset:         64
        .size:           2
        .value_kind:     hidden_group_size_z
      - .offset:         66
        .size:           2
        .value_kind:     hidden_remainder_x
      - .offset:         68
        .size:           2
        .value_kind:     hidden_remainder_y
      - .offset:         70
        .size:           2
        .value_kind:     hidden_remainder_z
      - .offset:         88
        .size:           8
        .value_kind:     hidden_global_offset_x
      - .offset:         96
        .size:           8
        .value_kind:     hidden_global_offset_y
      - .offset:         104
        .size:           8
        .value_kind:     hidden_global_offset_z
      - .offset:         112
        .size:           2
        .value_kind:     hidden_grid_dims
    .group_segment_fixed_size: 0
    .kernarg_segment_align: 8
    .kernarg_segment_size: 304
    .language:       OpenCL C
    .language_version:
      - 2
      - 0
    .max_flat_workgroup_size: 1024
    .name:           _ZN12_GLOBAL__N_120softmax_warp_forwardIN3c104HalfES2_fLi4ELb1ELb0ELi32EEEvPT0_PKT_iiiPKbib
    .private_segment_fixed_size: 0
    .sgpr_count:     18
    .sgpr_spill_count: 0
    .symbol:         _ZN12_GLOBAL__N_120softmax_warp_forwardIN3c104HalfES2_fLi4ELb1ELb0ELi32EEEvPT0_PKT_iiiPKbib.kd
    .uniform_work_group_size: 1
    .uses_dynamic_stack: false
    .vgpr_count:     15
    .vgpr_spill_count: 0
    .wavefront_size: 32
    .workgroup_processor_mode: 1
  - .args:
      - .address_space:  global
        .offset:         0
        .size:           8
        .value_kind:     global_buffer
      - .address_space:  global
        .offset:         8
        .size:           8
        .value_kind:     global_buffer
      - .offset:         16
        .size:           4
        .value_kind:     by_value
      - .offset:         20
        .size:           4
        .value_kind:     by_value
      - .offset:         24
        .size:           4
        .value_kind:     by_value
      - .address_space:  global
        .offset:         32
        .size:           8
        .value_kind:     global_buffer
      - .offset:         40
        .size:           4
        .value_kind:     by_value
      - .offset:         44
        .size:           1
        .value_kind:     by_value
      - .offset:         48
        .size:           4
        .value_kind:     hidden_block_count_x
      - .offset:         52
        .size:           4
        .value_kind:     hidden_block_count_y
      - .offset:         56
        .size:           4
        .value_kind:     hidden_block_count_z
      - .offset:         60
        .size:           2
        .value_kind:     hidden_group_size_x
      - .offset:         62
        .size:           2
        .value_kind:     hidden_group_size_y
      - .offset:         64
        .size:           2
        .value_kind:     hidden_group_size_z
      - .offset:         66
        .size:           2
        .value_kind:     hidden_remainder_x
      - .offset:         68
        .size:           2
        .value_kind:     hidden_remainder_y
      - .offset:         70
        .size:           2
        .value_kind:     hidden_remainder_z
      - .offset:         88
        .size:           8
        .value_kind:     hidden_global_offset_x
      - .offset:         96
        .size:           8
        .value_kind:     hidden_global_offset_y
      - .offset:         104
        .size:           8
        .value_kind:     hidden_global_offset_z
      - .offset:         112
        .size:           2
        .value_kind:     hidden_grid_dims
    .group_segment_fixed_size: 0
    .kernarg_segment_align: 8
    .kernarg_segment_size: 304
    .language:       OpenCL C
    .language_version:
      - 2
      - 0
    .max_flat_workgroup_size: 1024
    .name:           _ZN12_GLOBAL__N_120softmax_warp_forwardIN3c104HalfES2_fLi5ELb1ELb0ELi64EEEvPT0_PKT_iiiPKbib
    .private_segment_fixed_size: 0
    .sgpr_count:     18
    .sgpr_spill_count: 0
    .symbol:         _ZN12_GLOBAL__N_120softmax_warp_forwardIN3c104HalfES2_fLi5ELb1ELb0ELi64EEEvPT0_PKT_iiiPKbib.kd
    .uniform_work_group_size: 1
    .uses_dynamic_stack: false
    .vgpr_count:     16
    .vgpr_spill_count: 0
    .wavefront_size: 32
    .workgroup_processor_mode: 1
  - .args:
      - .address_space:  global
        .offset:         0
        .size:           8
        .value_kind:     global_buffer
      - .address_space:  global
        .offset:         8
        .size:           8
        .value_kind:     global_buffer
      - .offset:         16
        .size:           4
        .value_kind:     by_value
      - .offset:         20
        .size:           4
        .value_kind:     by_value
      - .offset:         24
        .size:           4
        .value_kind:     by_value
      - .address_space:  global
        .offset:         32
        .size:           8
        .value_kind:     global_buffer
      - .offset:         40
        .size:           4
        .value_kind:     by_value
      - .offset:         44
        .size:           1
        .value_kind:     by_value
      - .offset:         48
        .size:           4
        .value_kind:     hidden_block_count_x
      - .offset:         52
        .size:           4
        .value_kind:     hidden_block_count_y
      - .offset:         56
        .size:           4
        .value_kind:     hidden_block_count_z
      - .offset:         60
        .size:           2
        .value_kind:     hidden_group_size_x
      - .offset:         62
        .size:           2
        .value_kind:     hidden_group_size_y
      - .offset:         64
        .size:           2
        .value_kind:     hidden_group_size_z
      - .offset:         66
        .size:           2
        .value_kind:     hidden_remainder_x
      - .offset:         68
        .size:           2
        .value_kind:     hidden_remainder_y
      - .offset:         70
        .size:           2
        .value_kind:     hidden_remainder_z
      - .offset:         88
        .size:           8
        .value_kind:     hidden_global_offset_x
      - .offset:         96
        .size:           8
        .value_kind:     hidden_global_offset_y
      - .offset:         104
        .size:           8
        .value_kind:     hidden_global_offset_z
      - .offset:         112
        .size:           2
        .value_kind:     hidden_grid_dims
    .group_segment_fixed_size: 0
    .kernarg_segment_align: 8
    .kernarg_segment_size: 304
    .language:       OpenCL C
    .language_version:
      - 2
      - 0
    .max_flat_workgroup_size: 1024
    .name:           _ZN12_GLOBAL__N_120softmax_warp_forwardIN3c104HalfES2_fLi5ELb1ELb0ELi32EEEvPT0_PKT_iiiPKbib
    .private_segment_fixed_size: 0
    .sgpr_count:     18
    .sgpr_spill_count: 0
    .symbol:         _ZN12_GLOBAL__N_120softmax_warp_forwardIN3c104HalfES2_fLi5ELb1ELb0ELi32EEEvPT0_PKT_iiiPKbib.kd
    .uniform_work_group_size: 1
    .uses_dynamic_stack: false
    .vgpr_count:     16
    .vgpr_spill_count: 0
    .wavefront_size: 32
    .workgroup_processor_mode: 1
  - .args:
      - .address_space:  global
        .offset:         0
        .size:           8
        .value_kind:     global_buffer
      - .address_space:  global
        .offset:         8
        .size:           8
        .value_kind:     global_buffer
      - .offset:         16
        .size:           4
        .value_kind:     by_value
      - .offset:         20
        .size:           4
        .value_kind:     by_value
      - .offset:         24
        .size:           4
        .value_kind:     by_value
      - .address_space:  global
        .offset:         32
        .size:           8
        .value_kind:     global_buffer
      - .offset:         40
        .size:           4
        .value_kind:     by_value
      - .offset:         44
        .size:           1
        .value_kind:     by_value
      - .offset:         48
        .size:           4
        .value_kind:     hidden_block_count_x
      - .offset:         52
        .size:           4
        .value_kind:     hidden_block_count_y
      - .offset:         56
        .size:           4
        .value_kind:     hidden_block_count_z
      - .offset:         60
        .size:           2
        .value_kind:     hidden_group_size_x
      - .offset:         62
        .size:           2
        .value_kind:     hidden_group_size_y
      - .offset:         64
        .size:           2
        .value_kind:     hidden_group_size_z
      - .offset:         66
        .size:           2
        .value_kind:     hidden_remainder_x
      - .offset:         68
        .size:           2
        .value_kind:     hidden_remainder_y
      - .offset:         70
        .size:           2
        .value_kind:     hidden_remainder_z
      - .offset:         88
        .size:           8
        .value_kind:     hidden_global_offset_x
      - .offset:         96
        .size:           8
        .value_kind:     hidden_global_offset_y
      - .offset:         104
        .size:           8
        .value_kind:     hidden_global_offset_z
      - .offset:         112
        .size:           2
        .value_kind:     hidden_grid_dims
    .group_segment_fixed_size: 0
    .kernarg_segment_align: 8
    .kernarg_segment_size: 304
    .language:       OpenCL C
    .language_version:
      - 2
      - 0
    .max_flat_workgroup_size: 1024
    .name:           _ZN12_GLOBAL__N_120softmax_warp_forwardIN3c104HalfES2_fLi6ELb1ELb0ELi64EEEvPT0_PKT_iiiPKbib
    .private_segment_fixed_size: 0
    .sgpr_count:     18
    .sgpr_spill_count: 0
    .symbol:         _ZN12_GLOBAL__N_120softmax_warp_forwardIN3c104HalfES2_fLi6ELb1ELb0ELi64EEEvPT0_PKT_iiiPKbib.kd
    .uniform_work_group_size: 1
    .uses_dynamic_stack: false
    .vgpr_count:     17
    .vgpr_spill_count: 0
    .wavefront_size: 32
    .workgroup_processor_mode: 1
  - .args:
      - .address_space:  global
        .offset:         0
        .size:           8
        .value_kind:     global_buffer
      - .address_space:  global
        .offset:         8
        .size:           8
        .value_kind:     global_buffer
      - .offset:         16
        .size:           4
        .value_kind:     by_value
      - .offset:         20
        .size:           4
        .value_kind:     by_value
      - .offset:         24
        .size:           4
        .value_kind:     by_value
      - .address_space:  global
        .offset:         32
        .size:           8
        .value_kind:     global_buffer
      - .offset:         40
        .size:           4
        .value_kind:     by_value
      - .offset:         44
        .size:           1
        .value_kind:     by_value
      - .offset:         48
        .size:           4
        .value_kind:     hidden_block_count_x
      - .offset:         52
        .size:           4
        .value_kind:     hidden_block_count_y
      - .offset:         56
        .size:           4
        .value_kind:     hidden_block_count_z
      - .offset:         60
        .size:           2
        .value_kind:     hidden_group_size_x
      - .offset:         62
        .size:           2
        .value_kind:     hidden_group_size_y
      - .offset:         64
        .size:           2
        .value_kind:     hidden_group_size_z
      - .offset:         66
        .size:           2
        .value_kind:     hidden_remainder_x
      - .offset:         68
        .size:           2
        .value_kind:     hidden_remainder_y
      - .offset:         70
        .size:           2
        .value_kind:     hidden_remainder_z
      - .offset:         88
        .size:           8
        .value_kind:     hidden_global_offset_x
      - .offset:         96
        .size:           8
        .value_kind:     hidden_global_offset_y
      - .offset:         104
        .size:           8
        .value_kind:     hidden_global_offset_z
      - .offset:         112
        .size:           2
        .value_kind:     hidden_grid_dims
    .group_segment_fixed_size: 0
    .kernarg_segment_align: 8
    .kernarg_segment_size: 304
    .language:       OpenCL C
    .language_version:
      - 2
      - 0
    .max_flat_workgroup_size: 1024
    .name:           _ZN12_GLOBAL__N_120softmax_warp_forwardIN3c104HalfES2_fLi6ELb1ELb0ELi32EEEvPT0_PKT_iiiPKbib
    .private_segment_fixed_size: 0
    .sgpr_count:     18
    .sgpr_spill_count: 0
    .symbol:         _ZN12_GLOBAL__N_120softmax_warp_forwardIN3c104HalfES2_fLi6ELb1ELb0ELi32EEEvPT0_PKT_iiiPKbib.kd
    .uniform_work_group_size: 1
    .uses_dynamic_stack: false
    .vgpr_count:     24
    .vgpr_spill_count: 0
    .wavefront_size: 32
    .workgroup_processor_mode: 1
  - .args:
      - .address_space:  global
        .offset:         0
        .size:           8
        .value_kind:     global_buffer
      - .address_space:  global
        .offset:         8
        .size:           8
        .value_kind:     global_buffer
      - .offset:         16
        .size:           4
        .value_kind:     by_value
      - .offset:         20
        .size:           4
        .value_kind:     by_value
      - .offset:         24
        .size:           4
        .value_kind:     by_value
      - .address_space:  global
        .offset:         32
        .size:           8
        .value_kind:     global_buffer
      - .offset:         40
        .size:           4
        .value_kind:     by_value
      - .offset:         44
        .size:           1
        .value_kind:     by_value
      - .offset:         48
        .size:           4
        .value_kind:     hidden_block_count_x
      - .offset:         52
        .size:           4
        .value_kind:     hidden_block_count_y
      - .offset:         56
        .size:           4
        .value_kind:     hidden_block_count_z
      - .offset:         60
        .size:           2
        .value_kind:     hidden_group_size_x
      - .offset:         62
        .size:           2
        .value_kind:     hidden_group_size_y
      - .offset:         64
        .size:           2
        .value_kind:     hidden_group_size_z
      - .offset:         66
        .size:           2
        .value_kind:     hidden_remainder_x
      - .offset:         68
        .size:           2
        .value_kind:     hidden_remainder_y
      - .offset:         70
        .size:           2
        .value_kind:     hidden_remainder_z
      - .offset:         88
        .size:           8
        .value_kind:     hidden_global_offset_x
      - .offset:         96
        .size:           8
        .value_kind:     hidden_global_offset_y
      - .offset:         104
        .size:           8
        .value_kind:     hidden_global_offset_z
      - .offset:         112
        .size:           2
        .value_kind:     hidden_grid_dims
    .group_segment_fixed_size: 0
    .kernarg_segment_align: 8
    .kernarg_segment_size: 304
    .language:       OpenCL C
    .language_version:
      - 2
      - 0
    .max_flat_workgroup_size: 1024
    .name:           _ZN12_GLOBAL__N_120softmax_warp_forwardIN3c104HalfES2_fLi7ELb1ELb0ELi64EEEvPT0_PKT_iiiPKbib
    .private_segment_fixed_size: 0
    .sgpr_count:     18
    .sgpr_spill_count: 0
    .symbol:         _ZN12_GLOBAL__N_120softmax_warp_forwardIN3c104HalfES2_fLi7ELb1ELb0ELi64EEEvPT0_PKT_iiiPKbib.kd
    .uniform_work_group_size: 1
    .uses_dynamic_stack: false
    .vgpr_count:     25
    .vgpr_spill_count: 0
    .wavefront_size: 32
    .workgroup_processor_mode: 1
  - .args:
      - .address_space:  global
        .offset:         0
        .size:           8
        .value_kind:     global_buffer
      - .address_space:  global
        .offset:         8
        .size:           8
        .value_kind:     global_buffer
      - .offset:         16
        .size:           4
        .value_kind:     by_value
      - .offset:         20
        .size:           4
        .value_kind:     by_value
      - .offset:         24
        .size:           4
        .value_kind:     by_value
      - .address_space:  global
        .offset:         32
        .size:           8
        .value_kind:     global_buffer
      - .offset:         40
        .size:           4
        .value_kind:     by_value
      - .offset:         44
        .size:           1
        .value_kind:     by_value
      - .offset:         48
        .size:           4
        .value_kind:     hidden_block_count_x
      - .offset:         52
        .size:           4
        .value_kind:     hidden_block_count_y
      - .offset:         56
        .size:           4
        .value_kind:     hidden_block_count_z
      - .offset:         60
        .size:           2
        .value_kind:     hidden_group_size_x
      - .offset:         62
        .size:           2
        .value_kind:     hidden_group_size_y
      - .offset:         64
        .size:           2
        .value_kind:     hidden_group_size_z
      - .offset:         66
        .size:           2
        .value_kind:     hidden_remainder_x
      - .offset:         68
        .size:           2
        .value_kind:     hidden_remainder_y
      - .offset:         70
        .size:           2
        .value_kind:     hidden_remainder_z
      - .offset:         88
        .size:           8
        .value_kind:     hidden_global_offset_x
      - .offset:         96
        .size:           8
        .value_kind:     hidden_global_offset_y
      - .offset:         104
        .size:           8
        .value_kind:     hidden_global_offset_z
      - .offset:         112
        .size:           2
        .value_kind:     hidden_grid_dims
    .group_segment_fixed_size: 0
    .kernarg_segment_align: 8
    .kernarg_segment_size: 304
    .language:       OpenCL C
    .language_version:
      - 2
      - 0
    .max_flat_workgroup_size: 1024
    .name:           _ZN12_GLOBAL__N_120softmax_warp_forwardIN3c104HalfES2_fLi7ELb1ELb0ELi32EEEvPT0_PKT_iiiPKbib
    .private_segment_fixed_size: 0
    .sgpr_count:     26
    .sgpr_spill_count: 0
    .symbol:         _ZN12_GLOBAL__N_120softmax_warp_forwardIN3c104HalfES2_fLi7ELb1ELb0ELi32EEEvPT0_PKT_iiiPKbib.kd
    .uniform_work_group_size: 1
    .uses_dynamic_stack: false
    .vgpr_count:     40
    .vgpr_spill_count: 0
    .wavefront_size: 32
    .workgroup_processor_mode: 1
  - .args:
      - .address_space:  global
        .offset:         0
        .size:           8
        .value_kind:     global_buffer
      - .address_space:  global
        .offset:         8
        .size:           8
        .value_kind:     global_buffer
      - .offset:         16
        .size:           4
        .value_kind:     by_value
      - .offset:         20
        .size:           4
        .value_kind:     by_value
      - .offset:         24
        .size:           4
        .value_kind:     by_value
      - .address_space:  global
        .offset:         32
        .size:           8
        .value_kind:     global_buffer
      - .offset:         40
        .size:           4
        .value_kind:     by_value
      - .offset:         44
        .size:           1
        .value_kind:     by_value
      - .offset:         48
        .size:           4
        .value_kind:     hidden_block_count_x
      - .offset:         52
        .size:           4
        .value_kind:     hidden_block_count_y
      - .offset:         56
        .size:           4
        .value_kind:     hidden_block_count_z
      - .offset:         60
        .size:           2
        .value_kind:     hidden_group_size_x
      - .offset:         62
        .size:           2
        .value_kind:     hidden_group_size_y
      - .offset:         64
        .size:           2
        .value_kind:     hidden_group_size_z
      - .offset:         66
        .size:           2
        .value_kind:     hidden_remainder_x
      - .offset:         68
        .size:           2
        .value_kind:     hidden_remainder_y
      - .offset:         70
        .size:           2
        .value_kind:     hidden_remainder_z
      - .offset:         88
        .size:           8
        .value_kind:     hidden_global_offset_x
      - .offset:         96
        .size:           8
        .value_kind:     hidden_global_offset_y
      - .offset:         104
        .size:           8
        .value_kind:     hidden_global_offset_z
      - .offset:         112
        .size:           2
        .value_kind:     hidden_grid_dims
    .group_segment_fixed_size: 0
    .kernarg_segment_align: 8
    .kernarg_segment_size: 304
    .language:       OpenCL C
    .language_version:
      - 2
      - 0
    .max_flat_workgroup_size: 1024
    .name:           _ZN12_GLOBAL__N_120softmax_warp_forwardIN3c104HalfES2_fLi8ELb1ELb0ELi64EEEvPT0_PKT_iiiPKbib
    .private_segment_fixed_size: 0
    .sgpr_count:     18
    .sgpr_spill_count: 0
    .symbol:         _ZN12_GLOBAL__N_120softmax_warp_forwardIN3c104HalfES2_fLi8ELb1ELb0ELi64EEEvPT0_PKT_iiiPKbib.kd
    .uniform_work_group_size: 1
    .uses_dynamic_stack: false
    .vgpr_count:     24
    .vgpr_spill_count: 0
    .wavefront_size: 32
    .workgroup_processor_mode: 1
  - .args:
      - .address_space:  global
        .offset:         0
        .size:           8
        .value_kind:     global_buffer
      - .address_space:  global
        .offset:         8
        .size:           8
        .value_kind:     global_buffer
      - .offset:         16
        .size:           4
        .value_kind:     by_value
      - .offset:         20
        .size:           4
        .value_kind:     by_value
      - .offset:         24
        .size:           4
        .value_kind:     by_value
      - .address_space:  global
        .offset:         32
        .size:           8
        .value_kind:     global_buffer
      - .offset:         40
        .size:           4
        .value_kind:     by_value
      - .offset:         44
        .size:           1
        .value_kind:     by_value
      - .offset:         48
        .size:           4
        .value_kind:     hidden_block_count_x
      - .offset:         52
        .size:           4
        .value_kind:     hidden_block_count_y
      - .offset:         56
        .size:           4
        .value_kind:     hidden_block_count_z
      - .offset:         60
        .size:           2
        .value_kind:     hidden_group_size_x
      - .offset:         62
        .size:           2
        .value_kind:     hidden_group_size_y
      - .offset:         64
        .size:           2
        .value_kind:     hidden_group_size_z
      - .offset:         66
        .size:           2
        .value_kind:     hidden_remainder_x
      - .offset:         68
        .size:           2
        .value_kind:     hidden_remainder_y
      - .offset:         70
        .size:           2
        .value_kind:     hidden_remainder_z
      - .offset:         88
        .size:           8
        .value_kind:     hidden_global_offset_x
      - .offset:         96
        .size:           8
        .value_kind:     hidden_global_offset_y
      - .offset:         104
        .size:           8
        .value_kind:     hidden_global_offset_z
      - .offset:         112
        .size:           2
        .value_kind:     hidden_grid_dims
    .group_segment_fixed_size: 0
    .kernarg_segment_align: 8
    .kernarg_segment_size: 304
    .language:       OpenCL C
    .language_version:
      - 2
      - 0
    .max_flat_workgroup_size: 1024
    .name:           _ZN12_GLOBAL__N_120softmax_warp_forwardIN3c104HalfES2_fLi8ELb1ELb0ELi32EEEvPT0_PKT_iiiPKbib
    .private_segment_fixed_size: 0
    .sgpr_count:     26
    .sgpr_spill_count: 0
    .symbol:         _ZN12_GLOBAL__N_120softmax_warp_forwardIN3c104HalfES2_fLi8ELb1ELb0ELi32EEEvPT0_PKT_iiiPKbib.kd
    .uniform_work_group_size: 1
    .uses_dynamic_stack: false
    .vgpr_count:     40
    .vgpr_spill_count: 0
    .wavefront_size: 32
    .workgroup_processor_mode: 1
  - .args:
      - .address_space:  global
        .offset:         0
        .size:           8
        .value_kind:     global_buffer
      - .address_space:  global
        .offset:         8
        .size:           8
        .value_kind:     global_buffer
      - .offset:         16
        .size:           4
        .value_kind:     by_value
      - .offset:         20
        .size:           4
        .value_kind:     by_value
      - .offset:         24
        .size:           4
        .value_kind:     by_value
      - .address_space:  global
        .offset:         32
        .size:           8
        .value_kind:     global_buffer
      - .offset:         40
        .size:           4
        .value_kind:     by_value
      - .offset:         44
        .size:           1
        .value_kind:     by_value
      - .offset:         48
        .size:           4
        .value_kind:     hidden_block_count_x
      - .offset:         52
        .size:           4
        .value_kind:     hidden_block_count_y
      - .offset:         56
        .size:           4
        .value_kind:     hidden_block_count_z
      - .offset:         60
        .size:           2
        .value_kind:     hidden_group_size_x
      - .offset:         62
        .size:           2
        .value_kind:     hidden_group_size_y
      - .offset:         64
        .size:           2
        .value_kind:     hidden_group_size_z
      - .offset:         66
        .size:           2
        .value_kind:     hidden_remainder_x
      - .offset:         68
        .size:           2
        .value_kind:     hidden_remainder_y
      - .offset:         70
        .size:           2
        .value_kind:     hidden_remainder_z
      - .offset:         88
        .size:           8
        .value_kind:     hidden_global_offset_x
      - .offset:         96
        .size:           8
        .value_kind:     hidden_global_offset_y
      - .offset:         104
        .size:           8
        .value_kind:     hidden_global_offset_z
      - .offset:         112
        .size:           2
        .value_kind:     hidden_grid_dims
    .group_segment_fixed_size: 0
    .kernarg_segment_align: 8
    .kernarg_segment_size: 304
    .language:       OpenCL C
    .language_version:
      - 2
      - 0
    .max_flat_workgroup_size: 1024
    .name:           _ZN12_GLOBAL__N_120softmax_warp_forwardIN3c104HalfES2_fLi9ELb1ELb0ELi64EEEvPT0_PKT_iiiPKbib
    .private_segment_fixed_size: 0
    .sgpr_count:     26
    .sgpr_spill_count: 0
    .symbol:         _ZN12_GLOBAL__N_120softmax_warp_forwardIN3c104HalfES2_fLi9ELb1ELb0ELi64EEEvPT0_PKT_iiiPKbib.kd
    .uniform_work_group_size: 1
    .uses_dynamic_stack: false
    .vgpr_count:     41
    .vgpr_spill_count: 0
    .wavefront_size: 32
    .workgroup_processor_mode: 1
  - .args:
      - .address_space:  global
        .offset:         0
        .size:           8
        .value_kind:     global_buffer
      - .address_space:  global
        .offset:         8
        .size:           8
        .value_kind:     global_buffer
      - .offset:         16
        .size:           4
        .value_kind:     by_value
      - .offset:         20
        .size:           4
        .value_kind:     by_value
      - .offset:         24
        .size:           4
        .value_kind:     by_value
      - .address_space:  global
        .offset:         32
        .size:           8
        .value_kind:     global_buffer
      - .offset:         40
        .size:           4
        .value_kind:     by_value
      - .offset:         44
        .size:           1
        .value_kind:     by_value
      - .offset:         48
        .size:           4
        .value_kind:     hidden_block_count_x
      - .offset:         52
        .size:           4
        .value_kind:     hidden_block_count_y
      - .offset:         56
        .size:           4
        .value_kind:     hidden_block_count_z
      - .offset:         60
        .size:           2
        .value_kind:     hidden_group_size_x
      - .offset:         62
        .size:           2
        .value_kind:     hidden_group_size_y
      - .offset:         64
        .size:           2
        .value_kind:     hidden_group_size_z
      - .offset:         66
        .size:           2
        .value_kind:     hidden_remainder_x
      - .offset:         68
        .size:           2
        .value_kind:     hidden_remainder_y
      - .offset:         70
        .size:           2
        .value_kind:     hidden_remainder_z
      - .offset:         88
        .size:           8
        .value_kind:     hidden_global_offset_x
      - .offset:         96
        .size:           8
        .value_kind:     hidden_global_offset_y
      - .offset:         104
        .size:           8
        .value_kind:     hidden_global_offset_z
      - .offset:         112
        .size:           2
        .value_kind:     hidden_grid_dims
    .group_segment_fixed_size: 0
    .kernarg_segment_align: 8
    .kernarg_segment_size: 304
    .language:       OpenCL C
    .language_version:
      - 2
      - 0
    .max_flat_workgroup_size: 1024
    .name:           _ZN12_GLOBAL__N_120softmax_warp_forwardIN3c104HalfES2_fLi9ELb1ELb0ELi32EEEvPT0_PKT_iiiPKbib
    .private_segment_fixed_size: 0
    .sgpr_count:     26
    .sgpr_spill_count: 0
    .symbol:         _ZN12_GLOBAL__N_120softmax_warp_forwardIN3c104HalfES2_fLi9ELb1ELb0ELi32EEEvPT0_PKT_iiiPKbib.kd
    .uniform_work_group_size: 1
    .uses_dynamic_stack: false
    .vgpr_count:     72
    .vgpr_spill_count: 0
    .wavefront_size: 32
    .workgroup_processor_mode: 1
  - .args:
      - .address_space:  global
        .offset:         0
        .size:           8
        .value_kind:     global_buffer
      - .address_space:  global
        .offset:         8
        .size:           8
        .value_kind:     global_buffer
      - .offset:         16
        .size:           4
        .value_kind:     by_value
      - .offset:         20
        .size:           4
        .value_kind:     by_value
      - .offset:         24
        .size:           4
        .value_kind:     by_value
      - .address_space:  global
        .offset:         32
        .size:           8
        .value_kind:     global_buffer
      - .offset:         40
        .size:           4
        .value_kind:     by_value
      - .offset:         44
        .size:           1
        .value_kind:     by_value
      - .offset:         48
        .size:           4
        .value_kind:     hidden_block_count_x
      - .offset:         52
        .size:           4
        .value_kind:     hidden_block_count_y
      - .offset:         56
        .size:           4
        .value_kind:     hidden_block_count_z
      - .offset:         60
        .size:           2
        .value_kind:     hidden_group_size_x
      - .offset:         62
        .size:           2
        .value_kind:     hidden_group_size_y
      - .offset:         64
        .size:           2
        .value_kind:     hidden_group_size_z
      - .offset:         66
        .size:           2
        .value_kind:     hidden_remainder_x
      - .offset:         68
        .size:           2
        .value_kind:     hidden_remainder_y
      - .offset:         70
        .size:           2
        .value_kind:     hidden_remainder_z
      - .offset:         88
        .size:           8
        .value_kind:     hidden_global_offset_x
      - .offset:         96
        .size:           8
        .value_kind:     hidden_global_offset_y
      - .offset:         104
        .size:           8
        .value_kind:     hidden_global_offset_z
      - .offset:         112
        .size:           2
        .value_kind:     hidden_grid_dims
    .group_segment_fixed_size: 0
    .kernarg_segment_align: 8
    .kernarg_segment_size: 304
    .language:       OpenCL C
    .language_version:
      - 2
      - 0
    .max_flat_workgroup_size: 1024
    .name:           _ZN12_GLOBAL__N_120softmax_warp_forwardIN3c104HalfES2_fLi10ELb1ELb0ELi64EEEvPT0_PKT_iiiPKbib
    .private_segment_fixed_size: 0
    .sgpr_count:     26
    .sgpr_spill_count: 0
    .symbol:         _ZN12_GLOBAL__N_120softmax_warp_forwardIN3c104HalfES2_fLi10ELb1ELb0ELi64EEEvPT0_PKT_iiiPKbib.kd
    .uniform_work_group_size: 1
    .uses_dynamic_stack: false
    .vgpr_count:     73
    .vgpr_spill_count: 0
    .wavefront_size: 32
    .workgroup_processor_mode: 1
  - .args:
      - .address_space:  global
        .offset:         0
        .size:           8
        .value_kind:     global_buffer
      - .address_space:  global
        .offset:         8
        .size:           8
        .value_kind:     global_buffer
      - .offset:         16
        .size:           4
        .value_kind:     by_value
      - .offset:         20
        .size:           4
        .value_kind:     by_value
      - .offset:         24
        .size:           4
        .value_kind:     by_value
      - .address_space:  global
        .offset:         32
        .size:           8
        .value_kind:     global_buffer
      - .offset:         40
        .size:           4
        .value_kind:     by_value
      - .offset:         44
        .size:           1
        .value_kind:     by_value
      - .offset:         48
        .size:           4
        .value_kind:     hidden_block_count_x
      - .offset:         52
        .size:           4
        .value_kind:     hidden_block_count_y
      - .offset:         56
        .size:           4
        .value_kind:     hidden_block_count_z
      - .offset:         60
        .size:           2
        .value_kind:     hidden_group_size_x
      - .offset:         62
        .size:           2
        .value_kind:     hidden_group_size_y
      - .offset:         64
        .size:           2
        .value_kind:     hidden_group_size_z
      - .offset:         66
        .size:           2
        .value_kind:     hidden_remainder_x
      - .offset:         68
        .size:           2
        .value_kind:     hidden_remainder_y
      - .offset:         70
        .size:           2
        .value_kind:     hidden_remainder_z
      - .offset:         88
        .size:           8
        .value_kind:     hidden_global_offset_x
      - .offset:         96
        .size:           8
        .value_kind:     hidden_global_offset_y
      - .offset:         104
        .size:           8
        .value_kind:     hidden_global_offset_z
      - .offset:         112
        .size:           2
        .value_kind:     hidden_grid_dims
    .group_segment_fixed_size: 0
    .kernarg_segment_align: 8
    .kernarg_segment_size: 304
    .language:       OpenCL C
    .language_version:
      - 2
      - 0
    .max_flat_workgroup_size: 1024
    .name:           _ZN12_GLOBAL__N_120softmax_warp_forwardIN3c104HalfES2_fLi10ELb1ELb0ELi32EEEvPT0_PKT_iiiPKbib
    .private_segment_fixed_size: 0
    .sgpr_count:     46
    .sgpr_spill_count: 0
    .symbol:         _ZN12_GLOBAL__N_120softmax_warp_forwardIN3c104HalfES2_fLi10ELb1ELb0ELi32EEEvPT0_PKT_iiiPKbib.kd
    .uniform_work_group_size: 1
    .uses_dynamic_stack: false
    .vgpr_count:     94
    .vgpr_spill_count: 0
    .wavefront_size: 32
    .workgroup_processor_mode: 1
  - .args:
      - .address_space:  global
        .offset:         0
        .size:           8
        .value_kind:     global_buffer
      - .address_space:  global
        .offset:         8
        .size:           8
        .value_kind:     global_buffer
      - .offset:         16
        .size:           4
        .value_kind:     by_value
      - .offset:         20
        .size:           4
        .value_kind:     by_value
      - .offset:         24
        .size:           4
        .value_kind:     by_value
      - .address_space:  global
        .offset:         32
        .size:           8
        .value_kind:     global_buffer
      - .offset:         40
        .size:           4
        .value_kind:     by_value
      - .offset:         44
        .size:           1
        .value_kind:     by_value
      - .offset:         48
        .size:           4
        .value_kind:     hidden_block_count_x
      - .offset:         52
        .size:           4
        .value_kind:     hidden_block_count_y
      - .offset:         56
        .size:           4
        .value_kind:     hidden_block_count_z
      - .offset:         60
        .size:           2
        .value_kind:     hidden_group_size_x
      - .offset:         62
        .size:           2
        .value_kind:     hidden_group_size_y
      - .offset:         64
        .size:           2
        .value_kind:     hidden_group_size_z
      - .offset:         66
        .size:           2
        .value_kind:     hidden_remainder_x
      - .offset:         68
        .size:           2
        .value_kind:     hidden_remainder_y
      - .offset:         70
        .size:           2
        .value_kind:     hidden_remainder_z
      - .offset:         88
        .size:           8
        .value_kind:     hidden_global_offset_x
      - .offset:         96
        .size:           8
        .value_kind:     hidden_global_offset_y
      - .offset:         104
        .size:           8
        .value_kind:     hidden_global_offset_z
      - .offset:         112
        .size:           2
        .value_kind:     hidden_grid_dims
    .group_segment_fixed_size: 0
    .kernarg_segment_align: 8
    .kernarg_segment_size: 304
    .language:       OpenCL C
    .language_version:
      - 2
      - 0
    .max_flat_workgroup_size: 1024
    .name:           _ZN12_GLOBAL__N_120softmax_warp_forwardIN3c104HalfES2_fLi11ELb1ELb0ELi64EEEvPT0_PKT_iiiPKbib
    .private_segment_fixed_size: 0
    .sgpr_count:     46
    .sgpr_spill_count: 0
    .symbol:         _ZN12_GLOBAL__N_120softmax_warp_forwardIN3c104HalfES2_fLi11ELb1ELb0ELi64EEEvPT0_PKT_iiiPKbib.kd
    .uniform_work_group_size: 1
    .uses_dynamic_stack: false
    .vgpr_count:     94
    .vgpr_spill_count: 0
    .wavefront_size: 32
    .workgroup_processor_mode: 1
  - .args:
      - .address_space:  global
        .offset:         0
        .size:           8
        .value_kind:     global_buffer
      - .address_space:  global
        .offset:         8
        .size:           8
        .value_kind:     global_buffer
      - .offset:         16
        .size:           4
        .value_kind:     by_value
      - .offset:         20
        .size:           4
        .value_kind:     by_value
      - .offset:         24
        .size:           4
        .value_kind:     by_value
      - .address_space:  global
        .offset:         32
        .size:           8
        .value_kind:     global_buffer
      - .offset:         40
        .size:           4
        .value_kind:     by_value
      - .offset:         44
        .size:           1
        .value_kind:     by_value
      - .offset:         48
        .size:           4
        .value_kind:     hidden_block_count_x
      - .offset:         52
        .size:           4
        .value_kind:     hidden_block_count_y
      - .offset:         56
        .size:           4
        .value_kind:     hidden_block_count_z
      - .offset:         60
        .size:           2
        .value_kind:     hidden_group_size_x
      - .offset:         62
        .size:           2
        .value_kind:     hidden_group_size_y
      - .offset:         64
        .size:           2
        .value_kind:     hidden_group_size_z
      - .offset:         66
        .size:           2
        .value_kind:     hidden_remainder_x
      - .offset:         68
        .size:           2
        .value_kind:     hidden_remainder_y
      - .offset:         70
        .size:           2
        .value_kind:     hidden_remainder_z
      - .offset:         88
        .size:           8
        .value_kind:     hidden_global_offset_x
      - .offset:         96
        .size:           8
        .value_kind:     hidden_global_offset_y
      - .offset:         104
        .size:           8
        .value_kind:     hidden_global_offset_z
      - .offset:         112
        .size:           2
        .value_kind:     hidden_grid_dims
    .group_segment_fixed_size: 0
    .kernarg_segment_align: 8
    .kernarg_segment_size: 304
    .language:       OpenCL C
    .language_version:
      - 2
      - 0
    .max_flat_workgroup_size: 1024
    .name:           _ZN12_GLOBAL__N_120softmax_warp_forwardIN3c104HalfES2_fLi11ELb1ELb0ELi32EEEvPT0_PKT_iiiPKbib
    .private_segment_fixed_size: 0
    .sgpr_count:     78
    .sgpr_spill_count: 0
    .symbol:         _ZN12_GLOBAL__N_120softmax_warp_forwardIN3c104HalfES2_fLi11ELb1ELb0ELi32EEEvPT0_PKT_iiiPKbib.kd
    .uniform_work_group_size: 1
    .uses_dynamic_stack: false
    .vgpr_count:     77
    .vgpr_spill_count: 0
    .wavefront_size: 32
    .workgroup_processor_mode: 1
  - .args:
      - .address_space:  global
        .offset:         0
        .size:           8
        .value_kind:     global_buffer
      - .address_space:  global
        .offset:         8
        .size:           8
        .value_kind:     global_buffer
      - .offset:         16
        .size:           8
        .value_kind:     by_value
      - .offset:         24
        .size:           4
        .value_kind:     hidden_block_count_x
      - .offset:         28
        .size:           4
        .value_kind:     hidden_block_count_y
      - .offset:         32
        .size:           4
        .value_kind:     hidden_block_count_z
      - .offset:         36
        .size:           2
        .value_kind:     hidden_group_size_x
      - .offset:         38
        .size:           2
        .value_kind:     hidden_group_size_y
      - .offset:         40
        .size:           2
        .value_kind:     hidden_group_size_z
      - .offset:         42
        .size:           2
        .value_kind:     hidden_remainder_x
      - .offset:         44
        .size:           2
        .value_kind:     hidden_remainder_y
      - .offset:         46
        .size:           2
        .value_kind:     hidden_remainder_z
      - .offset:         64
        .size:           8
        .value_kind:     hidden_global_offset_x
      - .offset:         72
        .size:           8
        .value_kind:     hidden_global_offset_y
      - .offset:         80
        .size:           8
        .value_kind:     hidden_global_offset_z
      - .offset:         88
        .size:           2
        .value_kind:     hidden_grid_dims
      - .offset:         144
        .size:           4
        .value_kind:     hidden_dynamic_lds_size
    .group_segment_fixed_size: 0
    .kernarg_segment_align: 8
    .kernarg_segment_size: 280
    .language:       OpenCL C
    .language_version:
      - 2
      - 0
    .max_flat_workgroup_size: 1024
    .name:           _ZN2at6native12_GLOBAL__N_122cunn_SoftMaxForwardRegIN3c104HalfEfS4_NS1_25LogSoftMaxForwardEpilogueElLi1EEEvPT1_PKT_T3_
    .private_segment_fixed_size: 0
    .sgpr_count:     18
    .sgpr_spill_count: 0
    .symbol:         _ZN2at6native12_GLOBAL__N_122cunn_SoftMaxForwardRegIN3c104HalfEfS4_NS1_25LogSoftMaxForwardEpilogueElLi1EEEvPT1_PKT_T3_.kd
    .uniform_work_group_size: 1
    .uses_dynamic_stack: false
    .vgpr_count:     13
    .vgpr_spill_count: 0
    .wavefront_size: 32
    .workgroup_processor_mode: 1
  - .args:
      - .address_space:  global
        .offset:         0
        .size:           8
        .value_kind:     global_buffer
      - .address_space:  global
        .offset:         8
        .size:           8
        .value_kind:     global_buffer
      - .offset:         16
        .size:           8
        .value_kind:     by_value
      - .offset:         24
        .size:           4
        .value_kind:     hidden_block_count_x
      - .offset:         28
        .size:           4
        .value_kind:     hidden_block_count_y
      - .offset:         32
        .size:           4
        .value_kind:     hidden_block_count_z
      - .offset:         36
        .size:           2
        .value_kind:     hidden_group_size_x
      - .offset:         38
        .size:           2
        .value_kind:     hidden_group_size_y
      - .offset:         40
        .size:           2
        .value_kind:     hidden_group_size_z
      - .offset:         42
        .size:           2
        .value_kind:     hidden_remainder_x
      - .offset:         44
        .size:           2
        .value_kind:     hidden_remainder_y
      - .offset:         46
        .size:           2
        .value_kind:     hidden_remainder_z
      - .offset:         64
        .size:           8
        .value_kind:     hidden_global_offset_x
      - .offset:         72
        .size:           8
        .value_kind:     hidden_global_offset_y
      - .offset:         80
        .size:           8
        .value_kind:     hidden_global_offset_z
      - .offset:         88
        .size:           2
        .value_kind:     hidden_grid_dims
      - .offset:         144
        .size:           4
        .value_kind:     hidden_dynamic_lds_size
    .group_segment_fixed_size: 0
    .kernarg_segment_align: 8
    .kernarg_segment_size: 280
    .language:       OpenCL C
    .language_version:
      - 2
      - 0
    .max_flat_workgroup_size: 1024
    .name:           _ZN2at6native12_GLOBAL__N_122cunn_SoftMaxForwardRegIN3c104HalfEfS4_NS1_25LogSoftMaxForwardEpilogueElLi2EEEvPT1_PKT_T3_
    .private_segment_fixed_size: 0
    .sgpr_count:     18
    .sgpr_spill_count: 0
    .symbol:         _ZN2at6native12_GLOBAL__N_122cunn_SoftMaxForwardRegIN3c104HalfEfS4_NS1_25LogSoftMaxForwardEpilogueElLi2EEEvPT1_PKT_T3_.kd
    .uniform_work_group_size: 1
    .uses_dynamic_stack: false
    .vgpr_count:     18
    .vgpr_spill_count: 0
    .wavefront_size: 32
    .workgroup_processor_mode: 1
  - .args:
      - .address_space:  global
        .offset:         0
        .size:           8
        .value_kind:     global_buffer
      - .address_space:  global
        .offset:         8
        .size:           8
        .value_kind:     global_buffer
      - .offset:         16
        .size:           8
        .value_kind:     by_value
      - .offset:         24
        .size:           4
        .value_kind:     hidden_block_count_x
      - .offset:         28
        .size:           4
        .value_kind:     hidden_block_count_y
      - .offset:         32
        .size:           4
        .value_kind:     hidden_block_count_z
      - .offset:         36
        .size:           2
        .value_kind:     hidden_group_size_x
      - .offset:         38
        .size:           2
        .value_kind:     hidden_group_size_y
      - .offset:         40
        .size:           2
        .value_kind:     hidden_group_size_z
      - .offset:         42
        .size:           2
        .value_kind:     hidden_remainder_x
      - .offset:         44
        .size:           2
        .value_kind:     hidden_remainder_y
      - .offset:         46
        .size:           2
        .value_kind:     hidden_remainder_z
      - .offset:         64
        .size:           8
        .value_kind:     hidden_global_offset_x
      - .offset:         72
        .size:           8
        .value_kind:     hidden_global_offset_y
      - .offset:         80
        .size:           8
        .value_kind:     hidden_global_offset_z
      - .offset:         88
        .size:           2
        .value_kind:     hidden_grid_dims
      - .offset:         144
        .size:           4
        .value_kind:     hidden_dynamic_lds_size
    .group_segment_fixed_size: 0
    .kernarg_segment_align: 8
    .kernarg_segment_size: 280
    .language:       OpenCL C
    .language_version:
      - 2
      - 0
    .max_flat_workgroup_size: 1024
    .name:           _ZN2at6native12_GLOBAL__N_122cunn_SoftMaxForwardRegIN3c104HalfEfS4_NS1_25LogSoftMaxForwardEpilogueElLi3EEEvPT1_PKT_T3_
    .private_segment_fixed_size: 0
    .sgpr_count:     18
    .sgpr_spill_count: 0
    .symbol:         _ZN2at6native12_GLOBAL__N_122cunn_SoftMaxForwardRegIN3c104HalfEfS4_NS1_25LogSoftMaxForwardEpilogueElLi3EEEvPT1_PKT_T3_.kd
    .uniform_work_group_size: 1
    .uses_dynamic_stack: false
    .vgpr_count:     21
    .vgpr_spill_count: 0
    .wavefront_size: 32
    .workgroup_processor_mode: 1
  - .args:
      - .address_space:  global
        .offset:         0
        .size:           8
        .value_kind:     global_buffer
      - .address_space:  global
        .offset:         8
        .size:           8
        .value_kind:     global_buffer
      - .offset:         16
        .size:           8
        .value_kind:     by_value
      - .offset:         24
        .size:           4
        .value_kind:     hidden_block_count_x
      - .offset:         28
        .size:           4
        .value_kind:     hidden_block_count_y
      - .offset:         32
        .size:           4
        .value_kind:     hidden_block_count_z
      - .offset:         36
        .size:           2
        .value_kind:     hidden_group_size_x
      - .offset:         38
        .size:           2
        .value_kind:     hidden_group_size_y
      - .offset:         40
        .size:           2
        .value_kind:     hidden_group_size_z
      - .offset:         42
        .size:           2
        .value_kind:     hidden_remainder_x
      - .offset:         44
        .size:           2
        .value_kind:     hidden_remainder_y
      - .offset:         46
        .size:           2
        .value_kind:     hidden_remainder_z
      - .offset:         64
        .size:           8
        .value_kind:     hidden_global_offset_x
      - .offset:         72
        .size:           8
        .value_kind:     hidden_global_offset_y
      - .offset:         80
        .size:           8
        .value_kind:     hidden_global_offset_z
      - .offset:         88
        .size:           2
        .value_kind:     hidden_grid_dims
      - .offset:         144
        .size:           4
        .value_kind:     hidden_dynamic_lds_size
    .group_segment_fixed_size: 0
    .kernarg_segment_align: 8
    .kernarg_segment_size: 280
    .language:       OpenCL C
    .language_version:
      - 2
      - 0
    .max_flat_workgroup_size: 1024
    .name:           _ZN2at6native12_GLOBAL__N_122cunn_SoftMaxForwardRegIN3c104HalfEfS4_NS1_25LogSoftMaxForwardEpilogueElLi4EEEvPT1_PKT_T3_
    .private_segment_fixed_size: 0
    .sgpr_count:     18
    .sgpr_spill_count: 0
    .symbol:         _ZN2at6native12_GLOBAL__N_122cunn_SoftMaxForwardRegIN3c104HalfEfS4_NS1_25LogSoftMaxForwardEpilogueElLi4EEEvPT1_PKT_T3_.kd
    .uniform_work_group_size: 1
    .uses_dynamic_stack: false
    .vgpr_count:     20
    .vgpr_spill_count: 0
    .wavefront_size: 32
    .workgroup_processor_mode: 1
  - .args:
      - .address_space:  global
        .offset:         0
        .size:           8
        .value_kind:     global_buffer
      - .address_space:  global
        .offset:         8
        .size:           8
        .value_kind:     global_buffer
      - .offset:         16
        .size:           8
        .value_kind:     by_value
      - .offset:         24
        .size:           4
        .value_kind:     hidden_block_count_x
      - .offset:         28
        .size:           4
        .value_kind:     hidden_block_count_y
      - .offset:         32
        .size:           4
        .value_kind:     hidden_block_count_z
      - .offset:         36
        .size:           2
        .value_kind:     hidden_group_size_x
      - .offset:         38
        .size:           2
        .value_kind:     hidden_group_size_y
      - .offset:         40
        .size:           2
        .value_kind:     hidden_group_size_z
      - .offset:         42
        .size:           2
        .value_kind:     hidden_remainder_x
      - .offset:         44
        .size:           2
        .value_kind:     hidden_remainder_y
      - .offset:         46
        .size:           2
        .value_kind:     hidden_remainder_z
      - .offset:         64
        .size:           8
        .value_kind:     hidden_global_offset_x
      - .offset:         72
        .size:           8
        .value_kind:     hidden_global_offset_y
      - .offset:         80
        .size:           8
        .value_kind:     hidden_global_offset_z
      - .offset:         88
        .size:           2
        .value_kind:     hidden_grid_dims
      - .offset:         144
        .size:           4
        .value_kind:     hidden_dynamic_lds_size
    .group_segment_fixed_size: 0
    .kernarg_segment_align: 8
    .kernarg_segment_size: 280
    .language:       OpenCL C
    .language_version:
      - 2
      - 0
    .max_flat_workgroup_size: 1024
    .name:           _ZN2at6native12_GLOBAL__N_122cunn_SoftMaxForwardRegIN3c104HalfEfS4_NS1_25LogSoftMaxForwardEpilogueElLi5EEEvPT1_PKT_T3_
    .private_segment_fixed_size: 0
    .sgpr_count:     22
    .sgpr_spill_count: 0
    .symbol:         _ZN2at6native12_GLOBAL__N_122cunn_SoftMaxForwardRegIN3c104HalfEfS4_NS1_25LogSoftMaxForwardEpilogueElLi5EEEvPT1_PKT_T3_.kd
    .uniform_work_group_size: 1
    .uses_dynamic_stack: false
    .vgpr_count:     22
    .vgpr_spill_count: 0
    .wavefront_size: 32
    .workgroup_processor_mode: 1
  - .args:
      - .address_space:  global
        .offset:         0
        .size:           8
        .value_kind:     global_buffer
      - .address_space:  global
        .offset:         8
        .size:           8
        .value_kind:     global_buffer
      - .offset:         16
        .size:           8
        .value_kind:     by_value
      - .offset:         24
        .size:           4
        .value_kind:     hidden_block_count_x
      - .offset:         28
        .size:           4
        .value_kind:     hidden_block_count_y
      - .offset:         32
        .size:           4
        .value_kind:     hidden_block_count_z
      - .offset:         36
        .size:           2
        .value_kind:     hidden_group_size_x
      - .offset:         38
        .size:           2
        .value_kind:     hidden_group_size_y
      - .offset:         40
        .size:           2
        .value_kind:     hidden_group_size_z
      - .offset:         42
        .size:           2
        .value_kind:     hidden_remainder_x
      - .offset:         44
        .size:           2
        .value_kind:     hidden_remainder_y
      - .offset:         46
        .size:           2
        .value_kind:     hidden_remainder_z
      - .offset:         64
        .size:           8
        .value_kind:     hidden_global_offset_x
      - .offset:         72
        .size:           8
        .value_kind:     hidden_global_offset_y
      - .offset:         80
        .size:           8
        .value_kind:     hidden_global_offset_z
      - .offset:         88
        .size:           2
        .value_kind:     hidden_grid_dims
      - .offset:         144
        .size:           4
        .value_kind:     hidden_dynamic_lds_size
    .group_segment_fixed_size: 0
    .kernarg_segment_align: 8
    .kernarg_segment_size: 280
    .language:       OpenCL C
    .language_version:
      - 2
      - 0
    .max_flat_workgroup_size: 1024
    .name:           _ZN2at6native12_GLOBAL__N_122cunn_SoftMaxForwardRegIN3c104HalfEfS4_NS1_25LogSoftMaxForwardEpilogueElLi6EEEvPT1_PKT_T3_
    .private_segment_fixed_size: 0
    .sgpr_count:     22
    .sgpr_spill_count: 0
    .symbol:         _ZN2at6native12_GLOBAL__N_122cunn_SoftMaxForwardRegIN3c104HalfEfS4_NS1_25LogSoftMaxForwardEpilogueElLi6EEEvPT1_PKT_T3_.kd
    .uniform_work_group_size: 1
    .uses_dynamic_stack: false
    .vgpr_count:     24
    .vgpr_spill_count: 0
    .wavefront_size: 32
    .workgroup_processor_mode: 1
  - .args:
      - .address_space:  global
        .offset:         0
        .size:           8
        .value_kind:     global_buffer
      - .address_space:  global
        .offset:         8
        .size:           8
        .value_kind:     global_buffer
      - .offset:         16
        .size:           8
        .value_kind:     by_value
      - .offset:         24
        .size:           4
        .value_kind:     hidden_block_count_x
      - .offset:         28
        .size:           4
        .value_kind:     hidden_block_count_y
      - .offset:         32
        .size:           4
        .value_kind:     hidden_block_count_z
      - .offset:         36
        .size:           2
        .value_kind:     hidden_group_size_x
      - .offset:         38
        .size:           2
        .value_kind:     hidden_group_size_y
      - .offset:         40
        .size:           2
        .value_kind:     hidden_group_size_z
      - .offset:         42
        .size:           2
        .value_kind:     hidden_remainder_x
      - .offset:         44
        .size:           2
        .value_kind:     hidden_remainder_y
      - .offset:         46
        .size:           2
        .value_kind:     hidden_remainder_z
      - .offset:         64
        .size:           8
        .value_kind:     hidden_global_offset_x
      - .offset:         72
        .size:           8
        .value_kind:     hidden_global_offset_y
      - .offset:         80
        .size:           8
        .value_kind:     hidden_global_offset_z
      - .offset:         88
        .size:           2
        .value_kind:     hidden_grid_dims
      - .offset:         144
        .size:           4
        .value_kind:     hidden_dynamic_lds_size
    .group_segment_fixed_size: 0
    .kernarg_segment_align: 8
    .kernarg_segment_size: 280
    .language:       OpenCL C
    .language_version:
      - 2
      - 0
    .max_flat_workgroup_size: 1024
    .name:           _ZN2at6native12_GLOBAL__N_122cunn_SoftMaxForwardRegIN3c104HalfEfS4_NS1_25LogSoftMaxForwardEpilogueElLi7EEEvPT1_PKT_T3_
    .private_segment_fixed_size: 0
    .sgpr_count:     22
    .sgpr_spill_count: 0
    .symbol:         _ZN2at6native12_GLOBAL__N_122cunn_SoftMaxForwardRegIN3c104HalfEfS4_NS1_25LogSoftMaxForwardEpilogueElLi7EEEvPT1_PKT_T3_.kd
    .uniform_work_group_size: 1
    .uses_dynamic_stack: false
    .vgpr_count:     26
    .vgpr_spill_count: 0
    .wavefront_size: 32
    .workgroup_processor_mode: 1
  - .args:
      - .address_space:  global
        .offset:         0
        .size:           8
        .value_kind:     global_buffer
      - .address_space:  global
        .offset:         8
        .size:           8
        .value_kind:     global_buffer
      - .offset:         16
        .size:           8
        .value_kind:     by_value
      - .offset:         24
        .size:           4
        .value_kind:     hidden_block_count_x
      - .offset:         28
        .size:           4
        .value_kind:     hidden_block_count_y
      - .offset:         32
        .size:           4
        .value_kind:     hidden_block_count_z
      - .offset:         36
        .size:           2
        .value_kind:     hidden_group_size_x
      - .offset:         38
        .size:           2
        .value_kind:     hidden_group_size_y
      - .offset:         40
        .size:           2
        .value_kind:     hidden_group_size_z
      - .offset:         42
        .size:           2
        .value_kind:     hidden_remainder_x
      - .offset:         44
        .size:           2
        .value_kind:     hidden_remainder_y
      - .offset:         46
        .size:           2
        .value_kind:     hidden_remainder_z
      - .offset:         64
        .size:           8
        .value_kind:     hidden_global_offset_x
      - .offset:         72
        .size:           8
        .value_kind:     hidden_global_offset_y
      - .offset:         80
        .size:           8
        .value_kind:     hidden_global_offset_z
      - .offset:         88
        .size:           2
        .value_kind:     hidden_grid_dims
      - .offset:         144
        .size:           4
        .value_kind:     hidden_dynamic_lds_size
    .group_segment_fixed_size: 0
    .kernarg_segment_align: 8
    .kernarg_segment_size: 280
    .language:       OpenCL C
    .language_version:
      - 2
      - 0
    .max_flat_workgroup_size: 1024
    .name:           _ZN2at6native12_GLOBAL__N_122cunn_SoftMaxForwardRegIN3c104HalfEfS4_NS1_25LogSoftMaxForwardEpilogueElLi8EEEvPT1_PKT_T3_
    .private_segment_fixed_size: 0
    .sgpr_count:     22
    .sgpr_spill_count: 0
    .symbol:         _ZN2at6native12_GLOBAL__N_122cunn_SoftMaxForwardRegIN3c104HalfEfS4_NS1_25LogSoftMaxForwardEpilogueElLi8EEEvPT1_PKT_T3_.kd
    .uniform_work_group_size: 1
    .uses_dynamic_stack: false
    .vgpr_count:     28
    .vgpr_spill_count: 0
    .wavefront_size: 32
    .workgroup_processor_mode: 1
  - .args:
      - .address_space:  global
        .offset:         0
        .size:           8
        .value_kind:     global_buffer
      - .address_space:  global
        .offset:         8
        .size:           8
        .value_kind:     global_buffer
      - .offset:         16
        .size:           8
        .value_kind:     by_value
      - .offset:         24
        .size:           4
        .value_kind:     hidden_block_count_x
      - .offset:         28
        .size:           4
        .value_kind:     hidden_block_count_y
      - .offset:         32
        .size:           4
        .value_kind:     hidden_block_count_z
      - .offset:         36
        .size:           2
        .value_kind:     hidden_group_size_x
      - .offset:         38
        .size:           2
        .value_kind:     hidden_group_size_y
      - .offset:         40
        .size:           2
        .value_kind:     hidden_group_size_z
      - .offset:         42
        .size:           2
        .value_kind:     hidden_remainder_x
      - .offset:         44
        .size:           2
        .value_kind:     hidden_remainder_y
      - .offset:         46
        .size:           2
        .value_kind:     hidden_remainder_z
      - .offset:         64
        .size:           8
        .value_kind:     hidden_global_offset_x
      - .offset:         72
        .size:           8
        .value_kind:     hidden_global_offset_y
      - .offset:         80
        .size:           8
        .value_kind:     hidden_global_offset_z
      - .offset:         88
        .size:           2
        .value_kind:     hidden_grid_dims
      - .offset:         144
        .size:           4
        .value_kind:     hidden_dynamic_lds_size
    .group_segment_fixed_size: 0
    .kernarg_segment_align: 8
    .kernarg_segment_size: 280
    .language:       OpenCL C
    .language_version:
      - 2
      - 0
    .max_flat_workgroup_size: 1024
    .name:           _ZN2at6native12_GLOBAL__N_122cunn_SoftMaxForwardRegIN3c104HalfEfS4_NS1_25LogSoftMaxForwardEpilogueElLi9EEEvPT1_PKT_T3_
    .private_segment_fixed_size: 0
    .sgpr_count:     22
    .sgpr_spill_count: 0
    .symbol:         _ZN2at6native12_GLOBAL__N_122cunn_SoftMaxForwardRegIN3c104HalfEfS4_NS1_25LogSoftMaxForwardEpilogueElLi9EEEvPT1_PKT_T3_.kd
    .uniform_work_group_size: 1
    .uses_dynamic_stack: false
    .vgpr_count:     30
    .vgpr_spill_count: 0
    .wavefront_size: 32
    .workgroup_processor_mode: 1
  - .args:
      - .address_space:  global
        .offset:         0
        .size:           8
        .value_kind:     global_buffer
      - .address_space:  global
        .offset:         8
        .size:           8
        .value_kind:     global_buffer
      - .offset:         16
        .size:           8
        .value_kind:     by_value
      - .offset:         24
        .size:           4
        .value_kind:     hidden_block_count_x
      - .offset:         28
        .size:           4
        .value_kind:     hidden_block_count_y
      - .offset:         32
        .size:           4
        .value_kind:     hidden_block_count_z
      - .offset:         36
        .size:           2
        .value_kind:     hidden_group_size_x
      - .offset:         38
        .size:           2
        .value_kind:     hidden_group_size_y
      - .offset:         40
        .size:           2
        .value_kind:     hidden_group_size_z
      - .offset:         42
        .size:           2
        .value_kind:     hidden_remainder_x
      - .offset:         44
        .size:           2
        .value_kind:     hidden_remainder_y
      - .offset:         46
        .size:           2
        .value_kind:     hidden_remainder_z
      - .offset:         64
        .size:           8
        .value_kind:     hidden_global_offset_x
      - .offset:         72
        .size:           8
        .value_kind:     hidden_global_offset_y
      - .offset:         80
        .size:           8
        .value_kind:     hidden_global_offset_z
      - .offset:         88
        .size:           2
        .value_kind:     hidden_grid_dims
      - .offset:         144
        .size:           4
        .value_kind:     hidden_dynamic_lds_size
    .group_segment_fixed_size: 0
    .kernarg_segment_align: 8
    .kernarg_segment_size: 280
    .language:       OpenCL C
    .language_version:
      - 2
      - 0
    .max_flat_workgroup_size: 1024
    .name:           _ZN2at6native12_GLOBAL__N_123cunn_SoftMaxForwardSmemILi8EN3c104HalfEfS4_NS1_25LogSoftMaxForwardEpilogueElEEvPT2_PKT0_T4_
    .private_segment_fixed_size: 0
    .sgpr_count:     23
    .sgpr_spill_count: 0
    .symbol:         _ZN2at6native12_GLOBAL__N_123cunn_SoftMaxForwardSmemILi8EN3c104HalfEfS4_NS1_25LogSoftMaxForwardEpilogueElEEvPT2_PKT0_T4_.kd
    .uniform_work_group_size: 1
    .uses_dynamic_stack: false
    .vgpr_count:     49
    .vgpr_spill_count: 0
    .wavefront_size: 32
    .workgroup_processor_mode: 1
  - .args:
      - .address_space:  global
        .offset:         0
        .size:           8
        .value_kind:     global_buffer
      - .address_space:  global
        .offset:         8
        .size:           8
        .value_kind:     global_buffer
      - .offset:         16
        .size:           4
        .value_kind:     by_value
      - .offset:         24
        .size:           4
        .value_kind:     hidden_block_count_x
      - .offset:         28
        .size:           4
        .value_kind:     hidden_block_count_y
      - .offset:         32
        .size:           4
        .value_kind:     hidden_block_count_z
      - .offset:         36
        .size:           2
        .value_kind:     hidden_group_size_x
      - .offset:         38
        .size:           2
        .value_kind:     hidden_group_size_y
      - .offset:         40
        .size:           2
        .value_kind:     hidden_group_size_z
      - .offset:         42
        .size:           2
        .value_kind:     hidden_remainder_x
      - .offset:         44
        .size:           2
        .value_kind:     hidden_remainder_y
      - .offset:         46
        .size:           2
        .value_kind:     hidden_remainder_z
      - .offset:         64
        .size:           8
        .value_kind:     hidden_global_offset_x
      - .offset:         72
        .size:           8
        .value_kind:     hidden_global_offset_y
      - .offset:         80
        .size:           8
        .value_kind:     hidden_global_offset_z
      - .offset:         88
        .size:           2
        .value_kind:     hidden_grid_dims
      - .offset:         144
        .size:           4
        .value_kind:     hidden_dynamic_lds_size
    .group_segment_fixed_size: 0
    .kernarg_segment_align: 8
    .kernarg_segment_size: 280
    .language:       OpenCL C
    .language_version:
      - 2
      - 0
    .max_flat_workgroup_size: 1024
    .name:           _ZN2at6native12_GLOBAL__N_119cunn_SoftMaxForwardILi8EN3c104HalfEfS4_NS1_25LogSoftMaxForwardEpilogueEEEvPT2_PKT0_i
    .private_segment_fixed_size: 0
    .sgpr_count:     27
    .sgpr_spill_count: 0
    .symbol:         _ZN2at6native12_GLOBAL__N_119cunn_SoftMaxForwardILi8EN3c104HalfEfS4_NS1_25LogSoftMaxForwardEpilogueEEEvPT2_PKT0_i.kd
    .uniform_work_group_size: 1
    .uses_dynamic_stack: false
    .vgpr_count:     46
    .vgpr_spill_count: 0
    .wavefront_size: 32
    .workgroup_processor_mode: 1
  - .args:
      - .address_space:  global
        .offset:         0
        .size:           8
        .value_kind:     global_buffer
      - .address_space:  global
        .offset:         8
        .size:           8
        .value_kind:     global_buffer
      - .offset:         16
        .size:           4
        .value_kind:     by_value
      - .offset:         20
        .size:           4
        .value_kind:     by_value
      - .offset:         24
        .size:           4
        .value_kind:     by_value
      - .address_space:  global
        .offset:         32
        .size:           8
        .value_kind:     global_buffer
      - .offset:         40
        .size:           4
        .value_kind:     by_value
      - .offset:         44
        .size:           1
        .value_kind:     by_value
      - .offset:         48
        .size:           4
        .value_kind:     hidden_block_count_x
      - .offset:         52
        .size:           4
        .value_kind:     hidden_block_count_y
      - .offset:         56
        .size:           4
        .value_kind:     hidden_block_count_z
      - .offset:         60
        .size:           2
        .value_kind:     hidden_group_size_x
      - .offset:         62
        .size:           2
        .value_kind:     hidden_group_size_y
      - .offset:         64
        .size:           2
        .value_kind:     hidden_group_size_z
      - .offset:         66
        .size:           2
        .value_kind:     hidden_remainder_x
      - .offset:         68
        .size:           2
        .value_kind:     hidden_remainder_y
      - .offset:         70
        .size:           2
        .value_kind:     hidden_remainder_z
      - .offset:         88
        .size:           8
        .value_kind:     hidden_global_offset_x
      - .offset:         96
        .size:           8
        .value_kind:     hidden_global_offset_y
      - .offset:         104
        .size:           8
        .value_kind:     hidden_global_offset_z
      - .offset:         112
        .size:           2
        .value_kind:     hidden_grid_dims
    .group_segment_fixed_size: 0
    .kernarg_segment_align: 8
    .kernarg_segment_size: 304
    .language:       OpenCL C
    .language_version:
      - 2
      - 0
    .max_flat_workgroup_size: 1024
    .name:           _ZN12_GLOBAL__N_120softmax_warp_forwardIN3c104HalfEffLi0ELb1ELb0ELi64EEEvPT0_PKT_iiiPKbib
    .private_segment_fixed_size: 0
    .sgpr_count:     18
    .sgpr_spill_count: 0
    .symbol:         _ZN12_GLOBAL__N_120softmax_warp_forwardIN3c104HalfEffLi0ELb1ELb0ELi64EEEvPT0_PKT_iiiPKbib.kd
    .uniform_work_group_size: 1
    .uses_dynamic_stack: false
    .vgpr_count:     8
    .vgpr_spill_count: 0
    .wavefront_size: 32
    .workgroup_processor_mode: 1
  - .args:
      - .address_space:  global
        .offset:         0
        .size:           8
        .value_kind:     global_buffer
      - .address_space:  global
        .offset:         8
        .size:           8
        .value_kind:     global_buffer
      - .offset:         16
        .size:           4
        .value_kind:     by_value
      - .offset:         20
        .size:           4
        .value_kind:     by_value
      - .offset:         24
        .size:           4
        .value_kind:     by_value
      - .address_space:  global
        .offset:         32
        .size:           8
        .value_kind:     global_buffer
      - .offset:         40
        .size:           4
        .value_kind:     by_value
      - .offset:         44
        .size:           1
        .value_kind:     by_value
      - .offset:         48
        .size:           4
        .value_kind:     hidden_block_count_x
      - .offset:         52
        .size:           4
        .value_kind:     hidden_block_count_y
      - .offset:         56
        .size:           4
        .value_kind:     hidden_block_count_z
      - .offset:         60
        .size:           2
        .value_kind:     hidden_group_size_x
      - .offset:         62
        .size:           2
        .value_kind:     hidden_group_size_y
      - .offset:         64
        .size:           2
        .value_kind:     hidden_group_size_z
      - .offset:         66
        .size:           2
        .value_kind:     hidden_remainder_x
      - .offset:         68
        .size:           2
        .value_kind:     hidden_remainder_y
      - .offset:         70
        .size:           2
        .value_kind:     hidden_remainder_z
      - .offset:         88
        .size:           8
        .value_kind:     hidden_global_offset_x
      - .offset:         96
        .size:           8
        .value_kind:     hidden_global_offset_y
      - .offset:         104
        .size:           8
        .value_kind:     hidden_global_offset_z
      - .offset:         112
        .size:           2
        .value_kind:     hidden_grid_dims
    .group_segment_fixed_size: 0
    .kernarg_segment_align: 8
    .kernarg_segment_size: 304
    .language:       OpenCL C
    .language_version:
      - 2
      - 0
    .max_flat_workgroup_size: 1024
    .name:           _ZN12_GLOBAL__N_120softmax_warp_forwardIN3c104HalfEffLi0ELb1ELb0ELi32EEEvPT0_PKT_iiiPKbib
    .private_segment_fixed_size: 0
    .sgpr_count:     18
    .sgpr_spill_count: 0
    .symbol:         _ZN12_GLOBAL__N_120softmax_warp_forwardIN3c104HalfEffLi0ELb1ELb0ELi32EEEvPT0_PKT_iiiPKbib.kd
    .uniform_work_group_size: 1
    .uses_dynamic_stack: false
    .vgpr_count:     8
    .vgpr_spill_count: 0
    .wavefront_size: 32
    .workgroup_processor_mode: 1
  - .args:
      - .address_space:  global
        .offset:         0
        .size:           8
        .value_kind:     global_buffer
      - .address_space:  global
        .offset:         8
        .size:           8
        .value_kind:     global_buffer
      - .offset:         16
        .size:           4
        .value_kind:     by_value
      - .offset:         20
        .size:           4
        .value_kind:     by_value
      - .offset:         24
        .size:           4
        .value_kind:     by_value
      - .address_space:  global
        .offset:         32
        .size:           8
        .value_kind:     global_buffer
      - .offset:         40
        .size:           4
        .value_kind:     by_value
      - .offset:         44
        .size:           1
        .value_kind:     by_value
      - .offset:         48
        .size:           4
        .value_kind:     hidden_block_count_x
      - .offset:         52
        .size:           4
        .value_kind:     hidden_block_count_y
      - .offset:         56
        .size:           4
        .value_kind:     hidden_block_count_z
      - .offset:         60
        .size:           2
        .value_kind:     hidden_group_size_x
      - .offset:         62
        .size:           2
        .value_kind:     hidden_group_size_y
      - .offset:         64
        .size:           2
        .value_kind:     hidden_group_size_z
      - .offset:         66
        .size:           2
        .value_kind:     hidden_remainder_x
      - .offset:         68
        .size:           2
        .value_kind:     hidden_remainder_y
      - .offset:         70
        .size:           2
        .value_kind:     hidden_remainder_z
      - .offset:         88
        .size:           8
        .value_kind:     hidden_global_offset_x
      - .offset:         96
        .size:           8
        .value_kind:     hidden_global_offset_y
      - .offset:         104
        .size:           8
        .value_kind:     hidden_global_offset_z
      - .offset:         112
        .size:           2
        .value_kind:     hidden_grid_dims
    .group_segment_fixed_size: 0
    .kernarg_segment_align: 8
    .kernarg_segment_size: 304
    .language:       OpenCL C
    .language_version:
      - 2
      - 0
    .max_flat_workgroup_size: 1024
    .name:           _ZN12_GLOBAL__N_120softmax_warp_forwardIN3c104HalfEffLi1ELb1ELb0ELi64EEEvPT0_PKT_iiiPKbib
    .private_segment_fixed_size: 0
    .sgpr_count:     18
    .sgpr_spill_count: 0
    .symbol:         _ZN12_GLOBAL__N_120softmax_warp_forwardIN3c104HalfEffLi1ELb1ELb0ELi64EEEvPT0_PKT_iiiPKbib.kd
    .uniform_work_group_size: 1
    .uses_dynamic_stack: false
    .vgpr_count:     12
    .vgpr_spill_count: 0
    .wavefront_size: 32
    .workgroup_processor_mode: 1
  - .args:
      - .address_space:  global
        .offset:         0
        .size:           8
        .value_kind:     global_buffer
      - .address_space:  global
        .offset:         8
        .size:           8
        .value_kind:     global_buffer
      - .offset:         16
        .size:           4
        .value_kind:     by_value
      - .offset:         20
        .size:           4
        .value_kind:     by_value
      - .offset:         24
        .size:           4
        .value_kind:     by_value
      - .address_space:  global
        .offset:         32
        .size:           8
        .value_kind:     global_buffer
      - .offset:         40
        .size:           4
        .value_kind:     by_value
      - .offset:         44
        .size:           1
        .value_kind:     by_value
      - .offset:         48
        .size:           4
        .value_kind:     hidden_block_count_x
      - .offset:         52
        .size:           4
        .value_kind:     hidden_block_count_y
      - .offset:         56
        .size:           4
        .value_kind:     hidden_block_count_z
      - .offset:         60
        .size:           2
        .value_kind:     hidden_group_size_x
      - .offset:         62
        .size:           2
        .value_kind:     hidden_group_size_y
      - .offset:         64
        .size:           2
        .value_kind:     hidden_group_size_z
      - .offset:         66
        .size:           2
        .value_kind:     hidden_remainder_x
      - .offset:         68
        .size:           2
        .value_kind:     hidden_remainder_y
      - .offset:         70
        .size:           2
        .value_kind:     hidden_remainder_z
      - .offset:         88
        .size:           8
        .value_kind:     hidden_global_offset_x
      - .offset:         96
        .size:           8
        .value_kind:     hidden_global_offset_y
      - .offset:         104
        .size:           8
        .value_kind:     hidden_global_offset_z
      - .offset:         112
        .size:           2
        .value_kind:     hidden_grid_dims
    .group_segment_fixed_size: 0
    .kernarg_segment_align: 8
    .kernarg_segment_size: 304
    .language:       OpenCL C
    .language_version:
      - 2
      - 0
    .max_flat_workgroup_size: 1024
    .name:           _ZN12_GLOBAL__N_120softmax_warp_forwardIN3c104HalfEffLi1ELb1ELb0ELi32EEEvPT0_PKT_iiiPKbib
    .private_segment_fixed_size: 0
    .sgpr_count:     18
    .sgpr_spill_count: 0
    .symbol:         _ZN12_GLOBAL__N_120softmax_warp_forwardIN3c104HalfEffLi1ELb1ELb0ELi32EEEvPT0_PKT_iiiPKbib.kd
    .uniform_work_group_size: 1
    .uses_dynamic_stack: false
    .vgpr_count:     12
    .vgpr_spill_count: 0
    .wavefront_size: 32
    .workgroup_processor_mode: 1
  - .args:
      - .address_space:  global
        .offset:         0
        .size:           8
        .value_kind:     global_buffer
      - .address_space:  global
        .offset:         8
        .size:           8
        .value_kind:     global_buffer
      - .offset:         16
        .size:           4
        .value_kind:     by_value
      - .offset:         20
        .size:           4
        .value_kind:     by_value
      - .offset:         24
        .size:           4
        .value_kind:     by_value
      - .address_space:  global
        .offset:         32
        .size:           8
        .value_kind:     global_buffer
      - .offset:         40
        .size:           4
        .value_kind:     by_value
      - .offset:         44
        .size:           1
        .value_kind:     by_value
      - .offset:         48
        .size:           4
        .value_kind:     hidden_block_count_x
      - .offset:         52
        .size:           4
        .value_kind:     hidden_block_count_y
      - .offset:         56
        .size:           4
        .value_kind:     hidden_block_count_z
      - .offset:         60
        .size:           2
        .value_kind:     hidden_group_size_x
      - .offset:         62
        .size:           2
        .value_kind:     hidden_group_size_y
      - .offset:         64
        .size:           2
        .value_kind:     hidden_group_size_z
      - .offset:         66
        .size:           2
        .value_kind:     hidden_remainder_x
      - .offset:         68
        .size:           2
        .value_kind:     hidden_remainder_y
      - .offset:         70
        .size:           2
        .value_kind:     hidden_remainder_z
      - .offset:         88
        .size:           8
        .value_kind:     hidden_global_offset_x
      - .offset:         96
        .size:           8
        .value_kind:     hidden_global_offset_y
      - .offset:         104
        .size:           8
        .value_kind:     hidden_global_offset_z
      - .offset:         112
        .size:           2
        .value_kind:     hidden_grid_dims
    .group_segment_fixed_size: 0
    .kernarg_segment_align: 8
    .kernarg_segment_size: 304
    .language:       OpenCL C
    .language_version:
      - 2
      - 0
    .max_flat_workgroup_size: 1024
    .name:           _ZN12_GLOBAL__N_120softmax_warp_forwardIN3c104HalfEffLi2ELb1ELb0ELi64EEEvPT0_PKT_iiiPKbib
    .private_segment_fixed_size: 0
    .sgpr_count:     18
    .sgpr_spill_count: 0
    .symbol:         _ZN12_GLOBAL__N_120softmax_warp_forwardIN3c104HalfEffLi2ELb1ELb0ELi64EEEvPT0_PKT_iiiPKbib.kd
    .uniform_work_group_size: 1
    .uses_dynamic_stack: false
    .vgpr_count:     13
    .vgpr_spill_count: 0
    .wavefront_size: 32
    .workgroup_processor_mode: 1
  - .args:
      - .address_space:  global
        .offset:         0
        .size:           8
        .value_kind:     global_buffer
      - .address_space:  global
        .offset:         8
        .size:           8
        .value_kind:     global_buffer
      - .offset:         16
        .size:           4
        .value_kind:     by_value
      - .offset:         20
        .size:           4
        .value_kind:     by_value
      - .offset:         24
        .size:           4
        .value_kind:     by_value
      - .address_space:  global
        .offset:         32
        .size:           8
        .value_kind:     global_buffer
      - .offset:         40
        .size:           4
        .value_kind:     by_value
      - .offset:         44
        .size:           1
        .value_kind:     by_value
      - .offset:         48
        .size:           4
        .value_kind:     hidden_block_count_x
      - .offset:         52
        .size:           4
        .value_kind:     hidden_block_count_y
      - .offset:         56
        .size:           4
        .value_kind:     hidden_block_count_z
      - .offset:         60
        .size:           2
        .value_kind:     hidden_group_size_x
      - .offset:         62
        .size:           2
        .value_kind:     hidden_group_size_y
      - .offset:         64
        .size:           2
        .value_kind:     hidden_group_size_z
      - .offset:         66
        .size:           2
        .value_kind:     hidden_remainder_x
      - .offset:         68
        .size:           2
        .value_kind:     hidden_remainder_y
      - .offset:         70
        .size:           2
        .value_kind:     hidden_remainder_z
      - .offset:         88
        .size:           8
        .value_kind:     hidden_global_offset_x
      - .offset:         96
        .size:           8
        .value_kind:     hidden_global_offset_y
      - .offset:         104
        .size:           8
        .value_kind:     hidden_global_offset_z
      - .offset:         112
        .size:           2
        .value_kind:     hidden_grid_dims
    .group_segment_fixed_size: 0
    .kernarg_segment_align: 8
    .kernarg_segment_size: 304
    .language:       OpenCL C
    .language_version:
      - 2
      - 0
    .max_flat_workgroup_size: 1024
    .name:           _ZN12_GLOBAL__N_120softmax_warp_forwardIN3c104HalfEffLi2ELb1ELb0ELi32EEEvPT0_PKT_iiiPKbib
    .private_segment_fixed_size: 0
    .sgpr_count:     18
    .sgpr_spill_count: 0
    .symbol:         _ZN12_GLOBAL__N_120softmax_warp_forwardIN3c104HalfEffLi2ELb1ELb0ELi32EEEvPT0_PKT_iiiPKbib.kd
    .uniform_work_group_size: 1
    .uses_dynamic_stack: false
    .vgpr_count:     13
    .vgpr_spill_count: 0
    .wavefront_size: 32
    .workgroup_processor_mode: 1
  - .args:
      - .address_space:  global
        .offset:         0
        .size:           8
        .value_kind:     global_buffer
      - .address_space:  global
        .offset:         8
        .size:           8
        .value_kind:     global_buffer
      - .offset:         16
        .size:           4
        .value_kind:     by_value
      - .offset:         20
        .size:           4
        .value_kind:     by_value
      - .offset:         24
        .size:           4
        .value_kind:     by_value
      - .address_space:  global
        .offset:         32
        .size:           8
        .value_kind:     global_buffer
      - .offset:         40
        .size:           4
        .value_kind:     by_value
      - .offset:         44
        .size:           1
        .value_kind:     by_value
      - .offset:         48
        .size:           4
        .value_kind:     hidden_block_count_x
      - .offset:         52
        .size:           4
        .value_kind:     hidden_block_count_y
      - .offset:         56
        .size:           4
        .value_kind:     hidden_block_count_z
      - .offset:         60
        .size:           2
        .value_kind:     hidden_group_size_x
      - .offset:         62
        .size:           2
        .value_kind:     hidden_group_size_y
      - .offset:         64
        .size:           2
        .value_kind:     hidden_group_size_z
      - .offset:         66
        .size:           2
        .value_kind:     hidden_remainder_x
      - .offset:         68
        .size:           2
        .value_kind:     hidden_remainder_y
      - .offset:         70
        .size:           2
        .value_kind:     hidden_remainder_z
      - .offset:         88
        .size:           8
        .value_kind:     hidden_global_offset_x
      - .offset:         96
        .size:           8
        .value_kind:     hidden_global_offset_y
      - .offset:         104
        .size:           8
        .value_kind:     hidden_global_offset_z
      - .offset:         112
        .size:           2
        .value_kind:     hidden_grid_dims
    .group_segment_fixed_size: 0
    .kernarg_segment_align: 8
    .kernarg_segment_size: 304
    .language:       OpenCL C
    .language_version:
      - 2
      - 0
    .max_flat_workgroup_size: 1024
    .name:           _ZN12_GLOBAL__N_120softmax_warp_forwardIN3c104HalfEffLi3ELb1ELb0ELi64EEEvPT0_PKT_iiiPKbib
    .private_segment_fixed_size: 0
    .sgpr_count:     18
    .sgpr_spill_count: 0
    .symbol:         _ZN12_GLOBAL__N_120softmax_warp_forwardIN3c104HalfEffLi3ELb1ELb0ELi64EEEvPT0_PKT_iiiPKbib.kd
    .uniform_work_group_size: 1
    .uses_dynamic_stack: false
    .vgpr_count:     14
    .vgpr_spill_count: 0
    .wavefront_size: 32
    .workgroup_processor_mode: 1
  - .args:
      - .address_space:  global
        .offset:         0
        .size:           8
        .value_kind:     global_buffer
      - .address_space:  global
        .offset:         8
        .size:           8
        .value_kind:     global_buffer
      - .offset:         16
        .size:           4
        .value_kind:     by_value
      - .offset:         20
        .size:           4
        .value_kind:     by_value
      - .offset:         24
        .size:           4
        .value_kind:     by_value
      - .address_space:  global
        .offset:         32
        .size:           8
        .value_kind:     global_buffer
      - .offset:         40
        .size:           4
        .value_kind:     by_value
      - .offset:         44
        .size:           1
        .value_kind:     by_value
      - .offset:         48
        .size:           4
        .value_kind:     hidden_block_count_x
      - .offset:         52
        .size:           4
        .value_kind:     hidden_block_count_y
      - .offset:         56
        .size:           4
        .value_kind:     hidden_block_count_z
      - .offset:         60
        .size:           2
        .value_kind:     hidden_group_size_x
      - .offset:         62
        .size:           2
        .value_kind:     hidden_group_size_y
      - .offset:         64
        .size:           2
        .value_kind:     hidden_group_size_z
      - .offset:         66
        .size:           2
        .value_kind:     hidden_remainder_x
      - .offset:         68
        .size:           2
        .value_kind:     hidden_remainder_y
      - .offset:         70
        .size:           2
        .value_kind:     hidden_remainder_z
      - .offset:         88
        .size:           8
        .value_kind:     hidden_global_offset_x
      - .offset:         96
        .size:           8
        .value_kind:     hidden_global_offset_y
      - .offset:         104
        .size:           8
        .value_kind:     hidden_global_offset_z
      - .offset:         112
        .size:           2
        .value_kind:     hidden_grid_dims
    .group_segment_fixed_size: 0
    .kernarg_segment_align: 8
    .kernarg_segment_size: 304
    .language:       OpenCL C
    .language_version:
      - 2
      - 0
    .max_flat_workgroup_size: 1024
    .name:           _ZN12_GLOBAL__N_120softmax_warp_forwardIN3c104HalfEffLi3ELb1ELb0ELi32EEEvPT0_PKT_iiiPKbib
    .private_segment_fixed_size: 0
    .sgpr_count:     18
    .sgpr_spill_count: 0
    .symbol:         _ZN12_GLOBAL__N_120softmax_warp_forwardIN3c104HalfEffLi3ELb1ELb0ELi32EEEvPT0_PKT_iiiPKbib.kd
    .uniform_work_group_size: 1
    .uses_dynamic_stack: false
    .vgpr_count:     14
    .vgpr_spill_count: 0
    .wavefront_size: 32
    .workgroup_processor_mode: 1
  - .args:
      - .address_space:  global
        .offset:         0
        .size:           8
        .value_kind:     global_buffer
      - .address_space:  global
        .offset:         8
        .size:           8
        .value_kind:     global_buffer
      - .offset:         16
        .size:           4
        .value_kind:     by_value
      - .offset:         20
        .size:           4
        .value_kind:     by_value
      - .offset:         24
        .size:           4
        .value_kind:     by_value
      - .address_space:  global
        .offset:         32
        .size:           8
        .value_kind:     global_buffer
      - .offset:         40
        .size:           4
        .value_kind:     by_value
      - .offset:         44
        .size:           1
        .value_kind:     by_value
      - .offset:         48
        .size:           4
        .value_kind:     hidden_block_count_x
      - .offset:         52
        .size:           4
        .value_kind:     hidden_block_count_y
      - .offset:         56
        .size:           4
        .value_kind:     hidden_block_count_z
      - .offset:         60
        .size:           2
        .value_kind:     hidden_group_size_x
      - .offset:         62
        .size:           2
        .value_kind:     hidden_group_size_y
      - .offset:         64
        .size:           2
        .value_kind:     hidden_group_size_z
      - .offset:         66
        .size:           2
        .value_kind:     hidden_remainder_x
      - .offset:         68
        .size:           2
        .value_kind:     hidden_remainder_y
      - .offset:         70
        .size:           2
        .value_kind:     hidden_remainder_z
      - .offset:         88
        .size:           8
        .value_kind:     hidden_global_offset_x
      - .offset:         96
        .size:           8
        .value_kind:     hidden_global_offset_y
      - .offset:         104
        .size:           8
        .value_kind:     hidden_global_offset_z
      - .offset:         112
        .size:           2
        .value_kind:     hidden_grid_dims
    .group_segment_fixed_size: 0
    .kernarg_segment_align: 8
    .kernarg_segment_size: 304
    .language:       OpenCL C
    .language_version:
      - 2
      - 0
    .max_flat_workgroup_size: 1024
    .name:           _ZN12_GLOBAL__N_120softmax_warp_forwardIN3c104HalfEffLi4ELb1ELb0ELi64EEEvPT0_PKT_iiiPKbib
    .private_segment_fixed_size: 0
    .sgpr_count:     18
    .sgpr_spill_count: 0
    .symbol:         _ZN12_GLOBAL__N_120softmax_warp_forwardIN3c104HalfEffLi4ELb1ELb0ELi64EEEvPT0_PKT_iiiPKbib.kd
    .uniform_work_group_size: 1
    .uses_dynamic_stack: false
    .vgpr_count:     15
    .vgpr_spill_count: 0
    .wavefront_size: 32
    .workgroup_processor_mode: 1
  - .args:
      - .address_space:  global
        .offset:         0
        .size:           8
        .value_kind:     global_buffer
      - .address_space:  global
        .offset:         8
        .size:           8
        .value_kind:     global_buffer
      - .offset:         16
        .size:           4
        .value_kind:     by_value
      - .offset:         20
        .size:           4
        .value_kind:     by_value
      - .offset:         24
        .size:           4
        .value_kind:     by_value
      - .address_space:  global
        .offset:         32
        .size:           8
        .value_kind:     global_buffer
      - .offset:         40
        .size:           4
        .value_kind:     by_value
      - .offset:         44
        .size:           1
        .value_kind:     by_value
      - .offset:         48
        .size:           4
        .value_kind:     hidden_block_count_x
      - .offset:         52
        .size:           4
        .value_kind:     hidden_block_count_y
      - .offset:         56
        .size:           4
        .value_kind:     hidden_block_count_z
      - .offset:         60
        .size:           2
        .value_kind:     hidden_group_size_x
      - .offset:         62
        .size:           2
        .value_kind:     hidden_group_size_y
      - .offset:         64
        .size:           2
        .value_kind:     hidden_group_size_z
      - .offset:         66
        .size:           2
        .value_kind:     hidden_remainder_x
      - .offset:         68
        .size:           2
        .value_kind:     hidden_remainder_y
      - .offset:         70
        .size:           2
        .value_kind:     hidden_remainder_z
      - .offset:         88
        .size:           8
        .value_kind:     hidden_global_offset_x
      - .offset:         96
        .size:           8
        .value_kind:     hidden_global_offset_y
      - .offset:         104
        .size:           8
        .value_kind:     hidden_global_offset_z
      - .offset:         112
        .size:           2
        .value_kind:     hidden_grid_dims
    .group_segment_fixed_size: 0
    .kernarg_segment_align: 8
    .kernarg_segment_size: 304
    .language:       OpenCL C
    .language_version:
      - 2
      - 0
    .max_flat_workgroup_size: 1024
    .name:           _ZN12_GLOBAL__N_120softmax_warp_forwardIN3c104HalfEffLi4ELb1ELb0ELi32EEEvPT0_PKT_iiiPKbib
    .private_segment_fixed_size: 0
    .sgpr_count:     18
    .sgpr_spill_count: 0
    .symbol:         _ZN12_GLOBAL__N_120softmax_warp_forwardIN3c104HalfEffLi4ELb1ELb0ELi32EEEvPT0_PKT_iiiPKbib.kd
    .uniform_work_group_size: 1
    .uses_dynamic_stack: false
    .vgpr_count:     15
    .vgpr_spill_count: 0
    .wavefront_size: 32
    .workgroup_processor_mode: 1
  - .args:
      - .address_space:  global
        .offset:         0
        .size:           8
        .value_kind:     global_buffer
      - .address_space:  global
        .offset:         8
        .size:           8
        .value_kind:     global_buffer
      - .offset:         16
        .size:           4
        .value_kind:     by_value
      - .offset:         20
        .size:           4
        .value_kind:     by_value
      - .offset:         24
        .size:           4
        .value_kind:     by_value
      - .address_space:  global
        .offset:         32
        .size:           8
        .value_kind:     global_buffer
      - .offset:         40
        .size:           4
        .value_kind:     by_value
      - .offset:         44
        .size:           1
        .value_kind:     by_value
      - .offset:         48
        .size:           4
        .value_kind:     hidden_block_count_x
      - .offset:         52
        .size:           4
        .value_kind:     hidden_block_count_y
      - .offset:         56
        .size:           4
        .value_kind:     hidden_block_count_z
      - .offset:         60
        .size:           2
        .value_kind:     hidden_group_size_x
      - .offset:         62
        .size:           2
        .value_kind:     hidden_group_size_y
      - .offset:         64
        .size:           2
        .value_kind:     hidden_group_size_z
      - .offset:         66
        .size:           2
        .value_kind:     hidden_remainder_x
      - .offset:         68
        .size:           2
        .value_kind:     hidden_remainder_y
      - .offset:         70
        .size:           2
        .value_kind:     hidden_remainder_z
      - .offset:         88
        .size:           8
        .value_kind:     hidden_global_offset_x
      - .offset:         96
        .size:           8
        .value_kind:     hidden_global_offset_y
      - .offset:         104
        .size:           8
        .value_kind:     hidden_global_offset_z
      - .offset:         112
        .size:           2
        .value_kind:     hidden_grid_dims
    .group_segment_fixed_size: 0
    .kernarg_segment_align: 8
    .kernarg_segment_size: 304
    .language:       OpenCL C
    .language_version:
      - 2
      - 0
    .max_flat_workgroup_size: 1024
    .name:           _ZN12_GLOBAL__N_120softmax_warp_forwardIN3c104HalfEffLi5ELb1ELb0ELi64EEEvPT0_PKT_iiiPKbib
    .private_segment_fixed_size: 0
    .sgpr_count:     18
    .sgpr_spill_count: 0
    .symbol:         _ZN12_GLOBAL__N_120softmax_warp_forwardIN3c104HalfEffLi5ELb1ELb0ELi64EEEvPT0_PKT_iiiPKbib.kd
    .uniform_work_group_size: 1
    .uses_dynamic_stack: false
    .vgpr_count:     16
    .vgpr_spill_count: 0
    .wavefront_size: 32
    .workgroup_processor_mode: 1
  - .args:
      - .address_space:  global
        .offset:         0
        .size:           8
        .value_kind:     global_buffer
      - .address_space:  global
        .offset:         8
        .size:           8
        .value_kind:     global_buffer
      - .offset:         16
        .size:           4
        .value_kind:     by_value
      - .offset:         20
        .size:           4
        .value_kind:     by_value
      - .offset:         24
        .size:           4
        .value_kind:     by_value
      - .address_space:  global
        .offset:         32
        .size:           8
        .value_kind:     global_buffer
      - .offset:         40
        .size:           4
        .value_kind:     by_value
      - .offset:         44
        .size:           1
        .value_kind:     by_value
      - .offset:         48
        .size:           4
        .value_kind:     hidden_block_count_x
      - .offset:         52
        .size:           4
        .value_kind:     hidden_block_count_y
      - .offset:         56
        .size:           4
        .value_kind:     hidden_block_count_z
      - .offset:         60
        .size:           2
        .value_kind:     hidden_group_size_x
      - .offset:         62
        .size:           2
        .value_kind:     hidden_group_size_y
      - .offset:         64
        .size:           2
        .value_kind:     hidden_group_size_z
      - .offset:         66
        .size:           2
        .value_kind:     hidden_remainder_x
      - .offset:         68
        .size:           2
        .value_kind:     hidden_remainder_y
      - .offset:         70
        .size:           2
        .value_kind:     hidden_remainder_z
      - .offset:         88
        .size:           8
        .value_kind:     hidden_global_offset_x
      - .offset:         96
        .size:           8
        .value_kind:     hidden_global_offset_y
      - .offset:         104
        .size:           8
        .value_kind:     hidden_global_offset_z
      - .offset:         112
        .size:           2
        .value_kind:     hidden_grid_dims
    .group_segment_fixed_size: 0
    .kernarg_segment_align: 8
    .kernarg_segment_size: 304
    .language:       OpenCL C
    .language_version:
      - 2
      - 0
    .max_flat_workgroup_size: 1024
    .name:           _ZN12_GLOBAL__N_120softmax_warp_forwardIN3c104HalfEffLi5ELb1ELb0ELi32EEEvPT0_PKT_iiiPKbib
    .private_segment_fixed_size: 0
    .sgpr_count:     18
    .sgpr_spill_count: 0
    .symbol:         _ZN12_GLOBAL__N_120softmax_warp_forwardIN3c104HalfEffLi5ELb1ELb0ELi32EEEvPT0_PKT_iiiPKbib.kd
    .uniform_work_group_size: 1
    .uses_dynamic_stack: false
    .vgpr_count:     16
    .vgpr_spill_count: 0
    .wavefront_size: 32
    .workgroup_processor_mode: 1
  - .args:
      - .address_space:  global
        .offset:         0
        .size:           8
        .value_kind:     global_buffer
      - .address_space:  global
        .offset:         8
        .size:           8
        .value_kind:     global_buffer
      - .offset:         16
        .size:           4
        .value_kind:     by_value
      - .offset:         20
        .size:           4
        .value_kind:     by_value
      - .offset:         24
        .size:           4
        .value_kind:     by_value
      - .address_space:  global
        .offset:         32
        .size:           8
        .value_kind:     global_buffer
      - .offset:         40
        .size:           4
        .value_kind:     by_value
      - .offset:         44
        .size:           1
        .value_kind:     by_value
      - .offset:         48
        .size:           4
        .value_kind:     hidden_block_count_x
      - .offset:         52
        .size:           4
        .value_kind:     hidden_block_count_y
      - .offset:         56
        .size:           4
        .value_kind:     hidden_block_count_z
      - .offset:         60
        .size:           2
        .value_kind:     hidden_group_size_x
      - .offset:         62
        .size:           2
        .value_kind:     hidden_group_size_y
      - .offset:         64
        .size:           2
        .value_kind:     hidden_group_size_z
      - .offset:         66
        .size:           2
        .value_kind:     hidden_remainder_x
      - .offset:         68
        .size:           2
        .value_kind:     hidden_remainder_y
      - .offset:         70
        .size:           2
        .value_kind:     hidden_remainder_z
      - .offset:         88
        .size:           8
        .value_kind:     hidden_global_offset_x
      - .offset:         96
        .size:           8
        .value_kind:     hidden_global_offset_y
      - .offset:         104
        .size:           8
        .value_kind:     hidden_global_offset_z
      - .offset:         112
        .size:           2
        .value_kind:     hidden_grid_dims
    .group_segment_fixed_size: 0
    .kernarg_segment_align: 8
    .kernarg_segment_size: 304
    .language:       OpenCL C
    .language_version:
      - 2
      - 0
    .max_flat_workgroup_size: 1024
    .name:           _ZN12_GLOBAL__N_120softmax_warp_forwardIN3c104HalfEffLi6ELb1ELb0ELi64EEEvPT0_PKT_iiiPKbib
    .private_segment_fixed_size: 0
    .sgpr_count:     18
    .sgpr_spill_count: 0
    .symbol:         _ZN12_GLOBAL__N_120softmax_warp_forwardIN3c104HalfEffLi6ELb1ELb0ELi64EEEvPT0_PKT_iiiPKbib.kd
    .uniform_work_group_size: 1
    .uses_dynamic_stack: false
    .vgpr_count:     17
    .vgpr_spill_count: 0
    .wavefront_size: 32
    .workgroup_processor_mode: 1
  - .args:
      - .address_space:  global
        .offset:         0
        .size:           8
        .value_kind:     global_buffer
      - .address_space:  global
        .offset:         8
        .size:           8
        .value_kind:     global_buffer
      - .offset:         16
        .size:           4
        .value_kind:     by_value
      - .offset:         20
        .size:           4
        .value_kind:     by_value
      - .offset:         24
        .size:           4
        .value_kind:     by_value
      - .address_space:  global
        .offset:         32
        .size:           8
        .value_kind:     global_buffer
      - .offset:         40
        .size:           4
        .value_kind:     by_value
      - .offset:         44
        .size:           1
        .value_kind:     by_value
      - .offset:         48
        .size:           4
        .value_kind:     hidden_block_count_x
      - .offset:         52
        .size:           4
        .value_kind:     hidden_block_count_y
      - .offset:         56
        .size:           4
        .value_kind:     hidden_block_count_z
      - .offset:         60
        .size:           2
        .value_kind:     hidden_group_size_x
      - .offset:         62
        .size:           2
        .value_kind:     hidden_group_size_y
      - .offset:         64
        .size:           2
        .value_kind:     hidden_group_size_z
      - .offset:         66
        .size:           2
        .value_kind:     hidden_remainder_x
      - .offset:         68
        .size:           2
        .value_kind:     hidden_remainder_y
      - .offset:         70
        .size:           2
        .value_kind:     hidden_remainder_z
      - .offset:         88
        .size:           8
        .value_kind:     hidden_global_offset_x
      - .offset:         96
        .size:           8
        .value_kind:     hidden_global_offset_y
      - .offset:         104
        .size:           8
        .value_kind:     hidden_global_offset_z
      - .offset:         112
        .size:           2
        .value_kind:     hidden_grid_dims
    .group_segment_fixed_size: 0
    .kernarg_segment_align: 8
    .kernarg_segment_size: 304
    .language:       OpenCL C
    .language_version:
      - 2
      - 0
    .max_flat_workgroup_size: 1024
    .name:           _ZN12_GLOBAL__N_120softmax_warp_forwardIN3c104HalfEffLi6ELb1ELb0ELi32EEEvPT0_PKT_iiiPKbib
    .private_segment_fixed_size: 0
    .sgpr_count:     18
    .sgpr_spill_count: 0
    .symbol:         _ZN12_GLOBAL__N_120softmax_warp_forwardIN3c104HalfEffLi6ELb1ELb0ELi32EEEvPT0_PKT_iiiPKbib.kd
    .uniform_work_group_size: 1
    .uses_dynamic_stack: false
    .vgpr_count:     24
    .vgpr_spill_count: 0
    .wavefront_size: 32
    .workgroup_processor_mode: 1
  - .args:
      - .address_space:  global
        .offset:         0
        .size:           8
        .value_kind:     global_buffer
      - .address_space:  global
        .offset:         8
        .size:           8
        .value_kind:     global_buffer
      - .offset:         16
        .size:           4
        .value_kind:     by_value
      - .offset:         20
        .size:           4
        .value_kind:     by_value
      - .offset:         24
        .size:           4
        .value_kind:     by_value
      - .address_space:  global
        .offset:         32
        .size:           8
        .value_kind:     global_buffer
      - .offset:         40
        .size:           4
        .value_kind:     by_value
      - .offset:         44
        .size:           1
        .value_kind:     by_value
      - .offset:         48
        .size:           4
        .value_kind:     hidden_block_count_x
      - .offset:         52
        .size:           4
        .value_kind:     hidden_block_count_y
      - .offset:         56
        .size:           4
        .value_kind:     hidden_block_count_z
      - .offset:         60
        .size:           2
        .value_kind:     hidden_group_size_x
      - .offset:         62
        .size:           2
        .value_kind:     hidden_group_size_y
      - .offset:         64
        .size:           2
        .value_kind:     hidden_group_size_z
      - .offset:         66
        .size:           2
        .value_kind:     hidden_remainder_x
      - .offset:         68
        .size:           2
        .value_kind:     hidden_remainder_y
      - .offset:         70
        .size:           2
        .value_kind:     hidden_remainder_z
      - .offset:         88
        .size:           8
        .value_kind:     hidden_global_offset_x
      - .offset:         96
        .size:           8
        .value_kind:     hidden_global_offset_y
      - .offset:         104
        .size:           8
        .value_kind:     hidden_global_offset_z
      - .offset:         112
        .size:           2
        .value_kind:     hidden_grid_dims
    .group_segment_fixed_size: 0
    .kernarg_segment_align: 8
    .kernarg_segment_size: 304
    .language:       OpenCL C
    .language_version:
      - 2
      - 0
    .max_flat_workgroup_size: 1024
    .name:           _ZN12_GLOBAL__N_120softmax_warp_forwardIN3c104HalfEffLi7ELb1ELb0ELi64EEEvPT0_PKT_iiiPKbib
    .private_segment_fixed_size: 0
    .sgpr_count:     18
    .sgpr_spill_count: 0
    .symbol:         _ZN12_GLOBAL__N_120softmax_warp_forwardIN3c104HalfEffLi7ELb1ELb0ELi64EEEvPT0_PKT_iiiPKbib.kd
    .uniform_work_group_size: 1
    .uses_dynamic_stack: false
    .vgpr_count:     25
    .vgpr_spill_count: 0
    .wavefront_size: 32
    .workgroup_processor_mode: 1
  - .args:
      - .address_space:  global
        .offset:         0
        .size:           8
        .value_kind:     global_buffer
      - .address_space:  global
        .offset:         8
        .size:           8
        .value_kind:     global_buffer
      - .offset:         16
        .size:           4
        .value_kind:     by_value
      - .offset:         20
        .size:           4
        .value_kind:     by_value
      - .offset:         24
        .size:           4
        .value_kind:     by_value
      - .address_space:  global
        .offset:         32
        .size:           8
        .value_kind:     global_buffer
      - .offset:         40
        .size:           4
        .value_kind:     by_value
      - .offset:         44
        .size:           1
        .value_kind:     by_value
      - .offset:         48
        .size:           4
        .value_kind:     hidden_block_count_x
      - .offset:         52
        .size:           4
        .value_kind:     hidden_block_count_y
      - .offset:         56
        .size:           4
        .value_kind:     hidden_block_count_z
      - .offset:         60
        .size:           2
        .value_kind:     hidden_group_size_x
      - .offset:         62
        .size:           2
        .value_kind:     hidden_group_size_y
      - .offset:         64
        .size:           2
        .value_kind:     hidden_group_size_z
      - .offset:         66
        .size:           2
        .value_kind:     hidden_remainder_x
      - .offset:         68
        .size:           2
        .value_kind:     hidden_remainder_y
      - .offset:         70
        .size:           2
        .value_kind:     hidden_remainder_z
      - .offset:         88
        .size:           8
        .value_kind:     hidden_global_offset_x
      - .offset:         96
        .size:           8
        .value_kind:     hidden_global_offset_y
      - .offset:         104
        .size:           8
        .value_kind:     hidden_global_offset_z
      - .offset:         112
        .size:           2
        .value_kind:     hidden_grid_dims
    .group_segment_fixed_size: 0
    .kernarg_segment_align: 8
    .kernarg_segment_size: 304
    .language:       OpenCL C
    .language_version:
      - 2
      - 0
    .max_flat_workgroup_size: 1024
    .name:           _ZN12_GLOBAL__N_120softmax_warp_forwardIN3c104HalfEffLi7ELb1ELb0ELi32EEEvPT0_PKT_iiiPKbib
    .private_segment_fixed_size: 0
    .sgpr_count:     26
    .sgpr_spill_count: 0
    .symbol:         _ZN12_GLOBAL__N_120softmax_warp_forwardIN3c104HalfEffLi7ELb1ELb0ELi32EEEvPT0_PKT_iiiPKbib.kd
    .uniform_work_group_size: 1
    .uses_dynamic_stack: false
    .vgpr_count:     40
    .vgpr_spill_count: 0
    .wavefront_size: 32
    .workgroup_processor_mode: 1
  - .args:
      - .address_space:  global
        .offset:         0
        .size:           8
        .value_kind:     global_buffer
      - .address_space:  global
        .offset:         8
        .size:           8
        .value_kind:     global_buffer
      - .offset:         16
        .size:           4
        .value_kind:     by_value
      - .offset:         20
        .size:           4
        .value_kind:     by_value
      - .offset:         24
        .size:           4
        .value_kind:     by_value
      - .address_space:  global
        .offset:         32
        .size:           8
        .value_kind:     global_buffer
      - .offset:         40
        .size:           4
        .value_kind:     by_value
      - .offset:         44
        .size:           1
        .value_kind:     by_value
      - .offset:         48
        .size:           4
        .value_kind:     hidden_block_count_x
      - .offset:         52
        .size:           4
        .value_kind:     hidden_block_count_y
      - .offset:         56
        .size:           4
        .value_kind:     hidden_block_count_z
      - .offset:         60
        .size:           2
        .value_kind:     hidden_group_size_x
      - .offset:         62
        .size:           2
        .value_kind:     hidden_group_size_y
      - .offset:         64
        .size:           2
        .value_kind:     hidden_group_size_z
      - .offset:         66
        .size:           2
        .value_kind:     hidden_remainder_x
      - .offset:         68
        .size:           2
        .value_kind:     hidden_remainder_y
      - .offset:         70
        .size:           2
        .value_kind:     hidden_remainder_z
      - .offset:         88
        .size:           8
        .value_kind:     hidden_global_offset_x
      - .offset:         96
        .size:           8
        .value_kind:     hidden_global_offset_y
      - .offset:         104
        .size:           8
        .value_kind:     hidden_global_offset_z
      - .offset:         112
        .size:           2
        .value_kind:     hidden_grid_dims
    .group_segment_fixed_size: 0
    .kernarg_segment_align: 8
    .kernarg_segment_size: 304
    .language:       OpenCL C
    .language_version:
      - 2
      - 0
    .max_flat_workgroup_size: 1024
    .name:           _ZN12_GLOBAL__N_120softmax_warp_forwardIN3c104HalfEffLi8ELb1ELb0ELi64EEEvPT0_PKT_iiiPKbib
    .private_segment_fixed_size: 0
    .sgpr_count:     18
    .sgpr_spill_count: 0
    .symbol:         _ZN12_GLOBAL__N_120softmax_warp_forwardIN3c104HalfEffLi8ELb1ELb0ELi64EEEvPT0_PKT_iiiPKbib.kd
    .uniform_work_group_size: 1
    .uses_dynamic_stack: false
    .vgpr_count:     24
    .vgpr_spill_count: 0
    .wavefront_size: 32
    .workgroup_processor_mode: 1
  - .args:
      - .address_space:  global
        .offset:         0
        .size:           8
        .value_kind:     global_buffer
      - .address_space:  global
        .offset:         8
        .size:           8
        .value_kind:     global_buffer
      - .offset:         16
        .size:           4
        .value_kind:     by_value
      - .offset:         20
        .size:           4
        .value_kind:     by_value
      - .offset:         24
        .size:           4
        .value_kind:     by_value
      - .address_space:  global
        .offset:         32
        .size:           8
        .value_kind:     global_buffer
      - .offset:         40
        .size:           4
        .value_kind:     by_value
      - .offset:         44
        .size:           1
        .value_kind:     by_value
      - .offset:         48
        .size:           4
        .value_kind:     hidden_block_count_x
      - .offset:         52
        .size:           4
        .value_kind:     hidden_block_count_y
      - .offset:         56
        .size:           4
        .value_kind:     hidden_block_count_z
      - .offset:         60
        .size:           2
        .value_kind:     hidden_group_size_x
      - .offset:         62
        .size:           2
        .value_kind:     hidden_group_size_y
      - .offset:         64
        .size:           2
        .value_kind:     hidden_group_size_z
      - .offset:         66
        .size:           2
        .value_kind:     hidden_remainder_x
      - .offset:         68
        .size:           2
        .value_kind:     hidden_remainder_y
      - .offset:         70
        .size:           2
        .value_kind:     hidden_remainder_z
      - .offset:         88
        .size:           8
        .value_kind:     hidden_global_offset_x
      - .offset:         96
        .size:           8
        .value_kind:     hidden_global_offset_y
      - .offset:         104
        .size:           8
        .value_kind:     hidden_global_offset_z
      - .offset:         112
        .size:           2
        .value_kind:     hidden_grid_dims
    .group_segment_fixed_size: 0
    .kernarg_segment_align: 8
    .kernarg_segment_size: 304
    .language:       OpenCL C
    .language_version:
      - 2
      - 0
    .max_flat_workgroup_size: 1024
    .name:           _ZN12_GLOBAL__N_120softmax_warp_forwardIN3c104HalfEffLi8ELb1ELb0ELi32EEEvPT0_PKT_iiiPKbib
    .private_segment_fixed_size: 0
    .sgpr_count:     26
    .sgpr_spill_count: 0
    .symbol:         _ZN12_GLOBAL__N_120softmax_warp_forwardIN3c104HalfEffLi8ELb1ELb0ELi32EEEvPT0_PKT_iiiPKbib.kd
    .uniform_work_group_size: 1
    .uses_dynamic_stack: false
    .vgpr_count:     40
    .vgpr_spill_count: 0
    .wavefront_size: 32
    .workgroup_processor_mode: 1
  - .args:
      - .address_space:  global
        .offset:         0
        .size:           8
        .value_kind:     global_buffer
      - .address_space:  global
        .offset:         8
        .size:           8
        .value_kind:     global_buffer
      - .offset:         16
        .size:           4
        .value_kind:     by_value
      - .offset:         20
        .size:           4
        .value_kind:     by_value
      - .offset:         24
        .size:           4
        .value_kind:     by_value
      - .address_space:  global
        .offset:         32
        .size:           8
        .value_kind:     global_buffer
      - .offset:         40
        .size:           4
        .value_kind:     by_value
      - .offset:         44
        .size:           1
        .value_kind:     by_value
      - .offset:         48
        .size:           4
        .value_kind:     hidden_block_count_x
      - .offset:         52
        .size:           4
        .value_kind:     hidden_block_count_y
      - .offset:         56
        .size:           4
        .value_kind:     hidden_block_count_z
      - .offset:         60
        .size:           2
        .value_kind:     hidden_group_size_x
      - .offset:         62
        .size:           2
        .value_kind:     hidden_group_size_y
      - .offset:         64
        .size:           2
        .value_kind:     hidden_group_size_z
      - .offset:         66
        .size:           2
        .value_kind:     hidden_remainder_x
      - .offset:         68
        .size:           2
        .value_kind:     hidden_remainder_y
      - .offset:         70
        .size:           2
        .value_kind:     hidden_remainder_z
      - .offset:         88
        .size:           8
        .value_kind:     hidden_global_offset_x
      - .offset:         96
        .size:           8
        .value_kind:     hidden_global_offset_y
      - .offset:         104
        .size:           8
        .value_kind:     hidden_global_offset_z
      - .offset:         112
        .size:           2
        .value_kind:     hidden_grid_dims
    .group_segment_fixed_size: 0
    .kernarg_segment_align: 8
    .kernarg_segment_size: 304
    .language:       OpenCL C
    .language_version:
      - 2
      - 0
    .max_flat_workgroup_size: 1024
    .name:           _ZN12_GLOBAL__N_120softmax_warp_forwardIN3c104HalfEffLi9ELb1ELb0ELi64EEEvPT0_PKT_iiiPKbib
    .private_segment_fixed_size: 0
    .sgpr_count:     26
    .sgpr_spill_count: 0
    .symbol:         _ZN12_GLOBAL__N_120softmax_warp_forwardIN3c104HalfEffLi9ELb1ELb0ELi64EEEvPT0_PKT_iiiPKbib.kd
    .uniform_work_group_size: 1
    .uses_dynamic_stack: false
    .vgpr_count:     41
    .vgpr_spill_count: 0
    .wavefront_size: 32
    .workgroup_processor_mode: 1
  - .args:
      - .address_space:  global
        .offset:         0
        .size:           8
        .value_kind:     global_buffer
      - .address_space:  global
        .offset:         8
        .size:           8
        .value_kind:     global_buffer
      - .offset:         16
        .size:           4
        .value_kind:     by_value
      - .offset:         20
        .size:           4
        .value_kind:     by_value
      - .offset:         24
        .size:           4
        .value_kind:     by_value
      - .address_space:  global
        .offset:         32
        .size:           8
        .value_kind:     global_buffer
      - .offset:         40
        .size:           4
        .value_kind:     by_value
      - .offset:         44
        .size:           1
        .value_kind:     by_value
      - .offset:         48
        .size:           4
        .value_kind:     hidden_block_count_x
      - .offset:         52
        .size:           4
        .value_kind:     hidden_block_count_y
      - .offset:         56
        .size:           4
        .value_kind:     hidden_block_count_z
      - .offset:         60
        .size:           2
        .value_kind:     hidden_group_size_x
      - .offset:         62
        .size:           2
        .value_kind:     hidden_group_size_y
      - .offset:         64
        .size:           2
        .value_kind:     hidden_group_size_z
      - .offset:         66
        .size:           2
        .value_kind:     hidden_remainder_x
      - .offset:         68
        .size:           2
        .value_kind:     hidden_remainder_y
      - .offset:         70
        .size:           2
        .value_kind:     hidden_remainder_z
      - .offset:         88
        .size:           8
        .value_kind:     hidden_global_offset_x
      - .offset:         96
        .size:           8
        .value_kind:     hidden_global_offset_y
      - .offset:         104
        .size:           8
        .value_kind:     hidden_global_offset_z
      - .offset:         112
        .size:           2
        .value_kind:     hidden_grid_dims
    .group_segment_fixed_size: 0
    .kernarg_segment_align: 8
    .kernarg_segment_size: 304
    .language:       OpenCL C
    .language_version:
      - 2
      - 0
    .max_flat_workgroup_size: 1024
    .name:           _ZN12_GLOBAL__N_120softmax_warp_forwardIN3c104HalfEffLi9ELb1ELb0ELi32EEEvPT0_PKT_iiiPKbib
    .private_segment_fixed_size: 0
    .sgpr_count:     26
    .sgpr_spill_count: 0
    .symbol:         _ZN12_GLOBAL__N_120softmax_warp_forwardIN3c104HalfEffLi9ELb1ELb0ELi32EEEvPT0_PKT_iiiPKbib.kd
    .uniform_work_group_size: 1
    .uses_dynamic_stack: false
    .vgpr_count:     72
    .vgpr_spill_count: 0
    .wavefront_size: 32
    .workgroup_processor_mode: 1
  - .args:
      - .address_space:  global
        .offset:         0
        .size:           8
        .value_kind:     global_buffer
      - .address_space:  global
        .offset:         8
        .size:           8
        .value_kind:     global_buffer
      - .offset:         16
        .size:           4
        .value_kind:     by_value
      - .offset:         20
        .size:           4
        .value_kind:     by_value
      - .offset:         24
        .size:           4
        .value_kind:     by_value
      - .address_space:  global
        .offset:         32
        .size:           8
        .value_kind:     global_buffer
      - .offset:         40
        .size:           4
        .value_kind:     by_value
      - .offset:         44
        .size:           1
        .value_kind:     by_value
      - .offset:         48
        .size:           4
        .value_kind:     hidden_block_count_x
      - .offset:         52
        .size:           4
        .value_kind:     hidden_block_count_y
      - .offset:         56
        .size:           4
        .value_kind:     hidden_block_count_z
      - .offset:         60
        .size:           2
        .value_kind:     hidden_group_size_x
      - .offset:         62
        .size:           2
        .value_kind:     hidden_group_size_y
      - .offset:         64
        .size:           2
        .value_kind:     hidden_group_size_z
      - .offset:         66
        .size:           2
        .value_kind:     hidden_remainder_x
      - .offset:         68
        .size:           2
        .value_kind:     hidden_remainder_y
      - .offset:         70
        .size:           2
        .value_kind:     hidden_remainder_z
      - .offset:         88
        .size:           8
        .value_kind:     hidden_global_offset_x
      - .offset:         96
        .size:           8
        .value_kind:     hidden_global_offset_y
      - .offset:         104
        .size:           8
        .value_kind:     hidden_global_offset_z
      - .offset:         112
        .size:           2
        .value_kind:     hidden_grid_dims
    .group_segment_fixed_size: 0
    .kernarg_segment_align: 8
    .kernarg_segment_size: 304
    .language:       OpenCL C
    .language_version:
      - 2
      - 0
    .max_flat_workgroup_size: 1024
    .name:           _ZN12_GLOBAL__N_120softmax_warp_forwardIN3c104HalfEffLi10ELb1ELb0ELi64EEEvPT0_PKT_iiiPKbib
    .private_segment_fixed_size: 0
    .sgpr_count:     26
    .sgpr_spill_count: 0
    .symbol:         _ZN12_GLOBAL__N_120softmax_warp_forwardIN3c104HalfEffLi10ELb1ELb0ELi64EEEvPT0_PKT_iiiPKbib.kd
    .uniform_work_group_size: 1
    .uses_dynamic_stack: false
    .vgpr_count:     73
    .vgpr_spill_count: 0
    .wavefront_size: 32
    .workgroup_processor_mode: 1
  - .args:
      - .address_space:  global
        .offset:         0
        .size:           8
        .value_kind:     global_buffer
      - .address_space:  global
        .offset:         8
        .size:           8
        .value_kind:     global_buffer
      - .offset:         16
        .size:           4
        .value_kind:     by_value
      - .offset:         20
        .size:           4
        .value_kind:     by_value
      - .offset:         24
        .size:           4
        .value_kind:     by_value
      - .address_space:  global
        .offset:         32
        .size:           8
        .value_kind:     global_buffer
      - .offset:         40
        .size:           4
        .value_kind:     by_value
      - .offset:         44
        .size:           1
        .value_kind:     by_value
      - .offset:         48
        .size:           4
        .value_kind:     hidden_block_count_x
      - .offset:         52
        .size:           4
        .value_kind:     hidden_block_count_y
      - .offset:         56
        .size:           4
        .value_kind:     hidden_block_count_z
      - .offset:         60
        .size:           2
        .value_kind:     hidden_group_size_x
      - .offset:         62
        .size:           2
        .value_kind:     hidden_group_size_y
      - .offset:         64
        .size:           2
        .value_kind:     hidden_group_size_z
      - .offset:         66
        .size:           2
        .value_kind:     hidden_remainder_x
      - .offset:         68
        .size:           2
        .value_kind:     hidden_remainder_y
      - .offset:         70
        .size:           2
        .value_kind:     hidden_remainder_z
      - .offset:         88
        .size:           8
        .value_kind:     hidden_global_offset_x
      - .offset:         96
        .size:           8
        .value_kind:     hidden_global_offset_y
      - .offset:         104
        .size:           8
        .value_kind:     hidden_global_offset_z
      - .offset:         112
        .size:           2
        .value_kind:     hidden_grid_dims
    .group_segment_fixed_size: 0
    .kernarg_segment_align: 8
    .kernarg_segment_size: 304
    .language:       OpenCL C
    .language_version:
      - 2
      - 0
    .max_flat_workgroup_size: 1024
    .name:           _ZN12_GLOBAL__N_120softmax_warp_forwardIN3c104HalfEffLi10ELb1ELb0ELi32EEEvPT0_PKT_iiiPKbib
    .private_segment_fixed_size: 0
    .sgpr_count:     46
    .sgpr_spill_count: 0
    .symbol:         _ZN12_GLOBAL__N_120softmax_warp_forwardIN3c104HalfEffLi10ELb1ELb0ELi32EEEvPT0_PKT_iiiPKbib.kd
    .uniform_work_group_size: 1
    .uses_dynamic_stack: false
    .vgpr_count:     94
    .vgpr_spill_count: 0
    .wavefront_size: 32
    .workgroup_processor_mode: 1
  - .args:
      - .address_space:  global
        .offset:         0
        .size:           8
        .value_kind:     global_buffer
      - .address_space:  global
        .offset:         8
        .size:           8
        .value_kind:     global_buffer
      - .offset:         16
        .size:           4
        .value_kind:     by_value
      - .offset:         20
        .size:           4
        .value_kind:     by_value
      - .offset:         24
        .size:           4
        .value_kind:     by_value
      - .address_space:  global
        .offset:         32
        .size:           8
        .value_kind:     global_buffer
      - .offset:         40
        .size:           4
        .value_kind:     by_value
      - .offset:         44
        .size:           1
        .value_kind:     by_value
      - .offset:         48
        .size:           4
        .value_kind:     hidden_block_count_x
      - .offset:         52
        .size:           4
        .value_kind:     hidden_block_count_y
      - .offset:         56
        .size:           4
        .value_kind:     hidden_block_count_z
      - .offset:         60
        .size:           2
        .value_kind:     hidden_group_size_x
      - .offset:         62
        .size:           2
        .value_kind:     hidden_group_size_y
      - .offset:         64
        .size:           2
        .value_kind:     hidden_group_size_z
      - .offset:         66
        .size:           2
        .value_kind:     hidden_remainder_x
      - .offset:         68
        .size:           2
        .value_kind:     hidden_remainder_y
      - .offset:         70
        .size:           2
        .value_kind:     hidden_remainder_z
      - .offset:         88
        .size:           8
        .value_kind:     hidden_global_offset_x
      - .offset:         96
        .size:           8
        .value_kind:     hidden_global_offset_y
      - .offset:         104
        .size:           8
        .value_kind:     hidden_global_offset_z
      - .offset:         112
        .size:           2
        .value_kind:     hidden_grid_dims
    .group_segment_fixed_size: 0
    .kernarg_segment_align: 8
    .kernarg_segment_size: 304
    .language:       OpenCL C
    .language_version:
      - 2
      - 0
    .max_flat_workgroup_size: 1024
    .name:           _ZN12_GLOBAL__N_120softmax_warp_forwardIN3c104HalfEffLi11ELb1ELb0ELi64EEEvPT0_PKT_iiiPKbib
    .private_segment_fixed_size: 0
    .sgpr_count:     46
    .sgpr_spill_count: 0
    .symbol:         _ZN12_GLOBAL__N_120softmax_warp_forwardIN3c104HalfEffLi11ELb1ELb0ELi64EEEvPT0_PKT_iiiPKbib.kd
    .uniform_work_group_size: 1
    .uses_dynamic_stack: false
    .vgpr_count:     94
    .vgpr_spill_count: 0
    .wavefront_size: 32
    .workgroup_processor_mode: 1
  - .args:
      - .address_space:  global
        .offset:         0
        .size:           8
        .value_kind:     global_buffer
      - .address_space:  global
        .offset:         8
        .size:           8
        .value_kind:     global_buffer
      - .offset:         16
        .size:           4
        .value_kind:     by_value
      - .offset:         20
        .size:           4
        .value_kind:     by_value
      - .offset:         24
        .size:           4
        .value_kind:     by_value
      - .address_space:  global
        .offset:         32
        .size:           8
        .value_kind:     global_buffer
      - .offset:         40
        .size:           4
        .value_kind:     by_value
      - .offset:         44
        .size:           1
        .value_kind:     by_value
      - .offset:         48
        .size:           4
        .value_kind:     hidden_block_count_x
      - .offset:         52
        .size:           4
        .value_kind:     hidden_block_count_y
      - .offset:         56
        .size:           4
        .value_kind:     hidden_block_count_z
      - .offset:         60
        .size:           2
        .value_kind:     hidden_group_size_x
      - .offset:         62
        .size:           2
        .value_kind:     hidden_group_size_y
      - .offset:         64
        .size:           2
        .value_kind:     hidden_group_size_z
      - .offset:         66
        .size:           2
        .value_kind:     hidden_remainder_x
      - .offset:         68
        .size:           2
        .value_kind:     hidden_remainder_y
      - .offset:         70
        .size:           2
        .value_kind:     hidden_remainder_z
      - .offset:         88
        .size:           8
        .value_kind:     hidden_global_offset_x
      - .offset:         96
        .size:           8
        .value_kind:     hidden_global_offset_y
      - .offset:         104
        .size:           8
        .value_kind:     hidden_global_offset_z
      - .offset:         112
        .size:           2
        .value_kind:     hidden_grid_dims
    .group_segment_fixed_size: 0
    .kernarg_segment_align: 8
    .kernarg_segment_size: 304
    .language:       OpenCL C
    .language_version:
      - 2
      - 0
    .max_flat_workgroup_size: 1024
    .name:           _ZN12_GLOBAL__N_120softmax_warp_forwardIN3c104HalfEffLi11ELb1ELb0ELi32EEEvPT0_PKT_iiiPKbib
    .private_segment_fixed_size: 0
    .sgpr_count:     78
    .sgpr_spill_count: 0
    .symbol:         _ZN12_GLOBAL__N_120softmax_warp_forwardIN3c104HalfEffLi11ELb1ELb0ELi32EEEvPT0_PKT_iiiPKbib.kd
    .uniform_work_group_size: 1
    .uses_dynamic_stack: false
    .vgpr_count:     77
    .vgpr_spill_count: 0
    .wavefront_size: 32
    .workgroup_processor_mode: 1
  - .args:
      - .address_space:  global
        .offset:         0
        .size:           8
        .value_kind:     global_buffer
      - .address_space:  global
        .offset:         8
        .size:           8
        .value_kind:     global_buffer
      - .offset:         16
        .size:           8
        .value_kind:     by_value
      - .offset:         24
        .size:           4
        .value_kind:     hidden_block_count_x
      - .offset:         28
        .size:           4
        .value_kind:     hidden_block_count_y
      - .offset:         32
        .size:           4
        .value_kind:     hidden_block_count_z
      - .offset:         36
        .size:           2
        .value_kind:     hidden_group_size_x
      - .offset:         38
        .size:           2
        .value_kind:     hidden_group_size_y
      - .offset:         40
        .size:           2
        .value_kind:     hidden_group_size_z
      - .offset:         42
        .size:           2
        .value_kind:     hidden_remainder_x
      - .offset:         44
        .size:           2
        .value_kind:     hidden_remainder_y
      - .offset:         46
        .size:           2
        .value_kind:     hidden_remainder_z
      - .offset:         64
        .size:           8
        .value_kind:     hidden_global_offset_x
      - .offset:         72
        .size:           8
        .value_kind:     hidden_global_offset_y
      - .offset:         80
        .size:           8
        .value_kind:     hidden_global_offset_z
      - .offset:         88
        .size:           2
        .value_kind:     hidden_grid_dims
      - .offset:         144
        .size:           4
        .value_kind:     hidden_dynamic_lds_size
    .group_segment_fixed_size: 0
    .kernarg_segment_align: 8
    .kernarg_segment_size: 280
    .language:       OpenCL C
    .language_version:
      - 2
      - 0
    .max_flat_workgroup_size: 1024
    .name:           _ZN2at6native12_GLOBAL__N_123cunn_SoftMaxForwardSmemILi8EN3c104HalfEffNS1_25LogSoftMaxForwardEpilogueElEEvPT2_PKT0_T4_
    .private_segment_fixed_size: 0
    .sgpr_count:     23
    .sgpr_spill_count: 0
    .symbol:         _ZN2at6native12_GLOBAL__N_123cunn_SoftMaxForwardSmemILi8EN3c104HalfEffNS1_25LogSoftMaxForwardEpilogueElEEvPT2_PKT0_T4_.kd
    .uniform_work_group_size: 1
    .uses_dynamic_stack: false
    .vgpr_count:     49
    .vgpr_spill_count: 0
    .wavefront_size: 32
    .workgroup_processor_mode: 1
  - .args:
      - .address_space:  global
        .offset:         0
        .size:           8
        .value_kind:     global_buffer
      - .address_space:  global
        .offset:         8
        .size:           8
        .value_kind:     global_buffer
      - .offset:         16
        .size:           4
        .value_kind:     by_value
      - .offset:         24
        .size:           4
        .value_kind:     hidden_block_count_x
      - .offset:         28
        .size:           4
        .value_kind:     hidden_block_count_y
      - .offset:         32
        .size:           4
        .value_kind:     hidden_block_count_z
      - .offset:         36
        .size:           2
        .value_kind:     hidden_group_size_x
      - .offset:         38
        .size:           2
        .value_kind:     hidden_group_size_y
      - .offset:         40
        .size:           2
        .value_kind:     hidden_group_size_z
      - .offset:         42
        .size:           2
        .value_kind:     hidden_remainder_x
      - .offset:         44
        .size:           2
        .value_kind:     hidden_remainder_y
      - .offset:         46
        .size:           2
        .value_kind:     hidden_remainder_z
      - .offset:         64
        .size:           8
        .value_kind:     hidden_global_offset_x
      - .offset:         72
        .size:           8
        .value_kind:     hidden_global_offset_y
      - .offset:         80
        .size:           8
        .value_kind:     hidden_global_offset_z
      - .offset:         88
        .size:           2
        .value_kind:     hidden_grid_dims
      - .offset:         144
        .size:           4
        .value_kind:     hidden_dynamic_lds_size
    .group_segment_fixed_size: 0
    .kernarg_segment_align: 8
    .kernarg_segment_size: 280
    .language:       OpenCL C
    .language_version:
      - 2
      - 0
    .max_flat_workgroup_size: 1024
    .name:           _ZN2at6native12_GLOBAL__N_119cunn_SoftMaxForwardILi8EN3c104HalfEffNS1_25LogSoftMaxForwardEpilogueEEEvPT2_PKT0_i
    .private_segment_fixed_size: 0
    .sgpr_count:     27
    .sgpr_spill_count: 0
    .symbol:         _ZN2at6native12_GLOBAL__N_119cunn_SoftMaxForwardILi8EN3c104HalfEffNS1_25LogSoftMaxForwardEpilogueEEEvPT2_PKT0_i.kd
    .uniform_work_group_size: 1
    .uses_dynamic_stack: false
    .vgpr_count:     46
    .vgpr_spill_count: 0
    .wavefront_size: 32
    .workgroup_processor_mode: 1
  - .args:
      - .address_space:  global
        .offset:         0
        .size:           8
        .value_kind:     global_buffer
      - .address_space:  global
        .offset:         8
        .size:           8
        .value_kind:     global_buffer
      - .offset:         16
        .size:           4
        .value_kind:     by_value
      - .offset:         20
        .size:           4
        .value_kind:     by_value
      - .offset:         24
        .size:           4
        .value_kind:     by_value
      - .address_space:  global
        .offset:         32
        .size:           8
        .value_kind:     global_buffer
      - .offset:         40
        .size:           4
        .value_kind:     by_value
      - .offset:         44
        .size:           1
        .value_kind:     by_value
      - .offset:         48
        .size:           4
        .value_kind:     hidden_block_count_x
      - .offset:         52
        .size:           4
        .value_kind:     hidden_block_count_y
      - .offset:         56
        .size:           4
        .value_kind:     hidden_block_count_z
      - .offset:         60
        .size:           2
        .value_kind:     hidden_group_size_x
      - .offset:         62
        .size:           2
        .value_kind:     hidden_group_size_y
      - .offset:         64
        .size:           2
        .value_kind:     hidden_group_size_z
      - .offset:         66
        .size:           2
        .value_kind:     hidden_remainder_x
      - .offset:         68
        .size:           2
        .value_kind:     hidden_remainder_y
      - .offset:         70
        .size:           2
        .value_kind:     hidden_remainder_z
      - .offset:         88
        .size:           8
        .value_kind:     hidden_global_offset_x
      - .offset:         96
        .size:           8
        .value_kind:     hidden_global_offset_y
      - .offset:         104
        .size:           8
        .value_kind:     hidden_global_offset_z
      - .offset:         112
        .size:           2
        .value_kind:     hidden_grid_dims
    .group_segment_fixed_size: 0
    .kernarg_segment_align: 8
    .kernarg_segment_size: 304
    .language:       OpenCL C
    .language_version:
      - 2
      - 0
    .max_flat_workgroup_size: 1024
    .name:           _ZN12_GLOBAL__N_120softmax_warp_forwardIN3c108BFloat16ES2_fLi0ELb1ELb0ELi64EEEvPT0_PKT_iiiPKbib
    .private_segment_fixed_size: 0
    .sgpr_count:     18
    .sgpr_spill_count: 0
    .symbol:         _ZN12_GLOBAL__N_120softmax_warp_forwardIN3c108BFloat16ES2_fLi0ELb1ELb0ELi64EEEvPT0_PKT_iiiPKbib.kd
    .uniform_work_group_size: 1
    .uses_dynamic_stack: false
    .vgpr_count:     8
    .vgpr_spill_count: 0
    .wavefront_size: 32
    .workgroup_processor_mode: 1
  - .args:
      - .address_space:  global
        .offset:         0
        .size:           8
        .value_kind:     global_buffer
      - .address_space:  global
        .offset:         8
        .size:           8
        .value_kind:     global_buffer
      - .offset:         16
        .size:           4
        .value_kind:     by_value
      - .offset:         20
        .size:           4
        .value_kind:     by_value
      - .offset:         24
        .size:           4
        .value_kind:     by_value
      - .address_space:  global
        .offset:         32
        .size:           8
        .value_kind:     global_buffer
      - .offset:         40
        .size:           4
        .value_kind:     by_value
      - .offset:         44
        .size:           1
        .value_kind:     by_value
      - .offset:         48
        .size:           4
        .value_kind:     hidden_block_count_x
      - .offset:         52
        .size:           4
        .value_kind:     hidden_block_count_y
      - .offset:         56
        .size:           4
        .value_kind:     hidden_block_count_z
      - .offset:         60
        .size:           2
        .value_kind:     hidden_group_size_x
      - .offset:         62
        .size:           2
        .value_kind:     hidden_group_size_y
      - .offset:         64
        .size:           2
        .value_kind:     hidden_group_size_z
      - .offset:         66
        .size:           2
        .value_kind:     hidden_remainder_x
      - .offset:         68
        .size:           2
        .value_kind:     hidden_remainder_y
      - .offset:         70
        .size:           2
        .value_kind:     hidden_remainder_z
      - .offset:         88
        .size:           8
        .value_kind:     hidden_global_offset_x
      - .offset:         96
        .size:           8
        .value_kind:     hidden_global_offset_y
      - .offset:         104
        .size:           8
        .value_kind:     hidden_global_offset_z
      - .offset:         112
        .size:           2
        .value_kind:     hidden_grid_dims
    .group_segment_fixed_size: 0
    .kernarg_segment_align: 8
    .kernarg_segment_size: 304
    .language:       OpenCL C
    .language_version:
      - 2
      - 0
    .max_flat_workgroup_size: 1024
    .name:           _ZN12_GLOBAL__N_120softmax_warp_forwardIN3c108BFloat16ES2_fLi0ELb1ELb0ELi32EEEvPT0_PKT_iiiPKbib
    .private_segment_fixed_size: 0
    .sgpr_count:     18
    .sgpr_spill_count: 0
    .symbol:         _ZN12_GLOBAL__N_120softmax_warp_forwardIN3c108BFloat16ES2_fLi0ELb1ELb0ELi32EEEvPT0_PKT_iiiPKbib.kd
    .uniform_work_group_size: 1
    .uses_dynamic_stack: false
    .vgpr_count:     8
    .vgpr_spill_count: 0
    .wavefront_size: 32
    .workgroup_processor_mode: 1
  - .args:
      - .address_space:  global
        .offset:         0
        .size:           8
        .value_kind:     global_buffer
      - .address_space:  global
        .offset:         8
        .size:           8
        .value_kind:     global_buffer
      - .offset:         16
        .size:           4
        .value_kind:     by_value
      - .offset:         20
        .size:           4
        .value_kind:     by_value
      - .offset:         24
        .size:           4
        .value_kind:     by_value
      - .address_space:  global
        .offset:         32
        .size:           8
        .value_kind:     global_buffer
      - .offset:         40
        .size:           4
        .value_kind:     by_value
      - .offset:         44
        .size:           1
        .value_kind:     by_value
      - .offset:         48
        .size:           4
        .value_kind:     hidden_block_count_x
      - .offset:         52
        .size:           4
        .value_kind:     hidden_block_count_y
      - .offset:         56
        .size:           4
        .value_kind:     hidden_block_count_z
      - .offset:         60
        .size:           2
        .value_kind:     hidden_group_size_x
      - .offset:         62
        .size:           2
        .value_kind:     hidden_group_size_y
      - .offset:         64
        .size:           2
        .value_kind:     hidden_group_size_z
      - .offset:         66
        .size:           2
        .value_kind:     hidden_remainder_x
      - .offset:         68
        .size:           2
        .value_kind:     hidden_remainder_y
      - .offset:         70
        .size:           2
        .value_kind:     hidden_remainder_z
      - .offset:         88
        .size:           8
        .value_kind:     hidden_global_offset_x
      - .offset:         96
        .size:           8
        .value_kind:     hidden_global_offset_y
      - .offset:         104
        .size:           8
        .value_kind:     hidden_global_offset_z
      - .offset:         112
        .size:           2
        .value_kind:     hidden_grid_dims
    .group_segment_fixed_size: 0
    .kernarg_segment_align: 8
    .kernarg_segment_size: 304
    .language:       OpenCL C
    .language_version:
      - 2
      - 0
    .max_flat_workgroup_size: 1024
    .name:           _ZN12_GLOBAL__N_120softmax_warp_forwardIN3c108BFloat16ES2_fLi1ELb1ELb0ELi64EEEvPT0_PKT_iiiPKbib
    .private_segment_fixed_size: 0
    .sgpr_count:     18
    .sgpr_spill_count: 0
    .symbol:         _ZN12_GLOBAL__N_120softmax_warp_forwardIN3c108BFloat16ES2_fLi1ELb1ELb0ELi64EEEvPT0_PKT_iiiPKbib.kd
    .uniform_work_group_size: 1
    .uses_dynamic_stack: false
    .vgpr_count:     12
    .vgpr_spill_count: 0
    .wavefront_size: 32
    .workgroup_processor_mode: 1
  - .args:
      - .address_space:  global
        .offset:         0
        .size:           8
        .value_kind:     global_buffer
      - .address_space:  global
        .offset:         8
        .size:           8
        .value_kind:     global_buffer
      - .offset:         16
        .size:           4
        .value_kind:     by_value
      - .offset:         20
        .size:           4
        .value_kind:     by_value
      - .offset:         24
        .size:           4
        .value_kind:     by_value
      - .address_space:  global
        .offset:         32
        .size:           8
        .value_kind:     global_buffer
      - .offset:         40
        .size:           4
        .value_kind:     by_value
      - .offset:         44
        .size:           1
        .value_kind:     by_value
      - .offset:         48
        .size:           4
        .value_kind:     hidden_block_count_x
      - .offset:         52
        .size:           4
        .value_kind:     hidden_block_count_y
      - .offset:         56
        .size:           4
        .value_kind:     hidden_block_count_z
      - .offset:         60
        .size:           2
        .value_kind:     hidden_group_size_x
      - .offset:         62
        .size:           2
        .value_kind:     hidden_group_size_y
      - .offset:         64
        .size:           2
        .value_kind:     hidden_group_size_z
      - .offset:         66
        .size:           2
        .value_kind:     hidden_remainder_x
      - .offset:         68
        .size:           2
        .value_kind:     hidden_remainder_y
      - .offset:         70
        .size:           2
        .value_kind:     hidden_remainder_z
      - .offset:         88
        .size:           8
        .value_kind:     hidden_global_offset_x
      - .offset:         96
        .size:           8
        .value_kind:     hidden_global_offset_y
      - .offset:         104
        .size:           8
        .value_kind:     hidden_global_offset_z
      - .offset:         112
        .size:           2
        .value_kind:     hidden_grid_dims
    .group_segment_fixed_size: 0
    .kernarg_segment_align: 8
    .kernarg_segment_size: 304
    .language:       OpenCL C
    .language_version:
      - 2
      - 0
    .max_flat_workgroup_size: 1024
    .name:           _ZN12_GLOBAL__N_120softmax_warp_forwardIN3c108BFloat16ES2_fLi1ELb1ELb0ELi32EEEvPT0_PKT_iiiPKbib
    .private_segment_fixed_size: 0
    .sgpr_count:     18
    .sgpr_spill_count: 0
    .symbol:         _ZN12_GLOBAL__N_120softmax_warp_forwardIN3c108BFloat16ES2_fLi1ELb1ELb0ELi32EEEvPT0_PKT_iiiPKbib.kd
    .uniform_work_group_size: 1
    .uses_dynamic_stack: false
    .vgpr_count:     12
    .vgpr_spill_count: 0
    .wavefront_size: 32
    .workgroup_processor_mode: 1
  - .args:
      - .address_space:  global
        .offset:         0
        .size:           8
        .value_kind:     global_buffer
      - .address_space:  global
        .offset:         8
        .size:           8
        .value_kind:     global_buffer
      - .offset:         16
        .size:           4
        .value_kind:     by_value
      - .offset:         20
        .size:           4
        .value_kind:     by_value
      - .offset:         24
        .size:           4
        .value_kind:     by_value
      - .address_space:  global
        .offset:         32
        .size:           8
        .value_kind:     global_buffer
      - .offset:         40
        .size:           4
        .value_kind:     by_value
      - .offset:         44
        .size:           1
        .value_kind:     by_value
      - .offset:         48
        .size:           4
        .value_kind:     hidden_block_count_x
      - .offset:         52
        .size:           4
        .value_kind:     hidden_block_count_y
      - .offset:         56
        .size:           4
        .value_kind:     hidden_block_count_z
      - .offset:         60
        .size:           2
        .value_kind:     hidden_group_size_x
      - .offset:         62
        .size:           2
        .value_kind:     hidden_group_size_y
      - .offset:         64
        .size:           2
        .value_kind:     hidden_group_size_z
      - .offset:         66
        .size:           2
        .value_kind:     hidden_remainder_x
      - .offset:         68
        .size:           2
        .value_kind:     hidden_remainder_y
      - .offset:         70
        .size:           2
        .value_kind:     hidden_remainder_z
      - .offset:         88
        .size:           8
        .value_kind:     hidden_global_offset_x
      - .offset:         96
        .size:           8
        .value_kind:     hidden_global_offset_y
      - .offset:         104
        .size:           8
        .value_kind:     hidden_global_offset_z
      - .offset:         112
        .size:           2
        .value_kind:     hidden_grid_dims
    .group_segment_fixed_size: 0
    .kernarg_segment_align: 8
    .kernarg_segment_size: 304
    .language:       OpenCL C
    .language_version:
      - 2
      - 0
    .max_flat_workgroup_size: 1024
    .name:           _ZN12_GLOBAL__N_120softmax_warp_forwardIN3c108BFloat16ES2_fLi2ELb1ELb0ELi64EEEvPT0_PKT_iiiPKbib
    .private_segment_fixed_size: 0
    .sgpr_count:     18
    .sgpr_spill_count: 0
    .symbol:         _ZN12_GLOBAL__N_120softmax_warp_forwardIN3c108BFloat16ES2_fLi2ELb1ELb0ELi64EEEvPT0_PKT_iiiPKbib.kd
    .uniform_work_group_size: 1
    .uses_dynamic_stack: false
    .vgpr_count:     13
    .vgpr_spill_count: 0
    .wavefront_size: 32
    .workgroup_processor_mode: 1
  - .args:
      - .address_space:  global
        .offset:         0
        .size:           8
        .value_kind:     global_buffer
      - .address_space:  global
        .offset:         8
        .size:           8
        .value_kind:     global_buffer
      - .offset:         16
        .size:           4
        .value_kind:     by_value
      - .offset:         20
        .size:           4
        .value_kind:     by_value
      - .offset:         24
        .size:           4
        .value_kind:     by_value
      - .address_space:  global
        .offset:         32
        .size:           8
        .value_kind:     global_buffer
      - .offset:         40
        .size:           4
        .value_kind:     by_value
      - .offset:         44
        .size:           1
        .value_kind:     by_value
      - .offset:         48
        .size:           4
        .value_kind:     hidden_block_count_x
      - .offset:         52
        .size:           4
        .value_kind:     hidden_block_count_y
      - .offset:         56
        .size:           4
        .value_kind:     hidden_block_count_z
      - .offset:         60
        .size:           2
        .value_kind:     hidden_group_size_x
      - .offset:         62
        .size:           2
        .value_kind:     hidden_group_size_y
      - .offset:         64
        .size:           2
        .value_kind:     hidden_group_size_z
      - .offset:         66
        .size:           2
        .value_kind:     hidden_remainder_x
      - .offset:         68
        .size:           2
        .value_kind:     hidden_remainder_y
      - .offset:         70
        .size:           2
        .value_kind:     hidden_remainder_z
      - .offset:         88
        .size:           8
        .value_kind:     hidden_global_offset_x
      - .offset:         96
        .size:           8
        .value_kind:     hidden_global_offset_y
      - .offset:         104
        .size:           8
        .value_kind:     hidden_global_offset_z
      - .offset:         112
        .size:           2
        .value_kind:     hidden_grid_dims
    .group_segment_fixed_size: 0
    .kernarg_segment_align: 8
    .kernarg_segment_size: 304
    .language:       OpenCL C
    .language_version:
      - 2
      - 0
    .max_flat_workgroup_size: 1024
    .name:           _ZN12_GLOBAL__N_120softmax_warp_forwardIN3c108BFloat16ES2_fLi2ELb1ELb0ELi32EEEvPT0_PKT_iiiPKbib
    .private_segment_fixed_size: 0
    .sgpr_count:     18
    .sgpr_spill_count: 0
    .symbol:         _ZN12_GLOBAL__N_120softmax_warp_forwardIN3c108BFloat16ES2_fLi2ELb1ELb0ELi32EEEvPT0_PKT_iiiPKbib.kd
    .uniform_work_group_size: 1
    .uses_dynamic_stack: false
    .vgpr_count:     13
    .vgpr_spill_count: 0
    .wavefront_size: 32
    .workgroup_processor_mode: 1
  - .args:
      - .address_space:  global
        .offset:         0
        .size:           8
        .value_kind:     global_buffer
      - .address_space:  global
        .offset:         8
        .size:           8
        .value_kind:     global_buffer
      - .offset:         16
        .size:           4
        .value_kind:     by_value
      - .offset:         20
        .size:           4
        .value_kind:     by_value
      - .offset:         24
        .size:           4
        .value_kind:     by_value
      - .address_space:  global
        .offset:         32
        .size:           8
        .value_kind:     global_buffer
      - .offset:         40
        .size:           4
        .value_kind:     by_value
      - .offset:         44
        .size:           1
        .value_kind:     by_value
      - .offset:         48
        .size:           4
        .value_kind:     hidden_block_count_x
      - .offset:         52
        .size:           4
        .value_kind:     hidden_block_count_y
      - .offset:         56
        .size:           4
        .value_kind:     hidden_block_count_z
      - .offset:         60
        .size:           2
        .value_kind:     hidden_group_size_x
      - .offset:         62
        .size:           2
        .value_kind:     hidden_group_size_y
      - .offset:         64
        .size:           2
        .value_kind:     hidden_group_size_z
      - .offset:         66
        .size:           2
        .value_kind:     hidden_remainder_x
      - .offset:         68
        .size:           2
        .value_kind:     hidden_remainder_y
      - .offset:         70
        .size:           2
        .value_kind:     hidden_remainder_z
      - .offset:         88
        .size:           8
        .value_kind:     hidden_global_offset_x
      - .offset:         96
        .size:           8
        .value_kind:     hidden_global_offset_y
      - .offset:         104
        .size:           8
        .value_kind:     hidden_global_offset_z
      - .offset:         112
        .size:           2
        .value_kind:     hidden_grid_dims
    .group_segment_fixed_size: 0
    .kernarg_segment_align: 8
    .kernarg_segment_size: 304
    .language:       OpenCL C
    .language_version:
      - 2
      - 0
    .max_flat_workgroup_size: 1024
    .name:           _ZN12_GLOBAL__N_120softmax_warp_forwardIN3c108BFloat16ES2_fLi3ELb1ELb0ELi64EEEvPT0_PKT_iiiPKbib
    .private_segment_fixed_size: 0
    .sgpr_count:     18
    .sgpr_spill_count: 0
    .symbol:         _ZN12_GLOBAL__N_120softmax_warp_forwardIN3c108BFloat16ES2_fLi3ELb1ELb0ELi64EEEvPT0_PKT_iiiPKbib.kd
    .uniform_work_group_size: 1
    .uses_dynamic_stack: false
    .vgpr_count:     14
    .vgpr_spill_count: 0
    .wavefront_size: 32
    .workgroup_processor_mode: 1
  - .args:
      - .address_space:  global
        .offset:         0
        .size:           8
        .value_kind:     global_buffer
      - .address_space:  global
        .offset:         8
        .size:           8
        .value_kind:     global_buffer
      - .offset:         16
        .size:           4
        .value_kind:     by_value
      - .offset:         20
        .size:           4
        .value_kind:     by_value
      - .offset:         24
        .size:           4
        .value_kind:     by_value
      - .address_space:  global
        .offset:         32
        .size:           8
        .value_kind:     global_buffer
      - .offset:         40
        .size:           4
        .value_kind:     by_value
      - .offset:         44
        .size:           1
        .value_kind:     by_value
      - .offset:         48
        .size:           4
        .value_kind:     hidden_block_count_x
      - .offset:         52
        .size:           4
        .value_kind:     hidden_block_count_y
      - .offset:         56
        .size:           4
        .value_kind:     hidden_block_count_z
      - .offset:         60
        .size:           2
        .value_kind:     hidden_group_size_x
      - .offset:         62
        .size:           2
        .value_kind:     hidden_group_size_y
      - .offset:         64
        .size:           2
        .value_kind:     hidden_group_size_z
      - .offset:         66
        .size:           2
        .value_kind:     hidden_remainder_x
      - .offset:         68
        .size:           2
        .value_kind:     hidden_remainder_y
      - .offset:         70
        .size:           2
        .value_kind:     hidden_remainder_z
      - .offset:         88
        .size:           8
        .value_kind:     hidden_global_offset_x
      - .offset:         96
        .size:           8
        .value_kind:     hidden_global_offset_y
      - .offset:         104
        .size:           8
        .value_kind:     hidden_global_offset_z
      - .offset:         112
        .size:           2
        .value_kind:     hidden_grid_dims
    .group_segment_fixed_size: 0
    .kernarg_segment_align: 8
    .kernarg_segment_size: 304
    .language:       OpenCL C
    .language_version:
      - 2
      - 0
    .max_flat_workgroup_size: 1024
    .name:           _ZN12_GLOBAL__N_120softmax_warp_forwardIN3c108BFloat16ES2_fLi3ELb1ELb0ELi32EEEvPT0_PKT_iiiPKbib
    .private_segment_fixed_size: 0
    .sgpr_count:     18
    .sgpr_spill_count: 0
    .symbol:         _ZN12_GLOBAL__N_120softmax_warp_forwardIN3c108BFloat16ES2_fLi3ELb1ELb0ELi32EEEvPT0_PKT_iiiPKbib.kd
    .uniform_work_group_size: 1
    .uses_dynamic_stack: false
    .vgpr_count:     14
    .vgpr_spill_count: 0
    .wavefront_size: 32
    .workgroup_processor_mode: 1
  - .args:
      - .address_space:  global
        .offset:         0
        .size:           8
        .value_kind:     global_buffer
      - .address_space:  global
        .offset:         8
        .size:           8
        .value_kind:     global_buffer
      - .offset:         16
        .size:           4
        .value_kind:     by_value
      - .offset:         20
        .size:           4
        .value_kind:     by_value
      - .offset:         24
        .size:           4
        .value_kind:     by_value
      - .address_space:  global
        .offset:         32
        .size:           8
        .value_kind:     global_buffer
      - .offset:         40
        .size:           4
        .value_kind:     by_value
      - .offset:         44
        .size:           1
        .value_kind:     by_value
      - .offset:         48
        .size:           4
        .value_kind:     hidden_block_count_x
      - .offset:         52
        .size:           4
        .value_kind:     hidden_block_count_y
      - .offset:         56
        .size:           4
        .value_kind:     hidden_block_count_z
      - .offset:         60
        .size:           2
        .value_kind:     hidden_group_size_x
      - .offset:         62
        .size:           2
        .value_kind:     hidden_group_size_y
      - .offset:         64
        .size:           2
        .value_kind:     hidden_group_size_z
      - .offset:         66
        .size:           2
        .value_kind:     hidden_remainder_x
      - .offset:         68
        .size:           2
        .value_kind:     hidden_remainder_y
      - .offset:         70
        .size:           2
        .value_kind:     hidden_remainder_z
      - .offset:         88
        .size:           8
        .value_kind:     hidden_global_offset_x
      - .offset:         96
        .size:           8
        .value_kind:     hidden_global_offset_y
      - .offset:         104
        .size:           8
        .value_kind:     hidden_global_offset_z
      - .offset:         112
        .size:           2
        .value_kind:     hidden_grid_dims
    .group_segment_fixed_size: 0
    .kernarg_segment_align: 8
    .kernarg_segment_size: 304
    .language:       OpenCL C
    .language_version:
      - 2
      - 0
    .max_flat_workgroup_size: 1024
    .name:           _ZN12_GLOBAL__N_120softmax_warp_forwardIN3c108BFloat16ES2_fLi4ELb1ELb0ELi64EEEvPT0_PKT_iiiPKbib
    .private_segment_fixed_size: 0
    .sgpr_count:     18
    .sgpr_spill_count: 0
    .symbol:         _ZN12_GLOBAL__N_120softmax_warp_forwardIN3c108BFloat16ES2_fLi4ELb1ELb0ELi64EEEvPT0_PKT_iiiPKbib.kd
    .uniform_work_group_size: 1
    .uses_dynamic_stack: false
    .vgpr_count:     15
    .vgpr_spill_count: 0
    .wavefront_size: 32
    .workgroup_processor_mode: 1
  - .args:
      - .address_space:  global
        .offset:         0
        .size:           8
        .value_kind:     global_buffer
      - .address_space:  global
        .offset:         8
        .size:           8
        .value_kind:     global_buffer
      - .offset:         16
        .size:           4
        .value_kind:     by_value
      - .offset:         20
        .size:           4
        .value_kind:     by_value
      - .offset:         24
        .size:           4
        .value_kind:     by_value
      - .address_space:  global
        .offset:         32
        .size:           8
        .value_kind:     global_buffer
      - .offset:         40
        .size:           4
        .value_kind:     by_value
      - .offset:         44
        .size:           1
        .value_kind:     by_value
      - .offset:         48
        .size:           4
        .value_kind:     hidden_block_count_x
      - .offset:         52
        .size:           4
        .value_kind:     hidden_block_count_y
      - .offset:         56
        .size:           4
        .value_kind:     hidden_block_count_z
      - .offset:         60
        .size:           2
        .value_kind:     hidden_group_size_x
      - .offset:         62
        .size:           2
        .value_kind:     hidden_group_size_y
      - .offset:         64
        .size:           2
        .value_kind:     hidden_group_size_z
      - .offset:         66
        .size:           2
        .value_kind:     hidden_remainder_x
      - .offset:         68
        .size:           2
        .value_kind:     hidden_remainder_y
      - .offset:         70
        .size:           2
        .value_kind:     hidden_remainder_z
      - .offset:         88
        .size:           8
        .value_kind:     hidden_global_offset_x
      - .offset:         96
        .size:           8
        .value_kind:     hidden_global_offset_y
      - .offset:         104
        .size:           8
        .value_kind:     hidden_global_offset_z
      - .offset:         112
        .size:           2
        .value_kind:     hidden_grid_dims
    .group_segment_fixed_size: 0
    .kernarg_segment_align: 8
    .kernarg_segment_size: 304
    .language:       OpenCL C
    .language_version:
      - 2
      - 0
    .max_flat_workgroup_size: 1024
    .name:           _ZN12_GLOBAL__N_120softmax_warp_forwardIN3c108BFloat16ES2_fLi4ELb1ELb0ELi32EEEvPT0_PKT_iiiPKbib
    .private_segment_fixed_size: 0
    .sgpr_count:     18
    .sgpr_spill_count: 0
    .symbol:         _ZN12_GLOBAL__N_120softmax_warp_forwardIN3c108BFloat16ES2_fLi4ELb1ELb0ELi32EEEvPT0_PKT_iiiPKbib.kd
    .uniform_work_group_size: 1
    .uses_dynamic_stack: false
    .vgpr_count:     15
    .vgpr_spill_count: 0
    .wavefront_size: 32
    .workgroup_processor_mode: 1
  - .args:
      - .address_space:  global
        .offset:         0
        .size:           8
        .value_kind:     global_buffer
      - .address_space:  global
        .offset:         8
        .size:           8
        .value_kind:     global_buffer
      - .offset:         16
        .size:           4
        .value_kind:     by_value
      - .offset:         20
        .size:           4
        .value_kind:     by_value
      - .offset:         24
        .size:           4
        .value_kind:     by_value
      - .address_space:  global
        .offset:         32
        .size:           8
        .value_kind:     global_buffer
      - .offset:         40
        .size:           4
        .value_kind:     by_value
      - .offset:         44
        .size:           1
        .value_kind:     by_value
      - .offset:         48
        .size:           4
        .value_kind:     hidden_block_count_x
      - .offset:         52
        .size:           4
        .value_kind:     hidden_block_count_y
      - .offset:         56
        .size:           4
        .value_kind:     hidden_block_count_z
      - .offset:         60
        .size:           2
        .value_kind:     hidden_group_size_x
      - .offset:         62
        .size:           2
        .value_kind:     hidden_group_size_y
      - .offset:         64
        .size:           2
        .value_kind:     hidden_group_size_z
      - .offset:         66
        .size:           2
        .value_kind:     hidden_remainder_x
      - .offset:         68
        .size:           2
        .value_kind:     hidden_remainder_y
      - .offset:         70
        .size:           2
        .value_kind:     hidden_remainder_z
      - .offset:         88
        .size:           8
        .value_kind:     hidden_global_offset_x
      - .offset:         96
        .size:           8
        .value_kind:     hidden_global_offset_y
      - .offset:         104
        .size:           8
        .value_kind:     hidden_global_offset_z
      - .offset:         112
        .size:           2
        .value_kind:     hidden_grid_dims
    .group_segment_fixed_size: 0
    .kernarg_segment_align: 8
    .kernarg_segment_size: 304
    .language:       OpenCL C
    .language_version:
      - 2
      - 0
    .max_flat_workgroup_size: 1024
    .name:           _ZN12_GLOBAL__N_120softmax_warp_forwardIN3c108BFloat16ES2_fLi5ELb1ELb0ELi64EEEvPT0_PKT_iiiPKbib
    .private_segment_fixed_size: 0
    .sgpr_count:     18
    .sgpr_spill_count: 0
    .symbol:         _ZN12_GLOBAL__N_120softmax_warp_forwardIN3c108BFloat16ES2_fLi5ELb1ELb0ELi64EEEvPT0_PKT_iiiPKbib.kd
    .uniform_work_group_size: 1
    .uses_dynamic_stack: false
    .vgpr_count:     16
    .vgpr_spill_count: 0
    .wavefront_size: 32
    .workgroup_processor_mode: 1
  - .args:
      - .address_space:  global
        .offset:         0
        .size:           8
        .value_kind:     global_buffer
      - .address_space:  global
        .offset:         8
        .size:           8
        .value_kind:     global_buffer
      - .offset:         16
        .size:           4
        .value_kind:     by_value
      - .offset:         20
        .size:           4
        .value_kind:     by_value
      - .offset:         24
        .size:           4
        .value_kind:     by_value
      - .address_space:  global
        .offset:         32
        .size:           8
        .value_kind:     global_buffer
      - .offset:         40
        .size:           4
        .value_kind:     by_value
      - .offset:         44
        .size:           1
        .value_kind:     by_value
      - .offset:         48
        .size:           4
        .value_kind:     hidden_block_count_x
      - .offset:         52
        .size:           4
        .value_kind:     hidden_block_count_y
      - .offset:         56
        .size:           4
        .value_kind:     hidden_block_count_z
      - .offset:         60
        .size:           2
        .value_kind:     hidden_group_size_x
      - .offset:         62
        .size:           2
        .value_kind:     hidden_group_size_y
      - .offset:         64
        .size:           2
        .value_kind:     hidden_group_size_z
      - .offset:         66
        .size:           2
        .value_kind:     hidden_remainder_x
      - .offset:         68
        .size:           2
        .value_kind:     hidden_remainder_y
      - .offset:         70
        .size:           2
        .value_kind:     hidden_remainder_z
      - .offset:         88
        .size:           8
        .value_kind:     hidden_global_offset_x
      - .offset:         96
        .size:           8
        .value_kind:     hidden_global_offset_y
      - .offset:         104
        .size:           8
        .value_kind:     hidden_global_offset_z
      - .offset:         112
        .size:           2
        .value_kind:     hidden_grid_dims
    .group_segment_fixed_size: 0
    .kernarg_segment_align: 8
    .kernarg_segment_size: 304
    .language:       OpenCL C
    .language_version:
      - 2
      - 0
    .max_flat_workgroup_size: 1024
    .name:           _ZN12_GLOBAL__N_120softmax_warp_forwardIN3c108BFloat16ES2_fLi5ELb1ELb0ELi32EEEvPT0_PKT_iiiPKbib
    .private_segment_fixed_size: 0
    .sgpr_count:     18
    .sgpr_spill_count: 0
    .symbol:         _ZN12_GLOBAL__N_120softmax_warp_forwardIN3c108BFloat16ES2_fLi5ELb1ELb0ELi32EEEvPT0_PKT_iiiPKbib.kd
    .uniform_work_group_size: 1
    .uses_dynamic_stack: false
    .vgpr_count:     16
    .vgpr_spill_count: 0
    .wavefront_size: 32
    .workgroup_processor_mode: 1
  - .args:
      - .address_space:  global
        .offset:         0
        .size:           8
        .value_kind:     global_buffer
      - .address_space:  global
        .offset:         8
        .size:           8
        .value_kind:     global_buffer
      - .offset:         16
        .size:           4
        .value_kind:     by_value
      - .offset:         20
        .size:           4
        .value_kind:     by_value
      - .offset:         24
        .size:           4
        .value_kind:     by_value
      - .address_space:  global
        .offset:         32
        .size:           8
        .value_kind:     global_buffer
      - .offset:         40
        .size:           4
        .value_kind:     by_value
      - .offset:         44
        .size:           1
        .value_kind:     by_value
      - .offset:         48
        .size:           4
        .value_kind:     hidden_block_count_x
      - .offset:         52
        .size:           4
        .value_kind:     hidden_block_count_y
      - .offset:         56
        .size:           4
        .value_kind:     hidden_block_count_z
      - .offset:         60
        .size:           2
        .value_kind:     hidden_group_size_x
      - .offset:         62
        .size:           2
        .value_kind:     hidden_group_size_y
      - .offset:         64
        .size:           2
        .value_kind:     hidden_group_size_z
      - .offset:         66
        .size:           2
        .value_kind:     hidden_remainder_x
      - .offset:         68
        .size:           2
        .value_kind:     hidden_remainder_y
      - .offset:         70
        .size:           2
        .value_kind:     hidden_remainder_z
      - .offset:         88
        .size:           8
        .value_kind:     hidden_global_offset_x
      - .offset:         96
        .size:           8
        .value_kind:     hidden_global_offset_y
      - .offset:         104
        .size:           8
        .value_kind:     hidden_global_offset_z
      - .offset:         112
        .size:           2
        .value_kind:     hidden_grid_dims
    .group_segment_fixed_size: 0
    .kernarg_segment_align: 8
    .kernarg_segment_size: 304
    .language:       OpenCL C
    .language_version:
      - 2
      - 0
    .max_flat_workgroup_size: 1024
    .name:           _ZN12_GLOBAL__N_120softmax_warp_forwardIN3c108BFloat16ES2_fLi6ELb1ELb0ELi64EEEvPT0_PKT_iiiPKbib
    .private_segment_fixed_size: 0
    .sgpr_count:     18
    .sgpr_spill_count: 0
    .symbol:         _ZN12_GLOBAL__N_120softmax_warp_forwardIN3c108BFloat16ES2_fLi6ELb1ELb0ELi64EEEvPT0_PKT_iiiPKbib.kd
    .uniform_work_group_size: 1
    .uses_dynamic_stack: false
    .vgpr_count:     17
    .vgpr_spill_count: 0
    .wavefront_size: 32
    .workgroup_processor_mode: 1
  - .args:
      - .address_space:  global
        .offset:         0
        .size:           8
        .value_kind:     global_buffer
      - .address_space:  global
        .offset:         8
        .size:           8
        .value_kind:     global_buffer
      - .offset:         16
        .size:           4
        .value_kind:     by_value
      - .offset:         20
        .size:           4
        .value_kind:     by_value
      - .offset:         24
        .size:           4
        .value_kind:     by_value
      - .address_space:  global
        .offset:         32
        .size:           8
        .value_kind:     global_buffer
      - .offset:         40
        .size:           4
        .value_kind:     by_value
      - .offset:         44
        .size:           1
        .value_kind:     by_value
      - .offset:         48
        .size:           4
        .value_kind:     hidden_block_count_x
      - .offset:         52
        .size:           4
        .value_kind:     hidden_block_count_y
      - .offset:         56
        .size:           4
        .value_kind:     hidden_block_count_z
      - .offset:         60
        .size:           2
        .value_kind:     hidden_group_size_x
      - .offset:         62
        .size:           2
        .value_kind:     hidden_group_size_y
      - .offset:         64
        .size:           2
        .value_kind:     hidden_group_size_z
      - .offset:         66
        .size:           2
        .value_kind:     hidden_remainder_x
      - .offset:         68
        .size:           2
        .value_kind:     hidden_remainder_y
      - .offset:         70
        .size:           2
        .value_kind:     hidden_remainder_z
      - .offset:         88
        .size:           8
        .value_kind:     hidden_global_offset_x
      - .offset:         96
        .size:           8
        .value_kind:     hidden_global_offset_y
      - .offset:         104
        .size:           8
        .value_kind:     hidden_global_offset_z
      - .offset:         112
        .size:           2
        .value_kind:     hidden_grid_dims
    .group_segment_fixed_size: 0
    .kernarg_segment_align: 8
    .kernarg_segment_size: 304
    .language:       OpenCL C
    .language_version:
      - 2
      - 0
    .max_flat_workgroup_size: 1024
    .name:           _ZN12_GLOBAL__N_120softmax_warp_forwardIN3c108BFloat16ES2_fLi6ELb1ELb0ELi32EEEvPT0_PKT_iiiPKbib
    .private_segment_fixed_size: 0
    .sgpr_count:     18
    .sgpr_spill_count: 0
    .symbol:         _ZN12_GLOBAL__N_120softmax_warp_forwardIN3c108BFloat16ES2_fLi6ELb1ELb0ELi32EEEvPT0_PKT_iiiPKbib.kd
    .uniform_work_group_size: 1
    .uses_dynamic_stack: false
    .vgpr_count:     24
    .vgpr_spill_count: 0
    .wavefront_size: 32
    .workgroup_processor_mode: 1
  - .args:
      - .address_space:  global
        .offset:         0
        .size:           8
        .value_kind:     global_buffer
      - .address_space:  global
        .offset:         8
        .size:           8
        .value_kind:     global_buffer
      - .offset:         16
        .size:           4
        .value_kind:     by_value
      - .offset:         20
        .size:           4
        .value_kind:     by_value
      - .offset:         24
        .size:           4
        .value_kind:     by_value
      - .address_space:  global
        .offset:         32
        .size:           8
        .value_kind:     global_buffer
      - .offset:         40
        .size:           4
        .value_kind:     by_value
      - .offset:         44
        .size:           1
        .value_kind:     by_value
      - .offset:         48
        .size:           4
        .value_kind:     hidden_block_count_x
      - .offset:         52
        .size:           4
        .value_kind:     hidden_block_count_y
      - .offset:         56
        .size:           4
        .value_kind:     hidden_block_count_z
      - .offset:         60
        .size:           2
        .value_kind:     hidden_group_size_x
      - .offset:         62
        .size:           2
        .value_kind:     hidden_group_size_y
      - .offset:         64
        .size:           2
        .value_kind:     hidden_group_size_z
      - .offset:         66
        .size:           2
        .value_kind:     hidden_remainder_x
      - .offset:         68
        .size:           2
        .value_kind:     hidden_remainder_y
      - .offset:         70
        .size:           2
        .value_kind:     hidden_remainder_z
      - .offset:         88
        .size:           8
        .value_kind:     hidden_global_offset_x
      - .offset:         96
        .size:           8
        .value_kind:     hidden_global_offset_y
      - .offset:         104
        .size:           8
        .value_kind:     hidden_global_offset_z
      - .offset:         112
        .size:           2
        .value_kind:     hidden_grid_dims
    .group_segment_fixed_size: 0
    .kernarg_segment_align: 8
    .kernarg_segment_size: 304
    .language:       OpenCL C
    .language_version:
      - 2
      - 0
    .max_flat_workgroup_size: 1024
    .name:           _ZN12_GLOBAL__N_120softmax_warp_forwardIN3c108BFloat16ES2_fLi7ELb1ELb0ELi64EEEvPT0_PKT_iiiPKbib
    .private_segment_fixed_size: 0
    .sgpr_count:     18
    .sgpr_spill_count: 0
    .symbol:         _ZN12_GLOBAL__N_120softmax_warp_forwardIN3c108BFloat16ES2_fLi7ELb1ELb0ELi64EEEvPT0_PKT_iiiPKbib.kd
    .uniform_work_group_size: 1
    .uses_dynamic_stack: false
    .vgpr_count:     25
    .vgpr_spill_count: 0
    .wavefront_size: 32
    .workgroup_processor_mode: 1
  - .args:
      - .address_space:  global
        .offset:         0
        .size:           8
        .value_kind:     global_buffer
      - .address_space:  global
        .offset:         8
        .size:           8
        .value_kind:     global_buffer
      - .offset:         16
        .size:           4
        .value_kind:     by_value
      - .offset:         20
        .size:           4
        .value_kind:     by_value
      - .offset:         24
        .size:           4
        .value_kind:     by_value
      - .address_space:  global
        .offset:         32
        .size:           8
        .value_kind:     global_buffer
      - .offset:         40
        .size:           4
        .value_kind:     by_value
      - .offset:         44
        .size:           1
        .value_kind:     by_value
      - .offset:         48
        .size:           4
        .value_kind:     hidden_block_count_x
      - .offset:         52
        .size:           4
        .value_kind:     hidden_block_count_y
      - .offset:         56
        .size:           4
        .value_kind:     hidden_block_count_z
      - .offset:         60
        .size:           2
        .value_kind:     hidden_group_size_x
      - .offset:         62
        .size:           2
        .value_kind:     hidden_group_size_y
      - .offset:         64
        .size:           2
        .value_kind:     hidden_group_size_z
      - .offset:         66
        .size:           2
        .value_kind:     hidden_remainder_x
      - .offset:         68
        .size:           2
        .value_kind:     hidden_remainder_y
      - .offset:         70
        .size:           2
        .value_kind:     hidden_remainder_z
      - .offset:         88
        .size:           8
        .value_kind:     hidden_global_offset_x
      - .offset:         96
        .size:           8
        .value_kind:     hidden_global_offset_y
      - .offset:         104
        .size:           8
        .value_kind:     hidden_global_offset_z
      - .offset:         112
        .size:           2
        .value_kind:     hidden_grid_dims
    .group_segment_fixed_size: 0
    .kernarg_segment_align: 8
    .kernarg_segment_size: 304
    .language:       OpenCL C
    .language_version:
      - 2
      - 0
    .max_flat_workgroup_size: 1024
    .name:           _ZN12_GLOBAL__N_120softmax_warp_forwardIN3c108BFloat16ES2_fLi7ELb1ELb0ELi32EEEvPT0_PKT_iiiPKbib
    .private_segment_fixed_size: 0
    .sgpr_count:     26
    .sgpr_spill_count: 0
    .symbol:         _ZN12_GLOBAL__N_120softmax_warp_forwardIN3c108BFloat16ES2_fLi7ELb1ELb0ELi32EEEvPT0_PKT_iiiPKbib.kd
    .uniform_work_group_size: 1
    .uses_dynamic_stack: false
    .vgpr_count:     40
    .vgpr_spill_count: 0
    .wavefront_size: 32
    .workgroup_processor_mode: 1
  - .args:
      - .address_space:  global
        .offset:         0
        .size:           8
        .value_kind:     global_buffer
      - .address_space:  global
        .offset:         8
        .size:           8
        .value_kind:     global_buffer
      - .offset:         16
        .size:           4
        .value_kind:     by_value
      - .offset:         20
        .size:           4
        .value_kind:     by_value
      - .offset:         24
        .size:           4
        .value_kind:     by_value
      - .address_space:  global
        .offset:         32
        .size:           8
        .value_kind:     global_buffer
      - .offset:         40
        .size:           4
        .value_kind:     by_value
      - .offset:         44
        .size:           1
        .value_kind:     by_value
      - .offset:         48
        .size:           4
        .value_kind:     hidden_block_count_x
      - .offset:         52
        .size:           4
        .value_kind:     hidden_block_count_y
      - .offset:         56
        .size:           4
        .value_kind:     hidden_block_count_z
      - .offset:         60
        .size:           2
        .value_kind:     hidden_group_size_x
      - .offset:         62
        .size:           2
        .value_kind:     hidden_group_size_y
      - .offset:         64
        .size:           2
        .value_kind:     hidden_group_size_z
      - .offset:         66
        .size:           2
        .value_kind:     hidden_remainder_x
      - .offset:         68
        .size:           2
        .value_kind:     hidden_remainder_y
      - .offset:         70
        .size:           2
        .value_kind:     hidden_remainder_z
      - .offset:         88
        .size:           8
        .value_kind:     hidden_global_offset_x
      - .offset:         96
        .size:           8
        .value_kind:     hidden_global_offset_y
      - .offset:         104
        .size:           8
        .value_kind:     hidden_global_offset_z
      - .offset:         112
        .size:           2
        .value_kind:     hidden_grid_dims
    .group_segment_fixed_size: 0
    .kernarg_segment_align: 8
    .kernarg_segment_size: 304
    .language:       OpenCL C
    .language_version:
      - 2
      - 0
    .max_flat_workgroup_size: 1024
    .name:           _ZN12_GLOBAL__N_120softmax_warp_forwardIN3c108BFloat16ES2_fLi8ELb1ELb0ELi64EEEvPT0_PKT_iiiPKbib
    .private_segment_fixed_size: 0
    .sgpr_count:     18
    .sgpr_spill_count: 0
    .symbol:         _ZN12_GLOBAL__N_120softmax_warp_forwardIN3c108BFloat16ES2_fLi8ELb1ELb0ELi64EEEvPT0_PKT_iiiPKbib.kd
    .uniform_work_group_size: 1
    .uses_dynamic_stack: false
    .vgpr_count:     24
    .vgpr_spill_count: 0
    .wavefront_size: 32
    .workgroup_processor_mode: 1
  - .args:
      - .address_space:  global
        .offset:         0
        .size:           8
        .value_kind:     global_buffer
      - .address_space:  global
        .offset:         8
        .size:           8
        .value_kind:     global_buffer
      - .offset:         16
        .size:           4
        .value_kind:     by_value
      - .offset:         20
        .size:           4
        .value_kind:     by_value
      - .offset:         24
        .size:           4
        .value_kind:     by_value
      - .address_space:  global
        .offset:         32
        .size:           8
        .value_kind:     global_buffer
      - .offset:         40
        .size:           4
        .value_kind:     by_value
      - .offset:         44
        .size:           1
        .value_kind:     by_value
      - .offset:         48
        .size:           4
        .value_kind:     hidden_block_count_x
      - .offset:         52
        .size:           4
        .value_kind:     hidden_block_count_y
      - .offset:         56
        .size:           4
        .value_kind:     hidden_block_count_z
      - .offset:         60
        .size:           2
        .value_kind:     hidden_group_size_x
      - .offset:         62
        .size:           2
        .value_kind:     hidden_group_size_y
      - .offset:         64
        .size:           2
        .value_kind:     hidden_group_size_z
      - .offset:         66
        .size:           2
        .value_kind:     hidden_remainder_x
      - .offset:         68
        .size:           2
        .value_kind:     hidden_remainder_y
      - .offset:         70
        .size:           2
        .value_kind:     hidden_remainder_z
      - .offset:         88
        .size:           8
        .value_kind:     hidden_global_offset_x
      - .offset:         96
        .size:           8
        .value_kind:     hidden_global_offset_y
      - .offset:         104
        .size:           8
        .value_kind:     hidden_global_offset_z
      - .offset:         112
        .size:           2
        .value_kind:     hidden_grid_dims
    .group_segment_fixed_size: 0
    .kernarg_segment_align: 8
    .kernarg_segment_size: 304
    .language:       OpenCL C
    .language_version:
      - 2
      - 0
    .max_flat_workgroup_size: 1024
    .name:           _ZN12_GLOBAL__N_120softmax_warp_forwardIN3c108BFloat16ES2_fLi8ELb1ELb0ELi32EEEvPT0_PKT_iiiPKbib
    .private_segment_fixed_size: 0
    .sgpr_count:     26
    .sgpr_spill_count: 0
    .symbol:         _ZN12_GLOBAL__N_120softmax_warp_forwardIN3c108BFloat16ES2_fLi8ELb1ELb0ELi32EEEvPT0_PKT_iiiPKbib.kd
    .uniform_work_group_size: 1
    .uses_dynamic_stack: false
    .vgpr_count:     40
    .vgpr_spill_count: 0
    .wavefront_size: 32
    .workgroup_processor_mode: 1
  - .args:
      - .address_space:  global
        .offset:         0
        .size:           8
        .value_kind:     global_buffer
      - .address_space:  global
        .offset:         8
        .size:           8
        .value_kind:     global_buffer
      - .offset:         16
        .size:           4
        .value_kind:     by_value
      - .offset:         20
        .size:           4
        .value_kind:     by_value
      - .offset:         24
        .size:           4
        .value_kind:     by_value
      - .address_space:  global
        .offset:         32
        .size:           8
        .value_kind:     global_buffer
      - .offset:         40
        .size:           4
        .value_kind:     by_value
      - .offset:         44
        .size:           1
        .value_kind:     by_value
      - .offset:         48
        .size:           4
        .value_kind:     hidden_block_count_x
      - .offset:         52
        .size:           4
        .value_kind:     hidden_block_count_y
      - .offset:         56
        .size:           4
        .value_kind:     hidden_block_count_z
      - .offset:         60
        .size:           2
        .value_kind:     hidden_group_size_x
      - .offset:         62
        .size:           2
        .value_kind:     hidden_group_size_y
      - .offset:         64
        .size:           2
        .value_kind:     hidden_group_size_z
      - .offset:         66
        .size:           2
        .value_kind:     hidden_remainder_x
      - .offset:         68
        .size:           2
        .value_kind:     hidden_remainder_y
      - .offset:         70
        .size:           2
        .value_kind:     hidden_remainder_z
      - .offset:         88
        .size:           8
        .value_kind:     hidden_global_offset_x
      - .offset:         96
        .size:           8
        .value_kind:     hidden_global_offset_y
      - .offset:         104
        .size:           8
        .value_kind:     hidden_global_offset_z
      - .offset:         112
        .size:           2
        .value_kind:     hidden_grid_dims
    .group_segment_fixed_size: 0
    .kernarg_segment_align: 8
    .kernarg_segment_size: 304
    .language:       OpenCL C
    .language_version:
      - 2
      - 0
    .max_flat_workgroup_size: 1024
    .name:           _ZN12_GLOBAL__N_120softmax_warp_forwardIN3c108BFloat16ES2_fLi9ELb1ELb0ELi64EEEvPT0_PKT_iiiPKbib
    .private_segment_fixed_size: 0
    .sgpr_count:     26
    .sgpr_spill_count: 0
    .symbol:         _ZN12_GLOBAL__N_120softmax_warp_forwardIN3c108BFloat16ES2_fLi9ELb1ELb0ELi64EEEvPT0_PKT_iiiPKbib.kd
    .uniform_work_group_size: 1
    .uses_dynamic_stack: false
    .vgpr_count:     41
    .vgpr_spill_count: 0
    .wavefront_size: 32
    .workgroup_processor_mode: 1
  - .args:
      - .address_space:  global
        .offset:         0
        .size:           8
        .value_kind:     global_buffer
      - .address_space:  global
        .offset:         8
        .size:           8
        .value_kind:     global_buffer
      - .offset:         16
        .size:           4
        .value_kind:     by_value
      - .offset:         20
        .size:           4
        .value_kind:     by_value
      - .offset:         24
        .size:           4
        .value_kind:     by_value
      - .address_space:  global
        .offset:         32
        .size:           8
        .value_kind:     global_buffer
      - .offset:         40
        .size:           4
        .value_kind:     by_value
      - .offset:         44
        .size:           1
        .value_kind:     by_value
      - .offset:         48
        .size:           4
        .value_kind:     hidden_block_count_x
      - .offset:         52
        .size:           4
        .value_kind:     hidden_block_count_y
      - .offset:         56
        .size:           4
        .value_kind:     hidden_block_count_z
      - .offset:         60
        .size:           2
        .value_kind:     hidden_group_size_x
      - .offset:         62
        .size:           2
        .value_kind:     hidden_group_size_y
      - .offset:         64
        .size:           2
        .value_kind:     hidden_group_size_z
      - .offset:         66
        .size:           2
        .value_kind:     hidden_remainder_x
      - .offset:         68
        .size:           2
        .value_kind:     hidden_remainder_y
      - .offset:         70
        .size:           2
        .value_kind:     hidden_remainder_z
      - .offset:         88
        .size:           8
        .value_kind:     hidden_global_offset_x
      - .offset:         96
        .size:           8
        .value_kind:     hidden_global_offset_y
      - .offset:         104
        .size:           8
        .value_kind:     hidden_global_offset_z
      - .offset:         112
        .size:           2
        .value_kind:     hidden_grid_dims
    .group_segment_fixed_size: 0
    .kernarg_segment_align: 8
    .kernarg_segment_size: 304
    .language:       OpenCL C
    .language_version:
      - 2
      - 0
    .max_flat_workgroup_size: 1024
    .name:           _ZN12_GLOBAL__N_120softmax_warp_forwardIN3c108BFloat16ES2_fLi9ELb1ELb0ELi32EEEvPT0_PKT_iiiPKbib
    .private_segment_fixed_size: 0
    .sgpr_count:     26
    .sgpr_spill_count: 0
    .symbol:         _ZN12_GLOBAL__N_120softmax_warp_forwardIN3c108BFloat16ES2_fLi9ELb1ELb0ELi32EEEvPT0_PKT_iiiPKbib.kd
    .uniform_work_group_size: 1
    .uses_dynamic_stack: false
    .vgpr_count:     72
    .vgpr_spill_count: 0
    .wavefront_size: 32
    .workgroup_processor_mode: 1
  - .args:
      - .address_space:  global
        .offset:         0
        .size:           8
        .value_kind:     global_buffer
      - .address_space:  global
        .offset:         8
        .size:           8
        .value_kind:     global_buffer
      - .offset:         16
        .size:           4
        .value_kind:     by_value
      - .offset:         20
        .size:           4
        .value_kind:     by_value
      - .offset:         24
        .size:           4
        .value_kind:     by_value
      - .address_space:  global
        .offset:         32
        .size:           8
        .value_kind:     global_buffer
      - .offset:         40
        .size:           4
        .value_kind:     by_value
      - .offset:         44
        .size:           1
        .value_kind:     by_value
      - .offset:         48
        .size:           4
        .value_kind:     hidden_block_count_x
      - .offset:         52
        .size:           4
        .value_kind:     hidden_block_count_y
      - .offset:         56
        .size:           4
        .value_kind:     hidden_block_count_z
      - .offset:         60
        .size:           2
        .value_kind:     hidden_group_size_x
      - .offset:         62
        .size:           2
        .value_kind:     hidden_group_size_y
      - .offset:         64
        .size:           2
        .value_kind:     hidden_group_size_z
      - .offset:         66
        .size:           2
        .value_kind:     hidden_remainder_x
      - .offset:         68
        .size:           2
        .value_kind:     hidden_remainder_y
      - .offset:         70
        .size:           2
        .value_kind:     hidden_remainder_z
      - .offset:         88
        .size:           8
        .value_kind:     hidden_global_offset_x
      - .offset:         96
        .size:           8
        .value_kind:     hidden_global_offset_y
      - .offset:         104
        .size:           8
        .value_kind:     hidden_global_offset_z
      - .offset:         112
        .size:           2
        .value_kind:     hidden_grid_dims
    .group_segment_fixed_size: 0
    .kernarg_segment_align: 8
    .kernarg_segment_size: 304
    .language:       OpenCL C
    .language_version:
      - 2
      - 0
    .max_flat_workgroup_size: 1024
    .name:           _ZN12_GLOBAL__N_120softmax_warp_forwardIN3c108BFloat16ES2_fLi10ELb1ELb0ELi64EEEvPT0_PKT_iiiPKbib
    .private_segment_fixed_size: 0
    .sgpr_count:     26
    .sgpr_spill_count: 0
    .symbol:         _ZN12_GLOBAL__N_120softmax_warp_forwardIN3c108BFloat16ES2_fLi10ELb1ELb0ELi64EEEvPT0_PKT_iiiPKbib.kd
    .uniform_work_group_size: 1
    .uses_dynamic_stack: false
    .vgpr_count:     73
    .vgpr_spill_count: 0
    .wavefront_size: 32
    .workgroup_processor_mode: 1
  - .args:
      - .address_space:  global
        .offset:         0
        .size:           8
        .value_kind:     global_buffer
      - .address_space:  global
        .offset:         8
        .size:           8
        .value_kind:     global_buffer
      - .offset:         16
        .size:           4
        .value_kind:     by_value
      - .offset:         20
        .size:           4
        .value_kind:     by_value
      - .offset:         24
        .size:           4
        .value_kind:     by_value
      - .address_space:  global
        .offset:         32
        .size:           8
        .value_kind:     global_buffer
      - .offset:         40
        .size:           4
        .value_kind:     by_value
      - .offset:         44
        .size:           1
        .value_kind:     by_value
      - .offset:         48
        .size:           4
        .value_kind:     hidden_block_count_x
      - .offset:         52
        .size:           4
        .value_kind:     hidden_block_count_y
      - .offset:         56
        .size:           4
        .value_kind:     hidden_block_count_z
      - .offset:         60
        .size:           2
        .value_kind:     hidden_group_size_x
      - .offset:         62
        .size:           2
        .value_kind:     hidden_group_size_y
      - .offset:         64
        .size:           2
        .value_kind:     hidden_group_size_z
      - .offset:         66
        .size:           2
        .value_kind:     hidden_remainder_x
      - .offset:         68
        .size:           2
        .value_kind:     hidden_remainder_y
      - .offset:         70
        .size:           2
        .value_kind:     hidden_remainder_z
      - .offset:         88
        .size:           8
        .value_kind:     hidden_global_offset_x
      - .offset:         96
        .size:           8
        .value_kind:     hidden_global_offset_y
      - .offset:         104
        .size:           8
        .value_kind:     hidden_global_offset_z
      - .offset:         112
        .size:           2
        .value_kind:     hidden_grid_dims
    .group_segment_fixed_size: 0
    .kernarg_segment_align: 8
    .kernarg_segment_size: 304
    .language:       OpenCL C
    .language_version:
      - 2
      - 0
    .max_flat_workgroup_size: 1024
    .name:           _ZN12_GLOBAL__N_120softmax_warp_forwardIN3c108BFloat16ES2_fLi10ELb1ELb0ELi32EEEvPT0_PKT_iiiPKbib
    .private_segment_fixed_size: 0
    .sgpr_count:     46
    .sgpr_spill_count: 0
    .symbol:         _ZN12_GLOBAL__N_120softmax_warp_forwardIN3c108BFloat16ES2_fLi10ELb1ELb0ELi32EEEvPT0_PKT_iiiPKbib.kd
    .uniform_work_group_size: 1
    .uses_dynamic_stack: false
    .vgpr_count:     94
    .vgpr_spill_count: 0
    .wavefront_size: 32
    .workgroup_processor_mode: 1
  - .args:
      - .address_space:  global
        .offset:         0
        .size:           8
        .value_kind:     global_buffer
      - .address_space:  global
        .offset:         8
        .size:           8
        .value_kind:     global_buffer
      - .offset:         16
        .size:           4
        .value_kind:     by_value
      - .offset:         20
        .size:           4
        .value_kind:     by_value
      - .offset:         24
        .size:           4
        .value_kind:     by_value
      - .address_space:  global
        .offset:         32
        .size:           8
        .value_kind:     global_buffer
      - .offset:         40
        .size:           4
        .value_kind:     by_value
      - .offset:         44
        .size:           1
        .value_kind:     by_value
      - .offset:         48
        .size:           4
        .value_kind:     hidden_block_count_x
      - .offset:         52
        .size:           4
        .value_kind:     hidden_block_count_y
      - .offset:         56
        .size:           4
        .value_kind:     hidden_block_count_z
      - .offset:         60
        .size:           2
        .value_kind:     hidden_group_size_x
      - .offset:         62
        .size:           2
        .value_kind:     hidden_group_size_y
      - .offset:         64
        .size:           2
        .value_kind:     hidden_group_size_z
      - .offset:         66
        .size:           2
        .value_kind:     hidden_remainder_x
      - .offset:         68
        .size:           2
        .value_kind:     hidden_remainder_y
      - .offset:         70
        .size:           2
        .value_kind:     hidden_remainder_z
      - .offset:         88
        .size:           8
        .value_kind:     hidden_global_offset_x
      - .offset:         96
        .size:           8
        .value_kind:     hidden_global_offset_y
      - .offset:         104
        .size:           8
        .value_kind:     hidden_global_offset_z
      - .offset:         112
        .size:           2
        .value_kind:     hidden_grid_dims
    .group_segment_fixed_size: 0
    .kernarg_segment_align: 8
    .kernarg_segment_size: 304
    .language:       OpenCL C
    .language_version:
      - 2
      - 0
    .max_flat_workgroup_size: 1024
    .name:           _ZN12_GLOBAL__N_120softmax_warp_forwardIN3c108BFloat16ES2_fLi11ELb1ELb0ELi64EEEvPT0_PKT_iiiPKbib
    .private_segment_fixed_size: 0
    .sgpr_count:     46
    .sgpr_spill_count: 0
    .symbol:         _ZN12_GLOBAL__N_120softmax_warp_forwardIN3c108BFloat16ES2_fLi11ELb1ELb0ELi64EEEvPT0_PKT_iiiPKbib.kd
    .uniform_work_group_size: 1
    .uses_dynamic_stack: false
    .vgpr_count:     94
    .vgpr_spill_count: 0
    .wavefront_size: 32
    .workgroup_processor_mode: 1
  - .args:
      - .address_space:  global
        .offset:         0
        .size:           8
        .value_kind:     global_buffer
      - .address_space:  global
        .offset:         8
        .size:           8
        .value_kind:     global_buffer
      - .offset:         16
        .size:           4
        .value_kind:     by_value
      - .offset:         20
        .size:           4
        .value_kind:     by_value
      - .offset:         24
        .size:           4
        .value_kind:     by_value
      - .address_space:  global
        .offset:         32
        .size:           8
        .value_kind:     global_buffer
      - .offset:         40
        .size:           4
        .value_kind:     by_value
      - .offset:         44
        .size:           1
        .value_kind:     by_value
      - .offset:         48
        .size:           4
        .value_kind:     hidden_block_count_x
      - .offset:         52
        .size:           4
        .value_kind:     hidden_block_count_y
      - .offset:         56
        .size:           4
        .value_kind:     hidden_block_count_z
      - .offset:         60
        .size:           2
        .value_kind:     hidden_group_size_x
      - .offset:         62
        .size:           2
        .value_kind:     hidden_group_size_y
      - .offset:         64
        .size:           2
        .value_kind:     hidden_group_size_z
      - .offset:         66
        .size:           2
        .value_kind:     hidden_remainder_x
      - .offset:         68
        .size:           2
        .value_kind:     hidden_remainder_y
      - .offset:         70
        .size:           2
        .value_kind:     hidden_remainder_z
      - .offset:         88
        .size:           8
        .value_kind:     hidden_global_offset_x
      - .offset:         96
        .size:           8
        .value_kind:     hidden_global_offset_y
      - .offset:         104
        .size:           8
        .value_kind:     hidden_global_offset_z
      - .offset:         112
        .size:           2
        .value_kind:     hidden_grid_dims
    .group_segment_fixed_size: 0
    .kernarg_segment_align: 8
    .kernarg_segment_size: 304
    .language:       OpenCL C
    .language_version:
      - 2
      - 0
    .max_flat_workgroup_size: 1024
    .name:           _ZN12_GLOBAL__N_120softmax_warp_forwardIN3c108BFloat16ES2_fLi11ELb1ELb0ELi32EEEvPT0_PKT_iiiPKbib
    .private_segment_fixed_size: 0
    .sgpr_count:     78
    .sgpr_spill_count: 0
    .symbol:         _ZN12_GLOBAL__N_120softmax_warp_forwardIN3c108BFloat16ES2_fLi11ELb1ELb0ELi32EEEvPT0_PKT_iiiPKbib.kd
    .uniform_work_group_size: 1
    .uses_dynamic_stack: false
    .vgpr_count:     77
    .vgpr_spill_count: 0
    .wavefront_size: 32
    .workgroup_processor_mode: 1
  - .args:
      - .address_space:  global
        .offset:         0
        .size:           8
        .value_kind:     global_buffer
      - .address_space:  global
        .offset:         8
        .size:           8
        .value_kind:     global_buffer
      - .offset:         16
        .size:           8
        .value_kind:     by_value
      - .offset:         24
        .size:           4
        .value_kind:     hidden_block_count_x
      - .offset:         28
        .size:           4
        .value_kind:     hidden_block_count_y
      - .offset:         32
        .size:           4
        .value_kind:     hidden_block_count_z
      - .offset:         36
        .size:           2
        .value_kind:     hidden_group_size_x
      - .offset:         38
        .size:           2
        .value_kind:     hidden_group_size_y
      - .offset:         40
        .size:           2
        .value_kind:     hidden_group_size_z
      - .offset:         42
        .size:           2
        .value_kind:     hidden_remainder_x
      - .offset:         44
        .size:           2
        .value_kind:     hidden_remainder_y
      - .offset:         46
        .size:           2
        .value_kind:     hidden_remainder_z
      - .offset:         64
        .size:           8
        .value_kind:     hidden_global_offset_x
      - .offset:         72
        .size:           8
        .value_kind:     hidden_global_offset_y
      - .offset:         80
        .size:           8
        .value_kind:     hidden_global_offset_z
      - .offset:         88
        .size:           2
        .value_kind:     hidden_grid_dims
      - .offset:         144
        .size:           4
        .value_kind:     hidden_dynamic_lds_size
    .group_segment_fixed_size: 0
    .kernarg_segment_align: 8
    .kernarg_segment_size: 280
    .language:       OpenCL C
    .language_version:
      - 2
      - 0
    .max_flat_workgroup_size: 1024
    .name:           _ZN2at6native12_GLOBAL__N_122cunn_SoftMaxForwardRegIN3c108BFloat16EfS4_NS1_25LogSoftMaxForwardEpilogueElLi1EEEvPT1_PKT_T3_
    .private_segment_fixed_size: 0
    .sgpr_count:     18
    .sgpr_spill_count: 0
    .symbol:         _ZN2at6native12_GLOBAL__N_122cunn_SoftMaxForwardRegIN3c108BFloat16EfS4_NS1_25LogSoftMaxForwardEpilogueElLi1EEEvPT1_PKT_T3_.kd
    .uniform_work_group_size: 1
    .uses_dynamic_stack: false
    .vgpr_count:     13
    .vgpr_spill_count: 0
    .wavefront_size: 32
    .workgroup_processor_mode: 1
  - .args:
      - .address_space:  global
        .offset:         0
        .size:           8
        .value_kind:     global_buffer
      - .address_space:  global
        .offset:         8
        .size:           8
        .value_kind:     global_buffer
      - .offset:         16
        .size:           8
        .value_kind:     by_value
      - .offset:         24
        .size:           4
        .value_kind:     hidden_block_count_x
      - .offset:         28
        .size:           4
        .value_kind:     hidden_block_count_y
      - .offset:         32
        .size:           4
        .value_kind:     hidden_block_count_z
      - .offset:         36
        .size:           2
        .value_kind:     hidden_group_size_x
      - .offset:         38
        .size:           2
        .value_kind:     hidden_group_size_y
      - .offset:         40
        .size:           2
        .value_kind:     hidden_group_size_z
      - .offset:         42
        .size:           2
        .value_kind:     hidden_remainder_x
      - .offset:         44
        .size:           2
        .value_kind:     hidden_remainder_y
      - .offset:         46
        .size:           2
        .value_kind:     hidden_remainder_z
      - .offset:         64
        .size:           8
        .value_kind:     hidden_global_offset_x
      - .offset:         72
        .size:           8
        .value_kind:     hidden_global_offset_y
      - .offset:         80
        .size:           8
        .value_kind:     hidden_global_offset_z
      - .offset:         88
        .size:           2
        .value_kind:     hidden_grid_dims
      - .offset:         144
        .size:           4
        .value_kind:     hidden_dynamic_lds_size
    .group_segment_fixed_size: 0
    .kernarg_segment_align: 8
    .kernarg_segment_size: 280
    .language:       OpenCL C
    .language_version:
      - 2
      - 0
    .max_flat_workgroup_size: 1024
    .name:           _ZN2at6native12_GLOBAL__N_122cunn_SoftMaxForwardRegIN3c108BFloat16EfS4_NS1_25LogSoftMaxForwardEpilogueElLi2EEEvPT1_PKT_T3_
    .private_segment_fixed_size: 0
    .sgpr_count:     18
    .sgpr_spill_count: 0
    .symbol:         _ZN2at6native12_GLOBAL__N_122cunn_SoftMaxForwardRegIN3c108BFloat16EfS4_NS1_25LogSoftMaxForwardEpilogueElLi2EEEvPT1_PKT_T3_.kd
    .uniform_work_group_size: 1
    .uses_dynamic_stack: false
    .vgpr_count:     18
    .vgpr_spill_count: 0
    .wavefront_size: 32
    .workgroup_processor_mode: 1
  - .args:
      - .address_space:  global
        .offset:         0
        .size:           8
        .value_kind:     global_buffer
      - .address_space:  global
        .offset:         8
        .size:           8
        .value_kind:     global_buffer
      - .offset:         16
        .size:           8
        .value_kind:     by_value
      - .offset:         24
        .size:           4
        .value_kind:     hidden_block_count_x
      - .offset:         28
        .size:           4
        .value_kind:     hidden_block_count_y
      - .offset:         32
        .size:           4
        .value_kind:     hidden_block_count_z
      - .offset:         36
        .size:           2
        .value_kind:     hidden_group_size_x
      - .offset:         38
        .size:           2
        .value_kind:     hidden_group_size_y
      - .offset:         40
        .size:           2
        .value_kind:     hidden_group_size_z
      - .offset:         42
        .size:           2
        .value_kind:     hidden_remainder_x
      - .offset:         44
        .size:           2
        .value_kind:     hidden_remainder_y
      - .offset:         46
        .size:           2
        .value_kind:     hidden_remainder_z
      - .offset:         64
        .size:           8
        .value_kind:     hidden_global_offset_x
      - .offset:         72
        .size:           8
        .value_kind:     hidden_global_offset_y
      - .offset:         80
        .size:           8
        .value_kind:     hidden_global_offset_z
      - .offset:         88
        .size:           2
        .value_kind:     hidden_grid_dims
      - .offset:         144
        .size:           4
        .value_kind:     hidden_dynamic_lds_size
    .group_segment_fixed_size: 0
    .kernarg_segment_align: 8
    .kernarg_segment_size: 280
    .language:       OpenCL C
    .language_version:
      - 2
      - 0
    .max_flat_workgroup_size: 1024
    .name:           _ZN2at6native12_GLOBAL__N_122cunn_SoftMaxForwardRegIN3c108BFloat16EfS4_NS1_25LogSoftMaxForwardEpilogueElLi3EEEvPT1_PKT_T3_
    .private_segment_fixed_size: 0
    .sgpr_count:     18
    .sgpr_spill_count: 0
    .symbol:         _ZN2at6native12_GLOBAL__N_122cunn_SoftMaxForwardRegIN3c108BFloat16EfS4_NS1_25LogSoftMaxForwardEpilogueElLi3EEEvPT1_PKT_T3_.kd
    .uniform_work_group_size: 1
    .uses_dynamic_stack: false
    .vgpr_count:     21
    .vgpr_spill_count: 0
    .wavefront_size: 32
    .workgroup_processor_mode: 1
  - .args:
      - .address_space:  global
        .offset:         0
        .size:           8
        .value_kind:     global_buffer
      - .address_space:  global
        .offset:         8
        .size:           8
        .value_kind:     global_buffer
      - .offset:         16
        .size:           8
        .value_kind:     by_value
      - .offset:         24
        .size:           4
        .value_kind:     hidden_block_count_x
      - .offset:         28
        .size:           4
        .value_kind:     hidden_block_count_y
      - .offset:         32
        .size:           4
        .value_kind:     hidden_block_count_z
      - .offset:         36
        .size:           2
        .value_kind:     hidden_group_size_x
      - .offset:         38
        .size:           2
        .value_kind:     hidden_group_size_y
      - .offset:         40
        .size:           2
        .value_kind:     hidden_group_size_z
      - .offset:         42
        .size:           2
        .value_kind:     hidden_remainder_x
      - .offset:         44
        .size:           2
        .value_kind:     hidden_remainder_y
      - .offset:         46
        .size:           2
        .value_kind:     hidden_remainder_z
      - .offset:         64
        .size:           8
        .value_kind:     hidden_global_offset_x
      - .offset:         72
        .size:           8
        .value_kind:     hidden_global_offset_y
      - .offset:         80
        .size:           8
        .value_kind:     hidden_global_offset_z
      - .offset:         88
        .size:           2
        .value_kind:     hidden_grid_dims
      - .offset:         144
        .size:           4
        .value_kind:     hidden_dynamic_lds_size
    .group_segment_fixed_size: 0
    .kernarg_segment_align: 8
    .kernarg_segment_size: 280
    .language:       OpenCL C
    .language_version:
      - 2
      - 0
    .max_flat_workgroup_size: 1024
    .name:           _ZN2at6native12_GLOBAL__N_122cunn_SoftMaxForwardRegIN3c108BFloat16EfS4_NS1_25LogSoftMaxForwardEpilogueElLi4EEEvPT1_PKT_T3_
    .private_segment_fixed_size: 0
    .sgpr_count:     18
    .sgpr_spill_count: 0
    .symbol:         _ZN2at6native12_GLOBAL__N_122cunn_SoftMaxForwardRegIN3c108BFloat16EfS4_NS1_25LogSoftMaxForwardEpilogueElLi4EEEvPT1_PKT_T3_.kd
    .uniform_work_group_size: 1
    .uses_dynamic_stack: false
    .vgpr_count:     20
    .vgpr_spill_count: 0
    .wavefront_size: 32
    .workgroup_processor_mode: 1
  - .args:
      - .address_space:  global
        .offset:         0
        .size:           8
        .value_kind:     global_buffer
      - .address_space:  global
        .offset:         8
        .size:           8
        .value_kind:     global_buffer
      - .offset:         16
        .size:           8
        .value_kind:     by_value
      - .offset:         24
        .size:           4
        .value_kind:     hidden_block_count_x
      - .offset:         28
        .size:           4
        .value_kind:     hidden_block_count_y
      - .offset:         32
        .size:           4
        .value_kind:     hidden_block_count_z
      - .offset:         36
        .size:           2
        .value_kind:     hidden_group_size_x
      - .offset:         38
        .size:           2
        .value_kind:     hidden_group_size_y
      - .offset:         40
        .size:           2
        .value_kind:     hidden_group_size_z
      - .offset:         42
        .size:           2
        .value_kind:     hidden_remainder_x
      - .offset:         44
        .size:           2
        .value_kind:     hidden_remainder_y
      - .offset:         46
        .size:           2
        .value_kind:     hidden_remainder_z
      - .offset:         64
        .size:           8
        .value_kind:     hidden_global_offset_x
      - .offset:         72
        .size:           8
        .value_kind:     hidden_global_offset_y
      - .offset:         80
        .size:           8
        .value_kind:     hidden_global_offset_z
      - .offset:         88
        .size:           2
        .value_kind:     hidden_grid_dims
      - .offset:         144
        .size:           4
        .value_kind:     hidden_dynamic_lds_size
    .group_segment_fixed_size: 0
    .kernarg_segment_align: 8
    .kernarg_segment_size: 280
    .language:       OpenCL C
    .language_version:
      - 2
      - 0
    .max_flat_workgroup_size: 1024
    .name:           _ZN2at6native12_GLOBAL__N_122cunn_SoftMaxForwardRegIN3c108BFloat16EfS4_NS1_25LogSoftMaxForwardEpilogueElLi5EEEvPT1_PKT_T3_
    .private_segment_fixed_size: 0
    .sgpr_count:     22
    .sgpr_spill_count: 0
    .symbol:         _ZN2at6native12_GLOBAL__N_122cunn_SoftMaxForwardRegIN3c108BFloat16EfS4_NS1_25LogSoftMaxForwardEpilogueElLi5EEEvPT1_PKT_T3_.kd
    .uniform_work_group_size: 1
    .uses_dynamic_stack: false
    .vgpr_count:     22
    .vgpr_spill_count: 0
    .wavefront_size: 32
    .workgroup_processor_mode: 1
  - .args:
      - .address_space:  global
        .offset:         0
        .size:           8
        .value_kind:     global_buffer
      - .address_space:  global
        .offset:         8
        .size:           8
        .value_kind:     global_buffer
      - .offset:         16
        .size:           8
        .value_kind:     by_value
      - .offset:         24
        .size:           4
        .value_kind:     hidden_block_count_x
      - .offset:         28
        .size:           4
        .value_kind:     hidden_block_count_y
      - .offset:         32
        .size:           4
        .value_kind:     hidden_block_count_z
      - .offset:         36
        .size:           2
        .value_kind:     hidden_group_size_x
      - .offset:         38
        .size:           2
        .value_kind:     hidden_group_size_y
      - .offset:         40
        .size:           2
        .value_kind:     hidden_group_size_z
      - .offset:         42
        .size:           2
        .value_kind:     hidden_remainder_x
      - .offset:         44
        .size:           2
        .value_kind:     hidden_remainder_y
      - .offset:         46
        .size:           2
        .value_kind:     hidden_remainder_z
      - .offset:         64
        .size:           8
        .value_kind:     hidden_global_offset_x
      - .offset:         72
        .size:           8
        .value_kind:     hidden_global_offset_y
      - .offset:         80
        .size:           8
        .value_kind:     hidden_global_offset_z
      - .offset:         88
        .size:           2
        .value_kind:     hidden_grid_dims
      - .offset:         144
        .size:           4
        .value_kind:     hidden_dynamic_lds_size
    .group_segment_fixed_size: 0
    .kernarg_segment_align: 8
    .kernarg_segment_size: 280
    .language:       OpenCL C
    .language_version:
      - 2
      - 0
    .max_flat_workgroup_size: 1024
    .name:           _ZN2at6native12_GLOBAL__N_122cunn_SoftMaxForwardRegIN3c108BFloat16EfS4_NS1_25LogSoftMaxForwardEpilogueElLi6EEEvPT1_PKT_T3_
    .private_segment_fixed_size: 0
    .sgpr_count:     22
    .sgpr_spill_count: 0
    .symbol:         _ZN2at6native12_GLOBAL__N_122cunn_SoftMaxForwardRegIN3c108BFloat16EfS4_NS1_25LogSoftMaxForwardEpilogueElLi6EEEvPT1_PKT_T3_.kd
    .uniform_work_group_size: 1
    .uses_dynamic_stack: false
    .vgpr_count:     24
    .vgpr_spill_count: 0
    .wavefront_size: 32
    .workgroup_processor_mode: 1
  - .args:
      - .address_space:  global
        .offset:         0
        .size:           8
        .value_kind:     global_buffer
      - .address_space:  global
        .offset:         8
        .size:           8
        .value_kind:     global_buffer
      - .offset:         16
        .size:           8
        .value_kind:     by_value
      - .offset:         24
        .size:           4
        .value_kind:     hidden_block_count_x
      - .offset:         28
        .size:           4
        .value_kind:     hidden_block_count_y
      - .offset:         32
        .size:           4
        .value_kind:     hidden_block_count_z
      - .offset:         36
        .size:           2
        .value_kind:     hidden_group_size_x
      - .offset:         38
        .size:           2
        .value_kind:     hidden_group_size_y
      - .offset:         40
        .size:           2
        .value_kind:     hidden_group_size_z
      - .offset:         42
        .size:           2
        .value_kind:     hidden_remainder_x
      - .offset:         44
        .size:           2
        .value_kind:     hidden_remainder_y
      - .offset:         46
        .size:           2
        .value_kind:     hidden_remainder_z
      - .offset:         64
        .size:           8
        .value_kind:     hidden_global_offset_x
      - .offset:         72
        .size:           8
        .value_kind:     hidden_global_offset_y
      - .offset:         80
        .size:           8
        .value_kind:     hidden_global_offset_z
      - .offset:         88
        .size:           2
        .value_kind:     hidden_grid_dims
      - .offset:         144
        .size:           4
        .value_kind:     hidden_dynamic_lds_size
    .group_segment_fixed_size: 0
    .kernarg_segment_align: 8
    .kernarg_segment_size: 280
    .language:       OpenCL C
    .language_version:
      - 2
      - 0
    .max_flat_workgroup_size: 1024
    .name:           _ZN2at6native12_GLOBAL__N_122cunn_SoftMaxForwardRegIN3c108BFloat16EfS4_NS1_25LogSoftMaxForwardEpilogueElLi7EEEvPT1_PKT_T3_
    .private_segment_fixed_size: 0
    .sgpr_count:     22
    .sgpr_spill_count: 0
    .symbol:         _ZN2at6native12_GLOBAL__N_122cunn_SoftMaxForwardRegIN3c108BFloat16EfS4_NS1_25LogSoftMaxForwardEpilogueElLi7EEEvPT1_PKT_T3_.kd
    .uniform_work_group_size: 1
    .uses_dynamic_stack: false
    .vgpr_count:     26
    .vgpr_spill_count: 0
    .wavefront_size: 32
    .workgroup_processor_mode: 1
  - .args:
      - .address_space:  global
        .offset:         0
        .size:           8
        .value_kind:     global_buffer
      - .address_space:  global
        .offset:         8
        .size:           8
        .value_kind:     global_buffer
      - .offset:         16
        .size:           8
        .value_kind:     by_value
      - .offset:         24
        .size:           4
        .value_kind:     hidden_block_count_x
      - .offset:         28
        .size:           4
        .value_kind:     hidden_block_count_y
      - .offset:         32
        .size:           4
        .value_kind:     hidden_block_count_z
      - .offset:         36
        .size:           2
        .value_kind:     hidden_group_size_x
      - .offset:         38
        .size:           2
        .value_kind:     hidden_group_size_y
      - .offset:         40
        .size:           2
        .value_kind:     hidden_group_size_z
      - .offset:         42
        .size:           2
        .value_kind:     hidden_remainder_x
      - .offset:         44
        .size:           2
        .value_kind:     hidden_remainder_y
      - .offset:         46
        .size:           2
        .value_kind:     hidden_remainder_z
      - .offset:         64
        .size:           8
        .value_kind:     hidden_global_offset_x
      - .offset:         72
        .size:           8
        .value_kind:     hidden_global_offset_y
      - .offset:         80
        .size:           8
        .value_kind:     hidden_global_offset_z
      - .offset:         88
        .size:           2
        .value_kind:     hidden_grid_dims
      - .offset:         144
        .size:           4
        .value_kind:     hidden_dynamic_lds_size
    .group_segment_fixed_size: 0
    .kernarg_segment_align: 8
    .kernarg_segment_size: 280
    .language:       OpenCL C
    .language_version:
      - 2
      - 0
    .max_flat_workgroup_size: 1024
    .name:           _ZN2at6native12_GLOBAL__N_122cunn_SoftMaxForwardRegIN3c108BFloat16EfS4_NS1_25LogSoftMaxForwardEpilogueElLi8EEEvPT1_PKT_T3_
    .private_segment_fixed_size: 0
    .sgpr_count:     22
    .sgpr_spill_count: 0
    .symbol:         _ZN2at6native12_GLOBAL__N_122cunn_SoftMaxForwardRegIN3c108BFloat16EfS4_NS1_25LogSoftMaxForwardEpilogueElLi8EEEvPT1_PKT_T3_.kd
    .uniform_work_group_size: 1
    .uses_dynamic_stack: false
    .vgpr_count:     28
    .vgpr_spill_count: 0
    .wavefront_size: 32
    .workgroup_processor_mode: 1
  - .args:
      - .address_space:  global
        .offset:         0
        .size:           8
        .value_kind:     global_buffer
      - .address_space:  global
        .offset:         8
        .size:           8
        .value_kind:     global_buffer
      - .offset:         16
        .size:           8
        .value_kind:     by_value
      - .offset:         24
        .size:           4
        .value_kind:     hidden_block_count_x
      - .offset:         28
        .size:           4
        .value_kind:     hidden_block_count_y
      - .offset:         32
        .size:           4
        .value_kind:     hidden_block_count_z
      - .offset:         36
        .size:           2
        .value_kind:     hidden_group_size_x
      - .offset:         38
        .size:           2
        .value_kind:     hidden_group_size_y
      - .offset:         40
        .size:           2
        .value_kind:     hidden_group_size_z
      - .offset:         42
        .size:           2
        .value_kind:     hidden_remainder_x
      - .offset:         44
        .size:           2
        .value_kind:     hidden_remainder_y
      - .offset:         46
        .size:           2
        .value_kind:     hidden_remainder_z
      - .offset:         64
        .size:           8
        .value_kind:     hidden_global_offset_x
      - .offset:         72
        .size:           8
        .value_kind:     hidden_global_offset_y
      - .offset:         80
        .size:           8
        .value_kind:     hidden_global_offset_z
      - .offset:         88
        .size:           2
        .value_kind:     hidden_grid_dims
      - .offset:         144
        .size:           4
        .value_kind:     hidden_dynamic_lds_size
    .group_segment_fixed_size: 0
    .kernarg_segment_align: 8
    .kernarg_segment_size: 280
    .language:       OpenCL C
    .language_version:
      - 2
      - 0
    .max_flat_workgroup_size: 1024
    .name:           _ZN2at6native12_GLOBAL__N_122cunn_SoftMaxForwardRegIN3c108BFloat16EfS4_NS1_25LogSoftMaxForwardEpilogueElLi9EEEvPT1_PKT_T3_
    .private_segment_fixed_size: 0
    .sgpr_count:     22
    .sgpr_spill_count: 0
    .symbol:         _ZN2at6native12_GLOBAL__N_122cunn_SoftMaxForwardRegIN3c108BFloat16EfS4_NS1_25LogSoftMaxForwardEpilogueElLi9EEEvPT1_PKT_T3_.kd
    .uniform_work_group_size: 1
    .uses_dynamic_stack: false
    .vgpr_count:     30
    .vgpr_spill_count: 0
    .wavefront_size: 32
    .workgroup_processor_mode: 1
  - .args:
      - .address_space:  global
        .offset:         0
        .size:           8
        .value_kind:     global_buffer
      - .address_space:  global
        .offset:         8
        .size:           8
        .value_kind:     global_buffer
      - .offset:         16
        .size:           8
        .value_kind:     by_value
      - .offset:         24
        .size:           4
        .value_kind:     hidden_block_count_x
      - .offset:         28
        .size:           4
        .value_kind:     hidden_block_count_y
      - .offset:         32
        .size:           4
        .value_kind:     hidden_block_count_z
      - .offset:         36
        .size:           2
        .value_kind:     hidden_group_size_x
      - .offset:         38
        .size:           2
        .value_kind:     hidden_group_size_y
      - .offset:         40
        .size:           2
        .value_kind:     hidden_group_size_z
      - .offset:         42
        .size:           2
        .value_kind:     hidden_remainder_x
      - .offset:         44
        .size:           2
        .value_kind:     hidden_remainder_y
      - .offset:         46
        .size:           2
        .value_kind:     hidden_remainder_z
      - .offset:         64
        .size:           8
        .value_kind:     hidden_global_offset_x
      - .offset:         72
        .size:           8
        .value_kind:     hidden_global_offset_y
      - .offset:         80
        .size:           8
        .value_kind:     hidden_global_offset_z
      - .offset:         88
        .size:           2
        .value_kind:     hidden_grid_dims
      - .offset:         144
        .size:           4
        .value_kind:     hidden_dynamic_lds_size
    .group_segment_fixed_size: 0
    .kernarg_segment_align: 8
    .kernarg_segment_size: 280
    .language:       OpenCL C
    .language_version:
      - 2
      - 0
    .max_flat_workgroup_size: 1024
    .name:           _ZN2at6native12_GLOBAL__N_123cunn_SoftMaxForwardSmemILi8EN3c108BFloat16EfS4_NS1_25LogSoftMaxForwardEpilogueElEEvPT2_PKT0_T4_
    .private_segment_fixed_size: 0
    .sgpr_count:     19
    .sgpr_spill_count: 0
    .symbol:         _ZN2at6native12_GLOBAL__N_123cunn_SoftMaxForwardSmemILi8EN3c108BFloat16EfS4_NS1_25LogSoftMaxForwardEpilogueElEEvPT2_PKT0_T4_.kd
    .uniform_work_group_size: 1
    .uses_dynamic_stack: false
    .vgpr_count:     49
    .vgpr_spill_count: 0
    .wavefront_size: 32
    .workgroup_processor_mode: 1
  - .args:
      - .address_space:  global
        .offset:         0
        .size:           8
        .value_kind:     global_buffer
      - .address_space:  global
        .offset:         8
        .size:           8
        .value_kind:     global_buffer
      - .offset:         16
        .size:           4
        .value_kind:     by_value
      - .offset:         24
        .size:           4
        .value_kind:     hidden_block_count_x
      - .offset:         28
        .size:           4
        .value_kind:     hidden_block_count_y
      - .offset:         32
        .size:           4
        .value_kind:     hidden_block_count_z
      - .offset:         36
        .size:           2
        .value_kind:     hidden_group_size_x
      - .offset:         38
        .size:           2
        .value_kind:     hidden_group_size_y
      - .offset:         40
        .size:           2
        .value_kind:     hidden_group_size_z
      - .offset:         42
        .size:           2
        .value_kind:     hidden_remainder_x
      - .offset:         44
        .size:           2
        .value_kind:     hidden_remainder_y
      - .offset:         46
        .size:           2
        .value_kind:     hidden_remainder_z
      - .offset:         64
        .size:           8
        .value_kind:     hidden_global_offset_x
      - .offset:         72
        .size:           8
        .value_kind:     hidden_global_offset_y
      - .offset:         80
        .size:           8
        .value_kind:     hidden_global_offset_z
      - .offset:         88
        .size:           2
        .value_kind:     hidden_grid_dims
      - .offset:         144
        .size:           4
        .value_kind:     hidden_dynamic_lds_size
    .group_segment_fixed_size: 0
    .kernarg_segment_align: 8
    .kernarg_segment_size: 280
    .language:       OpenCL C
    .language_version:
      - 2
      - 0
    .max_flat_workgroup_size: 1024
    .name:           _ZN2at6native12_GLOBAL__N_119cunn_SoftMaxForwardILi8EN3c108BFloat16EfS4_NS1_25LogSoftMaxForwardEpilogueEEEvPT2_PKT0_i
    .private_segment_fixed_size: 0
    .sgpr_count:     23
    .sgpr_spill_count: 0
    .symbol:         _ZN2at6native12_GLOBAL__N_119cunn_SoftMaxForwardILi8EN3c108BFloat16EfS4_NS1_25LogSoftMaxForwardEpilogueEEEvPT2_PKT0_i.kd
    .uniform_work_group_size: 1
    .uses_dynamic_stack: false
    .vgpr_count:     46
    .vgpr_spill_count: 0
    .wavefront_size: 32
    .workgroup_processor_mode: 1
  - .args:
      - .address_space:  global
        .offset:         0
        .size:           8
        .value_kind:     global_buffer
      - .address_space:  global
        .offset:         8
        .size:           8
        .value_kind:     global_buffer
      - .offset:         16
        .size:           4
        .value_kind:     by_value
      - .offset:         20
        .size:           4
        .value_kind:     by_value
      - .offset:         24
        .size:           4
        .value_kind:     by_value
      - .address_space:  global
        .offset:         32
        .size:           8
        .value_kind:     global_buffer
      - .offset:         40
        .size:           4
        .value_kind:     by_value
      - .offset:         44
        .size:           1
        .value_kind:     by_value
      - .offset:         48
        .size:           4
        .value_kind:     hidden_block_count_x
      - .offset:         52
        .size:           4
        .value_kind:     hidden_block_count_y
      - .offset:         56
        .size:           4
        .value_kind:     hidden_block_count_z
      - .offset:         60
        .size:           2
        .value_kind:     hidden_group_size_x
      - .offset:         62
        .size:           2
        .value_kind:     hidden_group_size_y
      - .offset:         64
        .size:           2
        .value_kind:     hidden_group_size_z
      - .offset:         66
        .size:           2
        .value_kind:     hidden_remainder_x
      - .offset:         68
        .size:           2
        .value_kind:     hidden_remainder_y
      - .offset:         70
        .size:           2
        .value_kind:     hidden_remainder_z
      - .offset:         88
        .size:           8
        .value_kind:     hidden_global_offset_x
      - .offset:         96
        .size:           8
        .value_kind:     hidden_global_offset_y
      - .offset:         104
        .size:           8
        .value_kind:     hidden_global_offset_z
      - .offset:         112
        .size:           2
        .value_kind:     hidden_grid_dims
    .group_segment_fixed_size: 0
    .kernarg_segment_align: 8
    .kernarg_segment_size: 304
    .language:       OpenCL C
    .language_version:
      - 2
      - 0
    .max_flat_workgroup_size: 1024
    .name:           _ZN12_GLOBAL__N_120softmax_warp_forwardIN3c108BFloat16EffLi0ELb1ELb0ELi64EEEvPT0_PKT_iiiPKbib
    .private_segment_fixed_size: 0
    .sgpr_count:     18
    .sgpr_spill_count: 0
    .symbol:         _ZN12_GLOBAL__N_120softmax_warp_forwardIN3c108BFloat16EffLi0ELb1ELb0ELi64EEEvPT0_PKT_iiiPKbib.kd
    .uniform_work_group_size: 1
    .uses_dynamic_stack: false
    .vgpr_count:     8
    .vgpr_spill_count: 0
    .wavefront_size: 32
    .workgroup_processor_mode: 1
  - .args:
      - .address_space:  global
        .offset:         0
        .size:           8
        .value_kind:     global_buffer
      - .address_space:  global
        .offset:         8
        .size:           8
        .value_kind:     global_buffer
      - .offset:         16
        .size:           4
        .value_kind:     by_value
      - .offset:         20
        .size:           4
        .value_kind:     by_value
      - .offset:         24
        .size:           4
        .value_kind:     by_value
      - .address_space:  global
        .offset:         32
        .size:           8
        .value_kind:     global_buffer
      - .offset:         40
        .size:           4
        .value_kind:     by_value
      - .offset:         44
        .size:           1
        .value_kind:     by_value
      - .offset:         48
        .size:           4
        .value_kind:     hidden_block_count_x
      - .offset:         52
        .size:           4
        .value_kind:     hidden_block_count_y
      - .offset:         56
        .size:           4
        .value_kind:     hidden_block_count_z
      - .offset:         60
        .size:           2
        .value_kind:     hidden_group_size_x
      - .offset:         62
        .size:           2
        .value_kind:     hidden_group_size_y
      - .offset:         64
        .size:           2
        .value_kind:     hidden_group_size_z
      - .offset:         66
        .size:           2
        .value_kind:     hidden_remainder_x
      - .offset:         68
        .size:           2
        .value_kind:     hidden_remainder_y
      - .offset:         70
        .size:           2
        .value_kind:     hidden_remainder_z
      - .offset:         88
        .size:           8
        .value_kind:     hidden_global_offset_x
      - .offset:         96
        .size:           8
        .value_kind:     hidden_global_offset_y
      - .offset:         104
        .size:           8
        .value_kind:     hidden_global_offset_z
      - .offset:         112
        .size:           2
        .value_kind:     hidden_grid_dims
    .group_segment_fixed_size: 0
    .kernarg_segment_align: 8
    .kernarg_segment_size: 304
    .language:       OpenCL C
    .language_version:
      - 2
      - 0
    .max_flat_workgroup_size: 1024
    .name:           _ZN12_GLOBAL__N_120softmax_warp_forwardIN3c108BFloat16EffLi0ELb1ELb0ELi32EEEvPT0_PKT_iiiPKbib
    .private_segment_fixed_size: 0
    .sgpr_count:     18
    .sgpr_spill_count: 0
    .symbol:         _ZN12_GLOBAL__N_120softmax_warp_forwardIN3c108BFloat16EffLi0ELb1ELb0ELi32EEEvPT0_PKT_iiiPKbib.kd
    .uniform_work_group_size: 1
    .uses_dynamic_stack: false
    .vgpr_count:     8
    .vgpr_spill_count: 0
    .wavefront_size: 32
    .workgroup_processor_mode: 1
  - .args:
      - .address_space:  global
        .offset:         0
        .size:           8
        .value_kind:     global_buffer
      - .address_space:  global
        .offset:         8
        .size:           8
        .value_kind:     global_buffer
      - .offset:         16
        .size:           4
        .value_kind:     by_value
      - .offset:         20
        .size:           4
        .value_kind:     by_value
      - .offset:         24
        .size:           4
        .value_kind:     by_value
      - .address_space:  global
        .offset:         32
        .size:           8
        .value_kind:     global_buffer
      - .offset:         40
        .size:           4
        .value_kind:     by_value
      - .offset:         44
        .size:           1
        .value_kind:     by_value
      - .offset:         48
        .size:           4
        .value_kind:     hidden_block_count_x
      - .offset:         52
        .size:           4
        .value_kind:     hidden_block_count_y
      - .offset:         56
        .size:           4
        .value_kind:     hidden_block_count_z
      - .offset:         60
        .size:           2
        .value_kind:     hidden_group_size_x
      - .offset:         62
        .size:           2
        .value_kind:     hidden_group_size_y
      - .offset:         64
        .size:           2
        .value_kind:     hidden_group_size_z
      - .offset:         66
        .size:           2
        .value_kind:     hidden_remainder_x
      - .offset:         68
        .size:           2
        .value_kind:     hidden_remainder_y
      - .offset:         70
        .size:           2
        .value_kind:     hidden_remainder_z
      - .offset:         88
        .size:           8
        .value_kind:     hidden_global_offset_x
      - .offset:         96
        .size:           8
        .value_kind:     hidden_global_offset_y
      - .offset:         104
        .size:           8
        .value_kind:     hidden_global_offset_z
      - .offset:         112
        .size:           2
        .value_kind:     hidden_grid_dims
    .group_segment_fixed_size: 0
    .kernarg_segment_align: 8
    .kernarg_segment_size: 304
    .language:       OpenCL C
    .language_version:
      - 2
      - 0
    .max_flat_workgroup_size: 1024
    .name:           _ZN12_GLOBAL__N_120softmax_warp_forwardIN3c108BFloat16EffLi1ELb1ELb0ELi64EEEvPT0_PKT_iiiPKbib
    .private_segment_fixed_size: 0
    .sgpr_count:     18
    .sgpr_spill_count: 0
    .symbol:         _ZN12_GLOBAL__N_120softmax_warp_forwardIN3c108BFloat16EffLi1ELb1ELb0ELi64EEEvPT0_PKT_iiiPKbib.kd
    .uniform_work_group_size: 1
    .uses_dynamic_stack: false
    .vgpr_count:     12
    .vgpr_spill_count: 0
    .wavefront_size: 32
    .workgroup_processor_mode: 1
  - .args:
      - .address_space:  global
        .offset:         0
        .size:           8
        .value_kind:     global_buffer
      - .address_space:  global
        .offset:         8
        .size:           8
        .value_kind:     global_buffer
      - .offset:         16
        .size:           4
        .value_kind:     by_value
      - .offset:         20
        .size:           4
        .value_kind:     by_value
      - .offset:         24
        .size:           4
        .value_kind:     by_value
      - .address_space:  global
        .offset:         32
        .size:           8
        .value_kind:     global_buffer
      - .offset:         40
        .size:           4
        .value_kind:     by_value
      - .offset:         44
        .size:           1
        .value_kind:     by_value
      - .offset:         48
        .size:           4
        .value_kind:     hidden_block_count_x
      - .offset:         52
        .size:           4
        .value_kind:     hidden_block_count_y
      - .offset:         56
        .size:           4
        .value_kind:     hidden_block_count_z
      - .offset:         60
        .size:           2
        .value_kind:     hidden_group_size_x
      - .offset:         62
        .size:           2
        .value_kind:     hidden_group_size_y
      - .offset:         64
        .size:           2
        .value_kind:     hidden_group_size_z
      - .offset:         66
        .size:           2
        .value_kind:     hidden_remainder_x
      - .offset:         68
        .size:           2
        .value_kind:     hidden_remainder_y
      - .offset:         70
        .size:           2
        .value_kind:     hidden_remainder_z
      - .offset:         88
        .size:           8
        .value_kind:     hidden_global_offset_x
      - .offset:         96
        .size:           8
        .value_kind:     hidden_global_offset_y
      - .offset:         104
        .size:           8
        .value_kind:     hidden_global_offset_z
      - .offset:         112
        .size:           2
        .value_kind:     hidden_grid_dims
    .group_segment_fixed_size: 0
    .kernarg_segment_align: 8
    .kernarg_segment_size: 304
    .language:       OpenCL C
    .language_version:
      - 2
      - 0
    .max_flat_workgroup_size: 1024
    .name:           _ZN12_GLOBAL__N_120softmax_warp_forwardIN3c108BFloat16EffLi1ELb1ELb0ELi32EEEvPT0_PKT_iiiPKbib
    .private_segment_fixed_size: 0
    .sgpr_count:     18
    .sgpr_spill_count: 0
    .symbol:         _ZN12_GLOBAL__N_120softmax_warp_forwardIN3c108BFloat16EffLi1ELb1ELb0ELi32EEEvPT0_PKT_iiiPKbib.kd
    .uniform_work_group_size: 1
    .uses_dynamic_stack: false
    .vgpr_count:     12
    .vgpr_spill_count: 0
    .wavefront_size: 32
    .workgroup_processor_mode: 1
  - .args:
      - .address_space:  global
        .offset:         0
        .size:           8
        .value_kind:     global_buffer
      - .address_space:  global
        .offset:         8
        .size:           8
        .value_kind:     global_buffer
      - .offset:         16
        .size:           4
        .value_kind:     by_value
      - .offset:         20
        .size:           4
        .value_kind:     by_value
      - .offset:         24
        .size:           4
        .value_kind:     by_value
      - .address_space:  global
        .offset:         32
        .size:           8
        .value_kind:     global_buffer
      - .offset:         40
        .size:           4
        .value_kind:     by_value
      - .offset:         44
        .size:           1
        .value_kind:     by_value
      - .offset:         48
        .size:           4
        .value_kind:     hidden_block_count_x
      - .offset:         52
        .size:           4
        .value_kind:     hidden_block_count_y
      - .offset:         56
        .size:           4
        .value_kind:     hidden_block_count_z
      - .offset:         60
        .size:           2
        .value_kind:     hidden_group_size_x
      - .offset:         62
        .size:           2
        .value_kind:     hidden_group_size_y
      - .offset:         64
        .size:           2
        .value_kind:     hidden_group_size_z
      - .offset:         66
        .size:           2
        .value_kind:     hidden_remainder_x
      - .offset:         68
        .size:           2
        .value_kind:     hidden_remainder_y
      - .offset:         70
        .size:           2
        .value_kind:     hidden_remainder_z
      - .offset:         88
        .size:           8
        .value_kind:     hidden_global_offset_x
      - .offset:         96
        .size:           8
        .value_kind:     hidden_global_offset_y
      - .offset:         104
        .size:           8
        .value_kind:     hidden_global_offset_z
      - .offset:         112
        .size:           2
        .value_kind:     hidden_grid_dims
    .group_segment_fixed_size: 0
    .kernarg_segment_align: 8
    .kernarg_segment_size: 304
    .language:       OpenCL C
    .language_version:
      - 2
      - 0
    .max_flat_workgroup_size: 1024
    .name:           _ZN12_GLOBAL__N_120softmax_warp_forwardIN3c108BFloat16EffLi2ELb1ELb0ELi64EEEvPT0_PKT_iiiPKbib
    .private_segment_fixed_size: 0
    .sgpr_count:     18
    .sgpr_spill_count: 0
    .symbol:         _ZN12_GLOBAL__N_120softmax_warp_forwardIN3c108BFloat16EffLi2ELb1ELb0ELi64EEEvPT0_PKT_iiiPKbib.kd
    .uniform_work_group_size: 1
    .uses_dynamic_stack: false
    .vgpr_count:     13
    .vgpr_spill_count: 0
    .wavefront_size: 32
    .workgroup_processor_mode: 1
  - .args:
      - .address_space:  global
        .offset:         0
        .size:           8
        .value_kind:     global_buffer
      - .address_space:  global
        .offset:         8
        .size:           8
        .value_kind:     global_buffer
      - .offset:         16
        .size:           4
        .value_kind:     by_value
      - .offset:         20
        .size:           4
        .value_kind:     by_value
      - .offset:         24
        .size:           4
        .value_kind:     by_value
      - .address_space:  global
        .offset:         32
        .size:           8
        .value_kind:     global_buffer
      - .offset:         40
        .size:           4
        .value_kind:     by_value
      - .offset:         44
        .size:           1
        .value_kind:     by_value
      - .offset:         48
        .size:           4
        .value_kind:     hidden_block_count_x
      - .offset:         52
        .size:           4
        .value_kind:     hidden_block_count_y
      - .offset:         56
        .size:           4
        .value_kind:     hidden_block_count_z
      - .offset:         60
        .size:           2
        .value_kind:     hidden_group_size_x
      - .offset:         62
        .size:           2
        .value_kind:     hidden_group_size_y
      - .offset:         64
        .size:           2
        .value_kind:     hidden_group_size_z
      - .offset:         66
        .size:           2
        .value_kind:     hidden_remainder_x
      - .offset:         68
        .size:           2
        .value_kind:     hidden_remainder_y
      - .offset:         70
        .size:           2
        .value_kind:     hidden_remainder_z
      - .offset:         88
        .size:           8
        .value_kind:     hidden_global_offset_x
      - .offset:         96
        .size:           8
        .value_kind:     hidden_global_offset_y
      - .offset:         104
        .size:           8
        .value_kind:     hidden_global_offset_z
      - .offset:         112
        .size:           2
        .value_kind:     hidden_grid_dims
    .group_segment_fixed_size: 0
    .kernarg_segment_align: 8
    .kernarg_segment_size: 304
    .language:       OpenCL C
    .language_version:
      - 2
      - 0
    .max_flat_workgroup_size: 1024
    .name:           _ZN12_GLOBAL__N_120softmax_warp_forwardIN3c108BFloat16EffLi2ELb1ELb0ELi32EEEvPT0_PKT_iiiPKbib
    .private_segment_fixed_size: 0
    .sgpr_count:     18
    .sgpr_spill_count: 0
    .symbol:         _ZN12_GLOBAL__N_120softmax_warp_forwardIN3c108BFloat16EffLi2ELb1ELb0ELi32EEEvPT0_PKT_iiiPKbib.kd
    .uniform_work_group_size: 1
    .uses_dynamic_stack: false
    .vgpr_count:     13
    .vgpr_spill_count: 0
    .wavefront_size: 32
    .workgroup_processor_mode: 1
  - .args:
      - .address_space:  global
        .offset:         0
        .size:           8
        .value_kind:     global_buffer
      - .address_space:  global
        .offset:         8
        .size:           8
        .value_kind:     global_buffer
      - .offset:         16
        .size:           4
        .value_kind:     by_value
      - .offset:         20
        .size:           4
        .value_kind:     by_value
      - .offset:         24
        .size:           4
        .value_kind:     by_value
      - .address_space:  global
        .offset:         32
        .size:           8
        .value_kind:     global_buffer
      - .offset:         40
        .size:           4
        .value_kind:     by_value
      - .offset:         44
        .size:           1
        .value_kind:     by_value
      - .offset:         48
        .size:           4
        .value_kind:     hidden_block_count_x
      - .offset:         52
        .size:           4
        .value_kind:     hidden_block_count_y
      - .offset:         56
        .size:           4
        .value_kind:     hidden_block_count_z
      - .offset:         60
        .size:           2
        .value_kind:     hidden_group_size_x
      - .offset:         62
        .size:           2
        .value_kind:     hidden_group_size_y
      - .offset:         64
        .size:           2
        .value_kind:     hidden_group_size_z
      - .offset:         66
        .size:           2
        .value_kind:     hidden_remainder_x
      - .offset:         68
        .size:           2
        .value_kind:     hidden_remainder_y
      - .offset:         70
        .size:           2
        .value_kind:     hidden_remainder_z
      - .offset:         88
        .size:           8
        .value_kind:     hidden_global_offset_x
      - .offset:         96
        .size:           8
        .value_kind:     hidden_global_offset_y
      - .offset:         104
        .size:           8
        .value_kind:     hidden_global_offset_z
      - .offset:         112
        .size:           2
        .value_kind:     hidden_grid_dims
    .group_segment_fixed_size: 0
    .kernarg_segment_align: 8
    .kernarg_segment_size: 304
    .language:       OpenCL C
    .language_version:
      - 2
      - 0
    .max_flat_workgroup_size: 1024
    .name:           _ZN12_GLOBAL__N_120softmax_warp_forwardIN3c108BFloat16EffLi3ELb1ELb0ELi64EEEvPT0_PKT_iiiPKbib
    .private_segment_fixed_size: 0
    .sgpr_count:     18
    .sgpr_spill_count: 0
    .symbol:         _ZN12_GLOBAL__N_120softmax_warp_forwardIN3c108BFloat16EffLi3ELb1ELb0ELi64EEEvPT0_PKT_iiiPKbib.kd
    .uniform_work_group_size: 1
    .uses_dynamic_stack: false
    .vgpr_count:     14
    .vgpr_spill_count: 0
    .wavefront_size: 32
    .workgroup_processor_mode: 1
  - .args:
      - .address_space:  global
        .offset:         0
        .size:           8
        .value_kind:     global_buffer
      - .address_space:  global
        .offset:         8
        .size:           8
        .value_kind:     global_buffer
      - .offset:         16
        .size:           4
        .value_kind:     by_value
      - .offset:         20
        .size:           4
        .value_kind:     by_value
      - .offset:         24
        .size:           4
        .value_kind:     by_value
      - .address_space:  global
        .offset:         32
        .size:           8
        .value_kind:     global_buffer
      - .offset:         40
        .size:           4
        .value_kind:     by_value
      - .offset:         44
        .size:           1
        .value_kind:     by_value
      - .offset:         48
        .size:           4
        .value_kind:     hidden_block_count_x
      - .offset:         52
        .size:           4
        .value_kind:     hidden_block_count_y
      - .offset:         56
        .size:           4
        .value_kind:     hidden_block_count_z
      - .offset:         60
        .size:           2
        .value_kind:     hidden_group_size_x
      - .offset:         62
        .size:           2
        .value_kind:     hidden_group_size_y
      - .offset:         64
        .size:           2
        .value_kind:     hidden_group_size_z
      - .offset:         66
        .size:           2
        .value_kind:     hidden_remainder_x
      - .offset:         68
        .size:           2
        .value_kind:     hidden_remainder_y
      - .offset:         70
        .size:           2
        .value_kind:     hidden_remainder_z
      - .offset:         88
        .size:           8
        .value_kind:     hidden_global_offset_x
      - .offset:         96
        .size:           8
        .value_kind:     hidden_global_offset_y
      - .offset:         104
        .size:           8
        .value_kind:     hidden_global_offset_z
      - .offset:         112
        .size:           2
        .value_kind:     hidden_grid_dims
    .group_segment_fixed_size: 0
    .kernarg_segment_align: 8
    .kernarg_segment_size: 304
    .language:       OpenCL C
    .language_version:
      - 2
      - 0
    .max_flat_workgroup_size: 1024
    .name:           _ZN12_GLOBAL__N_120softmax_warp_forwardIN3c108BFloat16EffLi3ELb1ELb0ELi32EEEvPT0_PKT_iiiPKbib
    .private_segment_fixed_size: 0
    .sgpr_count:     18
    .sgpr_spill_count: 0
    .symbol:         _ZN12_GLOBAL__N_120softmax_warp_forwardIN3c108BFloat16EffLi3ELb1ELb0ELi32EEEvPT0_PKT_iiiPKbib.kd
    .uniform_work_group_size: 1
    .uses_dynamic_stack: false
    .vgpr_count:     14
    .vgpr_spill_count: 0
    .wavefront_size: 32
    .workgroup_processor_mode: 1
  - .args:
      - .address_space:  global
        .offset:         0
        .size:           8
        .value_kind:     global_buffer
      - .address_space:  global
        .offset:         8
        .size:           8
        .value_kind:     global_buffer
      - .offset:         16
        .size:           4
        .value_kind:     by_value
      - .offset:         20
        .size:           4
        .value_kind:     by_value
      - .offset:         24
        .size:           4
        .value_kind:     by_value
      - .address_space:  global
        .offset:         32
        .size:           8
        .value_kind:     global_buffer
      - .offset:         40
        .size:           4
        .value_kind:     by_value
      - .offset:         44
        .size:           1
        .value_kind:     by_value
      - .offset:         48
        .size:           4
        .value_kind:     hidden_block_count_x
      - .offset:         52
        .size:           4
        .value_kind:     hidden_block_count_y
      - .offset:         56
        .size:           4
        .value_kind:     hidden_block_count_z
      - .offset:         60
        .size:           2
        .value_kind:     hidden_group_size_x
      - .offset:         62
        .size:           2
        .value_kind:     hidden_group_size_y
      - .offset:         64
        .size:           2
        .value_kind:     hidden_group_size_z
      - .offset:         66
        .size:           2
        .value_kind:     hidden_remainder_x
      - .offset:         68
        .size:           2
        .value_kind:     hidden_remainder_y
      - .offset:         70
        .size:           2
        .value_kind:     hidden_remainder_z
      - .offset:         88
        .size:           8
        .value_kind:     hidden_global_offset_x
      - .offset:         96
        .size:           8
        .value_kind:     hidden_global_offset_y
      - .offset:         104
        .size:           8
        .value_kind:     hidden_global_offset_z
      - .offset:         112
        .size:           2
        .value_kind:     hidden_grid_dims
    .group_segment_fixed_size: 0
    .kernarg_segment_align: 8
    .kernarg_segment_size: 304
    .language:       OpenCL C
    .language_version:
      - 2
      - 0
    .max_flat_workgroup_size: 1024
    .name:           _ZN12_GLOBAL__N_120softmax_warp_forwardIN3c108BFloat16EffLi4ELb1ELb0ELi64EEEvPT0_PKT_iiiPKbib
    .private_segment_fixed_size: 0
    .sgpr_count:     18
    .sgpr_spill_count: 0
    .symbol:         _ZN12_GLOBAL__N_120softmax_warp_forwardIN3c108BFloat16EffLi4ELb1ELb0ELi64EEEvPT0_PKT_iiiPKbib.kd
    .uniform_work_group_size: 1
    .uses_dynamic_stack: false
    .vgpr_count:     15
    .vgpr_spill_count: 0
    .wavefront_size: 32
    .workgroup_processor_mode: 1
  - .args:
      - .address_space:  global
        .offset:         0
        .size:           8
        .value_kind:     global_buffer
      - .address_space:  global
        .offset:         8
        .size:           8
        .value_kind:     global_buffer
      - .offset:         16
        .size:           4
        .value_kind:     by_value
      - .offset:         20
        .size:           4
        .value_kind:     by_value
      - .offset:         24
        .size:           4
        .value_kind:     by_value
      - .address_space:  global
        .offset:         32
        .size:           8
        .value_kind:     global_buffer
      - .offset:         40
        .size:           4
        .value_kind:     by_value
      - .offset:         44
        .size:           1
        .value_kind:     by_value
      - .offset:         48
        .size:           4
        .value_kind:     hidden_block_count_x
      - .offset:         52
        .size:           4
        .value_kind:     hidden_block_count_y
      - .offset:         56
        .size:           4
        .value_kind:     hidden_block_count_z
      - .offset:         60
        .size:           2
        .value_kind:     hidden_group_size_x
      - .offset:         62
        .size:           2
        .value_kind:     hidden_group_size_y
      - .offset:         64
        .size:           2
        .value_kind:     hidden_group_size_z
      - .offset:         66
        .size:           2
        .value_kind:     hidden_remainder_x
      - .offset:         68
        .size:           2
        .value_kind:     hidden_remainder_y
      - .offset:         70
        .size:           2
        .value_kind:     hidden_remainder_z
      - .offset:         88
        .size:           8
        .value_kind:     hidden_global_offset_x
      - .offset:         96
        .size:           8
        .value_kind:     hidden_global_offset_y
      - .offset:         104
        .size:           8
        .value_kind:     hidden_global_offset_z
      - .offset:         112
        .size:           2
        .value_kind:     hidden_grid_dims
    .group_segment_fixed_size: 0
    .kernarg_segment_align: 8
    .kernarg_segment_size: 304
    .language:       OpenCL C
    .language_version:
      - 2
      - 0
    .max_flat_workgroup_size: 1024
    .name:           _ZN12_GLOBAL__N_120softmax_warp_forwardIN3c108BFloat16EffLi4ELb1ELb0ELi32EEEvPT0_PKT_iiiPKbib
    .private_segment_fixed_size: 0
    .sgpr_count:     18
    .sgpr_spill_count: 0
    .symbol:         _ZN12_GLOBAL__N_120softmax_warp_forwardIN3c108BFloat16EffLi4ELb1ELb0ELi32EEEvPT0_PKT_iiiPKbib.kd
    .uniform_work_group_size: 1
    .uses_dynamic_stack: false
    .vgpr_count:     15
    .vgpr_spill_count: 0
    .wavefront_size: 32
    .workgroup_processor_mode: 1
  - .args:
      - .address_space:  global
        .offset:         0
        .size:           8
        .value_kind:     global_buffer
      - .address_space:  global
        .offset:         8
        .size:           8
        .value_kind:     global_buffer
      - .offset:         16
        .size:           4
        .value_kind:     by_value
      - .offset:         20
        .size:           4
        .value_kind:     by_value
      - .offset:         24
        .size:           4
        .value_kind:     by_value
      - .address_space:  global
        .offset:         32
        .size:           8
        .value_kind:     global_buffer
      - .offset:         40
        .size:           4
        .value_kind:     by_value
      - .offset:         44
        .size:           1
        .value_kind:     by_value
      - .offset:         48
        .size:           4
        .value_kind:     hidden_block_count_x
      - .offset:         52
        .size:           4
        .value_kind:     hidden_block_count_y
      - .offset:         56
        .size:           4
        .value_kind:     hidden_block_count_z
      - .offset:         60
        .size:           2
        .value_kind:     hidden_group_size_x
      - .offset:         62
        .size:           2
        .value_kind:     hidden_group_size_y
      - .offset:         64
        .size:           2
        .value_kind:     hidden_group_size_z
      - .offset:         66
        .size:           2
        .value_kind:     hidden_remainder_x
      - .offset:         68
        .size:           2
        .value_kind:     hidden_remainder_y
      - .offset:         70
        .size:           2
        .value_kind:     hidden_remainder_z
      - .offset:         88
        .size:           8
        .value_kind:     hidden_global_offset_x
      - .offset:         96
        .size:           8
        .value_kind:     hidden_global_offset_y
      - .offset:         104
        .size:           8
        .value_kind:     hidden_global_offset_z
      - .offset:         112
        .size:           2
        .value_kind:     hidden_grid_dims
    .group_segment_fixed_size: 0
    .kernarg_segment_align: 8
    .kernarg_segment_size: 304
    .language:       OpenCL C
    .language_version:
      - 2
      - 0
    .max_flat_workgroup_size: 1024
    .name:           _ZN12_GLOBAL__N_120softmax_warp_forwardIN3c108BFloat16EffLi5ELb1ELb0ELi64EEEvPT0_PKT_iiiPKbib
    .private_segment_fixed_size: 0
    .sgpr_count:     18
    .sgpr_spill_count: 0
    .symbol:         _ZN12_GLOBAL__N_120softmax_warp_forwardIN3c108BFloat16EffLi5ELb1ELb0ELi64EEEvPT0_PKT_iiiPKbib.kd
    .uniform_work_group_size: 1
    .uses_dynamic_stack: false
    .vgpr_count:     16
    .vgpr_spill_count: 0
    .wavefront_size: 32
    .workgroup_processor_mode: 1
  - .args:
      - .address_space:  global
        .offset:         0
        .size:           8
        .value_kind:     global_buffer
      - .address_space:  global
        .offset:         8
        .size:           8
        .value_kind:     global_buffer
      - .offset:         16
        .size:           4
        .value_kind:     by_value
      - .offset:         20
        .size:           4
        .value_kind:     by_value
      - .offset:         24
        .size:           4
        .value_kind:     by_value
      - .address_space:  global
        .offset:         32
        .size:           8
        .value_kind:     global_buffer
      - .offset:         40
        .size:           4
        .value_kind:     by_value
      - .offset:         44
        .size:           1
        .value_kind:     by_value
      - .offset:         48
        .size:           4
        .value_kind:     hidden_block_count_x
      - .offset:         52
        .size:           4
        .value_kind:     hidden_block_count_y
      - .offset:         56
        .size:           4
        .value_kind:     hidden_block_count_z
      - .offset:         60
        .size:           2
        .value_kind:     hidden_group_size_x
      - .offset:         62
        .size:           2
        .value_kind:     hidden_group_size_y
      - .offset:         64
        .size:           2
        .value_kind:     hidden_group_size_z
      - .offset:         66
        .size:           2
        .value_kind:     hidden_remainder_x
      - .offset:         68
        .size:           2
        .value_kind:     hidden_remainder_y
      - .offset:         70
        .size:           2
        .value_kind:     hidden_remainder_z
      - .offset:         88
        .size:           8
        .value_kind:     hidden_global_offset_x
      - .offset:         96
        .size:           8
        .value_kind:     hidden_global_offset_y
      - .offset:         104
        .size:           8
        .value_kind:     hidden_global_offset_z
      - .offset:         112
        .size:           2
        .value_kind:     hidden_grid_dims
    .group_segment_fixed_size: 0
    .kernarg_segment_align: 8
    .kernarg_segment_size: 304
    .language:       OpenCL C
    .language_version:
      - 2
      - 0
    .max_flat_workgroup_size: 1024
    .name:           _ZN12_GLOBAL__N_120softmax_warp_forwardIN3c108BFloat16EffLi5ELb1ELb0ELi32EEEvPT0_PKT_iiiPKbib
    .private_segment_fixed_size: 0
    .sgpr_count:     18
    .sgpr_spill_count: 0
    .symbol:         _ZN12_GLOBAL__N_120softmax_warp_forwardIN3c108BFloat16EffLi5ELb1ELb0ELi32EEEvPT0_PKT_iiiPKbib.kd
    .uniform_work_group_size: 1
    .uses_dynamic_stack: false
    .vgpr_count:     16
    .vgpr_spill_count: 0
    .wavefront_size: 32
    .workgroup_processor_mode: 1
  - .args:
      - .address_space:  global
        .offset:         0
        .size:           8
        .value_kind:     global_buffer
      - .address_space:  global
        .offset:         8
        .size:           8
        .value_kind:     global_buffer
      - .offset:         16
        .size:           4
        .value_kind:     by_value
      - .offset:         20
        .size:           4
        .value_kind:     by_value
      - .offset:         24
        .size:           4
        .value_kind:     by_value
      - .address_space:  global
        .offset:         32
        .size:           8
        .value_kind:     global_buffer
      - .offset:         40
        .size:           4
        .value_kind:     by_value
      - .offset:         44
        .size:           1
        .value_kind:     by_value
      - .offset:         48
        .size:           4
        .value_kind:     hidden_block_count_x
      - .offset:         52
        .size:           4
        .value_kind:     hidden_block_count_y
      - .offset:         56
        .size:           4
        .value_kind:     hidden_block_count_z
      - .offset:         60
        .size:           2
        .value_kind:     hidden_group_size_x
      - .offset:         62
        .size:           2
        .value_kind:     hidden_group_size_y
      - .offset:         64
        .size:           2
        .value_kind:     hidden_group_size_z
      - .offset:         66
        .size:           2
        .value_kind:     hidden_remainder_x
      - .offset:         68
        .size:           2
        .value_kind:     hidden_remainder_y
      - .offset:         70
        .size:           2
        .value_kind:     hidden_remainder_z
      - .offset:         88
        .size:           8
        .value_kind:     hidden_global_offset_x
      - .offset:         96
        .size:           8
        .value_kind:     hidden_global_offset_y
      - .offset:         104
        .size:           8
        .value_kind:     hidden_global_offset_z
      - .offset:         112
        .size:           2
        .value_kind:     hidden_grid_dims
    .group_segment_fixed_size: 0
    .kernarg_segment_align: 8
    .kernarg_segment_size: 304
    .language:       OpenCL C
    .language_version:
      - 2
      - 0
    .max_flat_workgroup_size: 1024
    .name:           _ZN12_GLOBAL__N_120softmax_warp_forwardIN3c108BFloat16EffLi6ELb1ELb0ELi64EEEvPT0_PKT_iiiPKbib
    .private_segment_fixed_size: 0
    .sgpr_count:     18
    .sgpr_spill_count: 0
    .symbol:         _ZN12_GLOBAL__N_120softmax_warp_forwardIN3c108BFloat16EffLi6ELb1ELb0ELi64EEEvPT0_PKT_iiiPKbib.kd
    .uniform_work_group_size: 1
    .uses_dynamic_stack: false
    .vgpr_count:     17
    .vgpr_spill_count: 0
    .wavefront_size: 32
    .workgroup_processor_mode: 1
  - .args:
      - .address_space:  global
        .offset:         0
        .size:           8
        .value_kind:     global_buffer
      - .address_space:  global
        .offset:         8
        .size:           8
        .value_kind:     global_buffer
      - .offset:         16
        .size:           4
        .value_kind:     by_value
      - .offset:         20
        .size:           4
        .value_kind:     by_value
      - .offset:         24
        .size:           4
        .value_kind:     by_value
      - .address_space:  global
        .offset:         32
        .size:           8
        .value_kind:     global_buffer
      - .offset:         40
        .size:           4
        .value_kind:     by_value
      - .offset:         44
        .size:           1
        .value_kind:     by_value
      - .offset:         48
        .size:           4
        .value_kind:     hidden_block_count_x
      - .offset:         52
        .size:           4
        .value_kind:     hidden_block_count_y
      - .offset:         56
        .size:           4
        .value_kind:     hidden_block_count_z
      - .offset:         60
        .size:           2
        .value_kind:     hidden_group_size_x
      - .offset:         62
        .size:           2
        .value_kind:     hidden_group_size_y
      - .offset:         64
        .size:           2
        .value_kind:     hidden_group_size_z
      - .offset:         66
        .size:           2
        .value_kind:     hidden_remainder_x
      - .offset:         68
        .size:           2
        .value_kind:     hidden_remainder_y
      - .offset:         70
        .size:           2
        .value_kind:     hidden_remainder_z
      - .offset:         88
        .size:           8
        .value_kind:     hidden_global_offset_x
      - .offset:         96
        .size:           8
        .value_kind:     hidden_global_offset_y
      - .offset:         104
        .size:           8
        .value_kind:     hidden_global_offset_z
      - .offset:         112
        .size:           2
        .value_kind:     hidden_grid_dims
    .group_segment_fixed_size: 0
    .kernarg_segment_align: 8
    .kernarg_segment_size: 304
    .language:       OpenCL C
    .language_version:
      - 2
      - 0
    .max_flat_workgroup_size: 1024
    .name:           _ZN12_GLOBAL__N_120softmax_warp_forwardIN3c108BFloat16EffLi6ELb1ELb0ELi32EEEvPT0_PKT_iiiPKbib
    .private_segment_fixed_size: 0
    .sgpr_count:     18
    .sgpr_spill_count: 0
    .symbol:         _ZN12_GLOBAL__N_120softmax_warp_forwardIN3c108BFloat16EffLi6ELb1ELb0ELi32EEEvPT0_PKT_iiiPKbib.kd
    .uniform_work_group_size: 1
    .uses_dynamic_stack: false
    .vgpr_count:     24
    .vgpr_spill_count: 0
    .wavefront_size: 32
    .workgroup_processor_mode: 1
  - .args:
      - .address_space:  global
        .offset:         0
        .size:           8
        .value_kind:     global_buffer
      - .address_space:  global
        .offset:         8
        .size:           8
        .value_kind:     global_buffer
      - .offset:         16
        .size:           4
        .value_kind:     by_value
      - .offset:         20
        .size:           4
        .value_kind:     by_value
      - .offset:         24
        .size:           4
        .value_kind:     by_value
      - .address_space:  global
        .offset:         32
        .size:           8
        .value_kind:     global_buffer
      - .offset:         40
        .size:           4
        .value_kind:     by_value
      - .offset:         44
        .size:           1
        .value_kind:     by_value
      - .offset:         48
        .size:           4
        .value_kind:     hidden_block_count_x
      - .offset:         52
        .size:           4
        .value_kind:     hidden_block_count_y
      - .offset:         56
        .size:           4
        .value_kind:     hidden_block_count_z
      - .offset:         60
        .size:           2
        .value_kind:     hidden_group_size_x
      - .offset:         62
        .size:           2
        .value_kind:     hidden_group_size_y
      - .offset:         64
        .size:           2
        .value_kind:     hidden_group_size_z
      - .offset:         66
        .size:           2
        .value_kind:     hidden_remainder_x
      - .offset:         68
        .size:           2
        .value_kind:     hidden_remainder_y
      - .offset:         70
        .size:           2
        .value_kind:     hidden_remainder_z
      - .offset:         88
        .size:           8
        .value_kind:     hidden_global_offset_x
      - .offset:         96
        .size:           8
        .value_kind:     hidden_global_offset_y
      - .offset:         104
        .size:           8
        .value_kind:     hidden_global_offset_z
      - .offset:         112
        .size:           2
        .value_kind:     hidden_grid_dims
    .group_segment_fixed_size: 0
    .kernarg_segment_align: 8
    .kernarg_segment_size: 304
    .language:       OpenCL C
    .language_version:
      - 2
      - 0
    .max_flat_workgroup_size: 1024
    .name:           _ZN12_GLOBAL__N_120softmax_warp_forwardIN3c108BFloat16EffLi7ELb1ELb0ELi64EEEvPT0_PKT_iiiPKbib
    .private_segment_fixed_size: 0
    .sgpr_count:     18
    .sgpr_spill_count: 0
    .symbol:         _ZN12_GLOBAL__N_120softmax_warp_forwardIN3c108BFloat16EffLi7ELb1ELb0ELi64EEEvPT0_PKT_iiiPKbib.kd
    .uniform_work_group_size: 1
    .uses_dynamic_stack: false
    .vgpr_count:     25
    .vgpr_spill_count: 0
    .wavefront_size: 32
    .workgroup_processor_mode: 1
  - .args:
      - .address_space:  global
        .offset:         0
        .size:           8
        .value_kind:     global_buffer
      - .address_space:  global
        .offset:         8
        .size:           8
        .value_kind:     global_buffer
      - .offset:         16
        .size:           4
        .value_kind:     by_value
      - .offset:         20
        .size:           4
        .value_kind:     by_value
      - .offset:         24
        .size:           4
        .value_kind:     by_value
      - .address_space:  global
        .offset:         32
        .size:           8
        .value_kind:     global_buffer
      - .offset:         40
        .size:           4
        .value_kind:     by_value
      - .offset:         44
        .size:           1
        .value_kind:     by_value
      - .offset:         48
        .size:           4
        .value_kind:     hidden_block_count_x
      - .offset:         52
        .size:           4
        .value_kind:     hidden_block_count_y
      - .offset:         56
        .size:           4
        .value_kind:     hidden_block_count_z
      - .offset:         60
        .size:           2
        .value_kind:     hidden_group_size_x
      - .offset:         62
        .size:           2
        .value_kind:     hidden_group_size_y
      - .offset:         64
        .size:           2
        .value_kind:     hidden_group_size_z
      - .offset:         66
        .size:           2
        .value_kind:     hidden_remainder_x
      - .offset:         68
        .size:           2
        .value_kind:     hidden_remainder_y
      - .offset:         70
        .size:           2
        .value_kind:     hidden_remainder_z
      - .offset:         88
        .size:           8
        .value_kind:     hidden_global_offset_x
      - .offset:         96
        .size:           8
        .value_kind:     hidden_global_offset_y
      - .offset:         104
        .size:           8
        .value_kind:     hidden_global_offset_z
      - .offset:         112
        .size:           2
        .value_kind:     hidden_grid_dims
    .group_segment_fixed_size: 0
    .kernarg_segment_align: 8
    .kernarg_segment_size: 304
    .language:       OpenCL C
    .language_version:
      - 2
      - 0
    .max_flat_workgroup_size: 1024
    .name:           _ZN12_GLOBAL__N_120softmax_warp_forwardIN3c108BFloat16EffLi7ELb1ELb0ELi32EEEvPT0_PKT_iiiPKbib
    .private_segment_fixed_size: 0
    .sgpr_count:     26
    .sgpr_spill_count: 0
    .symbol:         _ZN12_GLOBAL__N_120softmax_warp_forwardIN3c108BFloat16EffLi7ELb1ELb0ELi32EEEvPT0_PKT_iiiPKbib.kd
    .uniform_work_group_size: 1
    .uses_dynamic_stack: false
    .vgpr_count:     40
    .vgpr_spill_count: 0
    .wavefront_size: 32
    .workgroup_processor_mode: 1
  - .args:
      - .address_space:  global
        .offset:         0
        .size:           8
        .value_kind:     global_buffer
      - .address_space:  global
        .offset:         8
        .size:           8
        .value_kind:     global_buffer
      - .offset:         16
        .size:           4
        .value_kind:     by_value
      - .offset:         20
        .size:           4
        .value_kind:     by_value
      - .offset:         24
        .size:           4
        .value_kind:     by_value
      - .address_space:  global
        .offset:         32
        .size:           8
        .value_kind:     global_buffer
      - .offset:         40
        .size:           4
        .value_kind:     by_value
      - .offset:         44
        .size:           1
        .value_kind:     by_value
      - .offset:         48
        .size:           4
        .value_kind:     hidden_block_count_x
      - .offset:         52
        .size:           4
        .value_kind:     hidden_block_count_y
      - .offset:         56
        .size:           4
        .value_kind:     hidden_block_count_z
      - .offset:         60
        .size:           2
        .value_kind:     hidden_group_size_x
      - .offset:         62
        .size:           2
        .value_kind:     hidden_group_size_y
      - .offset:         64
        .size:           2
        .value_kind:     hidden_group_size_z
      - .offset:         66
        .size:           2
        .value_kind:     hidden_remainder_x
      - .offset:         68
        .size:           2
        .value_kind:     hidden_remainder_y
      - .offset:         70
        .size:           2
        .value_kind:     hidden_remainder_z
      - .offset:         88
        .size:           8
        .value_kind:     hidden_global_offset_x
      - .offset:         96
        .size:           8
        .value_kind:     hidden_global_offset_y
      - .offset:         104
        .size:           8
        .value_kind:     hidden_global_offset_z
      - .offset:         112
        .size:           2
        .value_kind:     hidden_grid_dims
    .group_segment_fixed_size: 0
    .kernarg_segment_align: 8
    .kernarg_segment_size: 304
    .language:       OpenCL C
    .language_version:
      - 2
      - 0
    .max_flat_workgroup_size: 1024
    .name:           _ZN12_GLOBAL__N_120softmax_warp_forwardIN3c108BFloat16EffLi8ELb1ELb0ELi64EEEvPT0_PKT_iiiPKbib
    .private_segment_fixed_size: 0
    .sgpr_count:     18
    .sgpr_spill_count: 0
    .symbol:         _ZN12_GLOBAL__N_120softmax_warp_forwardIN3c108BFloat16EffLi8ELb1ELb0ELi64EEEvPT0_PKT_iiiPKbib.kd
    .uniform_work_group_size: 1
    .uses_dynamic_stack: false
    .vgpr_count:     24
    .vgpr_spill_count: 0
    .wavefront_size: 32
    .workgroup_processor_mode: 1
  - .args:
      - .address_space:  global
        .offset:         0
        .size:           8
        .value_kind:     global_buffer
      - .address_space:  global
        .offset:         8
        .size:           8
        .value_kind:     global_buffer
      - .offset:         16
        .size:           4
        .value_kind:     by_value
      - .offset:         20
        .size:           4
        .value_kind:     by_value
      - .offset:         24
        .size:           4
        .value_kind:     by_value
      - .address_space:  global
        .offset:         32
        .size:           8
        .value_kind:     global_buffer
      - .offset:         40
        .size:           4
        .value_kind:     by_value
      - .offset:         44
        .size:           1
        .value_kind:     by_value
      - .offset:         48
        .size:           4
        .value_kind:     hidden_block_count_x
      - .offset:         52
        .size:           4
        .value_kind:     hidden_block_count_y
      - .offset:         56
        .size:           4
        .value_kind:     hidden_block_count_z
      - .offset:         60
        .size:           2
        .value_kind:     hidden_group_size_x
      - .offset:         62
        .size:           2
        .value_kind:     hidden_group_size_y
      - .offset:         64
        .size:           2
        .value_kind:     hidden_group_size_z
      - .offset:         66
        .size:           2
        .value_kind:     hidden_remainder_x
      - .offset:         68
        .size:           2
        .value_kind:     hidden_remainder_y
      - .offset:         70
        .size:           2
        .value_kind:     hidden_remainder_z
      - .offset:         88
        .size:           8
        .value_kind:     hidden_global_offset_x
      - .offset:         96
        .size:           8
        .value_kind:     hidden_global_offset_y
      - .offset:         104
        .size:           8
        .value_kind:     hidden_global_offset_z
      - .offset:         112
        .size:           2
        .value_kind:     hidden_grid_dims
    .group_segment_fixed_size: 0
    .kernarg_segment_align: 8
    .kernarg_segment_size: 304
    .language:       OpenCL C
    .language_version:
      - 2
      - 0
    .max_flat_workgroup_size: 1024
    .name:           _ZN12_GLOBAL__N_120softmax_warp_forwardIN3c108BFloat16EffLi8ELb1ELb0ELi32EEEvPT0_PKT_iiiPKbib
    .private_segment_fixed_size: 0
    .sgpr_count:     26
    .sgpr_spill_count: 0
    .symbol:         _ZN12_GLOBAL__N_120softmax_warp_forwardIN3c108BFloat16EffLi8ELb1ELb0ELi32EEEvPT0_PKT_iiiPKbib.kd
    .uniform_work_group_size: 1
    .uses_dynamic_stack: false
    .vgpr_count:     40
    .vgpr_spill_count: 0
    .wavefront_size: 32
    .workgroup_processor_mode: 1
  - .args:
      - .address_space:  global
        .offset:         0
        .size:           8
        .value_kind:     global_buffer
      - .address_space:  global
        .offset:         8
        .size:           8
        .value_kind:     global_buffer
      - .offset:         16
        .size:           4
        .value_kind:     by_value
      - .offset:         20
        .size:           4
        .value_kind:     by_value
      - .offset:         24
        .size:           4
        .value_kind:     by_value
      - .address_space:  global
        .offset:         32
        .size:           8
        .value_kind:     global_buffer
      - .offset:         40
        .size:           4
        .value_kind:     by_value
      - .offset:         44
        .size:           1
        .value_kind:     by_value
      - .offset:         48
        .size:           4
        .value_kind:     hidden_block_count_x
      - .offset:         52
        .size:           4
        .value_kind:     hidden_block_count_y
      - .offset:         56
        .size:           4
        .value_kind:     hidden_block_count_z
      - .offset:         60
        .size:           2
        .value_kind:     hidden_group_size_x
      - .offset:         62
        .size:           2
        .value_kind:     hidden_group_size_y
      - .offset:         64
        .size:           2
        .value_kind:     hidden_group_size_z
      - .offset:         66
        .size:           2
        .value_kind:     hidden_remainder_x
      - .offset:         68
        .size:           2
        .value_kind:     hidden_remainder_y
      - .offset:         70
        .size:           2
        .value_kind:     hidden_remainder_z
      - .offset:         88
        .size:           8
        .value_kind:     hidden_global_offset_x
      - .offset:         96
        .size:           8
        .value_kind:     hidden_global_offset_y
      - .offset:         104
        .size:           8
        .value_kind:     hidden_global_offset_z
      - .offset:         112
        .size:           2
        .value_kind:     hidden_grid_dims
    .group_segment_fixed_size: 0
    .kernarg_segment_align: 8
    .kernarg_segment_size: 304
    .language:       OpenCL C
    .language_version:
      - 2
      - 0
    .max_flat_workgroup_size: 1024
    .name:           _ZN12_GLOBAL__N_120softmax_warp_forwardIN3c108BFloat16EffLi9ELb1ELb0ELi64EEEvPT0_PKT_iiiPKbib
    .private_segment_fixed_size: 0
    .sgpr_count:     26
    .sgpr_spill_count: 0
    .symbol:         _ZN12_GLOBAL__N_120softmax_warp_forwardIN3c108BFloat16EffLi9ELb1ELb0ELi64EEEvPT0_PKT_iiiPKbib.kd
    .uniform_work_group_size: 1
    .uses_dynamic_stack: false
    .vgpr_count:     41
    .vgpr_spill_count: 0
    .wavefront_size: 32
    .workgroup_processor_mode: 1
  - .args:
      - .address_space:  global
        .offset:         0
        .size:           8
        .value_kind:     global_buffer
      - .address_space:  global
        .offset:         8
        .size:           8
        .value_kind:     global_buffer
      - .offset:         16
        .size:           4
        .value_kind:     by_value
      - .offset:         20
        .size:           4
        .value_kind:     by_value
      - .offset:         24
        .size:           4
        .value_kind:     by_value
      - .address_space:  global
        .offset:         32
        .size:           8
        .value_kind:     global_buffer
      - .offset:         40
        .size:           4
        .value_kind:     by_value
      - .offset:         44
        .size:           1
        .value_kind:     by_value
      - .offset:         48
        .size:           4
        .value_kind:     hidden_block_count_x
      - .offset:         52
        .size:           4
        .value_kind:     hidden_block_count_y
      - .offset:         56
        .size:           4
        .value_kind:     hidden_block_count_z
      - .offset:         60
        .size:           2
        .value_kind:     hidden_group_size_x
      - .offset:         62
        .size:           2
        .value_kind:     hidden_group_size_y
      - .offset:         64
        .size:           2
        .value_kind:     hidden_group_size_z
      - .offset:         66
        .size:           2
        .value_kind:     hidden_remainder_x
      - .offset:         68
        .size:           2
        .value_kind:     hidden_remainder_y
      - .offset:         70
        .size:           2
        .value_kind:     hidden_remainder_z
      - .offset:         88
        .size:           8
        .value_kind:     hidden_global_offset_x
      - .offset:         96
        .size:           8
        .value_kind:     hidden_global_offset_y
      - .offset:         104
        .size:           8
        .value_kind:     hidden_global_offset_z
      - .offset:         112
        .size:           2
        .value_kind:     hidden_grid_dims
    .group_segment_fixed_size: 0
    .kernarg_segment_align: 8
    .kernarg_segment_size: 304
    .language:       OpenCL C
    .language_version:
      - 2
      - 0
    .max_flat_workgroup_size: 1024
    .name:           _ZN12_GLOBAL__N_120softmax_warp_forwardIN3c108BFloat16EffLi9ELb1ELb0ELi32EEEvPT0_PKT_iiiPKbib
    .private_segment_fixed_size: 0
    .sgpr_count:     26
    .sgpr_spill_count: 0
    .symbol:         _ZN12_GLOBAL__N_120softmax_warp_forwardIN3c108BFloat16EffLi9ELb1ELb0ELi32EEEvPT0_PKT_iiiPKbib.kd
    .uniform_work_group_size: 1
    .uses_dynamic_stack: false
    .vgpr_count:     72
    .vgpr_spill_count: 0
    .wavefront_size: 32
    .workgroup_processor_mode: 1
  - .args:
      - .address_space:  global
        .offset:         0
        .size:           8
        .value_kind:     global_buffer
      - .address_space:  global
        .offset:         8
        .size:           8
        .value_kind:     global_buffer
      - .offset:         16
        .size:           4
        .value_kind:     by_value
      - .offset:         20
        .size:           4
        .value_kind:     by_value
      - .offset:         24
        .size:           4
        .value_kind:     by_value
      - .address_space:  global
        .offset:         32
        .size:           8
        .value_kind:     global_buffer
      - .offset:         40
        .size:           4
        .value_kind:     by_value
      - .offset:         44
        .size:           1
        .value_kind:     by_value
      - .offset:         48
        .size:           4
        .value_kind:     hidden_block_count_x
      - .offset:         52
        .size:           4
        .value_kind:     hidden_block_count_y
      - .offset:         56
        .size:           4
        .value_kind:     hidden_block_count_z
      - .offset:         60
        .size:           2
        .value_kind:     hidden_group_size_x
      - .offset:         62
        .size:           2
        .value_kind:     hidden_group_size_y
      - .offset:         64
        .size:           2
        .value_kind:     hidden_group_size_z
      - .offset:         66
        .size:           2
        .value_kind:     hidden_remainder_x
      - .offset:         68
        .size:           2
        .value_kind:     hidden_remainder_y
      - .offset:         70
        .size:           2
        .value_kind:     hidden_remainder_z
      - .offset:         88
        .size:           8
        .value_kind:     hidden_global_offset_x
      - .offset:         96
        .size:           8
        .value_kind:     hidden_global_offset_y
      - .offset:         104
        .size:           8
        .value_kind:     hidden_global_offset_z
      - .offset:         112
        .size:           2
        .value_kind:     hidden_grid_dims
    .group_segment_fixed_size: 0
    .kernarg_segment_align: 8
    .kernarg_segment_size: 304
    .language:       OpenCL C
    .language_version:
      - 2
      - 0
    .max_flat_workgroup_size: 1024
    .name:           _ZN12_GLOBAL__N_120softmax_warp_forwardIN3c108BFloat16EffLi10ELb1ELb0ELi64EEEvPT0_PKT_iiiPKbib
    .private_segment_fixed_size: 0
    .sgpr_count:     26
    .sgpr_spill_count: 0
    .symbol:         _ZN12_GLOBAL__N_120softmax_warp_forwardIN3c108BFloat16EffLi10ELb1ELb0ELi64EEEvPT0_PKT_iiiPKbib.kd
    .uniform_work_group_size: 1
    .uses_dynamic_stack: false
    .vgpr_count:     73
    .vgpr_spill_count: 0
    .wavefront_size: 32
    .workgroup_processor_mode: 1
  - .args:
      - .address_space:  global
        .offset:         0
        .size:           8
        .value_kind:     global_buffer
      - .address_space:  global
        .offset:         8
        .size:           8
        .value_kind:     global_buffer
      - .offset:         16
        .size:           4
        .value_kind:     by_value
      - .offset:         20
        .size:           4
        .value_kind:     by_value
      - .offset:         24
        .size:           4
        .value_kind:     by_value
      - .address_space:  global
        .offset:         32
        .size:           8
        .value_kind:     global_buffer
      - .offset:         40
        .size:           4
        .value_kind:     by_value
      - .offset:         44
        .size:           1
        .value_kind:     by_value
      - .offset:         48
        .size:           4
        .value_kind:     hidden_block_count_x
      - .offset:         52
        .size:           4
        .value_kind:     hidden_block_count_y
      - .offset:         56
        .size:           4
        .value_kind:     hidden_block_count_z
      - .offset:         60
        .size:           2
        .value_kind:     hidden_group_size_x
      - .offset:         62
        .size:           2
        .value_kind:     hidden_group_size_y
      - .offset:         64
        .size:           2
        .value_kind:     hidden_group_size_z
      - .offset:         66
        .size:           2
        .value_kind:     hidden_remainder_x
      - .offset:         68
        .size:           2
        .value_kind:     hidden_remainder_y
      - .offset:         70
        .size:           2
        .value_kind:     hidden_remainder_z
      - .offset:         88
        .size:           8
        .value_kind:     hidden_global_offset_x
      - .offset:         96
        .size:           8
        .value_kind:     hidden_global_offset_y
      - .offset:         104
        .size:           8
        .value_kind:     hidden_global_offset_z
      - .offset:         112
        .size:           2
        .value_kind:     hidden_grid_dims
    .group_segment_fixed_size: 0
    .kernarg_segment_align: 8
    .kernarg_segment_size: 304
    .language:       OpenCL C
    .language_version:
      - 2
      - 0
    .max_flat_workgroup_size: 1024
    .name:           _ZN12_GLOBAL__N_120softmax_warp_forwardIN3c108BFloat16EffLi10ELb1ELb0ELi32EEEvPT0_PKT_iiiPKbib
    .private_segment_fixed_size: 0
    .sgpr_count:     46
    .sgpr_spill_count: 0
    .symbol:         _ZN12_GLOBAL__N_120softmax_warp_forwardIN3c108BFloat16EffLi10ELb1ELb0ELi32EEEvPT0_PKT_iiiPKbib.kd
    .uniform_work_group_size: 1
    .uses_dynamic_stack: false
    .vgpr_count:     94
    .vgpr_spill_count: 0
    .wavefront_size: 32
    .workgroup_processor_mode: 1
  - .args:
      - .address_space:  global
        .offset:         0
        .size:           8
        .value_kind:     global_buffer
      - .address_space:  global
        .offset:         8
        .size:           8
        .value_kind:     global_buffer
      - .offset:         16
        .size:           4
        .value_kind:     by_value
      - .offset:         20
        .size:           4
        .value_kind:     by_value
      - .offset:         24
        .size:           4
        .value_kind:     by_value
      - .address_space:  global
        .offset:         32
        .size:           8
        .value_kind:     global_buffer
      - .offset:         40
        .size:           4
        .value_kind:     by_value
      - .offset:         44
        .size:           1
        .value_kind:     by_value
      - .offset:         48
        .size:           4
        .value_kind:     hidden_block_count_x
      - .offset:         52
        .size:           4
        .value_kind:     hidden_block_count_y
      - .offset:         56
        .size:           4
        .value_kind:     hidden_block_count_z
      - .offset:         60
        .size:           2
        .value_kind:     hidden_group_size_x
      - .offset:         62
        .size:           2
        .value_kind:     hidden_group_size_y
      - .offset:         64
        .size:           2
        .value_kind:     hidden_group_size_z
      - .offset:         66
        .size:           2
        .value_kind:     hidden_remainder_x
      - .offset:         68
        .size:           2
        .value_kind:     hidden_remainder_y
      - .offset:         70
        .size:           2
        .value_kind:     hidden_remainder_z
      - .offset:         88
        .size:           8
        .value_kind:     hidden_global_offset_x
      - .offset:         96
        .size:           8
        .value_kind:     hidden_global_offset_y
      - .offset:         104
        .size:           8
        .value_kind:     hidden_global_offset_z
      - .offset:         112
        .size:           2
        .value_kind:     hidden_grid_dims
    .group_segment_fixed_size: 0
    .kernarg_segment_align: 8
    .kernarg_segment_size: 304
    .language:       OpenCL C
    .language_version:
      - 2
      - 0
    .max_flat_workgroup_size: 1024
    .name:           _ZN12_GLOBAL__N_120softmax_warp_forwardIN3c108BFloat16EffLi11ELb1ELb0ELi64EEEvPT0_PKT_iiiPKbib
    .private_segment_fixed_size: 0
    .sgpr_count:     46
    .sgpr_spill_count: 0
    .symbol:         _ZN12_GLOBAL__N_120softmax_warp_forwardIN3c108BFloat16EffLi11ELb1ELb0ELi64EEEvPT0_PKT_iiiPKbib.kd
    .uniform_work_group_size: 1
    .uses_dynamic_stack: false
    .vgpr_count:     94
    .vgpr_spill_count: 0
    .wavefront_size: 32
    .workgroup_processor_mode: 1
  - .args:
      - .address_space:  global
        .offset:         0
        .size:           8
        .value_kind:     global_buffer
      - .address_space:  global
        .offset:         8
        .size:           8
        .value_kind:     global_buffer
      - .offset:         16
        .size:           4
        .value_kind:     by_value
      - .offset:         20
        .size:           4
        .value_kind:     by_value
      - .offset:         24
        .size:           4
        .value_kind:     by_value
      - .address_space:  global
        .offset:         32
        .size:           8
        .value_kind:     global_buffer
      - .offset:         40
        .size:           4
        .value_kind:     by_value
      - .offset:         44
        .size:           1
        .value_kind:     by_value
      - .offset:         48
        .size:           4
        .value_kind:     hidden_block_count_x
      - .offset:         52
        .size:           4
        .value_kind:     hidden_block_count_y
      - .offset:         56
        .size:           4
        .value_kind:     hidden_block_count_z
      - .offset:         60
        .size:           2
        .value_kind:     hidden_group_size_x
      - .offset:         62
        .size:           2
        .value_kind:     hidden_group_size_y
      - .offset:         64
        .size:           2
        .value_kind:     hidden_group_size_z
      - .offset:         66
        .size:           2
        .value_kind:     hidden_remainder_x
      - .offset:         68
        .size:           2
        .value_kind:     hidden_remainder_y
      - .offset:         70
        .size:           2
        .value_kind:     hidden_remainder_z
      - .offset:         88
        .size:           8
        .value_kind:     hidden_global_offset_x
      - .offset:         96
        .size:           8
        .value_kind:     hidden_global_offset_y
      - .offset:         104
        .size:           8
        .value_kind:     hidden_global_offset_z
      - .offset:         112
        .size:           2
        .value_kind:     hidden_grid_dims
    .group_segment_fixed_size: 0
    .kernarg_segment_align: 8
    .kernarg_segment_size: 304
    .language:       OpenCL C
    .language_version:
      - 2
      - 0
    .max_flat_workgroup_size: 1024
    .name:           _ZN12_GLOBAL__N_120softmax_warp_forwardIN3c108BFloat16EffLi11ELb1ELb0ELi32EEEvPT0_PKT_iiiPKbib
    .private_segment_fixed_size: 0
    .sgpr_count:     78
    .sgpr_spill_count: 0
    .symbol:         _ZN12_GLOBAL__N_120softmax_warp_forwardIN3c108BFloat16EffLi11ELb1ELb0ELi32EEEvPT0_PKT_iiiPKbib.kd
    .uniform_work_group_size: 1
    .uses_dynamic_stack: false
    .vgpr_count:     77
    .vgpr_spill_count: 0
    .wavefront_size: 32
    .workgroup_processor_mode: 1
  - .args:
      - .address_space:  global
        .offset:         0
        .size:           8
        .value_kind:     global_buffer
      - .address_space:  global
        .offset:         8
        .size:           8
        .value_kind:     global_buffer
      - .offset:         16
        .size:           8
        .value_kind:     by_value
      - .offset:         24
        .size:           4
        .value_kind:     hidden_block_count_x
      - .offset:         28
        .size:           4
        .value_kind:     hidden_block_count_y
      - .offset:         32
        .size:           4
        .value_kind:     hidden_block_count_z
      - .offset:         36
        .size:           2
        .value_kind:     hidden_group_size_x
      - .offset:         38
        .size:           2
        .value_kind:     hidden_group_size_y
      - .offset:         40
        .size:           2
        .value_kind:     hidden_group_size_z
      - .offset:         42
        .size:           2
        .value_kind:     hidden_remainder_x
      - .offset:         44
        .size:           2
        .value_kind:     hidden_remainder_y
      - .offset:         46
        .size:           2
        .value_kind:     hidden_remainder_z
      - .offset:         64
        .size:           8
        .value_kind:     hidden_global_offset_x
      - .offset:         72
        .size:           8
        .value_kind:     hidden_global_offset_y
      - .offset:         80
        .size:           8
        .value_kind:     hidden_global_offset_z
      - .offset:         88
        .size:           2
        .value_kind:     hidden_grid_dims
      - .offset:         144
        .size:           4
        .value_kind:     hidden_dynamic_lds_size
    .group_segment_fixed_size: 0
    .kernarg_segment_align: 8
    .kernarg_segment_size: 280
    .language:       OpenCL C
    .language_version:
      - 2
      - 0
    .max_flat_workgroup_size: 1024
    .name:           _ZN2at6native12_GLOBAL__N_123cunn_SoftMaxForwardSmemILi8EN3c108BFloat16EffNS1_25LogSoftMaxForwardEpilogueElEEvPT2_PKT0_T4_
    .private_segment_fixed_size: 0
    .sgpr_count:     19
    .sgpr_spill_count: 0
    .symbol:         _ZN2at6native12_GLOBAL__N_123cunn_SoftMaxForwardSmemILi8EN3c108BFloat16EffNS1_25LogSoftMaxForwardEpilogueElEEvPT2_PKT0_T4_.kd
    .uniform_work_group_size: 1
    .uses_dynamic_stack: false
    .vgpr_count:     49
    .vgpr_spill_count: 0
    .wavefront_size: 32
    .workgroup_processor_mode: 1
  - .args:
      - .address_space:  global
        .offset:         0
        .size:           8
        .value_kind:     global_buffer
      - .address_space:  global
        .offset:         8
        .size:           8
        .value_kind:     global_buffer
      - .offset:         16
        .size:           4
        .value_kind:     by_value
      - .offset:         24
        .size:           4
        .value_kind:     hidden_block_count_x
      - .offset:         28
        .size:           4
        .value_kind:     hidden_block_count_y
      - .offset:         32
        .size:           4
        .value_kind:     hidden_block_count_z
      - .offset:         36
        .size:           2
        .value_kind:     hidden_group_size_x
      - .offset:         38
        .size:           2
        .value_kind:     hidden_group_size_y
      - .offset:         40
        .size:           2
        .value_kind:     hidden_group_size_z
      - .offset:         42
        .size:           2
        .value_kind:     hidden_remainder_x
      - .offset:         44
        .size:           2
        .value_kind:     hidden_remainder_y
      - .offset:         46
        .size:           2
        .value_kind:     hidden_remainder_z
      - .offset:         64
        .size:           8
        .value_kind:     hidden_global_offset_x
      - .offset:         72
        .size:           8
        .value_kind:     hidden_global_offset_y
      - .offset:         80
        .size:           8
        .value_kind:     hidden_global_offset_z
      - .offset:         88
        .size:           2
        .value_kind:     hidden_grid_dims
      - .offset:         144
        .size:           4
        .value_kind:     hidden_dynamic_lds_size
    .group_segment_fixed_size: 0
    .kernarg_segment_align: 8
    .kernarg_segment_size: 280
    .language:       OpenCL C
    .language_version:
      - 2
      - 0
    .max_flat_workgroup_size: 1024
    .name:           _ZN2at6native12_GLOBAL__N_119cunn_SoftMaxForwardILi8EN3c108BFloat16EffNS1_25LogSoftMaxForwardEpilogueEEEvPT2_PKT0_i
    .private_segment_fixed_size: 0
    .sgpr_count:     23
    .sgpr_spill_count: 0
    .symbol:         _ZN2at6native12_GLOBAL__N_119cunn_SoftMaxForwardILi8EN3c108BFloat16EffNS1_25LogSoftMaxForwardEpilogueEEEvPT2_PKT0_i.kd
    .uniform_work_group_size: 1
    .uses_dynamic_stack: false
    .vgpr_count:     46
    .vgpr_spill_count: 0
    .wavefront_size: 32
    .workgroup_processor_mode: 1
  - .args:
      - .address_space:  global
        .offset:         0
        .size:           8
        .value_kind:     global_buffer
      - .address_space:  global
        .offset:         8
        .size:           8
        .value_kind:     global_buffer
      - .offset:         16
        .size:           4
        .value_kind:     by_value
      - .offset:         20
        .size:           4
        .value_kind:     by_value
      - .offset:         24
        .size:           4
        .value_kind:     by_value
      - .offset:         32
        .size:           4
        .value_kind:     hidden_block_count_x
      - .offset:         36
        .size:           4
        .value_kind:     hidden_block_count_y
      - .offset:         40
        .size:           4
        .value_kind:     hidden_block_count_z
      - .offset:         44
        .size:           2
        .value_kind:     hidden_group_size_x
      - .offset:         46
        .size:           2
        .value_kind:     hidden_group_size_y
      - .offset:         48
        .size:           2
        .value_kind:     hidden_group_size_z
      - .offset:         50
        .size:           2
        .value_kind:     hidden_remainder_x
      - .offset:         52
        .size:           2
        .value_kind:     hidden_remainder_y
      - .offset:         54
        .size:           2
        .value_kind:     hidden_remainder_z
      - .offset:         72
        .size:           8
        .value_kind:     hidden_global_offset_x
      - .offset:         80
        .size:           8
        .value_kind:     hidden_global_offset_y
      - .offset:         88
        .size:           8
        .value_kind:     hidden_global_offset_z
      - .offset:         96
        .size:           2
        .value_kind:     hidden_grid_dims
      - .offset:         152
        .size:           4
        .value_kind:     hidden_dynamic_lds_size
    .group_segment_fixed_size: 0
    .kernarg_segment_align: 8
    .kernarg_segment_size: 288
    .language:       OpenCL C
    .language_version:
      - 2
      - 0
    .max_flat_workgroup_size: 1024
    .name:           _ZN2at6native12_GLOBAL__N_126cunn_SpatialSoftMaxForwardIdddiNS1_25LogSoftMaxForwardEpilogueEEEvPT1_PKT_T2_S9_S9_
    .private_segment_fixed_size: 0
    .sgpr_count:     72
    .sgpr_spill_count: 0
    .symbol:         _ZN2at6native12_GLOBAL__N_126cunn_SpatialSoftMaxForwardIdddiNS1_25LogSoftMaxForwardEpilogueEEEvPT1_PKT_T2_S9_S9_.kd
    .uniform_work_group_size: 1
    .uses_dynamic_stack: false
    .vgpr_count:     34
    .vgpr_spill_count: 0
    .wavefront_size: 32
    .workgroup_processor_mode: 1
  - .args:
      - .address_space:  global
        .offset:         0
        .size:           8
        .value_kind:     global_buffer
      - .address_space:  global
        .offset:         8
        .size:           8
        .value_kind:     global_buffer
      - .offset:         16
        .size:           8
        .value_kind:     by_value
      - .offset:         24
        .size:           8
        .value_kind:     by_value
      - .offset:         32
        .size:           8
        .value_kind:     by_value
      - .offset:         40
        .size:           4
        .value_kind:     hidden_block_count_x
      - .offset:         44
        .size:           4
        .value_kind:     hidden_block_count_y
      - .offset:         48
        .size:           4
        .value_kind:     hidden_block_count_z
      - .offset:         52
        .size:           2
        .value_kind:     hidden_group_size_x
      - .offset:         54
        .size:           2
        .value_kind:     hidden_group_size_y
      - .offset:         56
        .size:           2
        .value_kind:     hidden_group_size_z
      - .offset:         58
        .size:           2
        .value_kind:     hidden_remainder_x
      - .offset:         60
        .size:           2
        .value_kind:     hidden_remainder_y
      - .offset:         62
        .size:           2
        .value_kind:     hidden_remainder_z
      - .offset:         80
        .size:           8
        .value_kind:     hidden_global_offset_x
      - .offset:         88
        .size:           8
        .value_kind:     hidden_global_offset_y
      - .offset:         96
        .size:           8
        .value_kind:     hidden_global_offset_z
      - .offset:         104
        .size:           2
        .value_kind:     hidden_grid_dims
      - .offset:         160
        .size:           4
        .value_kind:     hidden_dynamic_lds_size
    .group_segment_fixed_size: 0
    .kernarg_segment_align: 8
    .kernarg_segment_size: 296
    .language:       OpenCL C
    .language_version:
      - 2
      - 0
    .max_flat_workgroup_size: 1024
    .name:           _ZN2at6native12_GLOBAL__N_126cunn_SpatialSoftMaxForwardIdddlNS1_25LogSoftMaxForwardEpilogueEEEvPT1_PKT_T2_S9_S9_
    .private_segment_fixed_size: 0
    .sgpr_count:     81
    .sgpr_spill_count: 0
    .symbol:         _ZN2at6native12_GLOBAL__N_126cunn_SpatialSoftMaxForwardIdddlNS1_25LogSoftMaxForwardEpilogueEEEvPT1_PKT_T2_S9_S9_.kd
    .uniform_work_group_size: 1
    .uses_dynamic_stack: false
    .vgpr_count:     47
    .vgpr_spill_count: 0
    .wavefront_size: 32
    .workgroup_processor_mode: 1
  - .args:
      - .address_space:  global
        .offset:         0
        .size:           8
        .value_kind:     global_buffer
      - .address_space:  global
        .offset:         8
        .size:           8
        .value_kind:     global_buffer
      - .offset:         16
        .size:           4
        .value_kind:     by_value
      - .offset:         20
        .size:           4
        .value_kind:     by_value
      - .offset:         24
        .size:           4
        .value_kind:     by_value
      - .offset:         32
        .size:           4
        .value_kind:     hidden_block_count_x
      - .offset:         36
        .size:           4
        .value_kind:     hidden_block_count_y
      - .offset:         40
        .size:           4
        .value_kind:     hidden_block_count_z
      - .offset:         44
        .size:           2
        .value_kind:     hidden_group_size_x
      - .offset:         46
        .size:           2
        .value_kind:     hidden_group_size_y
      - .offset:         48
        .size:           2
        .value_kind:     hidden_group_size_z
      - .offset:         50
        .size:           2
        .value_kind:     hidden_remainder_x
      - .offset:         52
        .size:           2
        .value_kind:     hidden_remainder_y
      - .offset:         54
        .size:           2
        .value_kind:     hidden_remainder_z
      - .offset:         72
        .size:           8
        .value_kind:     hidden_global_offset_x
      - .offset:         80
        .size:           8
        .value_kind:     hidden_global_offset_y
      - .offset:         88
        .size:           8
        .value_kind:     hidden_global_offset_z
      - .offset:         96
        .size:           2
        .value_kind:     hidden_grid_dims
      - .offset:         152
        .size:           4
        .value_kind:     hidden_dynamic_lds_size
    .group_segment_fixed_size: 0
    .kernarg_segment_align: 8
    .kernarg_segment_size: 288
    .language:       OpenCL C
    .language_version:
      - 2
      - 0
    .max_flat_workgroup_size: 1024
    .name:           _ZN2at6native12_GLOBAL__N_126cunn_SpatialSoftMaxForwardIfffiNS1_25LogSoftMaxForwardEpilogueEEEvPT1_PKT_T2_S9_S9_
    .private_segment_fixed_size: 0
    .sgpr_count:     25
    .sgpr_spill_count: 0
    .symbol:         _ZN2at6native12_GLOBAL__N_126cunn_SpatialSoftMaxForwardIfffiNS1_25LogSoftMaxForwardEpilogueEEEvPT1_PKT_T2_S9_S9_.kd
    .uniform_work_group_size: 1
    .uses_dynamic_stack: false
    .vgpr_count:     17
    .vgpr_spill_count: 0
    .wavefront_size: 32
    .workgroup_processor_mode: 1
  - .args:
      - .address_space:  global
        .offset:         0
        .size:           8
        .value_kind:     global_buffer
      - .address_space:  global
        .offset:         8
        .size:           8
        .value_kind:     global_buffer
      - .offset:         16
        .size:           8
        .value_kind:     by_value
      - .offset:         24
        .size:           8
        .value_kind:     by_value
      - .offset:         32
        .size:           8
        .value_kind:     by_value
      - .offset:         40
        .size:           4
        .value_kind:     hidden_block_count_x
      - .offset:         44
        .size:           4
        .value_kind:     hidden_block_count_y
      - .offset:         48
        .size:           4
        .value_kind:     hidden_block_count_z
      - .offset:         52
        .size:           2
        .value_kind:     hidden_group_size_x
      - .offset:         54
        .size:           2
        .value_kind:     hidden_group_size_y
      - .offset:         56
        .size:           2
        .value_kind:     hidden_group_size_z
      - .offset:         58
        .size:           2
        .value_kind:     hidden_remainder_x
      - .offset:         60
        .size:           2
        .value_kind:     hidden_remainder_y
      - .offset:         62
        .size:           2
        .value_kind:     hidden_remainder_z
      - .offset:         80
        .size:           8
        .value_kind:     hidden_global_offset_x
      - .offset:         88
        .size:           8
        .value_kind:     hidden_global_offset_y
      - .offset:         96
        .size:           8
        .value_kind:     hidden_global_offset_z
      - .offset:         104
        .size:           2
        .value_kind:     hidden_grid_dims
      - .offset:         160
        .size:           4
        .value_kind:     hidden_dynamic_lds_size
    .group_segment_fixed_size: 0
    .kernarg_segment_align: 8
    .kernarg_segment_size: 296
    .language:       OpenCL C
    .language_version:
      - 2
      - 0
    .max_flat_workgroup_size: 1024
    .name:           _ZN2at6native12_GLOBAL__N_126cunn_SpatialSoftMaxForwardIffflNS1_25LogSoftMaxForwardEpilogueEEEvPT1_PKT_T2_S9_S9_
    .private_segment_fixed_size: 0
    .sgpr_count:     33
    .sgpr_spill_count: 0
    .symbol:         _ZN2at6native12_GLOBAL__N_126cunn_SpatialSoftMaxForwardIffflNS1_25LogSoftMaxForwardEpilogueEEEvPT1_PKT_T2_S9_S9_.kd
    .uniform_work_group_size: 1
    .uses_dynamic_stack: false
    .vgpr_count:     31
    .vgpr_spill_count: 0
    .wavefront_size: 32
    .workgroup_processor_mode: 1
  - .args:
      - .address_space:  global
        .offset:         0
        .size:           8
        .value_kind:     global_buffer
      - .address_space:  global
        .offset:         8
        .size:           8
        .value_kind:     global_buffer
      - .offset:         16
        .size:           4
        .value_kind:     by_value
      - .offset:         20
        .size:           4
        .value_kind:     by_value
      - .offset:         24
        .size:           4
        .value_kind:     by_value
      - .offset:         32
        .size:           4
        .value_kind:     hidden_block_count_x
      - .offset:         36
        .size:           4
        .value_kind:     hidden_block_count_y
      - .offset:         40
        .size:           4
        .value_kind:     hidden_block_count_z
      - .offset:         44
        .size:           2
        .value_kind:     hidden_group_size_x
      - .offset:         46
        .size:           2
        .value_kind:     hidden_group_size_y
      - .offset:         48
        .size:           2
        .value_kind:     hidden_group_size_z
      - .offset:         50
        .size:           2
        .value_kind:     hidden_remainder_x
      - .offset:         52
        .size:           2
        .value_kind:     hidden_remainder_y
      - .offset:         54
        .size:           2
        .value_kind:     hidden_remainder_z
      - .offset:         72
        .size:           8
        .value_kind:     hidden_global_offset_x
      - .offset:         80
        .size:           8
        .value_kind:     hidden_global_offset_y
      - .offset:         88
        .size:           8
        .value_kind:     hidden_global_offset_z
      - .offset:         96
        .size:           2
        .value_kind:     hidden_grid_dims
      - .offset:         152
        .size:           4
        .value_kind:     hidden_dynamic_lds_size
    .group_segment_fixed_size: 0
    .kernarg_segment_align: 8
    .kernarg_segment_size: 288
    .language:       OpenCL C
    .language_version:
      - 2
      - 0
    .max_flat_workgroup_size: 1024
    .name:           _ZN2at6native12_GLOBAL__N_126cunn_SpatialSoftMaxForwardIN3c104HalfEfS4_iNS1_25LogSoftMaxForwardEpilogueEEEvPT1_PKT_T2_SB_SB_
    .private_segment_fixed_size: 0
    .sgpr_count:     25
    .sgpr_spill_count: 0
    .symbol:         _ZN2at6native12_GLOBAL__N_126cunn_SpatialSoftMaxForwardIN3c104HalfEfS4_iNS1_25LogSoftMaxForwardEpilogueEEEvPT1_PKT_T2_SB_SB_.kd
    .uniform_work_group_size: 1
    .uses_dynamic_stack: false
    .vgpr_count:     17
    .vgpr_spill_count: 0
    .wavefront_size: 32
    .workgroup_processor_mode: 1
  - .args:
      - .address_space:  global
        .offset:         0
        .size:           8
        .value_kind:     global_buffer
      - .address_space:  global
        .offset:         8
        .size:           8
        .value_kind:     global_buffer
      - .offset:         16
        .size:           4
        .value_kind:     by_value
      - .offset:         20
        .size:           4
        .value_kind:     by_value
      - .offset:         24
        .size:           4
        .value_kind:     by_value
      - .offset:         32
        .size:           4
        .value_kind:     hidden_block_count_x
      - .offset:         36
        .size:           4
        .value_kind:     hidden_block_count_y
      - .offset:         40
        .size:           4
        .value_kind:     hidden_block_count_z
      - .offset:         44
        .size:           2
        .value_kind:     hidden_group_size_x
      - .offset:         46
        .size:           2
        .value_kind:     hidden_group_size_y
      - .offset:         48
        .size:           2
        .value_kind:     hidden_group_size_z
      - .offset:         50
        .size:           2
        .value_kind:     hidden_remainder_x
      - .offset:         52
        .size:           2
        .value_kind:     hidden_remainder_y
      - .offset:         54
        .size:           2
        .value_kind:     hidden_remainder_z
      - .offset:         72
        .size:           8
        .value_kind:     hidden_global_offset_x
      - .offset:         80
        .size:           8
        .value_kind:     hidden_global_offset_y
      - .offset:         88
        .size:           8
        .value_kind:     hidden_global_offset_z
      - .offset:         96
        .size:           2
        .value_kind:     hidden_grid_dims
      - .offset:         152
        .size:           4
        .value_kind:     hidden_dynamic_lds_size
    .group_segment_fixed_size: 0
    .kernarg_segment_align: 8
    .kernarg_segment_size: 288
    .language:       OpenCL C
    .language_version:
      - 2
      - 0
    .max_flat_workgroup_size: 1024
    .name:           _ZN2at6native12_GLOBAL__N_126cunn_SpatialSoftMaxForwardIN3c104HalfEffiNS1_25LogSoftMaxForwardEpilogueEEEvPT1_PKT_T2_SB_SB_
    .private_segment_fixed_size: 0
    .sgpr_count:     25
    .sgpr_spill_count: 0
    .symbol:         _ZN2at6native12_GLOBAL__N_126cunn_SpatialSoftMaxForwardIN3c104HalfEffiNS1_25LogSoftMaxForwardEpilogueEEEvPT1_PKT_T2_SB_SB_.kd
    .uniform_work_group_size: 1
    .uses_dynamic_stack: false
    .vgpr_count:     16
    .vgpr_spill_count: 0
    .wavefront_size: 32
    .workgroup_processor_mode: 1
  - .args:
      - .address_space:  global
        .offset:         0
        .size:           8
        .value_kind:     global_buffer
      - .address_space:  global
        .offset:         8
        .size:           8
        .value_kind:     global_buffer
      - .offset:         16
        .size:           8
        .value_kind:     by_value
      - .offset:         24
        .size:           8
        .value_kind:     by_value
      - .offset:         32
        .size:           8
        .value_kind:     by_value
      - .offset:         40
        .size:           4
        .value_kind:     hidden_block_count_x
      - .offset:         44
        .size:           4
        .value_kind:     hidden_block_count_y
      - .offset:         48
        .size:           4
        .value_kind:     hidden_block_count_z
      - .offset:         52
        .size:           2
        .value_kind:     hidden_group_size_x
      - .offset:         54
        .size:           2
        .value_kind:     hidden_group_size_y
      - .offset:         56
        .size:           2
        .value_kind:     hidden_group_size_z
      - .offset:         58
        .size:           2
        .value_kind:     hidden_remainder_x
      - .offset:         60
        .size:           2
        .value_kind:     hidden_remainder_y
      - .offset:         62
        .size:           2
        .value_kind:     hidden_remainder_z
      - .offset:         80
        .size:           8
        .value_kind:     hidden_global_offset_x
      - .offset:         88
        .size:           8
        .value_kind:     hidden_global_offset_y
      - .offset:         96
        .size:           8
        .value_kind:     hidden_global_offset_z
      - .offset:         104
        .size:           2
        .value_kind:     hidden_grid_dims
      - .offset:         160
        .size:           4
        .value_kind:     hidden_dynamic_lds_size
    .group_segment_fixed_size: 0
    .kernarg_segment_align: 8
    .kernarg_segment_size: 296
    .language:       OpenCL C
    .language_version:
      - 2
      - 0
    .max_flat_workgroup_size: 1024
    .name:           _ZN2at6native12_GLOBAL__N_126cunn_SpatialSoftMaxForwardIN3c104HalfEfS4_lNS1_25LogSoftMaxForwardEpilogueEEEvPT1_PKT_T2_SB_SB_
    .private_segment_fixed_size: 0
    .sgpr_count:     33
    .sgpr_spill_count: 0
    .symbol:         _ZN2at6native12_GLOBAL__N_126cunn_SpatialSoftMaxForwardIN3c104HalfEfS4_lNS1_25LogSoftMaxForwardEpilogueEEEvPT1_PKT_T2_SB_SB_.kd
    .uniform_work_group_size: 1
    .uses_dynamic_stack: false
    .vgpr_count:     31
    .vgpr_spill_count: 0
    .wavefront_size: 32
    .workgroup_processor_mode: 1
  - .args:
      - .address_space:  global
        .offset:         0
        .size:           8
        .value_kind:     global_buffer
      - .address_space:  global
        .offset:         8
        .size:           8
        .value_kind:     global_buffer
      - .offset:         16
        .size:           8
        .value_kind:     by_value
      - .offset:         24
        .size:           8
        .value_kind:     by_value
      - .offset:         32
        .size:           8
        .value_kind:     by_value
      - .offset:         40
        .size:           4
        .value_kind:     hidden_block_count_x
      - .offset:         44
        .size:           4
        .value_kind:     hidden_block_count_y
      - .offset:         48
        .size:           4
        .value_kind:     hidden_block_count_z
      - .offset:         52
        .size:           2
        .value_kind:     hidden_group_size_x
      - .offset:         54
        .size:           2
        .value_kind:     hidden_group_size_y
      - .offset:         56
        .size:           2
        .value_kind:     hidden_group_size_z
      - .offset:         58
        .size:           2
        .value_kind:     hidden_remainder_x
      - .offset:         60
        .size:           2
        .value_kind:     hidden_remainder_y
      - .offset:         62
        .size:           2
        .value_kind:     hidden_remainder_z
      - .offset:         80
        .size:           8
        .value_kind:     hidden_global_offset_x
      - .offset:         88
        .size:           8
        .value_kind:     hidden_global_offset_y
      - .offset:         96
        .size:           8
        .value_kind:     hidden_global_offset_z
      - .offset:         104
        .size:           2
        .value_kind:     hidden_grid_dims
      - .offset:         160
        .size:           4
        .value_kind:     hidden_dynamic_lds_size
    .group_segment_fixed_size: 0
    .kernarg_segment_align: 8
    .kernarg_segment_size: 296
    .language:       OpenCL C
    .language_version:
      - 2
      - 0
    .max_flat_workgroup_size: 1024
    .name:           _ZN2at6native12_GLOBAL__N_126cunn_SpatialSoftMaxForwardIN3c104HalfEfflNS1_25LogSoftMaxForwardEpilogueEEEvPT1_PKT_T2_SB_SB_
    .private_segment_fixed_size: 0
    .sgpr_count:     40
    .sgpr_spill_count: 0
    .symbol:         _ZN2at6native12_GLOBAL__N_126cunn_SpatialSoftMaxForwardIN3c104HalfEfflNS1_25LogSoftMaxForwardEpilogueEEEvPT1_PKT_T2_SB_SB_.kd
    .uniform_work_group_size: 1
    .uses_dynamic_stack: false
    .vgpr_count:     31
    .vgpr_spill_count: 0
    .wavefront_size: 32
    .workgroup_processor_mode: 1
  - .args:
      - .address_space:  global
        .offset:         0
        .size:           8
        .value_kind:     global_buffer
      - .address_space:  global
        .offset:         8
        .size:           8
        .value_kind:     global_buffer
      - .offset:         16
        .size:           4
        .value_kind:     by_value
      - .offset:         20
        .size:           4
        .value_kind:     by_value
      - .offset:         24
        .size:           4
        .value_kind:     by_value
      - .offset:         32
        .size:           4
        .value_kind:     hidden_block_count_x
      - .offset:         36
        .size:           4
        .value_kind:     hidden_block_count_y
      - .offset:         40
        .size:           4
        .value_kind:     hidden_block_count_z
      - .offset:         44
        .size:           2
        .value_kind:     hidden_group_size_x
      - .offset:         46
        .size:           2
        .value_kind:     hidden_group_size_y
      - .offset:         48
        .size:           2
        .value_kind:     hidden_group_size_z
      - .offset:         50
        .size:           2
        .value_kind:     hidden_remainder_x
      - .offset:         52
        .size:           2
        .value_kind:     hidden_remainder_y
      - .offset:         54
        .size:           2
        .value_kind:     hidden_remainder_z
      - .offset:         72
        .size:           8
        .value_kind:     hidden_global_offset_x
      - .offset:         80
        .size:           8
        .value_kind:     hidden_global_offset_y
      - .offset:         88
        .size:           8
        .value_kind:     hidden_global_offset_z
      - .offset:         96
        .size:           2
        .value_kind:     hidden_grid_dims
      - .offset:         152
        .size:           4
        .value_kind:     hidden_dynamic_lds_size
    .group_segment_fixed_size: 0
    .kernarg_segment_align: 8
    .kernarg_segment_size: 288
    .language:       OpenCL C
    .language_version:
      - 2
      - 0
    .max_flat_workgroup_size: 1024
    .name:           _ZN2at6native12_GLOBAL__N_126cunn_SpatialSoftMaxForwardIN3c108BFloat16EfS4_iNS1_25LogSoftMaxForwardEpilogueEEEvPT1_PKT_T2_SB_SB_
    .private_segment_fixed_size: 0
    .sgpr_count:     25
    .sgpr_spill_count: 0
    .symbol:         _ZN2at6native12_GLOBAL__N_126cunn_SpatialSoftMaxForwardIN3c108BFloat16EfS4_iNS1_25LogSoftMaxForwardEpilogueEEEvPT1_PKT_T2_SB_SB_.kd
    .uniform_work_group_size: 1
    .uses_dynamic_stack: false
    .vgpr_count:     17
    .vgpr_spill_count: 0
    .wavefront_size: 32
    .workgroup_processor_mode: 1
  - .args:
      - .address_space:  global
        .offset:         0
        .size:           8
        .value_kind:     global_buffer
      - .address_space:  global
        .offset:         8
        .size:           8
        .value_kind:     global_buffer
      - .offset:         16
        .size:           4
        .value_kind:     by_value
      - .offset:         20
        .size:           4
        .value_kind:     by_value
      - .offset:         24
        .size:           4
        .value_kind:     by_value
      - .offset:         32
        .size:           4
        .value_kind:     hidden_block_count_x
      - .offset:         36
        .size:           4
        .value_kind:     hidden_block_count_y
      - .offset:         40
        .size:           4
        .value_kind:     hidden_block_count_z
      - .offset:         44
        .size:           2
        .value_kind:     hidden_group_size_x
      - .offset:         46
        .size:           2
        .value_kind:     hidden_group_size_y
      - .offset:         48
        .size:           2
        .value_kind:     hidden_group_size_z
      - .offset:         50
        .size:           2
        .value_kind:     hidden_remainder_x
      - .offset:         52
        .size:           2
        .value_kind:     hidden_remainder_y
      - .offset:         54
        .size:           2
        .value_kind:     hidden_remainder_z
      - .offset:         72
        .size:           8
        .value_kind:     hidden_global_offset_x
      - .offset:         80
        .size:           8
        .value_kind:     hidden_global_offset_y
      - .offset:         88
        .size:           8
        .value_kind:     hidden_global_offset_z
      - .offset:         96
        .size:           2
        .value_kind:     hidden_grid_dims
      - .offset:         152
        .size:           4
        .value_kind:     hidden_dynamic_lds_size
    .group_segment_fixed_size: 0
    .kernarg_segment_align: 8
    .kernarg_segment_size: 288
    .language:       OpenCL C
    .language_version:
      - 2
      - 0
    .max_flat_workgroup_size: 1024
    .name:           _ZN2at6native12_GLOBAL__N_126cunn_SpatialSoftMaxForwardIN3c108BFloat16EffiNS1_25LogSoftMaxForwardEpilogueEEEvPT1_PKT_T2_SB_SB_
    .private_segment_fixed_size: 0
    .sgpr_count:     25
    .sgpr_spill_count: 0
    .symbol:         _ZN2at6native12_GLOBAL__N_126cunn_SpatialSoftMaxForwardIN3c108BFloat16EffiNS1_25LogSoftMaxForwardEpilogueEEEvPT1_PKT_T2_SB_SB_.kd
    .uniform_work_group_size: 1
    .uses_dynamic_stack: false
    .vgpr_count:     16
    .vgpr_spill_count: 0
    .wavefront_size: 32
    .workgroup_processor_mode: 1
  - .args:
      - .address_space:  global
        .offset:         0
        .size:           8
        .value_kind:     global_buffer
      - .address_space:  global
        .offset:         8
        .size:           8
        .value_kind:     global_buffer
      - .offset:         16
        .size:           8
        .value_kind:     by_value
      - .offset:         24
        .size:           8
        .value_kind:     by_value
      - .offset:         32
        .size:           8
        .value_kind:     by_value
      - .offset:         40
        .size:           4
        .value_kind:     hidden_block_count_x
      - .offset:         44
        .size:           4
        .value_kind:     hidden_block_count_y
      - .offset:         48
        .size:           4
        .value_kind:     hidden_block_count_z
      - .offset:         52
        .size:           2
        .value_kind:     hidden_group_size_x
      - .offset:         54
        .size:           2
        .value_kind:     hidden_group_size_y
      - .offset:         56
        .size:           2
        .value_kind:     hidden_group_size_z
      - .offset:         58
        .size:           2
        .value_kind:     hidden_remainder_x
      - .offset:         60
        .size:           2
        .value_kind:     hidden_remainder_y
      - .offset:         62
        .size:           2
        .value_kind:     hidden_remainder_z
      - .offset:         80
        .size:           8
        .value_kind:     hidden_global_offset_x
      - .offset:         88
        .size:           8
        .value_kind:     hidden_global_offset_y
      - .offset:         96
        .size:           8
        .value_kind:     hidden_global_offset_z
      - .offset:         104
        .size:           2
        .value_kind:     hidden_grid_dims
      - .offset:         160
        .size:           4
        .value_kind:     hidden_dynamic_lds_size
    .group_segment_fixed_size: 0
    .kernarg_segment_align: 8
    .kernarg_segment_size: 296
    .language:       OpenCL C
    .language_version:
      - 2
      - 0
    .max_flat_workgroup_size: 1024
    .name:           _ZN2at6native12_GLOBAL__N_126cunn_SpatialSoftMaxForwardIN3c108BFloat16EfS4_lNS1_25LogSoftMaxForwardEpilogueEEEvPT1_PKT_T2_SB_SB_
    .private_segment_fixed_size: 0
    .sgpr_count:     33
    .sgpr_spill_count: 0
    .symbol:         _ZN2at6native12_GLOBAL__N_126cunn_SpatialSoftMaxForwardIN3c108BFloat16EfS4_lNS1_25LogSoftMaxForwardEpilogueEEEvPT1_PKT_T2_SB_SB_.kd
    .uniform_work_group_size: 1
    .uses_dynamic_stack: false
    .vgpr_count:     31
    .vgpr_spill_count: 0
    .wavefront_size: 32
    .workgroup_processor_mode: 1
  - .args:
      - .address_space:  global
        .offset:         0
        .size:           8
        .value_kind:     global_buffer
      - .address_space:  global
        .offset:         8
        .size:           8
        .value_kind:     global_buffer
      - .offset:         16
        .size:           8
        .value_kind:     by_value
      - .offset:         24
        .size:           8
        .value_kind:     by_value
      - .offset:         32
        .size:           8
        .value_kind:     by_value
      - .offset:         40
        .size:           4
        .value_kind:     hidden_block_count_x
      - .offset:         44
        .size:           4
        .value_kind:     hidden_block_count_y
      - .offset:         48
        .size:           4
        .value_kind:     hidden_block_count_z
      - .offset:         52
        .size:           2
        .value_kind:     hidden_group_size_x
      - .offset:         54
        .size:           2
        .value_kind:     hidden_group_size_y
      - .offset:         56
        .size:           2
        .value_kind:     hidden_group_size_z
      - .offset:         58
        .size:           2
        .value_kind:     hidden_remainder_x
      - .offset:         60
        .size:           2
        .value_kind:     hidden_remainder_y
      - .offset:         62
        .size:           2
        .value_kind:     hidden_remainder_z
      - .offset:         80
        .size:           8
        .value_kind:     hidden_global_offset_x
      - .offset:         88
        .size:           8
        .value_kind:     hidden_global_offset_y
      - .offset:         96
        .size:           8
        .value_kind:     hidden_global_offset_z
      - .offset:         104
        .size:           2
        .value_kind:     hidden_grid_dims
      - .offset:         160
        .size:           4
        .value_kind:     hidden_dynamic_lds_size
    .group_segment_fixed_size: 0
    .kernarg_segment_align: 8
    .kernarg_segment_size: 296
    .language:       OpenCL C
    .language_version:
      - 2
      - 0
    .max_flat_workgroup_size: 1024
    .name:           _ZN2at6native12_GLOBAL__N_126cunn_SpatialSoftMaxForwardIN3c108BFloat16EfflNS1_25LogSoftMaxForwardEpilogueEEEvPT1_PKT_T2_SB_SB_
    .private_segment_fixed_size: 0
    .sgpr_count:     40
    .sgpr_spill_count: 0
    .symbol:         _ZN2at6native12_GLOBAL__N_126cunn_SpatialSoftMaxForwardIN3c108BFloat16EfflNS1_25LogSoftMaxForwardEpilogueEEEvPT1_PKT_T2_SB_SB_.kd
    .uniform_work_group_size: 1
    .uses_dynamic_stack: false
    .vgpr_count:     31
    .vgpr_spill_count: 0
    .wavefront_size: 32
    .workgroup_processor_mode: 1
  - .args:
      - .address_space:  global
        .offset:         0
        .size:           8
        .value_kind:     global_buffer
      - .address_space:  global
        .offset:         8
        .size:           8
        .value_kind:     global_buffer
      - .address_space:  global
        .offset:         16
        .size:           8
        .value_kind:     global_buffer
      - .offset:         24
        .size:           4
        .value_kind:     by_value
      - .offset:         28
        .size:           4
        .value_kind:     by_value
      - .offset:         32
        .size:           4
        .value_kind:     by_value
      - .address_space:  global
        .offset:         40
        .size:           8
        .value_kind:     global_buffer
      - .offset:         48
        .size:           4
        .value_kind:     hidden_block_count_x
      - .offset:         52
        .size:           4
        .value_kind:     hidden_block_count_y
      - .offset:         56
        .size:           4
        .value_kind:     hidden_block_count_z
      - .offset:         60
        .size:           2
        .value_kind:     hidden_group_size_x
      - .offset:         62
        .size:           2
        .value_kind:     hidden_group_size_y
      - .offset:         64
        .size:           2
        .value_kind:     hidden_group_size_z
      - .offset:         66
        .size:           2
        .value_kind:     hidden_remainder_x
      - .offset:         68
        .size:           2
        .value_kind:     hidden_remainder_y
      - .offset:         70
        .size:           2
        .value_kind:     hidden_remainder_z
      - .offset:         88
        .size:           8
        .value_kind:     hidden_global_offset_x
      - .offset:         96
        .size:           8
        .value_kind:     hidden_global_offset_y
      - .offset:         104
        .size:           8
        .value_kind:     hidden_global_offset_z
      - .offset:         112
        .size:           2
        .value_kind:     hidden_grid_dims
    .group_segment_fixed_size: 0
    .kernarg_segment_align: 8
    .kernarg_segment_size: 304
    .language:       OpenCL C
    .language_version:
      - 2
      - 0
    .max_flat_workgroup_size: 1024
    .name:           _ZN12_GLOBAL__N_121softmax_warp_backwardIdddLi0ELb1ELb0ELi64EEEvPT0_PKT_S5_iiiPKb
    .private_segment_fixed_size: 0
    .sgpr_count:     18
    .sgpr_spill_count: 0
    .symbol:         _ZN12_GLOBAL__N_121softmax_warp_backwardIdddLi0ELb1ELb0ELi64EEEvPT0_PKT_S5_iiiPKb.kd
    .uniform_work_group_size: 1
    .uses_dynamic_stack: false
    .vgpr_count:     19
    .vgpr_spill_count: 0
    .wavefront_size: 32
    .workgroup_processor_mode: 1
  - .args:
      - .address_space:  global
        .offset:         0
        .size:           8
        .value_kind:     global_buffer
      - .address_space:  global
        .offset:         8
        .size:           8
        .value_kind:     global_buffer
      - .address_space:  global
        .offset:         16
        .size:           8
        .value_kind:     global_buffer
      - .offset:         24
        .size:           4
        .value_kind:     by_value
      - .offset:         28
        .size:           4
        .value_kind:     by_value
      - .offset:         32
        .size:           4
        .value_kind:     by_value
      - .address_space:  global
        .offset:         40
        .size:           8
        .value_kind:     global_buffer
      - .offset:         48
        .size:           4
        .value_kind:     hidden_block_count_x
      - .offset:         52
        .size:           4
        .value_kind:     hidden_block_count_y
      - .offset:         56
        .size:           4
        .value_kind:     hidden_block_count_z
      - .offset:         60
        .size:           2
        .value_kind:     hidden_group_size_x
      - .offset:         62
        .size:           2
        .value_kind:     hidden_group_size_y
      - .offset:         64
        .size:           2
        .value_kind:     hidden_group_size_z
      - .offset:         66
        .size:           2
        .value_kind:     hidden_remainder_x
      - .offset:         68
        .size:           2
        .value_kind:     hidden_remainder_y
      - .offset:         70
        .size:           2
        .value_kind:     hidden_remainder_z
      - .offset:         88
        .size:           8
        .value_kind:     hidden_global_offset_x
      - .offset:         96
        .size:           8
        .value_kind:     hidden_global_offset_y
      - .offset:         104
        .size:           8
        .value_kind:     hidden_global_offset_z
      - .offset:         112
        .size:           2
        .value_kind:     hidden_grid_dims
    .group_segment_fixed_size: 0
    .kernarg_segment_align: 8
    .kernarg_segment_size: 304
    .language:       OpenCL C
    .language_version:
      - 2
      - 0
    .max_flat_workgroup_size: 1024
    .name:           _ZN12_GLOBAL__N_121softmax_warp_backwardIdddLi0ELb1ELb0ELi32EEEvPT0_PKT_S5_iiiPKb
    .private_segment_fixed_size: 0
    .sgpr_count:     18
    .sgpr_spill_count: 0
    .symbol:         _ZN12_GLOBAL__N_121softmax_warp_backwardIdddLi0ELb1ELb0ELi32EEEvPT0_PKT_S5_iiiPKb.kd
    .uniform_work_group_size: 1
    .uses_dynamic_stack: false
    .vgpr_count:     19
    .vgpr_spill_count: 0
    .wavefront_size: 32
    .workgroup_processor_mode: 1
  - .args:
      - .address_space:  global
        .offset:         0
        .size:           8
        .value_kind:     global_buffer
      - .address_space:  global
        .offset:         8
        .size:           8
        .value_kind:     global_buffer
      - .address_space:  global
        .offset:         16
        .size:           8
        .value_kind:     global_buffer
      - .offset:         24
        .size:           4
        .value_kind:     by_value
      - .offset:         28
        .size:           4
        .value_kind:     by_value
      - .offset:         32
        .size:           4
        .value_kind:     by_value
      - .address_space:  global
        .offset:         40
        .size:           8
        .value_kind:     global_buffer
      - .offset:         48
        .size:           4
        .value_kind:     hidden_block_count_x
      - .offset:         52
        .size:           4
        .value_kind:     hidden_block_count_y
      - .offset:         56
        .size:           4
        .value_kind:     hidden_block_count_z
      - .offset:         60
        .size:           2
        .value_kind:     hidden_group_size_x
      - .offset:         62
        .size:           2
        .value_kind:     hidden_group_size_y
      - .offset:         64
        .size:           2
        .value_kind:     hidden_group_size_z
      - .offset:         66
        .size:           2
        .value_kind:     hidden_remainder_x
      - .offset:         68
        .size:           2
        .value_kind:     hidden_remainder_y
      - .offset:         70
        .size:           2
        .value_kind:     hidden_remainder_z
      - .offset:         88
        .size:           8
        .value_kind:     hidden_global_offset_x
      - .offset:         96
        .size:           8
        .value_kind:     hidden_global_offset_y
      - .offset:         104
        .size:           8
        .value_kind:     hidden_global_offset_z
      - .offset:         112
        .size:           2
        .value_kind:     hidden_grid_dims
    .group_segment_fixed_size: 0
    .kernarg_segment_align: 8
    .kernarg_segment_size: 304
    .language:       OpenCL C
    .language_version:
      - 2
      - 0
    .max_flat_workgroup_size: 1024
    .name:           _ZN12_GLOBAL__N_121softmax_warp_backwardIdddLi1ELb1ELb0ELi64EEEvPT0_PKT_S5_iiiPKb
    .private_segment_fixed_size: 0
    .sgpr_count:     18
    .sgpr_spill_count: 0
    .symbol:         _ZN12_GLOBAL__N_121softmax_warp_backwardIdddLi1ELb1ELb0ELi64EEEvPT0_PKT_S5_iiiPKb.kd
    .uniform_work_group_size: 1
    .uses_dynamic_stack: false
    .vgpr_count:     26
    .vgpr_spill_count: 0
    .wavefront_size: 32
    .workgroup_processor_mode: 1
  - .args:
      - .address_space:  global
        .offset:         0
        .size:           8
        .value_kind:     global_buffer
      - .address_space:  global
        .offset:         8
        .size:           8
        .value_kind:     global_buffer
      - .address_space:  global
        .offset:         16
        .size:           8
        .value_kind:     global_buffer
      - .offset:         24
        .size:           4
        .value_kind:     by_value
      - .offset:         28
        .size:           4
        .value_kind:     by_value
      - .offset:         32
        .size:           4
        .value_kind:     by_value
      - .address_space:  global
        .offset:         40
        .size:           8
        .value_kind:     global_buffer
      - .offset:         48
        .size:           4
        .value_kind:     hidden_block_count_x
      - .offset:         52
        .size:           4
        .value_kind:     hidden_block_count_y
      - .offset:         56
        .size:           4
        .value_kind:     hidden_block_count_z
      - .offset:         60
        .size:           2
        .value_kind:     hidden_group_size_x
      - .offset:         62
        .size:           2
        .value_kind:     hidden_group_size_y
      - .offset:         64
        .size:           2
        .value_kind:     hidden_group_size_z
      - .offset:         66
        .size:           2
        .value_kind:     hidden_remainder_x
      - .offset:         68
        .size:           2
        .value_kind:     hidden_remainder_y
      - .offset:         70
        .size:           2
        .value_kind:     hidden_remainder_z
      - .offset:         88
        .size:           8
        .value_kind:     hidden_global_offset_x
      - .offset:         96
        .size:           8
        .value_kind:     hidden_global_offset_y
      - .offset:         104
        .size:           8
        .value_kind:     hidden_global_offset_z
      - .offset:         112
        .size:           2
        .value_kind:     hidden_grid_dims
    .group_segment_fixed_size: 0
    .kernarg_segment_align: 8
    .kernarg_segment_size: 304
    .language:       OpenCL C
    .language_version:
      - 2
      - 0
    .max_flat_workgroup_size: 1024
    .name:           _ZN12_GLOBAL__N_121softmax_warp_backwardIdddLi1ELb1ELb0ELi32EEEvPT0_PKT_S5_iiiPKb
    .private_segment_fixed_size: 0
    .sgpr_count:     18
    .sgpr_spill_count: 0
    .symbol:         _ZN12_GLOBAL__N_121softmax_warp_backwardIdddLi1ELb1ELb0ELi32EEEvPT0_PKT_S5_iiiPKb.kd
    .uniform_work_group_size: 1
    .uses_dynamic_stack: false
    .vgpr_count:     26
    .vgpr_spill_count: 0
    .wavefront_size: 32
    .workgroup_processor_mode: 1
  - .args:
      - .address_space:  global
        .offset:         0
        .size:           8
        .value_kind:     global_buffer
      - .address_space:  global
        .offset:         8
        .size:           8
        .value_kind:     global_buffer
      - .address_space:  global
        .offset:         16
        .size:           8
        .value_kind:     global_buffer
      - .offset:         24
        .size:           4
        .value_kind:     by_value
      - .offset:         28
        .size:           4
        .value_kind:     by_value
      - .offset:         32
        .size:           4
        .value_kind:     by_value
      - .address_space:  global
        .offset:         40
        .size:           8
        .value_kind:     global_buffer
      - .offset:         48
        .size:           4
        .value_kind:     hidden_block_count_x
      - .offset:         52
        .size:           4
        .value_kind:     hidden_block_count_y
      - .offset:         56
        .size:           4
        .value_kind:     hidden_block_count_z
      - .offset:         60
        .size:           2
        .value_kind:     hidden_group_size_x
      - .offset:         62
        .size:           2
        .value_kind:     hidden_group_size_y
      - .offset:         64
        .size:           2
        .value_kind:     hidden_group_size_z
      - .offset:         66
        .size:           2
        .value_kind:     hidden_remainder_x
      - .offset:         68
        .size:           2
        .value_kind:     hidden_remainder_y
      - .offset:         70
        .size:           2
        .value_kind:     hidden_remainder_z
      - .offset:         88
        .size:           8
        .value_kind:     hidden_global_offset_x
      - .offset:         96
        .size:           8
        .value_kind:     hidden_global_offset_y
      - .offset:         104
        .size:           8
        .value_kind:     hidden_global_offset_z
      - .offset:         112
        .size:           2
        .value_kind:     hidden_grid_dims
    .group_segment_fixed_size: 0
    .kernarg_segment_align: 8
    .kernarg_segment_size: 304
    .language:       OpenCL C
    .language_version:
      - 2
      - 0
    .max_flat_workgroup_size: 1024
    .name:           _ZN12_GLOBAL__N_121softmax_warp_backwardIdddLi2ELb1ELb0ELi64EEEvPT0_PKT_S5_iiiPKb
    .private_segment_fixed_size: 0
    .sgpr_count:     18
    .sgpr_spill_count: 0
    .symbol:         _ZN12_GLOBAL__N_121softmax_warp_backwardIdddLi2ELb1ELb0ELi64EEEvPT0_PKT_S5_iiiPKb.kd
    .uniform_work_group_size: 1
    .uses_dynamic_stack: false
    .vgpr_count:     26
    .vgpr_spill_count: 0
    .wavefront_size: 32
    .workgroup_processor_mode: 1
  - .args:
      - .address_space:  global
        .offset:         0
        .size:           8
        .value_kind:     global_buffer
      - .address_space:  global
        .offset:         8
        .size:           8
        .value_kind:     global_buffer
      - .address_space:  global
        .offset:         16
        .size:           8
        .value_kind:     global_buffer
      - .offset:         24
        .size:           4
        .value_kind:     by_value
      - .offset:         28
        .size:           4
        .value_kind:     by_value
      - .offset:         32
        .size:           4
        .value_kind:     by_value
      - .address_space:  global
        .offset:         40
        .size:           8
        .value_kind:     global_buffer
      - .offset:         48
        .size:           4
        .value_kind:     hidden_block_count_x
      - .offset:         52
        .size:           4
        .value_kind:     hidden_block_count_y
      - .offset:         56
        .size:           4
        .value_kind:     hidden_block_count_z
      - .offset:         60
        .size:           2
        .value_kind:     hidden_group_size_x
      - .offset:         62
        .size:           2
        .value_kind:     hidden_group_size_y
      - .offset:         64
        .size:           2
        .value_kind:     hidden_group_size_z
      - .offset:         66
        .size:           2
        .value_kind:     hidden_remainder_x
      - .offset:         68
        .size:           2
        .value_kind:     hidden_remainder_y
      - .offset:         70
        .size:           2
        .value_kind:     hidden_remainder_z
      - .offset:         88
        .size:           8
        .value_kind:     hidden_global_offset_x
      - .offset:         96
        .size:           8
        .value_kind:     hidden_global_offset_y
      - .offset:         104
        .size:           8
        .value_kind:     hidden_global_offset_z
      - .offset:         112
        .size:           2
        .value_kind:     hidden_grid_dims
    .group_segment_fixed_size: 0
    .kernarg_segment_align: 8
    .kernarg_segment_size: 304
    .language:       OpenCL C
    .language_version:
      - 2
      - 0
    .max_flat_workgroup_size: 1024
    .name:           _ZN12_GLOBAL__N_121softmax_warp_backwardIdddLi2ELb1ELb0ELi32EEEvPT0_PKT_S5_iiiPKb
    .private_segment_fixed_size: 0
    .sgpr_count:     18
    .sgpr_spill_count: 0
    .symbol:         _ZN12_GLOBAL__N_121softmax_warp_backwardIdddLi2ELb1ELb0ELi32EEEvPT0_PKT_S5_iiiPKb.kd
    .uniform_work_group_size: 1
    .uses_dynamic_stack: false
    .vgpr_count:     26
    .vgpr_spill_count: 0
    .wavefront_size: 32
    .workgroup_processor_mode: 1
  - .args:
      - .address_space:  global
        .offset:         0
        .size:           8
        .value_kind:     global_buffer
      - .address_space:  global
        .offset:         8
        .size:           8
        .value_kind:     global_buffer
      - .address_space:  global
        .offset:         16
        .size:           8
        .value_kind:     global_buffer
      - .offset:         24
        .size:           4
        .value_kind:     by_value
      - .offset:         28
        .size:           4
        .value_kind:     by_value
      - .offset:         32
        .size:           4
        .value_kind:     by_value
      - .address_space:  global
        .offset:         40
        .size:           8
        .value_kind:     global_buffer
      - .offset:         48
        .size:           4
        .value_kind:     hidden_block_count_x
      - .offset:         52
        .size:           4
        .value_kind:     hidden_block_count_y
      - .offset:         56
        .size:           4
        .value_kind:     hidden_block_count_z
      - .offset:         60
        .size:           2
        .value_kind:     hidden_group_size_x
      - .offset:         62
        .size:           2
        .value_kind:     hidden_group_size_y
      - .offset:         64
        .size:           2
        .value_kind:     hidden_group_size_z
      - .offset:         66
        .size:           2
        .value_kind:     hidden_remainder_x
      - .offset:         68
        .size:           2
        .value_kind:     hidden_remainder_y
      - .offset:         70
        .size:           2
        .value_kind:     hidden_remainder_z
      - .offset:         88
        .size:           8
        .value_kind:     hidden_global_offset_x
      - .offset:         96
        .size:           8
        .value_kind:     hidden_global_offset_y
      - .offset:         104
        .size:           8
        .value_kind:     hidden_global_offset_z
      - .offset:         112
        .size:           2
        .value_kind:     hidden_grid_dims
    .group_segment_fixed_size: 0
    .kernarg_segment_align: 8
    .kernarg_segment_size: 304
    .language:       OpenCL C
    .language_version:
      - 2
      - 0
    .max_flat_workgroup_size: 1024
    .name:           _ZN12_GLOBAL__N_121softmax_warp_backwardIdddLi3ELb1ELb0ELi64EEEvPT0_PKT_S5_iiiPKb
    .private_segment_fixed_size: 0
    .sgpr_count:     18
    .sgpr_spill_count: 0
    .symbol:         _ZN12_GLOBAL__N_121softmax_warp_backwardIdddLi3ELb1ELb0ELi64EEEvPT0_PKT_S5_iiiPKb.kd
    .uniform_work_group_size: 1
    .uses_dynamic_stack: false
    .vgpr_count:     26
    .vgpr_spill_count: 0
    .wavefront_size: 32
    .workgroup_processor_mode: 1
  - .args:
      - .address_space:  global
        .offset:         0
        .size:           8
        .value_kind:     global_buffer
      - .address_space:  global
        .offset:         8
        .size:           8
        .value_kind:     global_buffer
      - .address_space:  global
        .offset:         16
        .size:           8
        .value_kind:     global_buffer
      - .offset:         24
        .size:           4
        .value_kind:     by_value
      - .offset:         28
        .size:           4
        .value_kind:     by_value
      - .offset:         32
        .size:           4
        .value_kind:     by_value
      - .address_space:  global
        .offset:         40
        .size:           8
        .value_kind:     global_buffer
      - .offset:         48
        .size:           4
        .value_kind:     hidden_block_count_x
      - .offset:         52
        .size:           4
        .value_kind:     hidden_block_count_y
      - .offset:         56
        .size:           4
        .value_kind:     hidden_block_count_z
      - .offset:         60
        .size:           2
        .value_kind:     hidden_group_size_x
      - .offset:         62
        .size:           2
        .value_kind:     hidden_group_size_y
      - .offset:         64
        .size:           2
        .value_kind:     hidden_group_size_z
      - .offset:         66
        .size:           2
        .value_kind:     hidden_remainder_x
      - .offset:         68
        .size:           2
        .value_kind:     hidden_remainder_y
      - .offset:         70
        .size:           2
        .value_kind:     hidden_remainder_z
      - .offset:         88
        .size:           8
        .value_kind:     hidden_global_offset_x
      - .offset:         96
        .size:           8
        .value_kind:     hidden_global_offset_y
      - .offset:         104
        .size:           8
        .value_kind:     hidden_global_offset_z
      - .offset:         112
        .size:           2
        .value_kind:     hidden_grid_dims
    .group_segment_fixed_size: 0
    .kernarg_segment_align: 8
    .kernarg_segment_size: 304
    .language:       OpenCL C
    .language_version:
      - 2
      - 0
    .max_flat_workgroup_size: 1024
    .name:           _ZN12_GLOBAL__N_121softmax_warp_backwardIdddLi3ELb1ELb0ELi32EEEvPT0_PKT_S5_iiiPKb
    .private_segment_fixed_size: 0
    .sgpr_count:     18
    .sgpr_spill_count: 0
    .symbol:         _ZN12_GLOBAL__N_121softmax_warp_backwardIdddLi3ELb1ELb0ELi32EEEvPT0_PKT_S5_iiiPKb.kd
    .uniform_work_group_size: 1
    .uses_dynamic_stack: false
    .vgpr_count:     26
    .vgpr_spill_count: 0
    .wavefront_size: 32
    .workgroup_processor_mode: 1
  - .args:
      - .address_space:  global
        .offset:         0
        .size:           8
        .value_kind:     global_buffer
      - .address_space:  global
        .offset:         8
        .size:           8
        .value_kind:     global_buffer
      - .address_space:  global
        .offset:         16
        .size:           8
        .value_kind:     global_buffer
      - .offset:         24
        .size:           4
        .value_kind:     by_value
      - .offset:         28
        .size:           4
        .value_kind:     by_value
      - .offset:         32
        .size:           4
        .value_kind:     by_value
      - .address_space:  global
        .offset:         40
        .size:           8
        .value_kind:     global_buffer
      - .offset:         48
        .size:           4
        .value_kind:     hidden_block_count_x
      - .offset:         52
        .size:           4
        .value_kind:     hidden_block_count_y
      - .offset:         56
        .size:           4
        .value_kind:     hidden_block_count_z
      - .offset:         60
        .size:           2
        .value_kind:     hidden_group_size_x
      - .offset:         62
        .size:           2
        .value_kind:     hidden_group_size_y
      - .offset:         64
        .size:           2
        .value_kind:     hidden_group_size_z
      - .offset:         66
        .size:           2
        .value_kind:     hidden_remainder_x
      - .offset:         68
        .size:           2
        .value_kind:     hidden_remainder_y
      - .offset:         70
        .size:           2
        .value_kind:     hidden_remainder_z
      - .offset:         88
        .size:           8
        .value_kind:     hidden_global_offset_x
      - .offset:         96
        .size:           8
        .value_kind:     hidden_global_offset_y
      - .offset:         104
        .size:           8
        .value_kind:     hidden_global_offset_z
      - .offset:         112
        .size:           2
        .value_kind:     hidden_grid_dims
    .group_segment_fixed_size: 0
    .kernarg_segment_align: 8
    .kernarg_segment_size: 304
    .language:       OpenCL C
    .language_version:
      - 2
      - 0
    .max_flat_workgroup_size: 1024
    .name:           _ZN12_GLOBAL__N_121softmax_warp_backwardIdddLi4ELb1ELb0ELi64EEEvPT0_PKT_S5_iiiPKb
    .private_segment_fixed_size: 0
    .sgpr_count:     18
    .sgpr_spill_count: 0
    .symbol:         _ZN12_GLOBAL__N_121softmax_warp_backwardIdddLi4ELb1ELb0ELi64EEEvPT0_PKT_S5_iiiPKb.kd
    .uniform_work_group_size: 1
    .uses_dynamic_stack: false
    .vgpr_count:     26
    .vgpr_spill_count: 0
    .wavefront_size: 32
    .workgroup_processor_mode: 1
  - .args:
      - .address_space:  global
        .offset:         0
        .size:           8
        .value_kind:     global_buffer
      - .address_space:  global
        .offset:         8
        .size:           8
        .value_kind:     global_buffer
      - .address_space:  global
        .offset:         16
        .size:           8
        .value_kind:     global_buffer
      - .offset:         24
        .size:           4
        .value_kind:     by_value
      - .offset:         28
        .size:           4
        .value_kind:     by_value
      - .offset:         32
        .size:           4
        .value_kind:     by_value
      - .address_space:  global
        .offset:         40
        .size:           8
        .value_kind:     global_buffer
      - .offset:         48
        .size:           4
        .value_kind:     hidden_block_count_x
      - .offset:         52
        .size:           4
        .value_kind:     hidden_block_count_y
      - .offset:         56
        .size:           4
        .value_kind:     hidden_block_count_z
      - .offset:         60
        .size:           2
        .value_kind:     hidden_group_size_x
      - .offset:         62
        .size:           2
        .value_kind:     hidden_group_size_y
      - .offset:         64
        .size:           2
        .value_kind:     hidden_group_size_z
      - .offset:         66
        .size:           2
        .value_kind:     hidden_remainder_x
      - .offset:         68
        .size:           2
        .value_kind:     hidden_remainder_y
      - .offset:         70
        .size:           2
        .value_kind:     hidden_remainder_z
      - .offset:         88
        .size:           8
        .value_kind:     hidden_global_offset_x
      - .offset:         96
        .size:           8
        .value_kind:     hidden_global_offset_y
      - .offset:         104
        .size:           8
        .value_kind:     hidden_global_offset_z
      - .offset:         112
        .size:           2
        .value_kind:     hidden_grid_dims
    .group_segment_fixed_size: 0
    .kernarg_segment_align: 8
    .kernarg_segment_size: 304
    .language:       OpenCL C
    .language_version:
      - 2
      - 0
    .max_flat_workgroup_size: 1024
    .name:           _ZN12_GLOBAL__N_121softmax_warp_backwardIdddLi4ELb1ELb0ELi32EEEvPT0_PKT_S5_iiiPKb
    .private_segment_fixed_size: 0
    .sgpr_count:     18
    .sgpr_spill_count: 0
    .symbol:         _ZN12_GLOBAL__N_121softmax_warp_backwardIdddLi4ELb1ELb0ELi32EEEvPT0_PKT_S5_iiiPKb.kd
    .uniform_work_group_size: 1
    .uses_dynamic_stack: false
    .vgpr_count:     26
    .vgpr_spill_count: 0
    .wavefront_size: 32
    .workgroup_processor_mode: 1
  - .args:
      - .address_space:  global
        .offset:         0
        .size:           8
        .value_kind:     global_buffer
      - .address_space:  global
        .offset:         8
        .size:           8
        .value_kind:     global_buffer
      - .address_space:  global
        .offset:         16
        .size:           8
        .value_kind:     global_buffer
      - .offset:         24
        .size:           4
        .value_kind:     by_value
      - .offset:         28
        .size:           4
        .value_kind:     by_value
      - .offset:         32
        .size:           4
        .value_kind:     by_value
      - .address_space:  global
        .offset:         40
        .size:           8
        .value_kind:     global_buffer
      - .offset:         48
        .size:           4
        .value_kind:     hidden_block_count_x
      - .offset:         52
        .size:           4
        .value_kind:     hidden_block_count_y
      - .offset:         56
        .size:           4
        .value_kind:     hidden_block_count_z
      - .offset:         60
        .size:           2
        .value_kind:     hidden_group_size_x
      - .offset:         62
        .size:           2
        .value_kind:     hidden_group_size_y
      - .offset:         64
        .size:           2
        .value_kind:     hidden_group_size_z
      - .offset:         66
        .size:           2
        .value_kind:     hidden_remainder_x
      - .offset:         68
        .size:           2
        .value_kind:     hidden_remainder_y
      - .offset:         70
        .size:           2
        .value_kind:     hidden_remainder_z
      - .offset:         88
        .size:           8
        .value_kind:     hidden_global_offset_x
      - .offset:         96
        .size:           8
        .value_kind:     hidden_global_offset_y
      - .offset:         104
        .size:           8
        .value_kind:     hidden_global_offset_z
      - .offset:         112
        .size:           2
        .value_kind:     hidden_grid_dims
    .group_segment_fixed_size: 0
    .kernarg_segment_align: 8
    .kernarg_segment_size: 304
    .language:       OpenCL C
    .language_version:
      - 2
      - 0
    .max_flat_workgroup_size: 1024
    .name:           _ZN12_GLOBAL__N_121softmax_warp_backwardIdddLi5ELb1ELb0ELi64EEEvPT0_PKT_S5_iiiPKb
    .private_segment_fixed_size: 0
    .sgpr_count:     18
    .sgpr_spill_count: 0
    .symbol:         _ZN12_GLOBAL__N_121softmax_warp_backwardIdddLi5ELb1ELb0ELi64EEEvPT0_PKT_S5_iiiPKb.kd
    .uniform_work_group_size: 1
    .uses_dynamic_stack: false
    .vgpr_count:     26
    .vgpr_spill_count: 0
    .wavefront_size: 32
    .workgroup_processor_mode: 1
  - .args:
      - .address_space:  global
        .offset:         0
        .size:           8
        .value_kind:     global_buffer
      - .address_space:  global
        .offset:         8
        .size:           8
        .value_kind:     global_buffer
      - .address_space:  global
        .offset:         16
        .size:           8
        .value_kind:     global_buffer
      - .offset:         24
        .size:           4
        .value_kind:     by_value
      - .offset:         28
        .size:           4
        .value_kind:     by_value
      - .offset:         32
        .size:           4
        .value_kind:     by_value
      - .address_space:  global
        .offset:         40
        .size:           8
        .value_kind:     global_buffer
      - .offset:         48
        .size:           4
        .value_kind:     hidden_block_count_x
      - .offset:         52
        .size:           4
        .value_kind:     hidden_block_count_y
      - .offset:         56
        .size:           4
        .value_kind:     hidden_block_count_z
      - .offset:         60
        .size:           2
        .value_kind:     hidden_group_size_x
      - .offset:         62
        .size:           2
        .value_kind:     hidden_group_size_y
      - .offset:         64
        .size:           2
        .value_kind:     hidden_group_size_z
      - .offset:         66
        .size:           2
        .value_kind:     hidden_remainder_x
      - .offset:         68
        .size:           2
        .value_kind:     hidden_remainder_y
      - .offset:         70
        .size:           2
        .value_kind:     hidden_remainder_z
      - .offset:         88
        .size:           8
        .value_kind:     hidden_global_offset_x
      - .offset:         96
        .size:           8
        .value_kind:     hidden_global_offset_y
      - .offset:         104
        .size:           8
        .value_kind:     hidden_global_offset_z
      - .offset:         112
        .size:           2
        .value_kind:     hidden_grid_dims
    .group_segment_fixed_size: 0
    .kernarg_segment_align: 8
    .kernarg_segment_size: 304
    .language:       OpenCL C
    .language_version:
      - 2
      - 0
    .max_flat_workgroup_size: 1024
    .name:           _ZN12_GLOBAL__N_121softmax_warp_backwardIdddLi5ELb1ELb0ELi32EEEvPT0_PKT_S5_iiiPKb
    .private_segment_fixed_size: 0
    .sgpr_count:     18
    .sgpr_spill_count: 0
    .symbol:         _ZN12_GLOBAL__N_121softmax_warp_backwardIdddLi5ELb1ELb0ELi32EEEvPT0_PKT_S5_iiiPKb.kd
    .uniform_work_group_size: 1
    .uses_dynamic_stack: false
    .vgpr_count:     26
    .vgpr_spill_count: 0
    .wavefront_size: 32
    .workgroup_processor_mode: 1
  - .args:
      - .address_space:  global
        .offset:         0
        .size:           8
        .value_kind:     global_buffer
      - .address_space:  global
        .offset:         8
        .size:           8
        .value_kind:     global_buffer
      - .address_space:  global
        .offset:         16
        .size:           8
        .value_kind:     global_buffer
      - .offset:         24
        .size:           4
        .value_kind:     by_value
      - .offset:         28
        .size:           4
        .value_kind:     by_value
      - .offset:         32
        .size:           4
        .value_kind:     by_value
      - .address_space:  global
        .offset:         40
        .size:           8
        .value_kind:     global_buffer
      - .offset:         48
        .size:           4
        .value_kind:     hidden_block_count_x
      - .offset:         52
        .size:           4
        .value_kind:     hidden_block_count_y
      - .offset:         56
        .size:           4
        .value_kind:     hidden_block_count_z
      - .offset:         60
        .size:           2
        .value_kind:     hidden_group_size_x
      - .offset:         62
        .size:           2
        .value_kind:     hidden_group_size_y
      - .offset:         64
        .size:           2
        .value_kind:     hidden_group_size_z
      - .offset:         66
        .size:           2
        .value_kind:     hidden_remainder_x
      - .offset:         68
        .size:           2
        .value_kind:     hidden_remainder_y
      - .offset:         70
        .size:           2
        .value_kind:     hidden_remainder_z
      - .offset:         88
        .size:           8
        .value_kind:     hidden_global_offset_x
      - .offset:         96
        .size:           8
        .value_kind:     hidden_global_offset_y
      - .offset:         104
        .size:           8
        .value_kind:     hidden_global_offset_z
      - .offset:         112
        .size:           2
        .value_kind:     hidden_grid_dims
    .group_segment_fixed_size: 0
    .kernarg_segment_align: 8
    .kernarg_segment_size: 304
    .language:       OpenCL C
    .language_version:
      - 2
      - 0
    .max_flat_workgroup_size: 1024
    .name:           _ZN12_GLOBAL__N_121softmax_warp_backwardIdddLi6ELb1ELb0ELi64EEEvPT0_PKT_S5_iiiPKb
    .private_segment_fixed_size: 0
    .sgpr_count:     18
    .sgpr_spill_count: 0
    .symbol:         _ZN12_GLOBAL__N_121softmax_warp_backwardIdddLi6ELb1ELb0ELi64EEEvPT0_PKT_S5_iiiPKb.kd
    .uniform_work_group_size: 1
    .uses_dynamic_stack: false
    .vgpr_count:     26
    .vgpr_spill_count: 0
    .wavefront_size: 32
    .workgroup_processor_mode: 1
  - .args:
      - .address_space:  global
        .offset:         0
        .size:           8
        .value_kind:     global_buffer
      - .address_space:  global
        .offset:         8
        .size:           8
        .value_kind:     global_buffer
      - .address_space:  global
        .offset:         16
        .size:           8
        .value_kind:     global_buffer
      - .offset:         24
        .size:           4
        .value_kind:     by_value
      - .offset:         28
        .size:           4
        .value_kind:     by_value
      - .offset:         32
        .size:           4
        .value_kind:     by_value
      - .address_space:  global
        .offset:         40
        .size:           8
        .value_kind:     global_buffer
      - .offset:         48
        .size:           4
        .value_kind:     hidden_block_count_x
      - .offset:         52
        .size:           4
        .value_kind:     hidden_block_count_y
      - .offset:         56
        .size:           4
        .value_kind:     hidden_block_count_z
      - .offset:         60
        .size:           2
        .value_kind:     hidden_group_size_x
      - .offset:         62
        .size:           2
        .value_kind:     hidden_group_size_y
      - .offset:         64
        .size:           2
        .value_kind:     hidden_group_size_z
      - .offset:         66
        .size:           2
        .value_kind:     hidden_remainder_x
      - .offset:         68
        .size:           2
        .value_kind:     hidden_remainder_y
      - .offset:         70
        .size:           2
        .value_kind:     hidden_remainder_z
      - .offset:         88
        .size:           8
        .value_kind:     hidden_global_offset_x
      - .offset:         96
        .size:           8
        .value_kind:     hidden_global_offset_y
      - .offset:         104
        .size:           8
        .value_kind:     hidden_global_offset_z
      - .offset:         112
        .size:           2
        .value_kind:     hidden_grid_dims
    .group_segment_fixed_size: 0
    .kernarg_segment_align: 8
    .kernarg_segment_size: 304
    .language:       OpenCL C
    .language_version:
      - 2
      - 0
    .max_flat_workgroup_size: 1024
    .name:           _ZN12_GLOBAL__N_121softmax_warp_backwardIdddLi6ELb1ELb0ELi32EEEvPT0_PKT_S5_iiiPKb
    .private_segment_fixed_size: 0
    .sgpr_count:     18
    .sgpr_spill_count: 0
    .symbol:         _ZN12_GLOBAL__N_121softmax_warp_backwardIdddLi6ELb1ELb0ELi32EEEvPT0_PKT_S5_iiiPKb.kd
    .uniform_work_group_size: 1
    .uses_dynamic_stack: false
    .vgpr_count:     32
    .vgpr_spill_count: 0
    .wavefront_size: 32
    .workgroup_processor_mode: 1
  - .args:
      - .address_space:  global
        .offset:         0
        .size:           8
        .value_kind:     global_buffer
      - .address_space:  global
        .offset:         8
        .size:           8
        .value_kind:     global_buffer
      - .address_space:  global
        .offset:         16
        .size:           8
        .value_kind:     global_buffer
      - .offset:         24
        .size:           4
        .value_kind:     by_value
      - .offset:         28
        .size:           4
        .value_kind:     by_value
      - .offset:         32
        .size:           4
        .value_kind:     by_value
      - .address_space:  global
        .offset:         40
        .size:           8
        .value_kind:     global_buffer
      - .offset:         48
        .size:           4
        .value_kind:     hidden_block_count_x
      - .offset:         52
        .size:           4
        .value_kind:     hidden_block_count_y
      - .offset:         56
        .size:           4
        .value_kind:     hidden_block_count_z
      - .offset:         60
        .size:           2
        .value_kind:     hidden_group_size_x
      - .offset:         62
        .size:           2
        .value_kind:     hidden_group_size_y
      - .offset:         64
        .size:           2
        .value_kind:     hidden_group_size_z
      - .offset:         66
        .size:           2
        .value_kind:     hidden_remainder_x
      - .offset:         68
        .size:           2
        .value_kind:     hidden_remainder_y
      - .offset:         70
        .size:           2
        .value_kind:     hidden_remainder_z
      - .offset:         88
        .size:           8
        .value_kind:     hidden_global_offset_x
      - .offset:         96
        .size:           8
        .value_kind:     hidden_global_offset_y
      - .offset:         104
        .size:           8
        .value_kind:     hidden_global_offset_z
      - .offset:         112
        .size:           2
        .value_kind:     hidden_grid_dims
    .group_segment_fixed_size: 0
    .kernarg_segment_align: 8
    .kernarg_segment_size: 304
    .language:       OpenCL C
    .language_version:
      - 2
      - 0
    .max_flat_workgroup_size: 1024
    .name:           _ZN12_GLOBAL__N_121softmax_warp_backwardIdddLi7ELb1ELb0ELi64EEEvPT0_PKT_S5_iiiPKb
    .private_segment_fixed_size: 0
    .sgpr_count:     18
    .sgpr_spill_count: 0
    .symbol:         _ZN12_GLOBAL__N_121softmax_warp_backwardIdddLi7ELb1ELb0ELi64EEEvPT0_PKT_S5_iiiPKb.kd
    .uniform_work_group_size: 1
    .uses_dynamic_stack: false
    .vgpr_count:     32
    .vgpr_spill_count: 0
    .wavefront_size: 32
    .workgroup_processor_mode: 1
  - .args:
      - .address_space:  global
        .offset:         0
        .size:           8
        .value_kind:     global_buffer
      - .address_space:  global
        .offset:         8
        .size:           8
        .value_kind:     global_buffer
      - .address_space:  global
        .offset:         16
        .size:           8
        .value_kind:     global_buffer
      - .offset:         24
        .size:           4
        .value_kind:     by_value
      - .offset:         28
        .size:           4
        .value_kind:     by_value
      - .offset:         32
        .size:           4
        .value_kind:     by_value
      - .address_space:  global
        .offset:         40
        .size:           8
        .value_kind:     global_buffer
      - .offset:         48
        .size:           4
        .value_kind:     hidden_block_count_x
      - .offset:         52
        .size:           4
        .value_kind:     hidden_block_count_y
      - .offset:         56
        .size:           4
        .value_kind:     hidden_block_count_z
      - .offset:         60
        .size:           2
        .value_kind:     hidden_group_size_x
      - .offset:         62
        .size:           2
        .value_kind:     hidden_group_size_y
      - .offset:         64
        .size:           2
        .value_kind:     hidden_group_size_z
      - .offset:         66
        .size:           2
        .value_kind:     hidden_remainder_x
      - .offset:         68
        .size:           2
        .value_kind:     hidden_remainder_y
      - .offset:         70
        .size:           2
        .value_kind:     hidden_remainder_z
      - .offset:         88
        .size:           8
        .value_kind:     hidden_global_offset_x
      - .offset:         96
        .size:           8
        .value_kind:     hidden_global_offset_y
      - .offset:         104
        .size:           8
        .value_kind:     hidden_global_offset_z
      - .offset:         112
        .size:           2
        .value_kind:     hidden_grid_dims
    .group_segment_fixed_size: 0
    .kernarg_segment_align: 8
    .kernarg_segment_size: 304
    .language:       OpenCL C
    .language_version:
      - 2
      - 0
    .max_flat_workgroup_size: 1024
    .name:           _ZN12_GLOBAL__N_121softmax_warp_backwardIdddLi7ELb1ELb0ELi32EEEvPT0_PKT_S5_iiiPKb
    .private_segment_fixed_size: 0
    .sgpr_count:     18
    .sgpr_spill_count: 0
    .symbol:         _ZN12_GLOBAL__N_121softmax_warp_backwardIdddLi7ELb1ELb0ELi32EEEvPT0_PKT_S5_iiiPKb.kd
    .uniform_work_group_size: 1
    .uses_dynamic_stack: false
    .vgpr_count:     48
    .vgpr_spill_count: 0
    .wavefront_size: 32
    .workgroup_processor_mode: 1
  - .args:
      - .address_space:  global
        .offset:         0
        .size:           8
        .value_kind:     global_buffer
      - .address_space:  global
        .offset:         8
        .size:           8
        .value_kind:     global_buffer
      - .address_space:  global
        .offset:         16
        .size:           8
        .value_kind:     global_buffer
      - .offset:         24
        .size:           4
        .value_kind:     by_value
      - .offset:         28
        .size:           4
        .value_kind:     by_value
      - .offset:         32
        .size:           4
        .value_kind:     by_value
      - .address_space:  global
        .offset:         40
        .size:           8
        .value_kind:     global_buffer
      - .offset:         48
        .size:           4
        .value_kind:     hidden_block_count_x
      - .offset:         52
        .size:           4
        .value_kind:     hidden_block_count_y
      - .offset:         56
        .size:           4
        .value_kind:     hidden_block_count_z
      - .offset:         60
        .size:           2
        .value_kind:     hidden_group_size_x
      - .offset:         62
        .size:           2
        .value_kind:     hidden_group_size_y
      - .offset:         64
        .size:           2
        .value_kind:     hidden_group_size_z
      - .offset:         66
        .size:           2
        .value_kind:     hidden_remainder_x
      - .offset:         68
        .size:           2
        .value_kind:     hidden_remainder_y
      - .offset:         70
        .size:           2
        .value_kind:     hidden_remainder_z
      - .offset:         88
        .size:           8
        .value_kind:     hidden_global_offset_x
      - .offset:         96
        .size:           8
        .value_kind:     hidden_global_offset_y
      - .offset:         104
        .size:           8
        .value_kind:     hidden_global_offset_z
      - .offset:         112
        .size:           2
        .value_kind:     hidden_grid_dims
    .group_segment_fixed_size: 0
    .kernarg_segment_align: 8
    .kernarg_segment_size: 304
    .language:       OpenCL C
    .language_version:
      - 2
      - 0
    .max_flat_workgroup_size: 1024
    .name:           _ZN12_GLOBAL__N_121softmax_warp_backwardIdddLi8ELb1ELb0ELi64EEEvPT0_PKT_S5_iiiPKb
    .private_segment_fixed_size: 0
    .sgpr_count:     18
    .sgpr_spill_count: 0
    .symbol:         _ZN12_GLOBAL__N_121softmax_warp_backwardIdddLi8ELb1ELb0ELi64EEEvPT0_PKT_S5_iiiPKb.kd
    .uniform_work_group_size: 1
    .uses_dynamic_stack: false
    .vgpr_count:     27
    .vgpr_spill_count: 0
    .wavefront_size: 32
    .workgroup_processor_mode: 1
  - .args:
      - .address_space:  global
        .offset:         0
        .size:           8
        .value_kind:     global_buffer
      - .address_space:  global
        .offset:         8
        .size:           8
        .value_kind:     global_buffer
      - .address_space:  global
        .offset:         16
        .size:           8
        .value_kind:     global_buffer
      - .offset:         24
        .size:           4
        .value_kind:     by_value
      - .offset:         28
        .size:           4
        .value_kind:     by_value
      - .offset:         32
        .size:           4
        .value_kind:     by_value
      - .address_space:  global
        .offset:         40
        .size:           8
        .value_kind:     global_buffer
      - .offset:         48
        .size:           4
        .value_kind:     hidden_block_count_x
      - .offset:         52
        .size:           4
        .value_kind:     hidden_block_count_y
      - .offset:         56
        .size:           4
        .value_kind:     hidden_block_count_z
      - .offset:         60
        .size:           2
        .value_kind:     hidden_group_size_x
      - .offset:         62
        .size:           2
        .value_kind:     hidden_group_size_y
      - .offset:         64
        .size:           2
        .value_kind:     hidden_group_size_z
      - .offset:         66
        .size:           2
        .value_kind:     hidden_remainder_x
      - .offset:         68
        .size:           2
        .value_kind:     hidden_remainder_y
      - .offset:         70
        .size:           2
        .value_kind:     hidden_remainder_z
      - .offset:         88
        .size:           8
        .value_kind:     hidden_global_offset_x
      - .offset:         96
        .size:           8
        .value_kind:     hidden_global_offset_y
      - .offset:         104
        .size:           8
        .value_kind:     hidden_global_offset_z
      - .offset:         112
        .size:           2
        .value_kind:     hidden_grid_dims
    .group_segment_fixed_size: 0
    .kernarg_segment_align: 8
    .kernarg_segment_size: 304
    .language:       OpenCL C
    .language_version:
      - 2
      - 0
    .max_flat_workgroup_size: 1024
    .name:           _ZN12_GLOBAL__N_121softmax_warp_backwardIdddLi8ELb1ELb0ELi32EEEvPT0_PKT_S5_iiiPKb
    .private_segment_fixed_size: 0
    .sgpr_count:     22
    .sgpr_spill_count: 0
    .symbol:         _ZN12_GLOBAL__N_121softmax_warp_backwardIdddLi8ELb1ELb0ELi32EEEvPT0_PKT_S5_iiiPKb.kd
    .uniform_work_group_size: 1
    .uses_dynamic_stack: false
    .vgpr_count:     43
    .vgpr_spill_count: 0
    .wavefront_size: 32
    .workgroup_processor_mode: 1
  - .args:
      - .address_space:  global
        .offset:         0
        .size:           8
        .value_kind:     global_buffer
      - .address_space:  global
        .offset:         8
        .size:           8
        .value_kind:     global_buffer
      - .address_space:  global
        .offset:         16
        .size:           8
        .value_kind:     global_buffer
      - .offset:         24
        .size:           4
        .value_kind:     by_value
      - .offset:         28
        .size:           4
        .value_kind:     by_value
      - .offset:         32
        .size:           4
        .value_kind:     by_value
      - .address_space:  global
        .offset:         40
        .size:           8
        .value_kind:     global_buffer
      - .offset:         48
        .size:           4
        .value_kind:     hidden_block_count_x
      - .offset:         52
        .size:           4
        .value_kind:     hidden_block_count_y
      - .offset:         56
        .size:           4
        .value_kind:     hidden_block_count_z
      - .offset:         60
        .size:           2
        .value_kind:     hidden_group_size_x
      - .offset:         62
        .size:           2
        .value_kind:     hidden_group_size_y
      - .offset:         64
        .size:           2
        .value_kind:     hidden_group_size_z
      - .offset:         66
        .size:           2
        .value_kind:     hidden_remainder_x
      - .offset:         68
        .size:           2
        .value_kind:     hidden_remainder_y
      - .offset:         70
        .size:           2
        .value_kind:     hidden_remainder_z
      - .offset:         88
        .size:           8
        .value_kind:     hidden_global_offset_x
      - .offset:         96
        .size:           8
        .value_kind:     hidden_global_offset_y
      - .offset:         104
        .size:           8
        .value_kind:     hidden_global_offset_z
      - .offset:         112
        .size:           2
        .value_kind:     hidden_grid_dims
    .group_segment_fixed_size: 0
    .kernarg_segment_align: 8
    .kernarg_segment_size: 304
    .language:       OpenCL C
    .language_version:
      - 2
      - 0
    .max_flat_workgroup_size: 1024
    .name:           _ZN12_GLOBAL__N_121softmax_warp_backwardIdddLi9ELb1ELb0ELi64EEEvPT0_PKT_S5_iiiPKb
    .private_segment_fixed_size: 0
    .sgpr_count:     22
    .sgpr_spill_count: 0
    .symbol:         _ZN12_GLOBAL__N_121softmax_warp_backwardIdddLi9ELb1ELb0ELi64EEEvPT0_PKT_S5_iiiPKb.kd
    .uniform_work_group_size: 1
    .uses_dynamic_stack: false
    .vgpr_count:     43
    .vgpr_spill_count: 0
    .wavefront_size: 32
    .workgroup_processor_mode: 1
  - .args:
      - .address_space:  global
        .offset:         0
        .size:           8
        .value_kind:     global_buffer
      - .address_space:  global
        .offset:         8
        .size:           8
        .value_kind:     global_buffer
      - .address_space:  global
        .offset:         16
        .size:           8
        .value_kind:     global_buffer
      - .offset:         24
        .size:           4
        .value_kind:     by_value
      - .offset:         28
        .size:           4
        .value_kind:     by_value
      - .offset:         32
        .size:           4
        .value_kind:     by_value
      - .address_space:  global
        .offset:         40
        .size:           8
        .value_kind:     global_buffer
      - .offset:         48
        .size:           4
        .value_kind:     hidden_block_count_x
      - .offset:         52
        .size:           4
        .value_kind:     hidden_block_count_y
      - .offset:         56
        .size:           4
        .value_kind:     hidden_block_count_z
      - .offset:         60
        .size:           2
        .value_kind:     hidden_group_size_x
      - .offset:         62
        .size:           2
        .value_kind:     hidden_group_size_y
      - .offset:         64
        .size:           2
        .value_kind:     hidden_group_size_z
      - .offset:         66
        .size:           2
        .value_kind:     hidden_remainder_x
      - .offset:         68
        .size:           2
        .value_kind:     hidden_remainder_y
      - .offset:         70
        .size:           2
        .value_kind:     hidden_remainder_z
      - .offset:         88
        .size:           8
        .value_kind:     hidden_global_offset_x
      - .offset:         96
        .size:           8
        .value_kind:     hidden_global_offset_y
      - .offset:         104
        .size:           8
        .value_kind:     hidden_global_offset_z
      - .offset:         112
        .size:           2
        .value_kind:     hidden_grid_dims
    .group_segment_fixed_size: 0
    .kernarg_segment_align: 8
    .kernarg_segment_size: 304
    .language:       OpenCL C
    .language_version:
      - 2
      - 0
    .max_flat_workgroup_size: 1024
    .name:           _ZN12_GLOBAL__N_121softmax_warp_backwardIdddLi9ELb1ELb0ELi32EEEvPT0_PKT_S5_iiiPKb
    .private_segment_fixed_size: 0
    .sgpr_count:     26
    .sgpr_spill_count: 0
    .symbol:         _ZN12_GLOBAL__N_121softmax_warp_backwardIdddLi9ELb1ELb0ELi32EEEvPT0_PKT_S5_iiiPKb.kd
    .uniform_work_group_size: 1
    .uses_dynamic_stack: false
    .vgpr_count:     75
    .vgpr_spill_count: 0
    .wavefront_size: 32
    .workgroup_processor_mode: 1
  - .args:
      - .address_space:  global
        .offset:         0
        .size:           8
        .value_kind:     global_buffer
      - .address_space:  global
        .offset:         8
        .size:           8
        .value_kind:     global_buffer
      - .address_space:  global
        .offset:         16
        .size:           8
        .value_kind:     global_buffer
      - .offset:         24
        .size:           4
        .value_kind:     by_value
      - .offset:         28
        .size:           4
        .value_kind:     by_value
      - .offset:         32
        .size:           4
        .value_kind:     by_value
      - .address_space:  global
        .offset:         40
        .size:           8
        .value_kind:     global_buffer
      - .offset:         48
        .size:           4
        .value_kind:     hidden_block_count_x
      - .offset:         52
        .size:           4
        .value_kind:     hidden_block_count_y
      - .offset:         56
        .size:           4
        .value_kind:     hidden_block_count_z
      - .offset:         60
        .size:           2
        .value_kind:     hidden_group_size_x
      - .offset:         62
        .size:           2
        .value_kind:     hidden_group_size_y
      - .offset:         64
        .size:           2
        .value_kind:     hidden_group_size_z
      - .offset:         66
        .size:           2
        .value_kind:     hidden_remainder_x
      - .offset:         68
        .size:           2
        .value_kind:     hidden_remainder_y
      - .offset:         70
        .size:           2
        .value_kind:     hidden_remainder_z
      - .offset:         88
        .size:           8
        .value_kind:     hidden_global_offset_x
      - .offset:         96
        .size:           8
        .value_kind:     hidden_global_offset_y
      - .offset:         104
        .size:           8
        .value_kind:     hidden_global_offset_z
      - .offset:         112
        .size:           2
        .value_kind:     hidden_grid_dims
    .group_segment_fixed_size: 0
    .kernarg_segment_align: 8
    .kernarg_segment_size: 304
    .language:       OpenCL C
    .language_version:
      - 2
      - 0
    .max_flat_workgroup_size: 1024
    .name:           _ZN12_GLOBAL__N_121softmax_warp_backwardIdddLi10ELb1ELb0ELi64EEEvPT0_PKT_S5_iiiPKb
    .private_segment_fixed_size: 0
    .sgpr_count:     26
    .sgpr_spill_count: 0
    .symbol:         _ZN12_GLOBAL__N_121softmax_warp_backwardIdddLi10ELb1ELb0ELi64EEEvPT0_PKT_S5_iiiPKb.kd
    .uniform_work_group_size: 1
    .uses_dynamic_stack: false
    .vgpr_count:     75
    .vgpr_spill_count: 0
    .wavefront_size: 32
    .workgroup_processor_mode: 1
  - .args:
      - .address_space:  global
        .offset:         0
        .size:           8
        .value_kind:     global_buffer
      - .address_space:  global
        .offset:         8
        .size:           8
        .value_kind:     global_buffer
      - .address_space:  global
        .offset:         16
        .size:           8
        .value_kind:     global_buffer
      - .offset:         24
        .size:           4
        .value_kind:     by_value
      - .offset:         28
        .size:           4
        .value_kind:     by_value
      - .offset:         32
        .size:           4
        .value_kind:     by_value
      - .address_space:  global
        .offset:         40
        .size:           8
        .value_kind:     global_buffer
      - .offset:         48
        .size:           4
        .value_kind:     hidden_block_count_x
      - .offset:         52
        .size:           4
        .value_kind:     hidden_block_count_y
      - .offset:         56
        .size:           4
        .value_kind:     hidden_block_count_z
      - .offset:         60
        .size:           2
        .value_kind:     hidden_group_size_x
      - .offset:         62
        .size:           2
        .value_kind:     hidden_group_size_y
      - .offset:         64
        .size:           2
        .value_kind:     hidden_group_size_z
      - .offset:         66
        .size:           2
        .value_kind:     hidden_remainder_x
      - .offset:         68
        .size:           2
        .value_kind:     hidden_remainder_y
      - .offset:         70
        .size:           2
        .value_kind:     hidden_remainder_z
      - .offset:         88
        .size:           8
        .value_kind:     hidden_global_offset_x
      - .offset:         96
        .size:           8
        .value_kind:     hidden_global_offset_y
      - .offset:         104
        .size:           8
        .value_kind:     hidden_global_offset_z
      - .offset:         112
        .size:           2
        .value_kind:     hidden_grid_dims
    .group_segment_fixed_size: 0
    .kernarg_segment_align: 8
    .kernarg_segment_size: 304
    .language:       OpenCL C
    .language_version:
      - 2
      - 0
    .max_flat_workgroup_size: 1024
    .name:           _ZN12_GLOBAL__N_121softmax_warp_backwardIdddLi10ELb1ELb0ELi32EEEvPT0_PKT_S5_iiiPKb
    .private_segment_fixed_size: 0
    .sgpr_count:     46
    .sgpr_spill_count: 0
    .symbol:         _ZN12_GLOBAL__N_121softmax_warp_backwardIdddLi10ELb1ELb0ELi32EEEvPT0_PKT_S5_iiiPKb.kd
    .uniform_work_group_size: 1
    .uses_dynamic_stack: false
    .vgpr_count:     139
    .vgpr_spill_count: 0
    .wavefront_size: 32
    .workgroup_processor_mode: 1
  - .args:
      - .address_space:  global
        .offset:         0
        .size:           8
        .value_kind:     global_buffer
      - .address_space:  global
        .offset:         8
        .size:           8
        .value_kind:     global_buffer
      - .address_space:  global
        .offset:         16
        .size:           8
        .value_kind:     global_buffer
      - .offset:         24
        .size:           8
        .value_kind:     by_value
      - .offset:         32
        .size:           4
        .value_kind:     hidden_block_count_x
      - .offset:         36
        .size:           4
        .value_kind:     hidden_block_count_y
      - .offset:         40
        .size:           4
        .value_kind:     hidden_block_count_z
      - .offset:         44
        .size:           2
        .value_kind:     hidden_group_size_x
      - .offset:         46
        .size:           2
        .value_kind:     hidden_group_size_y
      - .offset:         48
        .size:           2
        .value_kind:     hidden_group_size_z
      - .offset:         50
        .size:           2
        .value_kind:     hidden_remainder_x
      - .offset:         52
        .size:           2
        .value_kind:     hidden_remainder_y
      - .offset:         54
        .size:           2
        .value_kind:     hidden_remainder_z
      - .offset:         72
        .size:           8
        .value_kind:     hidden_global_offset_x
      - .offset:         80
        .size:           8
        .value_kind:     hidden_global_offset_y
      - .offset:         88
        .size:           8
        .value_kind:     hidden_global_offset_z
      - .offset:         96
        .size:           2
        .value_kind:     hidden_grid_dims
      - .offset:         152
        .size:           4
        .value_kind:     hidden_dynamic_lds_size
    .group_segment_fixed_size: 0
    .kernarg_segment_align: 8
    .kernarg_segment_size: 288
    .language:       OpenCL C
    .language_version:
      - 2
      - 0
    .max_flat_workgroup_size: 1024
    .name:           _ZN2at6native12_GLOBAL__N_124cunn_SoftMaxBackwardSmemILi2EdddNS1_26LogSoftMaxBackwardEpilogueEEEvPT0_PKT2_S8_l
    .private_segment_fixed_size: 0
    .sgpr_count:     42
    .sgpr_spill_count: 0
    .symbol:         _ZN2at6native12_GLOBAL__N_124cunn_SoftMaxBackwardSmemILi2EdddNS1_26LogSoftMaxBackwardEpilogueEEEvPT0_PKT2_S8_l.kd
    .uniform_work_group_size: 1
    .uses_dynamic_stack: false
    .vgpr_count:     25
    .vgpr_spill_count: 0
    .wavefront_size: 32
    .workgroup_processor_mode: 1
  - .args:
      - .address_space:  global
        .offset:         0
        .size:           8
        .value_kind:     global_buffer
      - .address_space:  global
        .offset:         8
        .size:           8
        .value_kind:     global_buffer
      - .address_space:  global
        .offset:         16
        .size:           8
        .value_kind:     global_buffer
      - .offset:         24
        .size:           8
        .value_kind:     by_value
      - .offset:         32
        .size:           4
        .value_kind:     hidden_block_count_x
      - .offset:         36
        .size:           4
        .value_kind:     hidden_block_count_y
      - .offset:         40
        .size:           4
        .value_kind:     hidden_block_count_z
      - .offset:         44
        .size:           2
        .value_kind:     hidden_group_size_x
      - .offset:         46
        .size:           2
        .value_kind:     hidden_group_size_y
      - .offset:         48
        .size:           2
        .value_kind:     hidden_group_size_z
      - .offset:         50
        .size:           2
        .value_kind:     hidden_remainder_x
      - .offset:         52
        .size:           2
        .value_kind:     hidden_remainder_y
      - .offset:         54
        .size:           2
        .value_kind:     hidden_remainder_z
      - .offset:         72
        .size:           8
        .value_kind:     hidden_global_offset_x
      - .offset:         80
        .size:           8
        .value_kind:     hidden_global_offset_y
      - .offset:         88
        .size:           8
        .value_kind:     hidden_global_offset_z
      - .offset:         96
        .size:           2
        .value_kind:     hidden_grid_dims
      - .offset:         152
        .size:           4
        .value_kind:     hidden_dynamic_lds_size
    .group_segment_fixed_size: 0
    .kernarg_segment_align: 8
    .kernarg_segment_size: 288
    .language:       OpenCL C
    .language_version:
      - 2
      - 0
    .max_flat_workgroup_size: 1024
    .name:           _ZN2at6native12_GLOBAL__N_120cunn_SoftMaxBackwardILi2EdddNS1_26LogSoftMaxBackwardEpilogueEEEvPT0_PKT2_S8_l
    .private_segment_fixed_size: 0
    .sgpr_count:     76
    .sgpr_spill_count: 0
    .symbol:         _ZN2at6native12_GLOBAL__N_120cunn_SoftMaxBackwardILi2EdddNS1_26LogSoftMaxBackwardEpilogueEEEvPT0_PKT2_S8_l.kd
    .uniform_work_group_size: 1
    .uses_dynamic_stack: false
    .vgpr_count:     33
    .vgpr_spill_count: 0
    .wavefront_size: 32
    .workgroup_processor_mode: 1
  - .args:
      - .address_space:  global
        .offset:         0
        .size:           8
        .value_kind:     global_buffer
      - .address_space:  global
        .offset:         8
        .size:           8
        .value_kind:     global_buffer
      - .address_space:  global
        .offset:         16
        .size:           8
        .value_kind:     global_buffer
      - .offset:         24
        .size:           4
        .value_kind:     by_value
      - .offset:         28
        .size:           4
        .value_kind:     by_value
      - .offset:         32
        .size:           4
        .value_kind:     by_value
      - .address_space:  global
        .offset:         40
        .size:           8
        .value_kind:     global_buffer
      - .offset:         48
        .size:           4
        .value_kind:     hidden_block_count_x
      - .offset:         52
        .size:           4
        .value_kind:     hidden_block_count_y
      - .offset:         56
        .size:           4
        .value_kind:     hidden_block_count_z
      - .offset:         60
        .size:           2
        .value_kind:     hidden_group_size_x
      - .offset:         62
        .size:           2
        .value_kind:     hidden_group_size_y
      - .offset:         64
        .size:           2
        .value_kind:     hidden_group_size_z
      - .offset:         66
        .size:           2
        .value_kind:     hidden_remainder_x
      - .offset:         68
        .size:           2
        .value_kind:     hidden_remainder_y
      - .offset:         70
        .size:           2
        .value_kind:     hidden_remainder_z
      - .offset:         88
        .size:           8
        .value_kind:     hidden_global_offset_x
      - .offset:         96
        .size:           8
        .value_kind:     hidden_global_offset_y
      - .offset:         104
        .size:           8
        .value_kind:     hidden_global_offset_z
      - .offset:         112
        .size:           2
        .value_kind:     hidden_grid_dims
    .group_segment_fixed_size: 0
    .kernarg_segment_align: 8
    .kernarg_segment_size: 304
    .language:       OpenCL C
    .language_version:
      - 2
      - 0
    .max_flat_workgroup_size: 1024
    .name:           _ZN12_GLOBAL__N_121softmax_warp_backwardIfffLi0ELb1ELb0ELi64EEEvPT0_PKT_S5_iiiPKb
    .private_segment_fixed_size: 0
    .sgpr_count:     18
    .sgpr_spill_count: 0
    .symbol:         _ZN12_GLOBAL__N_121softmax_warp_backwardIfffLi0ELb1ELb0ELi64EEEvPT0_PKT_S5_iiiPKb.kd
    .uniform_work_group_size: 1
    .uses_dynamic_stack: false
    .vgpr_count:     11
    .vgpr_spill_count: 0
    .wavefront_size: 32
    .workgroup_processor_mode: 1
  - .args:
      - .address_space:  global
        .offset:         0
        .size:           8
        .value_kind:     global_buffer
      - .address_space:  global
        .offset:         8
        .size:           8
        .value_kind:     global_buffer
      - .address_space:  global
        .offset:         16
        .size:           8
        .value_kind:     global_buffer
      - .offset:         24
        .size:           4
        .value_kind:     by_value
      - .offset:         28
        .size:           4
        .value_kind:     by_value
      - .offset:         32
        .size:           4
        .value_kind:     by_value
      - .address_space:  global
        .offset:         40
        .size:           8
        .value_kind:     global_buffer
      - .offset:         48
        .size:           4
        .value_kind:     hidden_block_count_x
      - .offset:         52
        .size:           4
        .value_kind:     hidden_block_count_y
      - .offset:         56
        .size:           4
        .value_kind:     hidden_block_count_z
      - .offset:         60
        .size:           2
        .value_kind:     hidden_group_size_x
      - .offset:         62
        .size:           2
        .value_kind:     hidden_group_size_y
      - .offset:         64
        .size:           2
        .value_kind:     hidden_group_size_z
      - .offset:         66
        .size:           2
        .value_kind:     hidden_remainder_x
      - .offset:         68
        .size:           2
        .value_kind:     hidden_remainder_y
      - .offset:         70
        .size:           2
        .value_kind:     hidden_remainder_z
      - .offset:         88
        .size:           8
        .value_kind:     hidden_global_offset_x
      - .offset:         96
        .size:           8
        .value_kind:     hidden_global_offset_y
      - .offset:         104
        .size:           8
        .value_kind:     hidden_global_offset_z
      - .offset:         112
        .size:           2
        .value_kind:     hidden_grid_dims
    .group_segment_fixed_size: 0
    .kernarg_segment_align: 8
    .kernarg_segment_size: 304
    .language:       OpenCL C
    .language_version:
      - 2
      - 0
    .max_flat_workgroup_size: 1024
    .name:           _ZN12_GLOBAL__N_121softmax_warp_backwardIfffLi0ELb1ELb0ELi32EEEvPT0_PKT_S5_iiiPKb
    .private_segment_fixed_size: 0
    .sgpr_count:     18
    .sgpr_spill_count: 0
    .symbol:         _ZN12_GLOBAL__N_121softmax_warp_backwardIfffLi0ELb1ELb0ELi32EEEvPT0_PKT_S5_iiiPKb.kd
    .uniform_work_group_size: 1
    .uses_dynamic_stack: false
    .vgpr_count:     11
    .vgpr_spill_count: 0
    .wavefront_size: 32
    .workgroup_processor_mode: 1
  - .args:
      - .address_space:  global
        .offset:         0
        .size:           8
        .value_kind:     global_buffer
      - .address_space:  global
        .offset:         8
        .size:           8
        .value_kind:     global_buffer
      - .address_space:  global
        .offset:         16
        .size:           8
        .value_kind:     global_buffer
      - .offset:         24
        .size:           4
        .value_kind:     by_value
      - .offset:         28
        .size:           4
        .value_kind:     by_value
      - .offset:         32
        .size:           4
        .value_kind:     by_value
      - .address_space:  global
        .offset:         40
        .size:           8
        .value_kind:     global_buffer
      - .offset:         48
        .size:           4
        .value_kind:     hidden_block_count_x
      - .offset:         52
        .size:           4
        .value_kind:     hidden_block_count_y
      - .offset:         56
        .size:           4
        .value_kind:     hidden_block_count_z
      - .offset:         60
        .size:           2
        .value_kind:     hidden_group_size_x
      - .offset:         62
        .size:           2
        .value_kind:     hidden_group_size_y
      - .offset:         64
        .size:           2
        .value_kind:     hidden_group_size_z
      - .offset:         66
        .size:           2
        .value_kind:     hidden_remainder_x
      - .offset:         68
        .size:           2
        .value_kind:     hidden_remainder_y
      - .offset:         70
        .size:           2
        .value_kind:     hidden_remainder_z
      - .offset:         88
        .size:           8
        .value_kind:     hidden_global_offset_x
      - .offset:         96
        .size:           8
        .value_kind:     hidden_global_offset_y
      - .offset:         104
        .size:           8
        .value_kind:     hidden_global_offset_z
      - .offset:         112
        .size:           2
        .value_kind:     hidden_grid_dims
    .group_segment_fixed_size: 0
    .kernarg_segment_align: 8
    .kernarg_segment_size: 304
    .language:       OpenCL C
    .language_version:
      - 2
      - 0
    .max_flat_workgroup_size: 1024
    .name:           _ZN12_GLOBAL__N_121softmax_warp_backwardIfffLi1ELb1ELb0ELi64EEEvPT0_PKT_S5_iiiPKb
    .private_segment_fixed_size: 0
    .sgpr_count:     18
    .sgpr_spill_count: 0
    .symbol:         _ZN12_GLOBAL__N_121softmax_warp_backwardIfffLi1ELb1ELb0ELi64EEEvPT0_PKT_S5_iiiPKb.kd
    .uniform_work_group_size: 1
    .uses_dynamic_stack: false
    .vgpr_count:     14
    .vgpr_spill_count: 0
    .wavefront_size: 32
    .workgroup_processor_mode: 1
  - .args:
      - .address_space:  global
        .offset:         0
        .size:           8
        .value_kind:     global_buffer
      - .address_space:  global
        .offset:         8
        .size:           8
        .value_kind:     global_buffer
      - .address_space:  global
        .offset:         16
        .size:           8
        .value_kind:     global_buffer
      - .offset:         24
        .size:           4
        .value_kind:     by_value
      - .offset:         28
        .size:           4
        .value_kind:     by_value
      - .offset:         32
        .size:           4
        .value_kind:     by_value
      - .address_space:  global
        .offset:         40
        .size:           8
        .value_kind:     global_buffer
      - .offset:         48
        .size:           4
        .value_kind:     hidden_block_count_x
      - .offset:         52
        .size:           4
        .value_kind:     hidden_block_count_y
      - .offset:         56
        .size:           4
        .value_kind:     hidden_block_count_z
      - .offset:         60
        .size:           2
        .value_kind:     hidden_group_size_x
      - .offset:         62
        .size:           2
        .value_kind:     hidden_group_size_y
      - .offset:         64
        .size:           2
        .value_kind:     hidden_group_size_z
      - .offset:         66
        .size:           2
        .value_kind:     hidden_remainder_x
      - .offset:         68
        .size:           2
        .value_kind:     hidden_remainder_y
      - .offset:         70
        .size:           2
        .value_kind:     hidden_remainder_z
      - .offset:         88
        .size:           8
        .value_kind:     hidden_global_offset_x
      - .offset:         96
        .size:           8
        .value_kind:     hidden_global_offset_y
      - .offset:         104
        .size:           8
        .value_kind:     hidden_global_offset_z
      - .offset:         112
        .size:           2
        .value_kind:     hidden_grid_dims
    .group_segment_fixed_size: 0
    .kernarg_segment_align: 8
    .kernarg_segment_size: 304
    .language:       OpenCL C
    .language_version:
      - 2
      - 0
    .max_flat_workgroup_size: 1024
    .name:           _ZN12_GLOBAL__N_121softmax_warp_backwardIfffLi1ELb1ELb0ELi32EEEvPT0_PKT_S5_iiiPKb
    .private_segment_fixed_size: 0
    .sgpr_count:     18
    .sgpr_spill_count: 0
    .symbol:         _ZN12_GLOBAL__N_121softmax_warp_backwardIfffLi1ELb1ELb0ELi32EEEvPT0_PKT_S5_iiiPKb.kd
    .uniform_work_group_size: 1
    .uses_dynamic_stack: false
    .vgpr_count:     14
    .vgpr_spill_count: 0
    .wavefront_size: 32
    .workgroup_processor_mode: 1
  - .args:
      - .address_space:  global
        .offset:         0
        .size:           8
        .value_kind:     global_buffer
      - .address_space:  global
        .offset:         8
        .size:           8
        .value_kind:     global_buffer
      - .address_space:  global
        .offset:         16
        .size:           8
        .value_kind:     global_buffer
      - .offset:         24
        .size:           4
        .value_kind:     by_value
      - .offset:         28
        .size:           4
        .value_kind:     by_value
      - .offset:         32
        .size:           4
        .value_kind:     by_value
      - .address_space:  global
        .offset:         40
        .size:           8
        .value_kind:     global_buffer
      - .offset:         48
        .size:           4
        .value_kind:     hidden_block_count_x
      - .offset:         52
        .size:           4
        .value_kind:     hidden_block_count_y
      - .offset:         56
        .size:           4
        .value_kind:     hidden_block_count_z
      - .offset:         60
        .size:           2
        .value_kind:     hidden_group_size_x
      - .offset:         62
        .size:           2
        .value_kind:     hidden_group_size_y
      - .offset:         64
        .size:           2
        .value_kind:     hidden_group_size_z
      - .offset:         66
        .size:           2
        .value_kind:     hidden_remainder_x
      - .offset:         68
        .size:           2
        .value_kind:     hidden_remainder_y
      - .offset:         70
        .size:           2
        .value_kind:     hidden_remainder_z
      - .offset:         88
        .size:           8
        .value_kind:     hidden_global_offset_x
      - .offset:         96
        .size:           8
        .value_kind:     hidden_global_offset_y
      - .offset:         104
        .size:           8
        .value_kind:     hidden_global_offset_z
      - .offset:         112
        .size:           2
        .value_kind:     hidden_grid_dims
    .group_segment_fixed_size: 0
    .kernarg_segment_align: 8
    .kernarg_segment_size: 304
    .language:       OpenCL C
    .language_version:
      - 2
      - 0
    .max_flat_workgroup_size: 1024
    .name:           _ZN12_GLOBAL__N_121softmax_warp_backwardIfffLi2ELb1ELb0ELi64EEEvPT0_PKT_S5_iiiPKb
    .private_segment_fixed_size: 0
    .sgpr_count:     18
    .sgpr_spill_count: 0
    .symbol:         _ZN12_GLOBAL__N_121softmax_warp_backwardIfffLi2ELb1ELb0ELi64EEEvPT0_PKT_S5_iiiPKb.kd
    .uniform_work_group_size: 1
    .uses_dynamic_stack: false
    .vgpr_count:     14
    .vgpr_spill_count: 0
    .wavefront_size: 32
    .workgroup_processor_mode: 1
  - .args:
      - .address_space:  global
        .offset:         0
        .size:           8
        .value_kind:     global_buffer
      - .address_space:  global
        .offset:         8
        .size:           8
        .value_kind:     global_buffer
      - .address_space:  global
        .offset:         16
        .size:           8
        .value_kind:     global_buffer
      - .offset:         24
        .size:           4
        .value_kind:     by_value
      - .offset:         28
        .size:           4
        .value_kind:     by_value
      - .offset:         32
        .size:           4
        .value_kind:     by_value
      - .address_space:  global
        .offset:         40
        .size:           8
        .value_kind:     global_buffer
      - .offset:         48
        .size:           4
        .value_kind:     hidden_block_count_x
      - .offset:         52
        .size:           4
        .value_kind:     hidden_block_count_y
      - .offset:         56
        .size:           4
        .value_kind:     hidden_block_count_z
      - .offset:         60
        .size:           2
        .value_kind:     hidden_group_size_x
      - .offset:         62
        .size:           2
        .value_kind:     hidden_group_size_y
      - .offset:         64
        .size:           2
        .value_kind:     hidden_group_size_z
      - .offset:         66
        .size:           2
        .value_kind:     hidden_remainder_x
      - .offset:         68
        .size:           2
        .value_kind:     hidden_remainder_y
      - .offset:         70
        .size:           2
        .value_kind:     hidden_remainder_z
      - .offset:         88
        .size:           8
        .value_kind:     hidden_global_offset_x
      - .offset:         96
        .size:           8
        .value_kind:     hidden_global_offset_y
      - .offset:         104
        .size:           8
        .value_kind:     hidden_global_offset_z
      - .offset:         112
        .size:           2
        .value_kind:     hidden_grid_dims
    .group_segment_fixed_size: 0
    .kernarg_segment_align: 8
    .kernarg_segment_size: 304
    .language:       OpenCL C
    .language_version:
      - 2
      - 0
    .max_flat_workgroup_size: 1024
    .name:           _ZN12_GLOBAL__N_121softmax_warp_backwardIfffLi2ELb1ELb0ELi32EEEvPT0_PKT_S5_iiiPKb
    .private_segment_fixed_size: 0
    .sgpr_count:     18
    .sgpr_spill_count: 0
    .symbol:         _ZN12_GLOBAL__N_121softmax_warp_backwardIfffLi2ELb1ELb0ELi32EEEvPT0_PKT_S5_iiiPKb.kd
    .uniform_work_group_size: 1
    .uses_dynamic_stack: false
    .vgpr_count:     14
    .vgpr_spill_count: 0
    .wavefront_size: 32
    .workgroup_processor_mode: 1
  - .args:
      - .address_space:  global
        .offset:         0
        .size:           8
        .value_kind:     global_buffer
      - .address_space:  global
        .offset:         8
        .size:           8
        .value_kind:     global_buffer
      - .address_space:  global
        .offset:         16
        .size:           8
        .value_kind:     global_buffer
      - .offset:         24
        .size:           4
        .value_kind:     by_value
      - .offset:         28
        .size:           4
        .value_kind:     by_value
      - .offset:         32
        .size:           4
        .value_kind:     by_value
      - .address_space:  global
        .offset:         40
        .size:           8
        .value_kind:     global_buffer
      - .offset:         48
        .size:           4
        .value_kind:     hidden_block_count_x
      - .offset:         52
        .size:           4
        .value_kind:     hidden_block_count_y
      - .offset:         56
        .size:           4
        .value_kind:     hidden_block_count_z
      - .offset:         60
        .size:           2
        .value_kind:     hidden_group_size_x
      - .offset:         62
        .size:           2
        .value_kind:     hidden_group_size_y
      - .offset:         64
        .size:           2
        .value_kind:     hidden_group_size_z
      - .offset:         66
        .size:           2
        .value_kind:     hidden_remainder_x
      - .offset:         68
        .size:           2
        .value_kind:     hidden_remainder_y
      - .offset:         70
        .size:           2
        .value_kind:     hidden_remainder_z
      - .offset:         88
        .size:           8
        .value_kind:     hidden_global_offset_x
      - .offset:         96
        .size:           8
        .value_kind:     hidden_global_offset_y
      - .offset:         104
        .size:           8
        .value_kind:     hidden_global_offset_z
      - .offset:         112
        .size:           2
        .value_kind:     hidden_grid_dims
    .group_segment_fixed_size: 0
    .kernarg_segment_align: 8
    .kernarg_segment_size: 304
    .language:       OpenCL C
    .language_version:
      - 2
      - 0
    .max_flat_workgroup_size: 1024
    .name:           _ZN12_GLOBAL__N_121softmax_warp_backwardIfffLi3ELb1ELb0ELi64EEEvPT0_PKT_S5_iiiPKb
    .private_segment_fixed_size: 0
    .sgpr_count:     18
    .sgpr_spill_count: 0
    .symbol:         _ZN12_GLOBAL__N_121softmax_warp_backwardIfffLi3ELb1ELb0ELi64EEEvPT0_PKT_S5_iiiPKb.kd
    .uniform_work_group_size: 1
    .uses_dynamic_stack: false
    .vgpr_count:     14
    .vgpr_spill_count: 0
    .wavefront_size: 32
    .workgroup_processor_mode: 1
  - .args:
      - .address_space:  global
        .offset:         0
        .size:           8
        .value_kind:     global_buffer
      - .address_space:  global
        .offset:         8
        .size:           8
        .value_kind:     global_buffer
      - .address_space:  global
        .offset:         16
        .size:           8
        .value_kind:     global_buffer
      - .offset:         24
        .size:           4
        .value_kind:     by_value
      - .offset:         28
        .size:           4
        .value_kind:     by_value
      - .offset:         32
        .size:           4
        .value_kind:     by_value
      - .address_space:  global
        .offset:         40
        .size:           8
        .value_kind:     global_buffer
      - .offset:         48
        .size:           4
        .value_kind:     hidden_block_count_x
      - .offset:         52
        .size:           4
        .value_kind:     hidden_block_count_y
      - .offset:         56
        .size:           4
        .value_kind:     hidden_block_count_z
      - .offset:         60
        .size:           2
        .value_kind:     hidden_group_size_x
      - .offset:         62
        .size:           2
        .value_kind:     hidden_group_size_y
      - .offset:         64
        .size:           2
        .value_kind:     hidden_group_size_z
      - .offset:         66
        .size:           2
        .value_kind:     hidden_remainder_x
      - .offset:         68
        .size:           2
        .value_kind:     hidden_remainder_y
      - .offset:         70
        .size:           2
        .value_kind:     hidden_remainder_z
      - .offset:         88
        .size:           8
        .value_kind:     hidden_global_offset_x
      - .offset:         96
        .size:           8
        .value_kind:     hidden_global_offset_y
      - .offset:         104
        .size:           8
        .value_kind:     hidden_global_offset_z
      - .offset:         112
        .size:           2
        .value_kind:     hidden_grid_dims
    .group_segment_fixed_size: 0
    .kernarg_segment_align: 8
    .kernarg_segment_size: 304
    .language:       OpenCL C
    .language_version:
      - 2
      - 0
    .max_flat_workgroup_size: 1024
    .name:           _ZN12_GLOBAL__N_121softmax_warp_backwardIfffLi3ELb1ELb0ELi32EEEvPT0_PKT_S5_iiiPKb
    .private_segment_fixed_size: 0
    .sgpr_count:     18
    .sgpr_spill_count: 0
    .symbol:         _ZN12_GLOBAL__N_121softmax_warp_backwardIfffLi3ELb1ELb0ELi32EEEvPT0_PKT_S5_iiiPKb.kd
    .uniform_work_group_size: 1
    .uses_dynamic_stack: false
    .vgpr_count:     14
    .vgpr_spill_count: 0
    .wavefront_size: 32
    .workgroup_processor_mode: 1
  - .args:
      - .address_space:  global
        .offset:         0
        .size:           8
        .value_kind:     global_buffer
      - .address_space:  global
        .offset:         8
        .size:           8
        .value_kind:     global_buffer
      - .address_space:  global
        .offset:         16
        .size:           8
        .value_kind:     global_buffer
      - .offset:         24
        .size:           4
        .value_kind:     by_value
      - .offset:         28
        .size:           4
        .value_kind:     by_value
      - .offset:         32
        .size:           4
        .value_kind:     by_value
      - .address_space:  global
        .offset:         40
        .size:           8
        .value_kind:     global_buffer
      - .offset:         48
        .size:           4
        .value_kind:     hidden_block_count_x
      - .offset:         52
        .size:           4
        .value_kind:     hidden_block_count_y
      - .offset:         56
        .size:           4
        .value_kind:     hidden_block_count_z
      - .offset:         60
        .size:           2
        .value_kind:     hidden_group_size_x
      - .offset:         62
        .size:           2
        .value_kind:     hidden_group_size_y
      - .offset:         64
        .size:           2
        .value_kind:     hidden_group_size_z
      - .offset:         66
        .size:           2
        .value_kind:     hidden_remainder_x
      - .offset:         68
        .size:           2
        .value_kind:     hidden_remainder_y
      - .offset:         70
        .size:           2
        .value_kind:     hidden_remainder_z
      - .offset:         88
        .size:           8
        .value_kind:     hidden_global_offset_x
      - .offset:         96
        .size:           8
        .value_kind:     hidden_global_offset_y
      - .offset:         104
        .size:           8
        .value_kind:     hidden_global_offset_z
      - .offset:         112
        .size:           2
        .value_kind:     hidden_grid_dims
    .group_segment_fixed_size: 0
    .kernarg_segment_align: 8
    .kernarg_segment_size: 304
    .language:       OpenCL C
    .language_version:
      - 2
      - 0
    .max_flat_workgroup_size: 1024
    .name:           _ZN12_GLOBAL__N_121softmax_warp_backwardIfffLi4ELb1ELb0ELi64EEEvPT0_PKT_S5_iiiPKb
    .private_segment_fixed_size: 0
    .sgpr_count:     18
    .sgpr_spill_count: 0
    .symbol:         _ZN12_GLOBAL__N_121softmax_warp_backwardIfffLi4ELb1ELb0ELi64EEEvPT0_PKT_S5_iiiPKb.kd
    .uniform_work_group_size: 1
    .uses_dynamic_stack: false
    .vgpr_count:     14
    .vgpr_spill_count: 0
    .wavefront_size: 32
    .workgroup_processor_mode: 1
  - .args:
      - .address_space:  global
        .offset:         0
        .size:           8
        .value_kind:     global_buffer
      - .address_space:  global
        .offset:         8
        .size:           8
        .value_kind:     global_buffer
      - .address_space:  global
        .offset:         16
        .size:           8
        .value_kind:     global_buffer
      - .offset:         24
        .size:           4
        .value_kind:     by_value
      - .offset:         28
        .size:           4
        .value_kind:     by_value
      - .offset:         32
        .size:           4
        .value_kind:     by_value
      - .address_space:  global
        .offset:         40
        .size:           8
        .value_kind:     global_buffer
      - .offset:         48
        .size:           4
        .value_kind:     hidden_block_count_x
      - .offset:         52
        .size:           4
        .value_kind:     hidden_block_count_y
      - .offset:         56
        .size:           4
        .value_kind:     hidden_block_count_z
      - .offset:         60
        .size:           2
        .value_kind:     hidden_group_size_x
      - .offset:         62
        .size:           2
        .value_kind:     hidden_group_size_y
      - .offset:         64
        .size:           2
        .value_kind:     hidden_group_size_z
      - .offset:         66
        .size:           2
        .value_kind:     hidden_remainder_x
      - .offset:         68
        .size:           2
        .value_kind:     hidden_remainder_y
      - .offset:         70
        .size:           2
        .value_kind:     hidden_remainder_z
      - .offset:         88
        .size:           8
        .value_kind:     hidden_global_offset_x
      - .offset:         96
        .size:           8
        .value_kind:     hidden_global_offset_y
      - .offset:         104
        .size:           8
        .value_kind:     hidden_global_offset_z
      - .offset:         112
        .size:           2
        .value_kind:     hidden_grid_dims
    .group_segment_fixed_size: 0
    .kernarg_segment_align: 8
    .kernarg_segment_size: 304
    .language:       OpenCL C
    .language_version:
      - 2
      - 0
    .max_flat_workgroup_size: 1024
    .name:           _ZN12_GLOBAL__N_121softmax_warp_backwardIfffLi4ELb1ELb0ELi32EEEvPT0_PKT_S5_iiiPKb
    .private_segment_fixed_size: 0
    .sgpr_count:     18
    .sgpr_spill_count: 0
    .symbol:         _ZN12_GLOBAL__N_121softmax_warp_backwardIfffLi4ELb1ELb0ELi32EEEvPT0_PKT_S5_iiiPKb.kd
    .uniform_work_group_size: 1
    .uses_dynamic_stack: false
    .vgpr_count:     14
    .vgpr_spill_count: 0
    .wavefront_size: 32
    .workgroup_processor_mode: 1
  - .args:
      - .address_space:  global
        .offset:         0
        .size:           8
        .value_kind:     global_buffer
      - .address_space:  global
        .offset:         8
        .size:           8
        .value_kind:     global_buffer
      - .address_space:  global
        .offset:         16
        .size:           8
        .value_kind:     global_buffer
      - .offset:         24
        .size:           4
        .value_kind:     by_value
      - .offset:         28
        .size:           4
        .value_kind:     by_value
      - .offset:         32
        .size:           4
        .value_kind:     by_value
      - .address_space:  global
        .offset:         40
        .size:           8
        .value_kind:     global_buffer
      - .offset:         48
        .size:           4
        .value_kind:     hidden_block_count_x
      - .offset:         52
        .size:           4
        .value_kind:     hidden_block_count_y
      - .offset:         56
        .size:           4
        .value_kind:     hidden_block_count_z
      - .offset:         60
        .size:           2
        .value_kind:     hidden_group_size_x
      - .offset:         62
        .size:           2
        .value_kind:     hidden_group_size_y
      - .offset:         64
        .size:           2
        .value_kind:     hidden_group_size_z
      - .offset:         66
        .size:           2
        .value_kind:     hidden_remainder_x
      - .offset:         68
        .size:           2
        .value_kind:     hidden_remainder_y
      - .offset:         70
        .size:           2
        .value_kind:     hidden_remainder_z
      - .offset:         88
        .size:           8
        .value_kind:     hidden_global_offset_x
      - .offset:         96
        .size:           8
        .value_kind:     hidden_global_offset_y
      - .offset:         104
        .size:           8
        .value_kind:     hidden_global_offset_z
      - .offset:         112
        .size:           2
        .value_kind:     hidden_grid_dims
    .group_segment_fixed_size: 0
    .kernarg_segment_align: 8
    .kernarg_segment_size: 304
    .language:       OpenCL C
    .language_version:
      - 2
      - 0
    .max_flat_workgroup_size: 1024
    .name:           _ZN12_GLOBAL__N_121softmax_warp_backwardIfffLi5ELb1ELb0ELi64EEEvPT0_PKT_S5_iiiPKb
    .private_segment_fixed_size: 0
    .sgpr_count:     18
    .sgpr_spill_count: 0
    .symbol:         _ZN12_GLOBAL__N_121softmax_warp_backwardIfffLi5ELb1ELb0ELi64EEEvPT0_PKT_S5_iiiPKb.kd
    .uniform_work_group_size: 1
    .uses_dynamic_stack: false
    .vgpr_count:     14
    .vgpr_spill_count: 0
    .wavefront_size: 32
    .workgroup_processor_mode: 1
  - .args:
      - .address_space:  global
        .offset:         0
        .size:           8
        .value_kind:     global_buffer
      - .address_space:  global
        .offset:         8
        .size:           8
        .value_kind:     global_buffer
      - .address_space:  global
        .offset:         16
        .size:           8
        .value_kind:     global_buffer
      - .offset:         24
        .size:           4
        .value_kind:     by_value
      - .offset:         28
        .size:           4
        .value_kind:     by_value
      - .offset:         32
        .size:           4
        .value_kind:     by_value
      - .address_space:  global
        .offset:         40
        .size:           8
        .value_kind:     global_buffer
      - .offset:         48
        .size:           4
        .value_kind:     hidden_block_count_x
      - .offset:         52
        .size:           4
        .value_kind:     hidden_block_count_y
      - .offset:         56
        .size:           4
        .value_kind:     hidden_block_count_z
      - .offset:         60
        .size:           2
        .value_kind:     hidden_group_size_x
      - .offset:         62
        .size:           2
        .value_kind:     hidden_group_size_y
      - .offset:         64
        .size:           2
        .value_kind:     hidden_group_size_z
      - .offset:         66
        .size:           2
        .value_kind:     hidden_remainder_x
      - .offset:         68
        .size:           2
        .value_kind:     hidden_remainder_y
      - .offset:         70
        .size:           2
        .value_kind:     hidden_remainder_z
      - .offset:         88
        .size:           8
        .value_kind:     hidden_global_offset_x
      - .offset:         96
        .size:           8
        .value_kind:     hidden_global_offset_y
      - .offset:         104
        .size:           8
        .value_kind:     hidden_global_offset_z
      - .offset:         112
        .size:           2
        .value_kind:     hidden_grid_dims
    .group_segment_fixed_size: 0
    .kernarg_segment_align: 8
    .kernarg_segment_size: 304
    .language:       OpenCL C
    .language_version:
      - 2
      - 0
    .max_flat_workgroup_size: 1024
    .name:           _ZN12_GLOBAL__N_121softmax_warp_backwardIfffLi5ELb1ELb0ELi32EEEvPT0_PKT_S5_iiiPKb
    .private_segment_fixed_size: 0
    .sgpr_count:     18
    .sgpr_spill_count: 0
    .symbol:         _ZN12_GLOBAL__N_121softmax_warp_backwardIfffLi5ELb1ELb0ELi32EEEvPT0_PKT_S5_iiiPKb.kd
    .uniform_work_group_size: 1
    .uses_dynamic_stack: false
    .vgpr_count:     14
    .vgpr_spill_count: 0
    .wavefront_size: 32
    .workgroup_processor_mode: 1
  - .args:
      - .address_space:  global
        .offset:         0
        .size:           8
        .value_kind:     global_buffer
      - .address_space:  global
        .offset:         8
        .size:           8
        .value_kind:     global_buffer
      - .address_space:  global
        .offset:         16
        .size:           8
        .value_kind:     global_buffer
      - .offset:         24
        .size:           4
        .value_kind:     by_value
      - .offset:         28
        .size:           4
        .value_kind:     by_value
      - .offset:         32
        .size:           4
        .value_kind:     by_value
      - .address_space:  global
        .offset:         40
        .size:           8
        .value_kind:     global_buffer
      - .offset:         48
        .size:           4
        .value_kind:     hidden_block_count_x
      - .offset:         52
        .size:           4
        .value_kind:     hidden_block_count_y
      - .offset:         56
        .size:           4
        .value_kind:     hidden_block_count_z
      - .offset:         60
        .size:           2
        .value_kind:     hidden_group_size_x
      - .offset:         62
        .size:           2
        .value_kind:     hidden_group_size_y
      - .offset:         64
        .size:           2
        .value_kind:     hidden_group_size_z
      - .offset:         66
        .size:           2
        .value_kind:     hidden_remainder_x
      - .offset:         68
        .size:           2
        .value_kind:     hidden_remainder_y
      - .offset:         70
        .size:           2
        .value_kind:     hidden_remainder_z
      - .offset:         88
        .size:           8
        .value_kind:     hidden_global_offset_x
      - .offset:         96
        .size:           8
        .value_kind:     hidden_global_offset_y
      - .offset:         104
        .size:           8
        .value_kind:     hidden_global_offset_z
      - .offset:         112
        .size:           2
        .value_kind:     hidden_grid_dims
    .group_segment_fixed_size: 0
    .kernarg_segment_align: 8
    .kernarg_segment_size: 304
    .language:       OpenCL C
    .language_version:
      - 2
      - 0
    .max_flat_workgroup_size: 1024
    .name:           _ZN12_GLOBAL__N_121softmax_warp_backwardIfffLi6ELb1ELb0ELi64EEEvPT0_PKT_S5_iiiPKb
    .private_segment_fixed_size: 0
    .sgpr_count:     18
    .sgpr_spill_count: 0
    .symbol:         _ZN12_GLOBAL__N_121softmax_warp_backwardIfffLi6ELb1ELb0ELi64EEEvPT0_PKT_S5_iiiPKb.kd
    .uniform_work_group_size: 1
    .uses_dynamic_stack: false
    .vgpr_count:     14
    .vgpr_spill_count: 0
    .wavefront_size: 32
    .workgroup_processor_mode: 1
  - .args:
      - .address_space:  global
        .offset:         0
        .size:           8
        .value_kind:     global_buffer
      - .address_space:  global
        .offset:         8
        .size:           8
        .value_kind:     global_buffer
      - .address_space:  global
        .offset:         16
        .size:           8
        .value_kind:     global_buffer
      - .offset:         24
        .size:           4
        .value_kind:     by_value
      - .offset:         28
        .size:           4
        .value_kind:     by_value
      - .offset:         32
        .size:           4
        .value_kind:     by_value
      - .address_space:  global
        .offset:         40
        .size:           8
        .value_kind:     global_buffer
      - .offset:         48
        .size:           4
        .value_kind:     hidden_block_count_x
      - .offset:         52
        .size:           4
        .value_kind:     hidden_block_count_y
      - .offset:         56
        .size:           4
        .value_kind:     hidden_block_count_z
      - .offset:         60
        .size:           2
        .value_kind:     hidden_group_size_x
      - .offset:         62
        .size:           2
        .value_kind:     hidden_group_size_y
      - .offset:         64
        .size:           2
        .value_kind:     hidden_group_size_z
      - .offset:         66
        .size:           2
        .value_kind:     hidden_remainder_x
      - .offset:         68
        .size:           2
        .value_kind:     hidden_remainder_y
      - .offset:         70
        .size:           2
        .value_kind:     hidden_remainder_z
      - .offset:         88
        .size:           8
        .value_kind:     hidden_global_offset_x
      - .offset:         96
        .size:           8
        .value_kind:     hidden_global_offset_y
      - .offset:         104
        .size:           8
        .value_kind:     hidden_global_offset_z
      - .offset:         112
        .size:           2
        .value_kind:     hidden_grid_dims
    .group_segment_fixed_size: 0
    .kernarg_segment_align: 8
    .kernarg_segment_size: 304
    .language:       OpenCL C
    .language_version:
      - 2
      - 0
    .max_flat_workgroup_size: 1024
    .name:           _ZN12_GLOBAL__N_121softmax_warp_backwardIfffLi6ELb1ELb0ELi32EEEvPT0_PKT_S5_iiiPKb
    .private_segment_fixed_size: 0
    .sgpr_count:     18
    .sgpr_spill_count: 0
    .symbol:         _ZN12_GLOBAL__N_121softmax_warp_backwardIfffLi6ELb1ELb0ELi32EEEvPT0_PKT_S5_iiiPKb.kd
    .uniform_work_group_size: 1
    .uses_dynamic_stack: false
    .vgpr_count:     19
    .vgpr_spill_count: 0
    .wavefront_size: 32
    .workgroup_processor_mode: 1
  - .args:
      - .address_space:  global
        .offset:         0
        .size:           8
        .value_kind:     global_buffer
      - .address_space:  global
        .offset:         8
        .size:           8
        .value_kind:     global_buffer
      - .address_space:  global
        .offset:         16
        .size:           8
        .value_kind:     global_buffer
      - .offset:         24
        .size:           4
        .value_kind:     by_value
      - .offset:         28
        .size:           4
        .value_kind:     by_value
      - .offset:         32
        .size:           4
        .value_kind:     by_value
      - .address_space:  global
        .offset:         40
        .size:           8
        .value_kind:     global_buffer
      - .offset:         48
        .size:           4
        .value_kind:     hidden_block_count_x
      - .offset:         52
        .size:           4
        .value_kind:     hidden_block_count_y
      - .offset:         56
        .size:           4
        .value_kind:     hidden_block_count_z
      - .offset:         60
        .size:           2
        .value_kind:     hidden_group_size_x
      - .offset:         62
        .size:           2
        .value_kind:     hidden_group_size_y
      - .offset:         64
        .size:           2
        .value_kind:     hidden_group_size_z
      - .offset:         66
        .size:           2
        .value_kind:     hidden_remainder_x
      - .offset:         68
        .size:           2
        .value_kind:     hidden_remainder_y
      - .offset:         70
        .size:           2
        .value_kind:     hidden_remainder_z
      - .offset:         88
        .size:           8
        .value_kind:     hidden_global_offset_x
      - .offset:         96
        .size:           8
        .value_kind:     hidden_global_offset_y
      - .offset:         104
        .size:           8
        .value_kind:     hidden_global_offset_z
      - .offset:         112
        .size:           2
        .value_kind:     hidden_grid_dims
    .group_segment_fixed_size: 0
    .kernarg_segment_align: 8
    .kernarg_segment_size: 304
    .language:       OpenCL C
    .language_version:
      - 2
      - 0
    .max_flat_workgroup_size: 1024
    .name:           _ZN12_GLOBAL__N_121softmax_warp_backwardIfffLi7ELb1ELb0ELi64EEEvPT0_PKT_S5_iiiPKb
    .private_segment_fixed_size: 0
    .sgpr_count:     18
    .sgpr_spill_count: 0
    .symbol:         _ZN12_GLOBAL__N_121softmax_warp_backwardIfffLi7ELb1ELb0ELi64EEEvPT0_PKT_S5_iiiPKb.kd
    .uniform_work_group_size: 1
    .uses_dynamic_stack: false
    .vgpr_count:     19
    .vgpr_spill_count: 0
    .wavefront_size: 32
    .workgroup_processor_mode: 1
  - .args:
      - .address_space:  global
        .offset:         0
        .size:           8
        .value_kind:     global_buffer
      - .address_space:  global
        .offset:         8
        .size:           8
        .value_kind:     global_buffer
      - .address_space:  global
        .offset:         16
        .size:           8
        .value_kind:     global_buffer
      - .offset:         24
        .size:           4
        .value_kind:     by_value
      - .offset:         28
        .size:           4
        .value_kind:     by_value
      - .offset:         32
        .size:           4
        .value_kind:     by_value
      - .address_space:  global
        .offset:         40
        .size:           8
        .value_kind:     global_buffer
      - .offset:         48
        .size:           4
        .value_kind:     hidden_block_count_x
      - .offset:         52
        .size:           4
        .value_kind:     hidden_block_count_y
      - .offset:         56
        .size:           4
        .value_kind:     hidden_block_count_z
      - .offset:         60
        .size:           2
        .value_kind:     hidden_group_size_x
      - .offset:         62
        .size:           2
        .value_kind:     hidden_group_size_y
      - .offset:         64
        .size:           2
        .value_kind:     hidden_group_size_z
      - .offset:         66
        .size:           2
        .value_kind:     hidden_remainder_x
      - .offset:         68
        .size:           2
        .value_kind:     hidden_remainder_y
      - .offset:         70
        .size:           2
        .value_kind:     hidden_remainder_z
      - .offset:         88
        .size:           8
        .value_kind:     hidden_global_offset_x
      - .offset:         96
        .size:           8
        .value_kind:     hidden_global_offset_y
      - .offset:         104
        .size:           8
        .value_kind:     hidden_global_offset_z
      - .offset:         112
        .size:           2
        .value_kind:     hidden_grid_dims
    .group_segment_fixed_size: 0
    .kernarg_segment_align: 8
    .kernarg_segment_size: 304
    .language:       OpenCL C
    .language_version:
      - 2
      - 0
    .max_flat_workgroup_size: 1024
    .name:           _ZN12_GLOBAL__N_121softmax_warp_backwardIfffLi7ELb1ELb0ELi32EEEvPT0_PKT_S5_iiiPKb
    .private_segment_fixed_size: 0
    .sgpr_count:     18
    .sgpr_spill_count: 0
    .symbol:         _ZN12_GLOBAL__N_121softmax_warp_backwardIfffLi7ELb1ELb0ELi32EEEvPT0_PKT_S5_iiiPKb.kd
    .uniform_work_group_size: 1
    .uses_dynamic_stack: false
    .vgpr_count:     26
    .vgpr_spill_count: 0
    .wavefront_size: 32
    .workgroup_processor_mode: 1
  - .args:
      - .address_space:  global
        .offset:         0
        .size:           8
        .value_kind:     global_buffer
      - .address_space:  global
        .offset:         8
        .size:           8
        .value_kind:     global_buffer
      - .address_space:  global
        .offset:         16
        .size:           8
        .value_kind:     global_buffer
      - .offset:         24
        .size:           4
        .value_kind:     by_value
      - .offset:         28
        .size:           4
        .value_kind:     by_value
      - .offset:         32
        .size:           4
        .value_kind:     by_value
      - .address_space:  global
        .offset:         40
        .size:           8
        .value_kind:     global_buffer
      - .offset:         48
        .size:           4
        .value_kind:     hidden_block_count_x
      - .offset:         52
        .size:           4
        .value_kind:     hidden_block_count_y
      - .offset:         56
        .size:           4
        .value_kind:     hidden_block_count_z
      - .offset:         60
        .size:           2
        .value_kind:     hidden_group_size_x
      - .offset:         62
        .size:           2
        .value_kind:     hidden_group_size_y
      - .offset:         64
        .size:           2
        .value_kind:     hidden_group_size_z
      - .offset:         66
        .size:           2
        .value_kind:     hidden_remainder_x
      - .offset:         68
        .size:           2
        .value_kind:     hidden_remainder_y
      - .offset:         70
        .size:           2
        .value_kind:     hidden_remainder_z
      - .offset:         88
        .size:           8
        .value_kind:     hidden_global_offset_x
      - .offset:         96
        .size:           8
        .value_kind:     hidden_global_offset_y
      - .offset:         104
        .size:           8
        .value_kind:     hidden_global_offset_z
      - .offset:         112
        .size:           2
        .value_kind:     hidden_grid_dims
    .group_segment_fixed_size: 0
    .kernarg_segment_align: 8
    .kernarg_segment_size: 304
    .language:       OpenCL C
    .language_version:
      - 2
      - 0
    .max_flat_workgroup_size: 1024
    .name:           _ZN12_GLOBAL__N_121softmax_warp_backwardIfffLi8ELb1ELb0ELi64EEEvPT0_PKT_S5_iiiPKb
    .private_segment_fixed_size: 0
    .sgpr_count:     18
    .sgpr_spill_count: 0
    .symbol:         _ZN12_GLOBAL__N_121softmax_warp_backwardIfffLi8ELb1ELb0ELi64EEEvPT0_PKT_S5_iiiPKb.kd
    .uniform_work_group_size: 1
    .uses_dynamic_stack: false
    .vgpr_count:     15
    .vgpr_spill_count: 0
    .wavefront_size: 32
    .workgroup_processor_mode: 1
  - .args:
      - .address_space:  global
        .offset:         0
        .size:           8
        .value_kind:     global_buffer
      - .address_space:  global
        .offset:         8
        .size:           8
        .value_kind:     global_buffer
      - .address_space:  global
        .offset:         16
        .size:           8
        .value_kind:     global_buffer
      - .offset:         24
        .size:           4
        .value_kind:     by_value
      - .offset:         28
        .size:           4
        .value_kind:     by_value
      - .offset:         32
        .size:           4
        .value_kind:     by_value
      - .address_space:  global
        .offset:         40
        .size:           8
        .value_kind:     global_buffer
      - .offset:         48
        .size:           4
        .value_kind:     hidden_block_count_x
      - .offset:         52
        .size:           4
        .value_kind:     hidden_block_count_y
      - .offset:         56
        .size:           4
        .value_kind:     hidden_block_count_z
      - .offset:         60
        .size:           2
        .value_kind:     hidden_group_size_x
      - .offset:         62
        .size:           2
        .value_kind:     hidden_group_size_y
      - .offset:         64
        .size:           2
        .value_kind:     hidden_group_size_z
      - .offset:         66
        .size:           2
        .value_kind:     hidden_remainder_x
      - .offset:         68
        .size:           2
        .value_kind:     hidden_remainder_y
      - .offset:         70
        .size:           2
        .value_kind:     hidden_remainder_z
      - .offset:         88
        .size:           8
        .value_kind:     hidden_global_offset_x
      - .offset:         96
        .size:           8
        .value_kind:     hidden_global_offset_y
      - .offset:         104
        .size:           8
        .value_kind:     hidden_global_offset_z
      - .offset:         112
        .size:           2
        .value_kind:     hidden_grid_dims
    .group_segment_fixed_size: 0
    .kernarg_segment_align: 8
    .kernarg_segment_size: 304
    .language:       OpenCL C
    .language_version:
      - 2
      - 0
    .max_flat_workgroup_size: 1024
    .name:           _ZN12_GLOBAL__N_121softmax_warp_backwardIfffLi8ELb1ELb0ELi32EEEvPT0_PKT_S5_iiiPKb
    .private_segment_fixed_size: 0
    .sgpr_count:     22
    .sgpr_spill_count: 0
    .symbol:         _ZN12_GLOBAL__N_121softmax_warp_backwardIfffLi8ELb1ELb0ELi32EEEvPT0_PKT_S5_iiiPKb.kd
    .uniform_work_group_size: 1
    .uses_dynamic_stack: false
    .vgpr_count:     23
    .vgpr_spill_count: 0
    .wavefront_size: 32
    .workgroup_processor_mode: 1
  - .args:
      - .address_space:  global
        .offset:         0
        .size:           8
        .value_kind:     global_buffer
      - .address_space:  global
        .offset:         8
        .size:           8
        .value_kind:     global_buffer
      - .address_space:  global
        .offset:         16
        .size:           8
        .value_kind:     global_buffer
      - .offset:         24
        .size:           4
        .value_kind:     by_value
      - .offset:         28
        .size:           4
        .value_kind:     by_value
      - .offset:         32
        .size:           4
        .value_kind:     by_value
      - .address_space:  global
        .offset:         40
        .size:           8
        .value_kind:     global_buffer
      - .offset:         48
        .size:           4
        .value_kind:     hidden_block_count_x
      - .offset:         52
        .size:           4
        .value_kind:     hidden_block_count_y
      - .offset:         56
        .size:           4
        .value_kind:     hidden_block_count_z
      - .offset:         60
        .size:           2
        .value_kind:     hidden_group_size_x
      - .offset:         62
        .size:           2
        .value_kind:     hidden_group_size_y
      - .offset:         64
        .size:           2
        .value_kind:     hidden_group_size_z
      - .offset:         66
        .size:           2
        .value_kind:     hidden_remainder_x
      - .offset:         68
        .size:           2
        .value_kind:     hidden_remainder_y
      - .offset:         70
        .size:           2
        .value_kind:     hidden_remainder_z
      - .offset:         88
        .size:           8
        .value_kind:     hidden_global_offset_x
      - .offset:         96
        .size:           8
        .value_kind:     hidden_global_offset_y
      - .offset:         104
        .size:           8
        .value_kind:     hidden_global_offset_z
      - .offset:         112
        .size:           2
        .value_kind:     hidden_grid_dims
    .group_segment_fixed_size: 0
    .kernarg_segment_align: 8
    .kernarg_segment_size: 304
    .language:       OpenCL C
    .language_version:
      - 2
      - 0
    .max_flat_workgroup_size: 1024
    .name:           _ZN12_GLOBAL__N_121softmax_warp_backwardIfffLi9ELb1ELb0ELi64EEEvPT0_PKT_S5_iiiPKb
    .private_segment_fixed_size: 0
    .sgpr_count:     22
    .sgpr_spill_count: 0
    .symbol:         _ZN12_GLOBAL__N_121softmax_warp_backwardIfffLi9ELb1ELb0ELi64EEEvPT0_PKT_S5_iiiPKb.kd
    .uniform_work_group_size: 1
    .uses_dynamic_stack: false
    .vgpr_count:     23
    .vgpr_spill_count: 0
    .wavefront_size: 32
    .workgroup_processor_mode: 1
  - .args:
      - .address_space:  global
        .offset:         0
        .size:           8
        .value_kind:     global_buffer
      - .address_space:  global
        .offset:         8
        .size:           8
        .value_kind:     global_buffer
      - .address_space:  global
        .offset:         16
        .size:           8
        .value_kind:     global_buffer
      - .offset:         24
        .size:           4
        .value_kind:     by_value
      - .offset:         28
        .size:           4
        .value_kind:     by_value
      - .offset:         32
        .size:           4
        .value_kind:     by_value
      - .address_space:  global
        .offset:         40
        .size:           8
        .value_kind:     global_buffer
      - .offset:         48
        .size:           4
        .value_kind:     hidden_block_count_x
      - .offset:         52
        .size:           4
        .value_kind:     hidden_block_count_y
      - .offset:         56
        .size:           4
        .value_kind:     hidden_block_count_z
      - .offset:         60
        .size:           2
        .value_kind:     hidden_group_size_x
      - .offset:         62
        .size:           2
        .value_kind:     hidden_group_size_y
      - .offset:         64
        .size:           2
        .value_kind:     hidden_group_size_z
      - .offset:         66
        .size:           2
        .value_kind:     hidden_remainder_x
      - .offset:         68
        .size:           2
        .value_kind:     hidden_remainder_y
      - .offset:         70
        .size:           2
        .value_kind:     hidden_remainder_z
      - .offset:         88
        .size:           8
        .value_kind:     hidden_global_offset_x
      - .offset:         96
        .size:           8
        .value_kind:     hidden_global_offset_y
      - .offset:         104
        .size:           8
        .value_kind:     hidden_global_offset_z
      - .offset:         112
        .size:           2
        .value_kind:     hidden_grid_dims
    .group_segment_fixed_size: 0
    .kernarg_segment_align: 8
    .kernarg_segment_size: 304
    .language:       OpenCL C
    .language_version:
      - 2
      - 0
    .max_flat_workgroup_size: 1024
    .name:           _ZN12_GLOBAL__N_121softmax_warp_backwardIfffLi9ELb1ELb0ELi32EEEvPT0_PKT_S5_iiiPKb
    .private_segment_fixed_size: 0
    .sgpr_count:     26
    .sgpr_spill_count: 0
    .symbol:         _ZN12_GLOBAL__N_121softmax_warp_backwardIfffLi9ELb1ELb0ELi32EEEvPT0_PKT_S5_iiiPKb.kd
    .uniform_work_group_size: 1
    .uses_dynamic_stack: false
    .vgpr_count:     39
    .vgpr_spill_count: 0
    .wavefront_size: 32
    .workgroup_processor_mode: 1
  - .args:
      - .address_space:  global
        .offset:         0
        .size:           8
        .value_kind:     global_buffer
      - .address_space:  global
        .offset:         8
        .size:           8
        .value_kind:     global_buffer
      - .address_space:  global
        .offset:         16
        .size:           8
        .value_kind:     global_buffer
      - .offset:         24
        .size:           4
        .value_kind:     by_value
      - .offset:         28
        .size:           4
        .value_kind:     by_value
      - .offset:         32
        .size:           4
        .value_kind:     by_value
      - .address_space:  global
        .offset:         40
        .size:           8
        .value_kind:     global_buffer
      - .offset:         48
        .size:           4
        .value_kind:     hidden_block_count_x
      - .offset:         52
        .size:           4
        .value_kind:     hidden_block_count_y
      - .offset:         56
        .size:           4
        .value_kind:     hidden_block_count_z
      - .offset:         60
        .size:           2
        .value_kind:     hidden_group_size_x
      - .offset:         62
        .size:           2
        .value_kind:     hidden_group_size_y
      - .offset:         64
        .size:           2
        .value_kind:     hidden_group_size_z
      - .offset:         66
        .size:           2
        .value_kind:     hidden_remainder_x
      - .offset:         68
        .size:           2
        .value_kind:     hidden_remainder_y
      - .offset:         70
        .size:           2
        .value_kind:     hidden_remainder_z
      - .offset:         88
        .size:           8
        .value_kind:     hidden_global_offset_x
      - .offset:         96
        .size:           8
        .value_kind:     hidden_global_offset_y
      - .offset:         104
        .size:           8
        .value_kind:     hidden_global_offset_z
      - .offset:         112
        .size:           2
        .value_kind:     hidden_grid_dims
    .group_segment_fixed_size: 0
    .kernarg_segment_align: 8
    .kernarg_segment_size: 304
    .language:       OpenCL C
    .language_version:
      - 2
      - 0
    .max_flat_workgroup_size: 1024
    .name:           _ZN12_GLOBAL__N_121softmax_warp_backwardIfffLi10ELb1ELb0ELi64EEEvPT0_PKT_S5_iiiPKb
    .private_segment_fixed_size: 0
    .sgpr_count:     26
    .sgpr_spill_count: 0
    .symbol:         _ZN12_GLOBAL__N_121softmax_warp_backwardIfffLi10ELb1ELb0ELi64EEEvPT0_PKT_S5_iiiPKb.kd
    .uniform_work_group_size: 1
    .uses_dynamic_stack: false
    .vgpr_count:     39
    .vgpr_spill_count: 0
    .wavefront_size: 32
    .workgroup_processor_mode: 1
  - .args:
      - .address_space:  global
        .offset:         0
        .size:           8
        .value_kind:     global_buffer
      - .address_space:  global
        .offset:         8
        .size:           8
        .value_kind:     global_buffer
      - .address_space:  global
        .offset:         16
        .size:           8
        .value_kind:     global_buffer
      - .offset:         24
        .size:           4
        .value_kind:     by_value
      - .offset:         28
        .size:           4
        .value_kind:     by_value
      - .offset:         32
        .size:           4
        .value_kind:     by_value
      - .address_space:  global
        .offset:         40
        .size:           8
        .value_kind:     global_buffer
      - .offset:         48
        .size:           4
        .value_kind:     hidden_block_count_x
      - .offset:         52
        .size:           4
        .value_kind:     hidden_block_count_y
      - .offset:         56
        .size:           4
        .value_kind:     hidden_block_count_z
      - .offset:         60
        .size:           2
        .value_kind:     hidden_group_size_x
      - .offset:         62
        .size:           2
        .value_kind:     hidden_group_size_y
      - .offset:         64
        .size:           2
        .value_kind:     hidden_group_size_z
      - .offset:         66
        .size:           2
        .value_kind:     hidden_remainder_x
      - .offset:         68
        .size:           2
        .value_kind:     hidden_remainder_y
      - .offset:         70
        .size:           2
        .value_kind:     hidden_remainder_z
      - .offset:         88
        .size:           8
        .value_kind:     hidden_global_offset_x
      - .offset:         96
        .size:           8
        .value_kind:     hidden_global_offset_y
      - .offset:         104
        .size:           8
        .value_kind:     hidden_global_offset_z
      - .offset:         112
        .size:           2
        .value_kind:     hidden_grid_dims
    .group_segment_fixed_size: 0
    .kernarg_segment_align: 8
    .kernarg_segment_size: 304
    .language:       OpenCL C
    .language_version:
      - 2
      - 0
    .max_flat_workgroup_size: 1024
    .name:           _ZN12_GLOBAL__N_121softmax_warp_backwardIfffLi10ELb1ELb0ELi32EEEvPT0_PKT_S5_iiiPKb
    .private_segment_fixed_size: 0
    .sgpr_count:     46
    .sgpr_spill_count: 0
    .symbol:         _ZN12_GLOBAL__N_121softmax_warp_backwardIfffLi10ELb1ELb0ELi32EEEvPT0_PKT_S5_iiiPKb.kd
    .uniform_work_group_size: 1
    .uses_dynamic_stack: false
    .vgpr_count:     71
    .vgpr_spill_count: 0
    .wavefront_size: 32
    .workgroup_processor_mode: 1
  - .args:
      - .address_space:  global
        .offset:         0
        .size:           8
        .value_kind:     global_buffer
      - .address_space:  global
        .offset:         8
        .size:           8
        .value_kind:     global_buffer
      - .address_space:  global
        .offset:         16
        .size:           8
        .value_kind:     global_buffer
      - .offset:         24
        .size:           8
        .value_kind:     by_value
      - .offset:         32
        .size:           4
        .value_kind:     hidden_block_count_x
      - .offset:         36
        .size:           4
        .value_kind:     hidden_block_count_y
      - .offset:         40
        .size:           4
        .value_kind:     hidden_block_count_z
      - .offset:         44
        .size:           2
        .value_kind:     hidden_group_size_x
      - .offset:         46
        .size:           2
        .value_kind:     hidden_group_size_y
      - .offset:         48
        .size:           2
        .value_kind:     hidden_group_size_z
      - .offset:         50
        .size:           2
        .value_kind:     hidden_remainder_x
      - .offset:         52
        .size:           2
        .value_kind:     hidden_remainder_y
      - .offset:         54
        .size:           2
        .value_kind:     hidden_remainder_z
      - .offset:         72
        .size:           8
        .value_kind:     hidden_global_offset_x
      - .offset:         80
        .size:           8
        .value_kind:     hidden_global_offset_y
      - .offset:         88
        .size:           8
        .value_kind:     hidden_global_offset_z
      - .offset:         96
        .size:           2
        .value_kind:     hidden_grid_dims
      - .offset:         152
        .size:           4
        .value_kind:     hidden_dynamic_lds_size
    .group_segment_fixed_size: 0
    .kernarg_segment_align: 8
    .kernarg_segment_size: 288
    .language:       OpenCL C
    .language_version:
      - 2
      - 0
    .max_flat_workgroup_size: 1024
    .name:           _ZN2at6native12_GLOBAL__N_124cunn_SoftMaxBackwardSmemILi4EfffNS1_26LogSoftMaxBackwardEpilogueEEEvPT0_PKT2_S8_l
    .private_segment_fixed_size: 0
    .sgpr_count:     20
    .sgpr_spill_count: 0
    .symbol:         _ZN2at6native12_GLOBAL__N_124cunn_SoftMaxBackwardSmemILi4EfffNS1_26LogSoftMaxBackwardEpilogueEEEvPT0_PKT2_S8_l.kd
    .uniform_work_group_size: 1
    .uses_dynamic_stack: false
    .vgpr_count:     26
    .vgpr_spill_count: 0
    .wavefront_size: 32
    .workgroup_processor_mode: 1
  - .args:
      - .address_space:  global
        .offset:         0
        .size:           8
        .value_kind:     global_buffer
      - .address_space:  global
        .offset:         8
        .size:           8
        .value_kind:     global_buffer
      - .address_space:  global
        .offset:         16
        .size:           8
        .value_kind:     global_buffer
      - .offset:         24
        .size:           8
        .value_kind:     by_value
      - .offset:         32
        .size:           4
        .value_kind:     hidden_block_count_x
      - .offset:         36
        .size:           4
        .value_kind:     hidden_block_count_y
      - .offset:         40
        .size:           4
        .value_kind:     hidden_block_count_z
      - .offset:         44
        .size:           2
        .value_kind:     hidden_group_size_x
      - .offset:         46
        .size:           2
        .value_kind:     hidden_group_size_y
      - .offset:         48
        .size:           2
        .value_kind:     hidden_group_size_z
      - .offset:         50
        .size:           2
        .value_kind:     hidden_remainder_x
      - .offset:         52
        .size:           2
        .value_kind:     hidden_remainder_y
      - .offset:         54
        .size:           2
        .value_kind:     hidden_remainder_z
      - .offset:         72
        .size:           8
        .value_kind:     hidden_global_offset_x
      - .offset:         80
        .size:           8
        .value_kind:     hidden_global_offset_y
      - .offset:         88
        .size:           8
        .value_kind:     hidden_global_offset_z
      - .offset:         96
        .size:           2
        .value_kind:     hidden_grid_dims
      - .offset:         152
        .size:           4
        .value_kind:     hidden_dynamic_lds_size
    .group_segment_fixed_size: 0
    .kernarg_segment_align: 8
    .kernarg_segment_size: 288
    .language:       OpenCL C
    .language_version:
      - 2
      - 0
    .max_flat_workgroup_size: 1024
    .name:           _ZN2at6native12_GLOBAL__N_120cunn_SoftMaxBackwardILi4EfffNS1_26LogSoftMaxBackwardEpilogueEEEvPT0_PKT2_S8_l
    .private_segment_fixed_size: 0
    .sgpr_count:     62
    .sgpr_spill_count: 0
    .symbol:         _ZN2at6native12_GLOBAL__N_120cunn_SoftMaxBackwardILi4EfffNS1_26LogSoftMaxBackwardEpilogueEEEvPT0_PKT2_S8_l.kd
    .uniform_work_group_size: 1
    .uses_dynamic_stack: false
    .vgpr_count:     34
    .vgpr_spill_count: 0
    .wavefront_size: 32
    .workgroup_processor_mode: 1
  - .args:
      - .address_space:  global
        .offset:         0
        .size:           8
        .value_kind:     global_buffer
      - .address_space:  global
        .offset:         8
        .size:           8
        .value_kind:     global_buffer
      - .address_space:  global
        .offset:         16
        .size:           8
        .value_kind:     global_buffer
      - .offset:         24
        .size:           4
        .value_kind:     by_value
      - .offset:         28
        .size:           4
        .value_kind:     by_value
      - .offset:         32
        .size:           4
        .value_kind:     by_value
      - .address_space:  global
        .offset:         40
        .size:           8
        .value_kind:     global_buffer
      - .offset:         48
        .size:           4
        .value_kind:     hidden_block_count_x
      - .offset:         52
        .size:           4
        .value_kind:     hidden_block_count_y
      - .offset:         56
        .size:           4
        .value_kind:     hidden_block_count_z
      - .offset:         60
        .size:           2
        .value_kind:     hidden_group_size_x
      - .offset:         62
        .size:           2
        .value_kind:     hidden_group_size_y
      - .offset:         64
        .size:           2
        .value_kind:     hidden_group_size_z
      - .offset:         66
        .size:           2
        .value_kind:     hidden_remainder_x
      - .offset:         68
        .size:           2
        .value_kind:     hidden_remainder_y
      - .offset:         70
        .size:           2
        .value_kind:     hidden_remainder_z
      - .offset:         88
        .size:           8
        .value_kind:     hidden_global_offset_x
      - .offset:         96
        .size:           8
        .value_kind:     hidden_global_offset_y
      - .offset:         104
        .size:           8
        .value_kind:     hidden_global_offset_z
      - .offset:         112
        .size:           2
        .value_kind:     hidden_grid_dims
    .group_segment_fixed_size: 0
    .kernarg_segment_align: 8
    .kernarg_segment_size: 304
    .language:       OpenCL C
    .language_version:
      - 2
      - 0
    .max_flat_workgroup_size: 1024
    .name:           _ZN12_GLOBAL__N_121softmax_warp_backwardIN3c104HalfES2_fLi0ELb1ELb0ELi64EEEvPT0_PKT_S7_iiiPKb
    .private_segment_fixed_size: 0
    .sgpr_count:     18
    .sgpr_spill_count: 0
    .symbol:         _ZN12_GLOBAL__N_121softmax_warp_backwardIN3c104HalfES2_fLi0ELb1ELb0ELi64EEEvPT0_PKT_S7_iiiPKb.kd
    .uniform_work_group_size: 1
    .uses_dynamic_stack: false
    .vgpr_count:     11
    .vgpr_spill_count: 0
    .wavefront_size: 32
    .workgroup_processor_mode: 1
  - .args:
      - .address_space:  global
        .offset:         0
        .size:           8
        .value_kind:     global_buffer
      - .address_space:  global
        .offset:         8
        .size:           8
        .value_kind:     global_buffer
      - .address_space:  global
        .offset:         16
        .size:           8
        .value_kind:     global_buffer
      - .offset:         24
        .size:           4
        .value_kind:     by_value
      - .offset:         28
        .size:           4
        .value_kind:     by_value
      - .offset:         32
        .size:           4
        .value_kind:     by_value
      - .address_space:  global
        .offset:         40
        .size:           8
        .value_kind:     global_buffer
      - .offset:         48
        .size:           4
        .value_kind:     hidden_block_count_x
      - .offset:         52
        .size:           4
        .value_kind:     hidden_block_count_y
      - .offset:         56
        .size:           4
        .value_kind:     hidden_block_count_z
      - .offset:         60
        .size:           2
        .value_kind:     hidden_group_size_x
      - .offset:         62
        .size:           2
        .value_kind:     hidden_group_size_y
      - .offset:         64
        .size:           2
        .value_kind:     hidden_group_size_z
      - .offset:         66
        .size:           2
        .value_kind:     hidden_remainder_x
      - .offset:         68
        .size:           2
        .value_kind:     hidden_remainder_y
      - .offset:         70
        .size:           2
        .value_kind:     hidden_remainder_z
      - .offset:         88
        .size:           8
        .value_kind:     hidden_global_offset_x
      - .offset:         96
        .size:           8
        .value_kind:     hidden_global_offset_y
      - .offset:         104
        .size:           8
        .value_kind:     hidden_global_offset_z
      - .offset:         112
        .size:           2
        .value_kind:     hidden_grid_dims
    .group_segment_fixed_size: 0
    .kernarg_segment_align: 8
    .kernarg_segment_size: 304
    .language:       OpenCL C
    .language_version:
      - 2
      - 0
    .max_flat_workgroup_size: 1024
    .name:           _ZN12_GLOBAL__N_121softmax_warp_backwardIN3c104HalfES2_fLi0ELb1ELb0ELi32EEEvPT0_PKT_S7_iiiPKb
    .private_segment_fixed_size: 0
    .sgpr_count:     18
    .sgpr_spill_count: 0
    .symbol:         _ZN12_GLOBAL__N_121softmax_warp_backwardIN3c104HalfES2_fLi0ELb1ELb0ELi32EEEvPT0_PKT_S7_iiiPKb.kd
    .uniform_work_group_size: 1
    .uses_dynamic_stack: false
    .vgpr_count:     11
    .vgpr_spill_count: 0
    .wavefront_size: 32
    .workgroup_processor_mode: 1
  - .args:
      - .address_space:  global
        .offset:         0
        .size:           8
        .value_kind:     global_buffer
      - .address_space:  global
        .offset:         8
        .size:           8
        .value_kind:     global_buffer
      - .address_space:  global
        .offset:         16
        .size:           8
        .value_kind:     global_buffer
      - .offset:         24
        .size:           4
        .value_kind:     by_value
      - .offset:         28
        .size:           4
        .value_kind:     by_value
      - .offset:         32
        .size:           4
        .value_kind:     by_value
      - .address_space:  global
        .offset:         40
        .size:           8
        .value_kind:     global_buffer
      - .offset:         48
        .size:           4
        .value_kind:     hidden_block_count_x
      - .offset:         52
        .size:           4
        .value_kind:     hidden_block_count_y
      - .offset:         56
        .size:           4
        .value_kind:     hidden_block_count_z
      - .offset:         60
        .size:           2
        .value_kind:     hidden_group_size_x
      - .offset:         62
        .size:           2
        .value_kind:     hidden_group_size_y
      - .offset:         64
        .size:           2
        .value_kind:     hidden_group_size_z
      - .offset:         66
        .size:           2
        .value_kind:     hidden_remainder_x
      - .offset:         68
        .size:           2
        .value_kind:     hidden_remainder_y
      - .offset:         70
        .size:           2
        .value_kind:     hidden_remainder_z
      - .offset:         88
        .size:           8
        .value_kind:     hidden_global_offset_x
      - .offset:         96
        .size:           8
        .value_kind:     hidden_global_offset_y
      - .offset:         104
        .size:           8
        .value_kind:     hidden_global_offset_z
      - .offset:         112
        .size:           2
        .value_kind:     hidden_grid_dims
    .group_segment_fixed_size: 0
    .kernarg_segment_align: 8
    .kernarg_segment_size: 304
    .language:       OpenCL C
    .language_version:
      - 2
      - 0
    .max_flat_workgroup_size: 1024
    .name:           _ZN12_GLOBAL__N_121softmax_warp_backwardIN3c104HalfES2_fLi1ELb1ELb0ELi64EEEvPT0_PKT_S7_iiiPKb
    .private_segment_fixed_size: 0
    .sgpr_count:     18
    .sgpr_spill_count: 0
    .symbol:         _ZN12_GLOBAL__N_121softmax_warp_backwardIN3c104HalfES2_fLi1ELb1ELb0ELi64EEEvPT0_PKT_S7_iiiPKb.kd
    .uniform_work_group_size: 1
    .uses_dynamic_stack: false
    .vgpr_count:     14
    .vgpr_spill_count: 0
    .wavefront_size: 32
    .workgroup_processor_mode: 1
  - .args:
      - .address_space:  global
        .offset:         0
        .size:           8
        .value_kind:     global_buffer
      - .address_space:  global
        .offset:         8
        .size:           8
        .value_kind:     global_buffer
      - .address_space:  global
        .offset:         16
        .size:           8
        .value_kind:     global_buffer
      - .offset:         24
        .size:           4
        .value_kind:     by_value
      - .offset:         28
        .size:           4
        .value_kind:     by_value
      - .offset:         32
        .size:           4
        .value_kind:     by_value
      - .address_space:  global
        .offset:         40
        .size:           8
        .value_kind:     global_buffer
      - .offset:         48
        .size:           4
        .value_kind:     hidden_block_count_x
      - .offset:         52
        .size:           4
        .value_kind:     hidden_block_count_y
      - .offset:         56
        .size:           4
        .value_kind:     hidden_block_count_z
      - .offset:         60
        .size:           2
        .value_kind:     hidden_group_size_x
      - .offset:         62
        .size:           2
        .value_kind:     hidden_group_size_y
      - .offset:         64
        .size:           2
        .value_kind:     hidden_group_size_z
      - .offset:         66
        .size:           2
        .value_kind:     hidden_remainder_x
      - .offset:         68
        .size:           2
        .value_kind:     hidden_remainder_y
      - .offset:         70
        .size:           2
        .value_kind:     hidden_remainder_z
      - .offset:         88
        .size:           8
        .value_kind:     hidden_global_offset_x
      - .offset:         96
        .size:           8
        .value_kind:     hidden_global_offset_y
      - .offset:         104
        .size:           8
        .value_kind:     hidden_global_offset_z
      - .offset:         112
        .size:           2
        .value_kind:     hidden_grid_dims
    .group_segment_fixed_size: 0
    .kernarg_segment_align: 8
    .kernarg_segment_size: 304
    .language:       OpenCL C
    .language_version:
      - 2
      - 0
    .max_flat_workgroup_size: 1024
    .name:           _ZN12_GLOBAL__N_121softmax_warp_backwardIN3c104HalfES2_fLi1ELb1ELb0ELi32EEEvPT0_PKT_S7_iiiPKb
    .private_segment_fixed_size: 0
    .sgpr_count:     18
    .sgpr_spill_count: 0
    .symbol:         _ZN12_GLOBAL__N_121softmax_warp_backwardIN3c104HalfES2_fLi1ELb1ELb0ELi32EEEvPT0_PKT_S7_iiiPKb.kd
    .uniform_work_group_size: 1
    .uses_dynamic_stack: false
    .vgpr_count:     14
    .vgpr_spill_count: 0
    .wavefront_size: 32
    .workgroup_processor_mode: 1
  - .args:
      - .address_space:  global
        .offset:         0
        .size:           8
        .value_kind:     global_buffer
      - .address_space:  global
        .offset:         8
        .size:           8
        .value_kind:     global_buffer
      - .address_space:  global
        .offset:         16
        .size:           8
        .value_kind:     global_buffer
      - .offset:         24
        .size:           4
        .value_kind:     by_value
      - .offset:         28
        .size:           4
        .value_kind:     by_value
      - .offset:         32
        .size:           4
        .value_kind:     by_value
      - .address_space:  global
        .offset:         40
        .size:           8
        .value_kind:     global_buffer
      - .offset:         48
        .size:           4
        .value_kind:     hidden_block_count_x
      - .offset:         52
        .size:           4
        .value_kind:     hidden_block_count_y
      - .offset:         56
        .size:           4
        .value_kind:     hidden_block_count_z
      - .offset:         60
        .size:           2
        .value_kind:     hidden_group_size_x
      - .offset:         62
        .size:           2
        .value_kind:     hidden_group_size_y
      - .offset:         64
        .size:           2
        .value_kind:     hidden_group_size_z
      - .offset:         66
        .size:           2
        .value_kind:     hidden_remainder_x
      - .offset:         68
        .size:           2
        .value_kind:     hidden_remainder_y
      - .offset:         70
        .size:           2
        .value_kind:     hidden_remainder_z
      - .offset:         88
        .size:           8
        .value_kind:     hidden_global_offset_x
      - .offset:         96
        .size:           8
        .value_kind:     hidden_global_offset_y
      - .offset:         104
        .size:           8
        .value_kind:     hidden_global_offset_z
      - .offset:         112
        .size:           2
        .value_kind:     hidden_grid_dims
    .group_segment_fixed_size: 0
    .kernarg_segment_align: 8
    .kernarg_segment_size: 304
    .language:       OpenCL C
    .language_version:
      - 2
      - 0
    .max_flat_workgroup_size: 1024
    .name:           _ZN12_GLOBAL__N_121softmax_warp_backwardIN3c104HalfES2_fLi2ELb1ELb0ELi64EEEvPT0_PKT_S7_iiiPKb
    .private_segment_fixed_size: 0
    .sgpr_count:     18
    .sgpr_spill_count: 0
    .symbol:         _ZN12_GLOBAL__N_121softmax_warp_backwardIN3c104HalfES2_fLi2ELb1ELb0ELi64EEEvPT0_PKT_S7_iiiPKb.kd
    .uniform_work_group_size: 1
    .uses_dynamic_stack: false
    .vgpr_count:     14
    .vgpr_spill_count: 0
    .wavefront_size: 32
    .workgroup_processor_mode: 1
  - .args:
      - .address_space:  global
        .offset:         0
        .size:           8
        .value_kind:     global_buffer
      - .address_space:  global
        .offset:         8
        .size:           8
        .value_kind:     global_buffer
      - .address_space:  global
        .offset:         16
        .size:           8
        .value_kind:     global_buffer
      - .offset:         24
        .size:           4
        .value_kind:     by_value
      - .offset:         28
        .size:           4
        .value_kind:     by_value
      - .offset:         32
        .size:           4
        .value_kind:     by_value
      - .address_space:  global
        .offset:         40
        .size:           8
        .value_kind:     global_buffer
      - .offset:         48
        .size:           4
        .value_kind:     hidden_block_count_x
      - .offset:         52
        .size:           4
        .value_kind:     hidden_block_count_y
      - .offset:         56
        .size:           4
        .value_kind:     hidden_block_count_z
      - .offset:         60
        .size:           2
        .value_kind:     hidden_group_size_x
      - .offset:         62
        .size:           2
        .value_kind:     hidden_group_size_y
      - .offset:         64
        .size:           2
        .value_kind:     hidden_group_size_z
      - .offset:         66
        .size:           2
        .value_kind:     hidden_remainder_x
      - .offset:         68
        .size:           2
        .value_kind:     hidden_remainder_y
      - .offset:         70
        .size:           2
        .value_kind:     hidden_remainder_z
      - .offset:         88
        .size:           8
        .value_kind:     hidden_global_offset_x
      - .offset:         96
        .size:           8
        .value_kind:     hidden_global_offset_y
      - .offset:         104
        .size:           8
        .value_kind:     hidden_global_offset_z
      - .offset:         112
        .size:           2
        .value_kind:     hidden_grid_dims
    .group_segment_fixed_size: 0
    .kernarg_segment_align: 8
    .kernarg_segment_size: 304
    .language:       OpenCL C
    .language_version:
      - 2
      - 0
    .max_flat_workgroup_size: 1024
    .name:           _ZN12_GLOBAL__N_121softmax_warp_backwardIN3c104HalfES2_fLi2ELb1ELb0ELi32EEEvPT0_PKT_S7_iiiPKb
    .private_segment_fixed_size: 0
    .sgpr_count:     18
    .sgpr_spill_count: 0
    .symbol:         _ZN12_GLOBAL__N_121softmax_warp_backwardIN3c104HalfES2_fLi2ELb1ELb0ELi32EEEvPT0_PKT_S7_iiiPKb.kd
    .uniform_work_group_size: 1
    .uses_dynamic_stack: false
    .vgpr_count:     14
    .vgpr_spill_count: 0
    .wavefront_size: 32
    .workgroup_processor_mode: 1
  - .args:
      - .address_space:  global
        .offset:         0
        .size:           8
        .value_kind:     global_buffer
      - .address_space:  global
        .offset:         8
        .size:           8
        .value_kind:     global_buffer
      - .address_space:  global
        .offset:         16
        .size:           8
        .value_kind:     global_buffer
      - .offset:         24
        .size:           4
        .value_kind:     by_value
      - .offset:         28
        .size:           4
        .value_kind:     by_value
      - .offset:         32
        .size:           4
        .value_kind:     by_value
      - .address_space:  global
        .offset:         40
        .size:           8
        .value_kind:     global_buffer
      - .offset:         48
        .size:           4
        .value_kind:     hidden_block_count_x
      - .offset:         52
        .size:           4
        .value_kind:     hidden_block_count_y
      - .offset:         56
        .size:           4
        .value_kind:     hidden_block_count_z
      - .offset:         60
        .size:           2
        .value_kind:     hidden_group_size_x
      - .offset:         62
        .size:           2
        .value_kind:     hidden_group_size_y
      - .offset:         64
        .size:           2
        .value_kind:     hidden_group_size_z
      - .offset:         66
        .size:           2
        .value_kind:     hidden_remainder_x
      - .offset:         68
        .size:           2
        .value_kind:     hidden_remainder_y
      - .offset:         70
        .size:           2
        .value_kind:     hidden_remainder_z
      - .offset:         88
        .size:           8
        .value_kind:     hidden_global_offset_x
      - .offset:         96
        .size:           8
        .value_kind:     hidden_global_offset_y
      - .offset:         104
        .size:           8
        .value_kind:     hidden_global_offset_z
      - .offset:         112
        .size:           2
        .value_kind:     hidden_grid_dims
    .group_segment_fixed_size: 0
    .kernarg_segment_align: 8
    .kernarg_segment_size: 304
    .language:       OpenCL C
    .language_version:
      - 2
      - 0
    .max_flat_workgroup_size: 1024
    .name:           _ZN12_GLOBAL__N_121softmax_warp_backwardIN3c104HalfES2_fLi3ELb1ELb0ELi64EEEvPT0_PKT_S7_iiiPKb
    .private_segment_fixed_size: 0
    .sgpr_count:     18
    .sgpr_spill_count: 0
    .symbol:         _ZN12_GLOBAL__N_121softmax_warp_backwardIN3c104HalfES2_fLi3ELb1ELb0ELi64EEEvPT0_PKT_S7_iiiPKb.kd
    .uniform_work_group_size: 1
    .uses_dynamic_stack: false
    .vgpr_count:     14
    .vgpr_spill_count: 0
    .wavefront_size: 32
    .workgroup_processor_mode: 1
  - .args:
      - .address_space:  global
        .offset:         0
        .size:           8
        .value_kind:     global_buffer
      - .address_space:  global
        .offset:         8
        .size:           8
        .value_kind:     global_buffer
      - .address_space:  global
        .offset:         16
        .size:           8
        .value_kind:     global_buffer
      - .offset:         24
        .size:           4
        .value_kind:     by_value
      - .offset:         28
        .size:           4
        .value_kind:     by_value
      - .offset:         32
        .size:           4
        .value_kind:     by_value
      - .address_space:  global
        .offset:         40
        .size:           8
        .value_kind:     global_buffer
      - .offset:         48
        .size:           4
        .value_kind:     hidden_block_count_x
      - .offset:         52
        .size:           4
        .value_kind:     hidden_block_count_y
      - .offset:         56
        .size:           4
        .value_kind:     hidden_block_count_z
      - .offset:         60
        .size:           2
        .value_kind:     hidden_group_size_x
      - .offset:         62
        .size:           2
        .value_kind:     hidden_group_size_y
      - .offset:         64
        .size:           2
        .value_kind:     hidden_group_size_z
      - .offset:         66
        .size:           2
        .value_kind:     hidden_remainder_x
      - .offset:         68
        .size:           2
        .value_kind:     hidden_remainder_y
      - .offset:         70
        .size:           2
        .value_kind:     hidden_remainder_z
      - .offset:         88
        .size:           8
        .value_kind:     hidden_global_offset_x
      - .offset:         96
        .size:           8
        .value_kind:     hidden_global_offset_y
      - .offset:         104
        .size:           8
        .value_kind:     hidden_global_offset_z
      - .offset:         112
        .size:           2
        .value_kind:     hidden_grid_dims
    .group_segment_fixed_size: 0
    .kernarg_segment_align: 8
    .kernarg_segment_size: 304
    .language:       OpenCL C
    .language_version:
      - 2
      - 0
    .max_flat_workgroup_size: 1024
    .name:           _ZN12_GLOBAL__N_121softmax_warp_backwardIN3c104HalfES2_fLi3ELb1ELb0ELi32EEEvPT0_PKT_S7_iiiPKb
    .private_segment_fixed_size: 0
    .sgpr_count:     18
    .sgpr_spill_count: 0
    .symbol:         _ZN12_GLOBAL__N_121softmax_warp_backwardIN3c104HalfES2_fLi3ELb1ELb0ELi32EEEvPT0_PKT_S7_iiiPKb.kd
    .uniform_work_group_size: 1
    .uses_dynamic_stack: false
    .vgpr_count:     14
    .vgpr_spill_count: 0
    .wavefront_size: 32
    .workgroup_processor_mode: 1
  - .args:
      - .address_space:  global
        .offset:         0
        .size:           8
        .value_kind:     global_buffer
      - .address_space:  global
        .offset:         8
        .size:           8
        .value_kind:     global_buffer
      - .address_space:  global
        .offset:         16
        .size:           8
        .value_kind:     global_buffer
      - .offset:         24
        .size:           4
        .value_kind:     by_value
      - .offset:         28
        .size:           4
        .value_kind:     by_value
      - .offset:         32
        .size:           4
        .value_kind:     by_value
      - .address_space:  global
        .offset:         40
        .size:           8
        .value_kind:     global_buffer
      - .offset:         48
        .size:           4
        .value_kind:     hidden_block_count_x
      - .offset:         52
        .size:           4
        .value_kind:     hidden_block_count_y
      - .offset:         56
        .size:           4
        .value_kind:     hidden_block_count_z
      - .offset:         60
        .size:           2
        .value_kind:     hidden_group_size_x
      - .offset:         62
        .size:           2
        .value_kind:     hidden_group_size_y
      - .offset:         64
        .size:           2
        .value_kind:     hidden_group_size_z
      - .offset:         66
        .size:           2
        .value_kind:     hidden_remainder_x
      - .offset:         68
        .size:           2
        .value_kind:     hidden_remainder_y
      - .offset:         70
        .size:           2
        .value_kind:     hidden_remainder_z
      - .offset:         88
        .size:           8
        .value_kind:     hidden_global_offset_x
      - .offset:         96
        .size:           8
        .value_kind:     hidden_global_offset_y
      - .offset:         104
        .size:           8
        .value_kind:     hidden_global_offset_z
      - .offset:         112
        .size:           2
        .value_kind:     hidden_grid_dims
    .group_segment_fixed_size: 0
    .kernarg_segment_align: 8
    .kernarg_segment_size: 304
    .language:       OpenCL C
    .language_version:
      - 2
      - 0
    .max_flat_workgroup_size: 1024
    .name:           _ZN12_GLOBAL__N_121softmax_warp_backwardIN3c104HalfES2_fLi4ELb1ELb0ELi64EEEvPT0_PKT_S7_iiiPKb
    .private_segment_fixed_size: 0
    .sgpr_count:     18
    .sgpr_spill_count: 0
    .symbol:         _ZN12_GLOBAL__N_121softmax_warp_backwardIN3c104HalfES2_fLi4ELb1ELb0ELi64EEEvPT0_PKT_S7_iiiPKb.kd
    .uniform_work_group_size: 1
    .uses_dynamic_stack: false
    .vgpr_count:     14
    .vgpr_spill_count: 0
    .wavefront_size: 32
    .workgroup_processor_mode: 1
  - .args:
      - .address_space:  global
        .offset:         0
        .size:           8
        .value_kind:     global_buffer
      - .address_space:  global
        .offset:         8
        .size:           8
        .value_kind:     global_buffer
      - .address_space:  global
        .offset:         16
        .size:           8
        .value_kind:     global_buffer
      - .offset:         24
        .size:           4
        .value_kind:     by_value
      - .offset:         28
        .size:           4
        .value_kind:     by_value
      - .offset:         32
        .size:           4
        .value_kind:     by_value
      - .address_space:  global
        .offset:         40
        .size:           8
        .value_kind:     global_buffer
      - .offset:         48
        .size:           4
        .value_kind:     hidden_block_count_x
      - .offset:         52
        .size:           4
        .value_kind:     hidden_block_count_y
      - .offset:         56
        .size:           4
        .value_kind:     hidden_block_count_z
      - .offset:         60
        .size:           2
        .value_kind:     hidden_group_size_x
      - .offset:         62
        .size:           2
        .value_kind:     hidden_group_size_y
      - .offset:         64
        .size:           2
        .value_kind:     hidden_group_size_z
      - .offset:         66
        .size:           2
        .value_kind:     hidden_remainder_x
      - .offset:         68
        .size:           2
        .value_kind:     hidden_remainder_y
      - .offset:         70
        .size:           2
        .value_kind:     hidden_remainder_z
      - .offset:         88
        .size:           8
        .value_kind:     hidden_global_offset_x
      - .offset:         96
        .size:           8
        .value_kind:     hidden_global_offset_y
      - .offset:         104
        .size:           8
        .value_kind:     hidden_global_offset_z
      - .offset:         112
        .size:           2
        .value_kind:     hidden_grid_dims
    .group_segment_fixed_size: 0
    .kernarg_segment_align: 8
    .kernarg_segment_size: 304
    .language:       OpenCL C
    .language_version:
      - 2
      - 0
    .max_flat_workgroup_size: 1024
    .name:           _ZN12_GLOBAL__N_121softmax_warp_backwardIN3c104HalfES2_fLi4ELb1ELb0ELi32EEEvPT0_PKT_S7_iiiPKb
    .private_segment_fixed_size: 0
    .sgpr_count:     18
    .sgpr_spill_count: 0
    .symbol:         _ZN12_GLOBAL__N_121softmax_warp_backwardIN3c104HalfES2_fLi4ELb1ELb0ELi32EEEvPT0_PKT_S7_iiiPKb.kd
    .uniform_work_group_size: 1
    .uses_dynamic_stack: false
    .vgpr_count:     14
    .vgpr_spill_count: 0
    .wavefront_size: 32
    .workgroup_processor_mode: 1
  - .args:
      - .address_space:  global
        .offset:         0
        .size:           8
        .value_kind:     global_buffer
      - .address_space:  global
        .offset:         8
        .size:           8
        .value_kind:     global_buffer
      - .address_space:  global
        .offset:         16
        .size:           8
        .value_kind:     global_buffer
      - .offset:         24
        .size:           4
        .value_kind:     by_value
      - .offset:         28
        .size:           4
        .value_kind:     by_value
      - .offset:         32
        .size:           4
        .value_kind:     by_value
      - .address_space:  global
        .offset:         40
        .size:           8
        .value_kind:     global_buffer
      - .offset:         48
        .size:           4
        .value_kind:     hidden_block_count_x
      - .offset:         52
        .size:           4
        .value_kind:     hidden_block_count_y
      - .offset:         56
        .size:           4
        .value_kind:     hidden_block_count_z
      - .offset:         60
        .size:           2
        .value_kind:     hidden_group_size_x
      - .offset:         62
        .size:           2
        .value_kind:     hidden_group_size_y
      - .offset:         64
        .size:           2
        .value_kind:     hidden_group_size_z
      - .offset:         66
        .size:           2
        .value_kind:     hidden_remainder_x
      - .offset:         68
        .size:           2
        .value_kind:     hidden_remainder_y
      - .offset:         70
        .size:           2
        .value_kind:     hidden_remainder_z
      - .offset:         88
        .size:           8
        .value_kind:     hidden_global_offset_x
      - .offset:         96
        .size:           8
        .value_kind:     hidden_global_offset_y
      - .offset:         104
        .size:           8
        .value_kind:     hidden_global_offset_z
      - .offset:         112
        .size:           2
        .value_kind:     hidden_grid_dims
    .group_segment_fixed_size: 0
    .kernarg_segment_align: 8
    .kernarg_segment_size: 304
    .language:       OpenCL C
    .language_version:
      - 2
      - 0
    .max_flat_workgroup_size: 1024
    .name:           _ZN12_GLOBAL__N_121softmax_warp_backwardIN3c104HalfES2_fLi5ELb1ELb0ELi64EEEvPT0_PKT_S7_iiiPKb
    .private_segment_fixed_size: 0
    .sgpr_count:     18
    .sgpr_spill_count: 0
    .symbol:         _ZN12_GLOBAL__N_121softmax_warp_backwardIN3c104HalfES2_fLi5ELb1ELb0ELi64EEEvPT0_PKT_S7_iiiPKb.kd
    .uniform_work_group_size: 1
    .uses_dynamic_stack: false
    .vgpr_count:     14
    .vgpr_spill_count: 0
    .wavefront_size: 32
    .workgroup_processor_mode: 1
  - .args:
      - .address_space:  global
        .offset:         0
        .size:           8
        .value_kind:     global_buffer
      - .address_space:  global
        .offset:         8
        .size:           8
        .value_kind:     global_buffer
      - .address_space:  global
        .offset:         16
        .size:           8
        .value_kind:     global_buffer
      - .offset:         24
        .size:           4
        .value_kind:     by_value
      - .offset:         28
        .size:           4
        .value_kind:     by_value
      - .offset:         32
        .size:           4
        .value_kind:     by_value
      - .address_space:  global
        .offset:         40
        .size:           8
        .value_kind:     global_buffer
      - .offset:         48
        .size:           4
        .value_kind:     hidden_block_count_x
      - .offset:         52
        .size:           4
        .value_kind:     hidden_block_count_y
      - .offset:         56
        .size:           4
        .value_kind:     hidden_block_count_z
      - .offset:         60
        .size:           2
        .value_kind:     hidden_group_size_x
      - .offset:         62
        .size:           2
        .value_kind:     hidden_group_size_y
      - .offset:         64
        .size:           2
        .value_kind:     hidden_group_size_z
      - .offset:         66
        .size:           2
        .value_kind:     hidden_remainder_x
      - .offset:         68
        .size:           2
        .value_kind:     hidden_remainder_y
      - .offset:         70
        .size:           2
        .value_kind:     hidden_remainder_z
      - .offset:         88
        .size:           8
        .value_kind:     hidden_global_offset_x
      - .offset:         96
        .size:           8
        .value_kind:     hidden_global_offset_y
      - .offset:         104
        .size:           8
        .value_kind:     hidden_global_offset_z
      - .offset:         112
        .size:           2
        .value_kind:     hidden_grid_dims
    .group_segment_fixed_size: 0
    .kernarg_segment_align: 8
    .kernarg_segment_size: 304
    .language:       OpenCL C
    .language_version:
      - 2
      - 0
    .max_flat_workgroup_size: 1024
    .name:           _ZN12_GLOBAL__N_121softmax_warp_backwardIN3c104HalfES2_fLi5ELb1ELb0ELi32EEEvPT0_PKT_S7_iiiPKb
    .private_segment_fixed_size: 0
    .sgpr_count:     18
    .sgpr_spill_count: 0
    .symbol:         _ZN12_GLOBAL__N_121softmax_warp_backwardIN3c104HalfES2_fLi5ELb1ELb0ELi32EEEvPT0_PKT_S7_iiiPKb.kd
    .uniform_work_group_size: 1
    .uses_dynamic_stack: false
    .vgpr_count:     14
    .vgpr_spill_count: 0
    .wavefront_size: 32
    .workgroup_processor_mode: 1
  - .args:
      - .address_space:  global
        .offset:         0
        .size:           8
        .value_kind:     global_buffer
      - .address_space:  global
        .offset:         8
        .size:           8
        .value_kind:     global_buffer
      - .address_space:  global
        .offset:         16
        .size:           8
        .value_kind:     global_buffer
      - .offset:         24
        .size:           4
        .value_kind:     by_value
      - .offset:         28
        .size:           4
        .value_kind:     by_value
      - .offset:         32
        .size:           4
        .value_kind:     by_value
      - .address_space:  global
        .offset:         40
        .size:           8
        .value_kind:     global_buffer
      - .offset:         48
        .size:           4
        .value_kind:     hidden_block_count_x
      - .offset:         52
        .size:           4
        .value_kind:     hidden_block_count_y
      - .offset:         56
        .size:           4
        .value_kind:     hidden_block_count_z
      - .offset:         60
        .size:           2
        .value_kind:     hidden_group_size_x
      - .offset:         62
        .size:           2
        .value_kind:     hidden_group_size_y
      - .offset:         64
        .size:           2
        .value_kind:     hidden_group_size_z
      - .offset:         66
        .size:           2
        .value_kind:     hidden_remainder_x
      - .offset:         68
        .size:           2
        .value_kind:     hidden_remainder_y
      - .offset:         70
        .size:           2
        .value_kind:     hidden_remainder_z
      - .offset:         88
        .size:           8
        .value_kind:     hidden_global_offset_x
      - .offset:         96
        .size:           8
        .value_kind:     hidden_global_offset_y
      - .offset:         104
        .size:           8
        .value_kind:     hidden_global_offset_z
      - .offset:         112
        .size:           2
        .value_kind:     hidden_grid_dims
    .group_segment_fixed_size: 0
    .kernarg_segment_align: 8
    .kernarg_segment_size: 304
    .language:       OpenCL C
    .language_version:
      - 2
      - 0
    .max_flat_workgroup_size: 1024
    .name:           _ZN12_GLOBAL__N_121softmax_warp_backwardIN3c104HalfES2_fLi6ELb1ELb0ELi64EEEvPT0_PKT_S7_iiiPKb
    .private_segment_fixed_size: 0
    .sgpr_count:     18
    .sgpr_spill_count: 0
    .symbol:         _ZN12_GLOBAL__N_121softmax_warp_backwardIN3c104HalfES2_fLi6ELb1ELb0ELi64EEEvPT0_PKT_S7_iiiPKb.kd
    .uniform_work_group_size: 1
    .uses_dynamic_stack: false
    .vgpr_count:     14
    .vgpr_spill_count: 0
    .wavefront_size: 32
    .workgroup_processor_mode: 1
  - .args:
      - .address_space:  global
        .offset:         0
        .size:           8
        .value_kind:     global_buffer
      - .address_space:  global
        .offset:         8
        .size:           8
        .value_kind:     global_buffer
      - .address_space:  global
        .offset:         16
        .size:           8
        .value_kind:     global_buffer
      - .offset:         24
        .size:           4
        .value_kind:     by_value
      - .offset:         28
        .size:           4
        .value_kind:     by_value
      - .offset:         32
        .size:           4
        .value_kind:     by_value
      - .address_space:  global
        .offset:         40
        .size:           8
        .value_kind:     global_buffer
      - .offset:         48
        .size:           4
        .value_kind:     hidden_block_count_x
      - .offset:         52
        .size:           4
        .value_kind:     hidden_block_count_y
      - .offset:         56
        .size:           4
        .value_kind:     hidden_block_count_z
      - .offset:         60
        .size:           2
        .value_kind:     hidden_group_size_x
      - .offset:         62
        .size:           2
        .value_kind:     hidden_group_size_y
      - .offset:         64
        .size:           2
        .value_kind:     hidden_group_size_z
      - .offset:         66
        .size:           2
        .value_kind:     hidden_remainder_x
      - .offset:         68
        .size:           2
        .value_kind:     hidden_remainder_y
      - .offset:         70
        .size:           2
        .value_kind:     hidden_remainder_z
      - .offset:         88
        .size:           8
        .value_kind:     hidden_global_offset_x
      - .offset:         96
        .size:           8
        .value_kind:     hidden_global_offset_y
      - .offset:         104
        .size:           8
        .value_kind:     hidden_global_offset_z
      - .offset:         112
        .size:           2
        .value_kind:     hidden_grid_dims
    .group_segment_fixed_size: 0
    .kernarg_segment_align: 8
    .kernarg_segment_size: 304
    .language:       OpenCL C
    .language_version:
      - 2
      - 0
    .max_flat_workgroup_size: 1024
    .name:           _ZN12_GLOBAL__N_121softmax_warp_backwardIN3c104HalfES2_fLi6ELb1ELb0ELi32EEEvPT0_PKT_S7_iiiPKb
    .private_segment_fixed_size: 0
    .sgpr_count:     18
    .sgpr_spill_count: 0
    .symbol:         _ZN12_GLOBAL__N_121softmax_warp_backwardIN3c104HalfES2_fLi6ELb1ELb0ELi32EEEvPT0_PKT_S7_iiiPKb.kd
    .uniform_work_group_size: 1
    .uses_dynamic_stack: false
    .vgpr_count:     17
    .vgpr_spill_count: 0
    .wavefront_size: 32
    .workgroup_processor_mode: 1
  - .args:
      - .address_space:  global
        .offset:         0
        .size:           8
        .value_kind:     global_buffer
      - .address_space:  global
        .offset:         8
        .size:           8
        .value_kind:     global_buffer
      - .address_space:  global
        .offset:         16
        .size:           8
        .value_kind:     global_buffer
      - .offset:         24
        .size:           4
        .value_kind:     by_value
      - .offset:         28
        .size:           4
        .value_kind:     by_value
      - .offset:         32
        .size:           4
        .value_kind:     by_value
      - .address_space:  global
        .offset:         40
        .size:           8
        .value_kind:     global_buffer
      - .offset:         48
        .size:           4
        .value_kind:     hidden_block_count_x
      - .offset:         52
        .size:           4
        .value_kind:     hidden_block_count_y
      - .offset:         56
        .size:           4
        .value_kind:     hidden_block_count_z
      - .offset:         60
        .size:           2
        .value_kind:     hidden_group_size_x
      - .offset:         62
        .size:           2
        .value_kind:     hidden_group_size_y
      - .offset:         64
        .size:           2
        .value_kind:     hidden_group_size_z
      - .offset:         66
        .size:           2
        .value_kind:     hidden_remainder_x
      - .offset:         68
        .size:           2
        .value_kind:     hidden_remainder_y
      - .offset:         70
        .size:           2
        .value_kind:     hidden_remainder_z
      - .offset:         88
        .size:           8
        .value_kind:     hidden_global_offset_x
      - .offset:         96
        .size:           8
        .value_kind:     hidden_global_offset_y
      - .offset:         104
        .size:           8
        .value_kind:     hidden_global_offset_z
      - .offset:         112
        .size:           2
        .value_kind:     hidden_grid_dims
    .group_segment_fixed_size: 0
    .kernarg_segment_align: 8
    .kernarg_segment_size: 304
    .language:       OpenCL C
    .language_version:
      - 2
      - 0
    .max_flat_workgroup_size: 1024
    .name:           _ZN12_GLOBAL__N_121softmax_warp_backwardIN3c104HalfES2_fLi7ELb1ELb0ELi64EEEvPT0_PKT_S7_iiiPKb
    .private_segment_fixed_size: 0
    .sgpr_count:     18
    .sgpr_spill_count: 0
    .symbol:         _ZN12_GLOBAL__N_121softmax_warp_backwardIN3c104HalfES2_fLi7ELb1ELb0ELi64EEEvPT0_PKT_S7_iiiPKb.kd
    .uniform_work_group_size: 1
    .uses_dynamic_stack: false
    .vgpr_count:     17
    .vgpr_spill_count: 0
    .wavefront_size: 32
    .workgroup_processor_mode: 1
  - .args:
      - .address_space:  global
        .offset:         0
        .size:           8
        .value_kind:     global_buffer
      - .address_space:  global
        .offset:         8
        .size:           8
        .value_kind:     global_buffer
      - .address_space:  global
        .offset:         16
        .size:           8
        .value_kind:     global_buffer
      - .offset:         24
        .size:           4
        .value_kind:     by_value
      - .offset:         28
        .size:           4
        .value_kind:     by_value
      - .offset:         32
        .size:           4
        .value_kind:     by_value
      - .address_space:  global
        .offset:         40
        .size:           8
        .value_kind:     global_buffer
      - .offset:         48
        .size:           4
        .value_kind:     hidden_block_count_x
      - .offset:         52
        .size:           4
        .value_kind:     hidden_block_count_y
      - .offset:         56
        .size:           4
        .value_kind:     hidden_block_count_z
      - .offset:         60
        .size:           2
        .value_kind:     hidden_group_size_x
      - .offset:         62
        .size:           2
        .value_kind:     hidden_group_size_y
      - .offset:         64
        .size:           2
        .value_kind:     hidden_group_size_z
      - .offset:         66
        .size:           2
        .value_kind:     hidden_remainder_x
      - .offset:         68
        .size:           2
        .value_kind:     hidden_remainder_y
      - .offset:         70
        .size:           2
        .value_kind:     hidden_remainder_z
      - .offset:         88
        .size:           8
        .value_kind:     hidden_global_offset_x
      - .offset:         96
        .size:           8
        .value_kind:     hidden_global_offset_y
      - .offset:         104
        .size:           8
        .value_kind:     hidden_global_offset_z
      - .offset:         112
        .size:           2
        .value_kind:     hidden_grid_dims
    .group_segment_fixed_size: 0
    .kernarg_segment_align: 8
    .kernarg_segment_size: 304
    .language:       OpenCL C
    .language_version:
      - 2
      - 0
    .max_flat_workgroup_size: 1024
    .name:           _ZN12_GLOBAL__N_121softmax_warp_backwardIN3c104HalfES2_fLi7ELb1ELb0ELi32EEEvPT0_PKT_S7_iiiPKb
    .private_segment_fixed_size: 0
    .sgpr_count:     18
    .sgpr_spill_count: 0
    .symbol:         _ZN12_GLOBAL__N_121softmax_warp_backwardIN3c104HalfES2_fLi7ELb1ELb0ELi32EEEvPT0_PKT_S7_iiiPKb.kd
    .uniform_work_group_size: 1
    .uses_dynamic_stack: false
    .vgpr_count:     25
    .vgpr_spill_count: 0
    .wavefront_size: 32
    .workgroup_processor_mode: 1
  - .args:
      - .address_space:  global
        .offset:         0
        .size:           8
        .value_kind:     global_buffer
      - .address_space:  global
        .offset:         8
        .size:           8
        .value_kind:     global_buffer
      - .address_space:  global
        .offset:         16
        .size:           8
        .value_kind:     global_buffer
      - .offset:         24
        .size:           4
        .value_kind:     by_value
      - .offset:         28
        .size:           4
        .value_kind:     by_value
      - .offset:         32
        .size:           4
        .value_kind:     by_value
      - .address_space:  global
        .offset:         40
        .size:           8
        .value_kind:     global_buffer
      - .offset:         48
        .size:           4
        .value_kind:     hidden_block_count_x
      - .offset:         52
        .size:           4
        .value_kind:     hidden_block_count_y
      - .offset:         56
        .size:           4
        .value_kind:     hidden_block_count_z
      - .offset:         60
        .size:           2
        .value_kind:     hidden_group_size_x
      - .offset:         62
        .size:           2
        .value_kind:     hidden_group_size_y
      - .offset:         64
        .size:           2
        .value_kind:     hidden_group_size_z
      - .offset:         66
        .size:           2
        .value_kind:     hidden_remainder_x
      - .offset:         68
        .size:           2
        .value_kind:     hidden_remainder_y
      - .offset:         70
        .size:           2
        .value_kind:     hidden_remainder_z
      - .offset:         88
        .size:           8
        .value_kind:     hidden_global_offset_x
      - .offset:         96
        .size:           8
        .value_kind:     hidden_global_offset_y
      - .offset:         104
        .size:           8
        .value_kind:     hidden_global_offset_z
      - .offset:         112
        .size:           2
        .value_kind:     hidden_grid_dims
    .group_segment_fixed_size: 0
    .kernarg_segment_align: 8
    .kernarg_segment_size: 304
    .language:       OpenCL C
    .language_version:
      - 2
      - 0
    .max_flat_workgroup_size: 1024
    .name:           _ZN12_GLOBAL__N_121softmax_warp_backwardIN3c104HalfES2_fLi8ELb1ELb0ELi64EEEvPT0_PKT_S7_iiiPKb
    .private_segment_fixed_size: 0
    .sgpr_count:     18
    .sgpr_spill_count: 0
    .symbol:         _ZN12_GLOBAL__N_121softmax_warp_backwardIN3c104HalfES2_fLi8ELb1ELb0ELi64EEEvPT0_PKT_S7_iiiPKb.kd
    .uniform_work_group_size: 1
    .uses_dynamic_stack: false
    .vgpr_count:     15
    .vgpr_spill_count: 0
    .wavefront_size: 32
    .workgroup_processor_mode: 1
  - .args:
      - .address_space:  global
        .offset:         0
        .size:           8
        .value_kind:     global_buffer
      - .address_space:  global
        .offset:         8
        .size:           8
        .value_kind:     global_buffer
      - .address_space:  global
        .offset:         16
        .size:           8
        .value_kind:     global_buffer
      - .offset:         24
        .size:           4
        .value_kind:     by_value
      - .offset:         28
        .size:           4
        .value_kind:     by_value
      - .offset:         32
        .size:           4
        .value_kind:     by_value
      - .address_space:  global
        .offset:         40
        .size:           8
        .value_kind:     global_buffer
      - .offset:         48
        .size:           4
        .value_kind:     hidden_block_count_x
      - .offset:         52
        .size:           4
        .value_kind:     hidden_block_count_y
      - .offset:         56
        .size:           4
        .value_kind:     hidden_block_count_z
      - .offset:         60
        .size:           2
        .value_kind:     hidden_group_size_x
      - .offset:         62
        .size:           2
        .value_kind:     hidden_group_size_y
      - .offset:         64
        .size:           2
        .value_kind:     hidden_group_size_z
      - .offset:         66
        .size:           2
        .value_kind:     hidden_remainder_x
      - .offset:         68
        .size:           2
        .value_kind:     hidden_remainder_y
      - .offset:         70
        .size:           2
        .value_kind:     hidden_remainder_z
      - .offset:         88
        .size:           8
        .value_kind:     hidden_global_offset_x
      - .offset:         96
        .size:           8
        .value_kind:     hidden_global_offset_y
      - .offset:         104
        .size:           8
        .value_kind:     hidden_global_offset_z
      - .offset:         112
        .size:           2
        .value_kind:     hidden_grid_dims
    .group_segment_fixed_size: 0
    .kernarg_segment_align: 8
    .kernarg_segment_size: 304
    .language:       OpenCL C
    .language_version:
      - 2
      - 0
    .max_flat_workgroup_size: 1024
    .name:           _ZN12_GLOBAL__N_121softmax_warp_backwardIN3c104HalfES2_fLi8ELb1ELb0ELi32EEEvPT0_PKT_S7_iiiPKb
    .private_segment_fixed_size: 0
    .sgpr_count:     22
    .sgpr_spill_count: 0
    .symbol:         _ZN12_GLOBAL__N_121softmax_warp_backwardIN3c104HalfES2_fLi8ELb1ELb0ELi32EEEvPT0_PKT_S7_iiiPKb.kd
    .uniform_work_group_size: 1
    .uses_dynamic_stack: false
    .vgpr_count:     23
    .vgpr_spill_count: 0
    .wavefront_size: 32
    .workgroup_processor_mode: 1
  - .args:
      - .address_space:  global
        .offset:         0
        .size:           8
        .value_kind:     global_buffer
      - .address_space:  global
        .offset:         8
        .size:           8
        .value_kind:     global_buffer
      - .address_space:  global
        .offset:         16
        .size:           8
        .value_kind:     global_buffer
      - .offset:         24
        .size:           4
        .value_kind:     by_value
      - .offset:         28
        .size:           4
        .value_kind:     by_value
      - .offset:         32
        .size:           4
        .value_kind:     by_value
      - .address_space:  global
        .offset:         40
        .size:           8
        .value_kind:     global_buffer
      - .offset:         48
        .size:           4
        .value_kind:     hidden_block_count_x
      - .offset:         52
        .size:           4
        .value_kind:     hidden_block_count_y
      - .offset:         56
        .size:           4
        .value_kind:     hidden_block_count_z
      - .offset:         60
        .size:           2
        .value_kind:     hidden_group_size_x
      - .offset:         62
        .size:           2
        .value_kind:     hidden_group_size_y
      - .offset:         64
        .size:           2
        .value_kind:     hidden_group_size_z
      - .offset:         66
        .size:           2
        .value_kind:     hidden_remainder_x
      - .offset:         68
        .size:           2
        .value_kind:     hidden_remainder_y
      - .offset:         70
        .size:           2
        .value_kind:     hidden_remainder_z
      - .offset:         88
        .size:           8
        .value_kind:     hidden_global_offset_x
      - .offset:         96
        .size:           8
        .value_kind:     hidden_global_offset_y
      - .offset:         104
        .size:           8
        .value_kind:     hidden_global_offset_z
      - .offset:         112
        .size:           2
        .value_kind:     hidden_grid_dims
    .group_segment_fixed_size: 0
    .kernarg_segment_align: 8
    .kernarg_segment_size: 304
    .language:       OpenCL C
    .language_version:
      - 2
      - 0
    .max_flat_workgroup_size: 1024
    .name:           _ZN12_GLOBAL__N_121softmax_warp_backwardIN3c104HalfES2_fLi9ELb1ELb0ELi64EEEvPT0_PKT_S7_iiiPKb
    .private_segment_fixed_size: 0
    .sgpr_count:     22
    .sgpr_spill_count: 0
    .symbol:         _ZN12_GLOBAL__N_121softmax_warp_backwardIN3c104HalfES2_fLi9ELb1ELb0ELi64EEEvPT0_PKT_S7_iiiPKb.kd
    .uniform_work_group_size: 1
    .uses_dynamic_stack: false
    .vgpr_count:     23
    .vgpr_spill_count: 0
    .wavefront_size: 32
    .workgroup_processor_mode: 1
  - .args:
      - .address_space:  global
        .offset:         0
        .size:           8
        .value_kind:     global_buffer
      - .address_space:  global
        .offset:         8
        .size:           8
        .value_kind:     global_buffer
      - .address_space:  global
        .offset:         16
        .size:           8
        .value_kind:     global_buffer
      - .offset:         24
        .size:           4
        .value_kind:     by_value
      - .offset:         28
        .size:           4
        .value_kind:     by_value
      - .offset:         32
        .size:           4
        .value_kind:     by_value
      - .address_space:  global
        .offset:         40
        .size:           8
        .value_kind:     global_buffer
      - .offset:         48
        .size:           4
        .value_kind:     hidden_block_count_x
      - .offset:         52
        .size:           4
        .value_kind:     hidden_block_count_y
      - .offset:         56
        .size:           4
        .value_kind:     hidden_block_count_z
      - .offset:         60
        .size:           2
        .value_kind:     hidden_group_size_x
      - .offset:         62
        .size:           2
        .value_kind:     hidden_group_size_y
      - .offset:         64
        .size:           2
        .value_kind:     hidden_group_size_z
      - .offset:         66
        .size:           2
        .value_kind:     hidden_remainder_x
      - .offset:         68
        .size:           2
        .value_kind:     hidden_remainder_y
      - .offset:         70
        .size:           2
        .value_kind:     hidden_remainder_z
      - .offset:         88
        .size:           8
        .value_kind:     hidden_global_offset_x
      - .offset:         96
        .size:           8
        .value_kind:     hidden_global_offset_y
      - .offset:         104
        .size:           8
        .value_kind:     hidden_global_offset_z
      - .offset:         112
        .size:           2
        .value_kind:     hidden_grid_dims
    .group_segment_fixed_size: 0
    .kernarg_segment_align: 8
    .kernarg_segment_size: 304
    .language:       OpenCL C
    .language_version:
      - 2
      - 0
    .max_flat_workgroup_size: 1024
    .name:           _ZN12_GLOBAL__N_121softmax_warp_backwardIN3c104HalfES2_fLi9ELb1ELb0ELi32EEEvPT0_PKT_S7_iiiPKb
    .private_segment_fixed_size: 0
    .sgpr_count:     26
    .sgpr_spill_count: 0
    .symbol:         _ZN12_GLOBAL__N_121softmax_warp_backwardIN3c104HalfES2_fLi9ELb1ELb0ELi32EEEvPT0_PKT_S7_iiiPKb.kd
    .uniform_work_group_size: 1
    .uses_dynamic_stack: false
    .vgpr_count:     39
    .vgpr_spill_count: 0
    .wavefront_size: 32
    .workgroup_processor_mode: 1
  - .args:
      - .address_space:  global
        .offset:         0
        .size:           8
        .value_kind:     global_buffer
      - .address_space:  global
        .offset:         8
        .size:           8
        .value_kind:     global_buffer
      - .address_space:  global
        .offset:         16
        .size:           8
        .value_kind:     global_buffer
      - .offset:         24
        .size:           4
        .value_kind:     by_value
      - .offset:         28
        .size:           4
        .value_kind:     by_value
      - .offset:         32
        .size:           4
        .value_kind:     by_value
      - .address_space:  global
        .offset:         40
        .size:           8
        .value_kind:     global_buffer
      - .offset:         48
        .size:           4
        .value_kind:     hidden_block_count_x
      - .offset:         52
        .size:           4
        .value_kind:     hidden_block_count_y
      - .offset:         56
        .size:           4
        .value_kind:     hidden_block_count_z
      - .offset:         60
        .size:           2
        .value_kind:     hidden_group_size_x
      - .offset:         62
        .size:           2
        .value_kind:     hidden_group_size_y
      - .offset:         64
        .size:           2
        .value_kind:     hidden_group_size_z
      - .offset:         66
        .size:           2
        .value_kind:     hidden_remainder_x
      - .offset:         68
        .size:           2
        .value_kind:     hidden_remainder_y
      - .offset:         70
        .size:           2
        .value_kind:     hidden_remainder_z
      - .offset:         88
        .size:           8
        .value_kind:     hidden_global_offset_x
      - .offset:         96
        .size:           8
        .value_kind:     hidden_global_offset_y
      - .offset:         104
        .size:           8
        .value_kind:     hidden_global_offset_z
      - .offset:         112
        .size:           2
        .value_kind:     hidden_grid_dims
    .group_segment_fixed_size: 0
    .kernarg_segment_align: 8
    .kernarg_segment_size: 304
    .language:       OpenCL C
    .language_version:
      - 2
      - 0
    .max_flat_workgroup_size: 1024
    .name:           _ZN12_GLOBAL__N_121softmax_warp_backwardIN3c104HalfES2_fLi10ELb1ELb0ELi64EEEvPT0_PKT_S7_iiiPKb
    .private_segment_fixed_size: 0
    .sgpr_count:     26
    .sgpr_spill_count: 0
    .symbol:         _ZN12_GLOBAL__N_121softmax_warp_backwardIN3c104HalfES2_fLi10ELb1ELb0ELi64EEEvPT0_PKT_S7_iiiPKb.kd
    .uniform_work_group_size: 1
    .uses_dynamic_stack: false
    .vgpr_count:     39
    .vgpr_spill_count: 0
    .wavefront_size: 32
    .workgroup_processor_mode: 1
  - .args:
      - .address_space:  global
        .offset:         0
        .size:           8
        .value_kind:     global_buffer
      - .address_space:  global
        .offset:         8
        .size:           8
        .value_kind:     global_buffer
      - .address_space:  global
        .offset:         16
        .size:           8
        .value_kind:     global_buffer
      - .offset:         24
        .size:           4
        .value_kind:     by_value
      - .offset:         28
        .size:           4
        .value_kind:     by_value
      - .offset:         32
        .size:           4
        .value_kind:     by_value
      - .address_space:  global
        .offset:         40
        .size:           8
        .value_kind:     global_buffer
      - .offset:         48
        .size:           4
        .value_kind:     hidden_block_count_x
      - .offset:         52
        .size:           4
        .value_kind:     hidden_block_count_y
      - .offset:         56
        .size:           4
        .value_kind:     hidden_block_count_z
      - .offset:         60
        .size:           2
        .value_kind:     hidden_group_size_x
      - .offset:         62
        .size:           2
        .value_kind:     hidden_group_size_y
      - .offset:         64
        .size:           2
        .value_kind:     hidden_group_size_z
      - .offset:         66
        .size:           2
        .value_kind:     hidden_remainder_x
      - .offset:         68
        .size:           2
        .value_kind:     hidden_remainder_y
      - .offset:         70
        .size:           2
        .value_kind:     hidden_remainder_z
      - .offset:         88
        .size:           8
        .value_kind:     hidden_global_offset_x
      - .offset:         96
        .size:           8
        .value_kind:     hidden_global_offset_y
      - .offset:         104
        .size:           8
        .value_kind:     hidden_global_offset_z
      - .offset:         112
        .size:           2
        .value_kind:     hidden_grid_dims
    .group_segment_fixed_size: 0
    .kernarg_segment_align: 8
    .kernarg_segment_size: 304
    .language:       OpenCL C
    .language_version:
      - 2
      - 0
    .max_flat_workgroup_size: 1024
    .name:           _ZN12_GLOBAL__N_121softmax_warp_backwardIN3c104HalfES2_fLi10ELb1ELb0ELi32EEEvPT0_PKT_S7_iiiPKb
    .private_segment_fixed_size: 0
    .sgpr_count:     46
    .sgpr_spill_count: 0
    .symbol:         _ZN12_GLOBAL__N_121softmax_warp_backwardIN3c104HalfES2_fLi10ELb1ELb0ELi32EEEvPT0_PKT_S7_iiiPKb.kd
    .uniform_work_group_size: 1
    .uses_dynamic_stack: false
    .vgpr_count:     71
    .vgpr_spill_count: 0
    .wavefront_size: 32
    .workgroup_processor_mode: 1
  - .args:
      - .address_space:  global
        .offset:         0
        .size:           8
        .value_kind:     global_buffer
      - .address_space:  global
        .offset:         8
        .size:           8
        .value_kind:     global_buffer
      - .address_space:  global
        .offset:         16
        .size:           8
        .value_kind:     global_buffer
      - .offset:         24
        .size:           8
        .value_kind:     by_value
      - .offset:         32
        .size:           4
        .value_kind:     hidden_block_count_x
      - .offset:         36
        .size:           4
        .value_kind:     hidden_block_count_y
      - .offset:         40
        .size:           4
        .value_kind:     hidden_block_count_z
      - .offset:         44
        .size:           2
        .value_kind:     hidden_group_size_x
      - .offset:         46
        .size:           2
        .value_kind:     hidden_group_size_y
      - .offset:         48
        .size:           2
        .value_kind:     hidden_group_size_z
      - .offset:         50
        .size:           2
        .value_kind:     hidden_remainder_x
      - .offset:         52
        .size:           2
        .value_kind:     hidden_remainder_y
      - .offset:         54
        .size:           2
        .value_kind:     hidden_remainder_z
      - .offset:         72
        .size:           8
        .value_kind:     hidden_global_offset_x
      - .offset:         80
        .size:           8
        .value_kind:     hidden_global_offset_y
      - .offset:         88
        .size:           8
        .value_kind:     hidden_global_offset_z
      - .offset:         96
        .size:           2
        .value_kind:     hidden_grid_dims
      - .offset:         152
        .size:           4
        .value_kind:     hidden_dynamic_lds_size
    .group_segment_fixed_size: 0
    .kernarg_segment_align: 8
    .kernarg_segment_size: 288
    .language:       OpenCL C
    .language_version:
      - 2
      - 0
    .max_flat_workgroup_size: 1024
    .name:           _ZN2at6native12_GLOBAL__N_124cunn_SoftMaxBackwardSmemILi8EN3c104HalfEfS4_NS1_26LogSoftMaxBackwardEpilogueEEEvPT0_PKT2_SA_l
    .private_segment_fixed_size: 0
    .sgpr_count:     23
    .sgpr_spill_count: 0
    .symbol:         _ZN2at6native12_GLOBAL__N_124cunn_SoftMaxBackwardSmemILi8EN3c104HalfEfS4_NS1_26LogSoftMaxBackwardEpilogueEEEvPT0_PKT2_SA_l.kd
    .uniform_work_group_size: 1
    .uses_dynamic_stack: false
    .vgpr_count:     46
    .vgpr_spill_count: 0
    .wavefront_size: 32
    .workgroup_processor_mode: 1
  - .args:
      - .address_space:  global
        .offset:         0
        .size:           8
        .value_kind:     global_buffer
      - .address_space:  global
        .offset:         8
        .size:           8
        .value_kind:     global_buffer
      - .address_space:  global
        .offset:         16
        .size:           8
        .value_kind:     global_buffer
      - .offset:         24
        .size:           8
        .value_kind:     by_value
      - .offset:         32
        .size:           4
        .value_kind:     hidden_block_count_x
      - .offset:         36
        .size:           4
        .value_kind:     hidden_block_count_y
      - .offset:         40
        .size:           4
        .value_kind:     hidden_block_count_z
      - .offset:         44
        .size:           2
        .value_kind:     hidden_group_size_x
      - .offset:         46
        .size:           2
        .value_kind:     hidden_group_size_y
      - .offset:         48
        .size:           2
        .value_kind:     hidden_group_size_z
      - .offset:         50
        .size:           2
        .value_kind:     hidden_remainder_x
      - .offset:         52
        .size:           2
        .value_kind:     hidden_remainder_y
      - .offset:         54
        .size:           2
        .value_kind:     hidden_remainder_z
      - .offset:         72
        .size:           8
        .value_kind:     hidden_global_offset_x
      - .offset:         80
        .size:           8
        .value_kind:     hidden_global_offset_y
      - .offset:         88
        .size:           8
        .value_kind:     hidden_global_offset_z
      - .offset:         96
        .size:           2
        .value_kind:     hidden_grid_dims
      - .offset:         152
        .size:           4
        .value_kind:     hidden_dynamic_lds_size
    .group_segment_fixed_size: 0
    .kernarg_segment_align: 8
    .kernarg_segment_size: 288
    .language:       OpenCL C
    .language_version:
      - 2
      - 0
    .max_flat_workgroup_size: 1024
    .name:           _ZN2at6native12_GLOBAL__N_120cunn_SoftMaxBackwardILi8EN3c104HalfEfS4_NS1_26LogSoftMaxBackwardEpilogueEEEvPT0_PKT2_SA_l
    .private_segment_fixed_size: 0
    .sgpr_count:     43
    .sgpr_spill_count: 0
    .symbol:         _ZN2at6native12_GLOBAL__N_120cunn_SoftMaxBackwardILi8EN3c104HalfEfS4_NS1_26LogSoftMaxBackwardEpilogueEEEvPT0_PKT2_SA_l.kd
    .uniform_work_group_size: 1
    .uses_dynamic_stack: false
    .vgpr_count:     67
    .vgpr_spill_count: 0
    .wavefront_size: 32
    .workgroup_processor_mode: 1
  - .args:
      - .address_space:  global
        .offset:         0
        .size:           8
        .value_kind:     global_buffer
      - .address_space:  global
        .offset:         8
        .size:           8
        .value_kind:     global_buffer
      - .address_space:  global
        .offset:         16
        .size:           8
        .value_kind:     global_buffer
      - .offset:         24
        .size:           4
        .value_kind:     by_value
      - .offset:         28
        .size:           4
        .value_kind:     by_value
      - .offset:         32
        .size:           4
        .value_kind:     by_value
      - .address_space:  global
        .offset:         40
        .size:           8
        .value_kind:     global_buffer
      - .offset:         48
        .size:           4
        .value_kind:     hidden_block_count_x
      - .offset:         52
        .size:           4
        .value_kind:     hidden_block_count_y
      - .offset:         56
        .size:           4
        .value_kind:     hidden_block_count_z
      - .offset:         60
        .size:           2
        .value_kind:     hidden_group_size_x
      - .offset:         62
        .size:           2
        .value_kind:     hidden_group_size_y
      - .offset:         64
        .size:           2
        .value_kind:     hidden_group_size_z
      - .offset:         66
        .size:           2
        .value_kind:     hidden_remainder_x
      - .offset:         68
        .size:           2
        .value_kind:     hidden_remainder_y
      - .offset:         70
        .size:           2
        .value_kind:     hidden_remainder_z
      - .offset:         88
        .size:           8
        .value_kind:     hidden_global_offset_x
      - .offset:         96
        .size:           8
        .value_kind:     hidden_global_offset_y
      - .offset:         104
        .size:           8
        .value_kind:     hidden_global_offset_z
      - .offset:         112
        .size:           2
        .value_kind:     hidden_grid_dims
    .group_segment_fixed_size: 0
    .kernarg_segment_align: 8
    .kernarg_segment_size: 304
    .language:       OpenCL C
    .language_version:
      - 2
      - 0
    .max_flat_workgroup_size: 1024
    .name:           _ZN12_GLOBAL__N_121softmax_warp_backwardIfN3c104HalfEfLi0ELb1ELb0ELi64EEEvPT0_PKT_S7_iiiPKb
    .private_segment_fixed_size: 0
    .sgpr_count:     18
    .sgpr_spill_count: 0
    .symbol:         _ZN12_GLOBAL__N_121softmax_warp_backwardIfN3c104HalfEfLi0ELb1ELb0ELi64EEEvPT0_PKT_S7_iiiPKb.kd
    .uniform_work_group_size: 1
    .uses_dynamic_stack: false
    .vgpr_count:     11
    .vgpr_spill_count: 0
    .wavefront_size: 32
    .workgroup_processor_mode: 1
  - .args:
      - .address_space:  global
        .offset:         0
        .size:           8
        .value_kind:     global_buffer
      - .address_space:  global
        .offset:         8
        .size:           8
        .value_kind:     global_buffer
      - .address_space:  global
        .offset:         16
        .size:           8
        .value_kind:     global_buffer
      - .offset:         24
        .size:           4
        .value_kind:     by_value
      - .offset:         28
        .size:           4
        .value_kind:     by_value
      - .offset:         32
        .size:           4
        .value_kind:     by_value
      - .address_space:  global
        .offset:         40
        .size:           8
        .value_kind:     global_buffer
      - .offset:         48
        .size:           4
        .value_kind:     hidden_block_count_x
      - .offset:         52
        .size:           4
        .value_kind:     hidden_block_count_y
      - .offset:         56
        .size:           4
        .value_kind:     hidden_block_count_z
      - .offset:         60
        .size:           2
        .value_kind:     hidden_group_size_x
      - .offset:         62
        .size:           2
        .value_kind:     hidden_group_size_y
      - .offset:         64
        .size:           2
        .value_kind:     hidden_group_size_z
      - .offset:         66
        .size:           2
        .value_kind:     hidden_remainder_x
      - .offset:         68
        .size:           2
        .value_kind:     hidden_remainder_y
      - .offset:         70
        .size:           2
        .value_kind:     hidden_remainder_z
      - .offset:         88
        .size:           8
        .value_kind:     hidden_global_offset_x
      - .offset:         96
        .size:           8
        .value_kind:     hidden_global_offset_y
      - .offset:         104
        .size:           8
        .value_kind:     hidden_global_offset_z
      - .offset:         112
        .size:           2
        .value_kind:     hidden_grid_dims
    .group_segment_fixed_size: 0
    .kernarg_segment_align: 8
    .kernarg_segment_size: 304
    .language:       OpenCL C
    .language_version:
      - 2
      - 0
    .max_flat_workgroup_size: 1024
    .name:           _ZN12_GLOBAL__N_121softmax_warp_backwardIfN3c104HalfEfLi0ELb1ELb0ELi32EEEvPT0_PKT_S7_iiiPKb
    .private_segment_fixed_size: 0
    .sgpr_count:     18
    .sgpr_spill_count: 0
    .symbol:         _ZN12_GLOBAL__N_121softmax_warp_backwardIfN3c104HalfEfLi0ELb1ELb0ELi32EEEvPT0_PKT_S7_iiiPKb.kd
    .uniform_work_group_size: 1
    .uses_dynamic_stack: false
    .vgpr_count:     11
    .vgpr_spill_count: 0
    .wavefront_size: 32
    .workgroup_processor_mode: 1
  - .args:
      - .address_space:  global
        .offset:         0
        .size:           8
        .value_kind:     global_buffer
      - .address_space:  global
        .offset:         8
        .size:           8
        .value_kind:     global_buffer
      - .address_space:  global
        .offset:         16
        .size:           8
        .value_kind:     global_buffer
      - .offset:         24
        .size:           4
        .value_kind:     by_value
      - .offset:         28
        .size:           4
        .value_kind:     by_value
      - .offset:         32
        .size:           4
        .value_kind:     by_value
      - .address_space:  global
        .offset:         40
        .size:           8
        .value_kind:     global_buffer
      - .offset:         48
        .size:           4
        .value_kind:     hidden_block_count_x
      - .offset:         52
        .size:           4
        .value_kind:     hidden_block_count_y
      - .offset:         56
        .size:           4
        .value_kind:     hidden_block_count_z
      - .offset:         60
        .size:           2
        .value_kind:     hidden_group_size_x
      - .offset:         62
        .size:           2
        .value_kind:     hidden_group_size_y
      - .offset:         64
        .size:           2
        .value_kind:     hidden_group_size_z
      - .offset:         66
        .size:           2
        .value_kind:     hidden_remainder_x
      - .offset:         68
        .size:           2
        .value_kind:     hidden_remainder_y
      - .offset:         70
        .size:           2
        .value_kind:     hidden_remainder_z
      - .offset:         88
        .size:           8
        .value_kind:     hidden_global_offset_x
      - .offset:         96
        .size:           8
        .value_kind:     hidden_global_offset_y
      - .offset:         104
        .size:           8
        .value_kind:     hidden_global_offset_z
      - .offset:         112
        .size:           2
        .value_kind:     hidden_grid_dims
    .group_segment_fixed_size: 0
    .kernarg_segment_align: 8
    .kernarg_segment_size: 304
    .language:       OpenCL C
    .language_version:
      - 2
      - 0
    .max_flat_workgroup_size: 1024
    .name:           _ZN12_GLOBAL__N_121softmax_warp_backwardIfN3c104HalfEfLi1ELb1ELb0ELi64EEEvPT0_PKT_S7_iiiPKb
    .private_segment_fixed_size: 0
    .sgpr_count:     18
    .sgpr_spill_count: 0
    .symbol:         _ZN12_GLOBAL__N_121softmax_warp_backwardIfN3c104HalfEfLi1ELb1ELb0ELi64EEEvPT0_PKT_S7_iiiPKb.kd
    .uniform_work_group_size: 1
    .uses_dynamic_stack: false
    .vgpr_count:     14
    .vgpr_spill_count: 0
    .wavefront_size: 32
    .workgroup_processor_mode: 1
  - .args:
      - .address_space:  global
        .offset:         0
        .size:           8
        .value_kind:     global_buffer
      - .address_space:  global
        .offset:         8
        .size:           8
        .value_kind:     global_buffer
      - .address_space:  global
        .offset:         16
        .size:           8
        .value_kind:     global_buffer
      - .offset:         24
        .size:           4
        .value_kind:     by_value
      - .offset:         28
        .size:           4
        .value_kind:     by_value
      - .offset:         32
        .size:           4
        .value_kind:     by_value
      - .address_space:  global
        .offset:         40
        .size:           8
        .value_kind:     global_buffer
      - .offset:         48
        .size:           4
        .value_kind:     hidden_block_count_x
      - .offset:         52
        .size:           4
        .value_kind:     hidden_block_count_y
      - .offset:         56
        .size:           4
        .value_kind:     hidden_block_count_z
      - .offset:         60
        .size:           2
        .value_kind:     hidden_group_size_x
      - .offset:         62
        .size:           2
        .value_kind:     hidden_group_size_y
      - .offset:         64
        .size:           2
        .value_kind:     hidden_group_size_z
      - .offset:         66
        .size:           2
        .value_kind:     hidden_remainder_x
      - .offset:         68
        .size:           2
        .value_kind:     hidden_remainder_y
      - .offset:         70
        .size:           2
        .value_kind:     hidden_remainder_z
      - .offset:         88
        .size:           8
        .value_kind:     hidden_global_offset_x
      - .offset:         96
        .size:           8
        .value_kind:     hidden_global_offset_y
      - .offset:         104
        .size:           8
        .value_kind:     hidden_global_offset_z
      - .offset:         112
        .size:           2
        .value_kind:     hidden_grid_dims
    .group_segment_fixed_size: 0
    .kernarg_segment_align: 8
    .kernarg_segment_size: 304
    .language:       OpenCL C
    .language_version:
      - 2
      - 0
    .max_flat_workgroup_size: 1024
    .name:           _ZN12_GLOBAL__N_121softmax_warp_backwardIfN3c104HalfEfLi1ELb1ELb0ELi32EEEvPT0_PKT_S7_iiiPKb
    .private_segment_fixed_size: 0
    .sgpr_count:     18
    .sgpr_spill_count: 0
    .symbol:         _ZN12_GLOBAL__N_121softmax_warp_backwardIfN3c104HalfEfLi1ELb1ELb0ELi32EEEvPT0_PKT_S7_iiiPKb.kd
    .uniform_work_group_size: 1
    .uses_dynamic_stack: false
    .vgpr_count:     14
    .vgpr_spill_count: 0
    .wavefront_size: 32
    .workgroup_processor_mode: 1
  - .args:
      - .address_space:  global
        .offset:         0
        .size:           8
        .value_kind:     global_buffer
      - .address_space:  global
        .offset:         8
        .size:           8
        .value_kind:     global_buffer
      - .address_space:  global
        .offset:         16
        .size:           8
        .value_kind:     global_buffer
      - .offset:         24
        .size:           4
        .value_kind:     by_value
      - .offset:         28
        .size:           4
        .value_kind:     by_value
      - .offset:         32
        .size:           4
        .value_kind:     by_value
      - .address_space:  global
        .offset:         40
        .size:           8
        .value_kind:     global_buffer
      - .offset:         48
        .size:           4
        .value_kind:     hidden_block_count_x
      - .offset:         52
        .size:           4
        .value_kind:     hidden_block_count_y
      - .offset:         56
        .size:           4
        .value_kind:     hidden_block_count_z
      - .offset:         60
        .size:           2
        .value_kind:     hidden_group_size_x
      - .offset:         62
        .size:           2
        .value_kind:     hidden_group_size_y
      - .offset:         64
        .size:           2
        .value_kind:     hidden_group_size_z
      - .offset:         66
        .size:           2
        .value_kind:     hidden_remainder_x
      - .offset:         68
        .size:           2
        .value_kind:     hidden_remainder_y
      - .offset:         70
        .size:           2
        .value_kind:     hidden_remainder_z
      - .offset:         88
        .size:           8
        .value_kind:     hidden_global_offset_x
      - .offset:         96
        .size:           8
        .value_kind:     hidden_global_offset_y
      - .offset:         104
        .size:           8
        .value_kind:     hidden_global_offset_z
      - .offset:         112
        .size:           2
        .value_kind:     hidden_grid_dims
    .group_segment_fixed_size: 0
    .kernarg_segment_align: 8
    .kernarg_segment_size: 304
    .language:       OpenCL C
    .language_version:
      - 2
      - 0
    .max_flat_workgroup_size: 1024
    .name:           _ZN12_GLOBAL__N_121softmax_warp_backwardIfN3c104HalfEfLi2ELb1ELb0ELi64EEEvPT0_PKT_S7_iiiPKb
    .private_segment_fixed_size: 0
    .sgpr_count:     18
    .sgpr_spill_count: 0
    .symbol:         _ZN12_GLOBAL__N_121softmax_warp_backwardIfN3c104HalfEfLi2ELb1ELb0ELi64EEEvPT0_PKT_S7_iiiPKb.kd
    .uniform_work_group_size: 1
    .uses_dynamic_stack: false
    .vgpr_count:     14
    .vgpr_spill_count: 0
    .wavefront_size: 32
    .workgroup_processor_mode: 1
  - .args:
      - .address_space:  global
        .offset:         0
        .size:           8
        .value_kind:     global_buffer
      - .address_space:  global
        .offset:         8
        .size:           8
        .value_kind:     global_buffer
      - .address_space:  global
        .offset:         16
        .size:           8
        .value_kind:     global_buffer
      - .offset:         24
        .size:           4
        .value_kind:     by_value
      - .offset:         28
        .size:           4
        .value_kind:     by_value
      - .offset:         32
        .size:           4
        .value_kind:     by_value
      - .address_space:  global
        .offset:         40
        .size:           8
        .value_kind:     global_buffer
      - .offset:         48
        .size:           4
        .value_kind:     hidden_block_count_x
      - .offset:         52
        .size:           4
        .value_kind:     hidden_block_count_y
      - .offset:         56
        .size:           4
        .value_kind:     hidden_block_count_z
      - .offset:         60
        .size:           2
        .value_kind:     hidden_group_size_x
      - .offset:         62
        .size:           2
        .value_kind:     hidden_group_size_y
      - .offset:         64
        .size:           2
        .value_kind:     hidden_group_size_z
      - .offset:         66
        .size:           2
        .value_kind:     hidden_remainder_x
      - .offset:         68
        .size:           2
        .value_kind:     hidden_remainder_y
      - .offset:         70
        .size:           2
        .value_kind:     hidden_remainder_z
      - .offset:         88
        .size:           8
        .value_kind:     hidden_global_offset_x
      - .offset:         96
        .size:           8
        .value_kind:     hidden_global_offset_y
      - .offset:         104
        .size:           8
        .value_kind:     hidden_global_offset_z
      - .offset:         112
        .size:           2
        .value_kind:     hidden_grid_dims
    .group_segment_fixed_size: 0
    .kernarg_segment_align: 8
    .kernarg_segment_size: 304
    .language:       OpenCL C
    .language_version:
      - 2
      - 0
    .max_flat_workgroup_size: 1024
    .name:           _ZN12_GLOBAL__N_121softmax_warp_backwardIfN3c104HalfEfLi2ELb1ELb0ELi32EEEvPT0_PKT_S7_iiiPKb
    .private_segment_fixed_size: 0
    .sgpr_count:     18
    .sgpr_spill_count: 0
    .symbol:         _ZN12_GLOBAL__N_121softmax_warp_backwardIfN3c104HalfEfLi2ELb1ELb0ELi32EEEvPT0_PKT_S7_iiiPKb.kd
    .uniform_work_group_size: 1
    .uses_dynamic_stack: false
    .vgpr_count:     14
    .vgpr_spill_count: 0
    .wavefront_size: 32
    .workgroup_processor_mode: 1
  - .args:
      - .address_space:  global
        .offset:         0
        .size:           8
        .value_kind:     global_buffer
      - .address_space:  global
        .offset:         8
        .size:           8
        .value_kind:     global_buffer
      - .address_space:  global
        .offset:         16
        .size:           8
        .value_kind:     global_buffer
      - .offset:         24
        .size:           4
        .value_kind:     by_value
      - .offset:         28
        .size:           4
        .value_kind:     by_value
      - .offset:         32
        .size:           4
        .value_kind:     by_value
      - .address_space:  global
        .offset:         40
        .size:           8
        .value_kind:     global_buffer
      - .offset:         48
        .size:           4
        .value_kind:     hidden_block_count_x
      - .offset:         52
        .size:           4
        .value_kind:     hidden_block_count_y
      - .offset:         56
        .size:           4
        .value_kind:     hidden_block_count_z
      - .offset:         60
        .size:           2
        .value_kind:     hidden_group_size_x
      - .offset:         62
        .size:           2
        .value_kind:     hidden_group_size_y
      - .offset:         64
        .size:           2
        .value_kind:     hidden_group_size_z
      - .offset:         66
        .size:           2
        .value_kind:     hidden_remainder_x
      - .offset:         68
        .size:           2
        .value_kind:     hidden_remainder_y
      - .offset:         70
        .size:           2
        .value_kind:     hidden_remainder_z
      - .offset:         88
        .size:           8
        .value_kind:     hidden_global_offset_x
      - .offset:         96
        .size:           8
        .value_kind:     hidden_global_offset_y
      - .offset:         104
        .size:           8
        .value_kind:     hidden_global_offset_z
      - .offset:         112
        .size:           2
        .value_kind:     hidden_grid_dims
    .group_segment_fixed_size: 0
    .kernarg_segment_align: 8
    .kernarg_segment_size: 304
    .language:       OpenCL C
    .language_version:
      - 2
      - 0
    .max_flat_workgroup_size: 1024
    .name:           _ZN12_GLOBAL__N_121softmax_warp_backwardIfN3c104HalfEfLi3ELb1ELb0ELi64EEEvPT0_PKT_S7_iiiPKb
    .private_segment_fixed_size: 0
    .sgpr_count:     18
    .sgpr_spill_count: 0
    .symbol:         _ZN12_GLOBAL__N_121softmax_warp_backwardIfN3c104HalfEfLi3ELb1ELb0ELi64EEEvPT0_PKT_S7_iiiPKb.kd
    .uniform_work_group_size: 1
    .uses_dynamic_stack: false
    .vgpr_count:     14
    .vgpr_spill_count: 0
    .wavefront_size: 32
    .workgroup_processor_mode: 1
  - .args:
      - .address_space:  global
        .offset:         0
        .size:           8
        .value_kind:     global_buffer
      - .address_space:  global
        .offset:         8
        .size:           8
        .value_kind:     global_buffer
      - .address_space:  global
        .offset:         16
        .size:           8
        .value_kind:     global_buffer
      - .offset:         24
        .size:           4
        .value_kind:     by_value
      - .offset:         28
        .size:           4
        .value_kind:     by_value
      - .offset:         32
        .size:           4
        .value_kind:     by_value
      - .address_space:  global
        .offset:         40
        .size:           8
        .value_kind:     global_buffer
      - .offset:         48
        .size:           4
        .value_kind:     hidden_block_count_x
      - .offset:         52
        .size:           4
        .value_kind:     hidden_block_count_y
      - .offset:         56
        .size:           4
        .value_kind:     hidden_block_count_z
      - .offset:         60
        .size:           2
        .value_kind:     hidden_group_size_x
      - .offset:         62
        .size:           2
        .value_kind:     hidden_group_size_y
      - .offset:         64
        .size:           2
        .value_kind:     hidden_group_size_z
      - .offset:         66
        .size:           2
        .value_kind:     hidden_remainder_x
      - .offset:         68
        .size:           2
        .value_kind:     hidden_remainder_y
      - .offset:         70
        .size:           2
        .value_kind:     hidden_remainder_z
      - .offset:         88
        .size:           8
        .value_kind:     hidden_global_offset_x
      - .offset:         96
        .size:           8
        .value_kind:     hidden_global_offset_y
      - .offset:         104
        .size:           8
        .value_kind:     hidden_global_offset_z
      - .offset:         112
        .size:           2
        .value_kind:     hidden_grid_dims
    .group_segment_fixed_size: 0
    .kernarg_segment_align: 8
    .kernarg_segment_size: 304
    .language:       OpenCL C
    .language_version:
      - 2
      - 0
    .max_flat_workgroup_size: 1024
    .name:           _ZN12_GLOBAL__N_121softmax_warp_backwardIfN3c104HalfEfLi3ELb1ELb0ELi32EEEvPT0_PKT_S7_iiiPKb
    .private_segment_fixed_size: 0
    .sgpr_count:     18
    .sgpr_spill_count: 0
    .symbol:         _ZN12_GLOBAL__N_121softmax_warp_backwardIfN3c104HalfEfLi3ELb1ELb0ELi32EEEvPT0_PKT_S7_iiiPKb.kd
    .uniform_work_group_size: 1
    .uses_dynamic_stack: false
    .vgpr_count:     14
    .vgpr_spill_count: 0
    .wavefront_size: 32
    .workgroup_processor_mode: 1
  - .args:
      - .address_space:  global
        .offset:         0
        .size:           8
        .value_kind:     global_buffer
      - .address_space:  global
        .offset:         8
        .size:           8
        .value_kind:     global_buffer
      - .address_space:  global
        .offset:         16
        .size:           8
        .value_kind:     global_buffer
      - .offset:         24
        .size:           4
        .value_kind:     by_value
      - .offset:         28
        .size:           4
        .value_kind:     by_value
      - .offset:         32
        .size:           4
        .value_kind:     by_value
      - .address_space:  global
        .offset:         40
        .size:           8
        .value_kind:     global_buffer
      - .offset:         48
        .size:           4
        .value_kind:     hidden_block_count_x
      - .offset:         52
        .size:           4
        .value_kind:     hidden_block_count_y
      - .offset:         56
        .size:           4
        .value_kind:     hidden_block_count_z
      - .offset:         60
        .size:           2
        .value_kind:     hidden_group_size_x
      - .offset:         62
        .size:           2
        .value_kind:     hidden_group_size_y
      - .offset:         64
        .size:           2
        .value_kind:     hidden_group_size_z
      - .offset:         66
        .size:           2
        .value_kind:     hidden_remainder_x
      - .offset:         68
        .size:           2
        .value_kind:     hidden_remainder_y
      - .offset:         70
        .size:           2
        .value_kind:     hidden_remainder_z
      - .offset:         88
        .size:           8
        .value_kind:     hidden_global_offset_x
      - .offset:         96
        .size:           8
        .value_kind:     hidden_global_offset_y
      - .offset:         104
        .size:           8
        .value_kind:     hidden_global_offset_z
      - .offset:         112
        .size:           2
        .value_kind:     hidden_grid_dims
    .group_segment_fixed_size: 0
    .kernarg_segment_align: 8
    .kernarg_segment_size: 304
    .language:       OpenCL C
    .language_version:
      - 2
      - 0
    .max_flat_workgroup_size: 1024
    .name:           _ZN12_GLOBAL__N_121softmax_warp_backwardIfN3c104HalfEfLi4ELb1ELb0ELi64EEEvPT0_PKT_S7_iiiPKb
    .private_segment_fixed_size: 0
    .sgpr_count:     18
    .sgpr_spill_count: 0
    .symbol:         _ZN12_GLOBAL__N_121softmax_warp_backwardIfN3c104HalfEfLi4ELb1ELb0ELi64EEEvPT0_PKT_S7_iiiPKb.kd
    .uniform_work_group_size: 1
    .uses_dynamic_stack: false
    .vgpr_count:     14
    .vgpr_spill_count: 0
    .wavefront_size: 32
    .workgroup_processor_mode: 1
  - .args:
      - .address_space:  global
        .offset:         0
        .size:           8
        .value_kind:     global_buffer
      - .address_space:  global
        .offset:         8
        .size:           8
        .value_kind:     global_buffer
      - .address_space:  global
        .offset:         16
        .size:           8
        .value_kind:     global_buffer
      - .offset:         24
        .size:           4
        .value_kind:     by_value
      - .offset:         28
        .size:           4
        .value_kind:     by_value
      - .offset:         32
        .size:           4
        .value_kind:     by_value
      - .address_space:  global
        .offset:         40
        .size:           8
        .value_kind:     global_buffer
      - .offset:         48
        .size:           4
        .value_kind:     hidden_block_count_x
      - .offset:         52
        .size:           4
        .value_kind:     hidden_block_count_y
      - .offset:         56
        .size:           4
        .value_kind:     hidden_block_count_z
      - .offset:         60
        .size:           2
        .value_kind:     hidden_group_size_x
      - .offset:         62
        .size:           2
        .value_kind:     hidden_group_size_y
      - .offset:         64
        .size:           2
        .value_kind:     hidden_group_size_z
      - .offset:         66
        .size:           2
        .value_kind:     hidden_remainder_x
      - .offset:         68
        .size:           2
        .value_kind:     hidden_remainder_y
      - .offset:         70
        .size:           2
        .value_kind:     hidden_remainder_z
      - .offset:         88
        .size:           8
        .value_kind:     hidden_global_offset_x
      - .offset:         96
        .size:           8
        .value_kind:     hidden_global_offset_y
      - .offset:         104
        .size:           8
        .value_kind:     hidden_global_offset_z
      - .offset:         112
        .size:           2
        .value_kind:     hidden_grid_dims
    .group_segment_fixed_size: 0
    .kernarg_segment_align: 8
    .kernarg_segment_size: 304
    .language:       OpenCL C
    .language_version:
      - 2
      - 0
    .max_flat_workgroup_size: 1024
    .name:           _ZN12_GLOBAL__N_121softmax_warp_backwardIfN3c104HalfEfLi4ELb1ELb0ELi32EEEvPT0_PKT_S7_iiiPKb
    .private_segment_fixed_size: 0
    .sgpr_count:     18
    .sgpr_spill_count: 0
    .symbol:         _ZN12_GLOBAL__N_121softmax_warp_backwardIfN3c104HalfEfLi4ELb1ELb0ELi32EEEvPT0_PKT_S7_iiiPKb.kd
    .uniform_work_group_size: 1
    .uses_dynamic_stack: false
    .vgpr_count:     14
    .vgpr_spill_count: 0
    .wavefront_size: 32
    .workgroup_processor_mode: 1
  - .args:
      - .address_space:  global
        .offset:         0
        .size:           8
        .value_kind:     global_buffer
      - .address_space:  global
        .offset:         8
        .size:           8
        .value_kind:     global_buffer
      - .address_space:  global
        .offset:         16
        .size:           8
        .value_kind:     global_buffer
      - .offset:         24
        .size:           4
        .value_kind:     by_value
      - .offset:         28
        .size:           4
        .value_kind:     by_value
      - .offset:         32
        .size:           4
        .value_kind:     by_value
      - .address_space:  global
        .offset:         40
        .size:           8
        .value_kind:     global_buffer
      - .offset:         48
        .size:           4
        .value_kind:     hidden_block_count_x
      - .offset:         52
        .size:           4
        .value_kind:     hidden_block_count_y
      - .offset:         56
        .size:           4
        .value_kind:     hidden_block_count_z
      - .offset:         60
        .size:           2
        .value_kind:     hidden_group_size_x
      - .offset:         62
        .size:           2
        .value_kind:     hidden_group_size_y
      - .offset:         64
        .size:           2
        .value_kind:     hidden_group_size_z
      - .offset:         66
        .size:           2
        .value_kind:     hidden_remainder_x
      - .offset:         68
        .size:           2
        .value_kind:     hidden_remainder_y
      - .offset:         70
        .size:           2
        .value_kind:     hidden_remainder_z
      - .offset:         88
        .size:           8
        .value_kind:     hidden_global_offset_x
      - .offset:         96
        .size:           8
        .value_kind:     hidden_global_offset_y
      - .offset:         104
        .size:           8
        .value_kind:     hidden_global_offset_z
      - .offset:         112
        .size:           2
        .value_kind:     hidden_grid_dims
    .group_segment_fixed_size: 0
    .kernarg_segment_align: 8
    .kernarg_segment_size: 304
    .language:       OpenCL C
    .language_version:
      - 2
      - 0
    .max_flat_workgroup_size: 1024
    .name:           _ZN12_GLOBAL__N_121softmax_warp_backwardIfN3c104HalfEfLi5ELb1ELb0ELi64EEEvPT0_PKT_S7_iiiPKb
    .private_segment_fixed_size: 0
    .sgpr_count:     18
    .sgpr_spill_count: 0
    .symbol:         _ZN12_GLOBAL__N_121softmax_warp_backwardIfN3c104HalfEfLi5ELb1ELb0ELi64EEEvPT0_PKT_S7_iiiPKb.kd
    .uniform_work_group_size: 1
    .uses_dynamic_stack: false
    .vgpr_count:     14
    .vgpr_spill_count: 0
    .wavefront_size: 32
    .workgroup_processor_mode: 1
  - .args:
      - .address_space:  global
        .offset:         0
        .size:           8
        .value_kind:     global_buffer
      - .address_space:  global
        .offset:         8
        .size:           8
        .value_kind:     global_buffer
      - .address_space:  global
        .offset:         16
        .size:           8
        .value_kind:     global_buffer
      - .offset:         24
        .size:           4
        .value_kind:     by_value
      - .offset:         28
        .size:           4
        .value_kind:     by_value
      - .offset:         32
        .size:           4
        .value_kind:     by_value
      - .address_space:  global
        .offset:         40
        .size:           8
        .value_kind:     global_buffer
      - .offset:         48
        .size:           4
        .value_kind:     hidden_block_count_x
      - .offset:         52
        .size:           4
        .value_kind:     hidden_block_count_y
      - .offset:         56
        .size:           4
        .value_kind:     hidden_block_count_z
      - .offset:         60
        .size:           2
        .value_kind:     hidden_group_size_x
      - .offset:         62
        .size:           2
        .value_kind:     hidden_group_size_y
      - .offset:         64
        .size:           2
        .value_kind:     hidden_group_size_z
      - .offset:         66
        .size:           2
        .value_kind:     hidden_remainder_x
      - .offset:         68
        .size:           2
        .value_kind:     hidden_remainder_y
      - .offset:         70
        .size:           2
        .value_kind:     hidden_remainder_z
      - .offset:         88
        .size:           8
        .value_kind:     hidden_global_offset_x
      - .offset:         96
        .size:           8
        .value_kind:     hidden_global_offset_y
      - .offset:         104
        .size:           8
        .value_kind:     hidden_global_offset_z
      - .offset:         112
        .size:           2
        .value_kind:     hidden_grid_dims
    .group_segment_fixed_size: 0
    .kernarg_segment_align: 8
    .kernarg_segment_size: 304
    .language:       OpenCL C
    .language_version:
      - 2
      - 0
    .max_flat_workgroup_size: 1024
    .name:           _ZN12_GLOBAL__N_121softmax_warp_backwardIfN3c104HalfEfLi5ELb1ELb0ELi32EEEvPT0_PKT_S7_iiiPKb
    .private_segment_fixed_size: 0
    .sgpr_count:     18
    .sgpr_spill_count: 0
    .symbol:         _ZN12_GLOBAL__N_121softmax_warp_backwardIfN3c104HalfEfLi5ELb1ELb0ELi32EEEvPT0_PKT_S7_iiiPKb.kd
    .uniform_work_group_size: 1
    .uses_dynamic_stack: false
    .vgpr_count:     14
    .vgpr_spill_count: 0
    .wavefront_size: 32
    .workgroup_processor_mode: 1
  - .args:
      - .address_space:  global
        .offset:         0
        .size:           8
        .value_kind:     global_buffer
      - .address_space:  global
        .offset:         8
        .size:           8
        .value_kind:     global_buffer
      - .address_space:  global
        .offset:         16
        .size:           8
        .value_kind:     global_buffer
      - .offset:         24
        .size:           4
        .value_kind:     by_value
      - .offset:         28
        .size:           4
        .value_kind:     by_value
      - .offset:         32
        .size:           4
        .value_kind:     by_value
      - .address_space:  global
        .offset:         40
        .size:           8
        .value_kind:     global_buffer
      - .offset:         48
        .size:           4
        .value_kind:     hidden_block_count_x
      - .offset:         52
        .size:           4
        .value_kind:     hidden_block_count_y
      - .offset:         56
        .size:           4
        .value_kind:     hidden_block_count_z
      - .offset:         60
        .size:           2
        .value_kind:     hidden_group_size_x
      - .offset:         62
        .size:           2
        .value_kind:     hidden_group_size_y
      - .offset:         64
        .size:           2
        .value_kind:     hidden_group_size_z
      - .offset:         66
        .size:           2
        .value_kind:     hidden_remainder_x
      - .offset:         68
        .size:           2
        .value_kind:     hidden_remainder_y
      - .offset:         70
        .size:           2
        .value_kind:     hidden_remainder_z
      - .offset:         88
        .size:           8
        .value_kind:     hidden_global_offset_x
      - .offset:         96
        .size:           8
        .value_kind:     hidden_global_offset_y
      - .offset:         104
        .size:           8
        .value_kind:     hidden_global_offset_z
      - .offset:         112
        .size:           2
        .value_kind:     hidden_grid_dims
    .group_segment_fixed_size: 0
    .kernarg_segment_align: 8
    .kernarg_segment_size: 304
    .language:       OpenCL C
    .language_version:
      - 2
      - 0
    .max_flat_workgroup_size: 1024
    .name:           _ZN12_GLOBAL__N_121softmax_warp_backwardIfN3c104HalfEfLi6ELb1ELb0ELi64EEEvPT0_PKT_S7_iiiPKb
    .private_segment_fixed_size: 0
    .sgpr_count:     18
    .sgpr_spill_count: 0
    .symbol:         _ZN12_GLOBAL__N_121softmax_warp_backwardIfN3c104HalfEfLi6ELb1ELb0ELi64EEEvPT0_PKT_S7_iiiPKb.kd
    .uniform_work_group_size: 1
    .uses_dynamic_stack: false
    .vgpr_count:     14
    .vgpr_spill_count: 0
    .wavefront_size: 32
    .workgroup_processor_mode: 1
  - .args:
      - .address_space:  global
        .offset:         0
        .size:           8
        .value_kind:     global_buffer
      - .address_space:  global
        .offset:         8
        .size:           8
        .value_kind:     global_buffer
      - .address_space:  global
        .offset:         16
        .size:           8
        .value_kind:     global_buffer
      - .offset:         24
        .size:           4
        .value_kind:     by_value
      - .offset:         28
        .size:           4
        .value_kind:     by_value
      - .offset:         32
        .size:           4
        .value_kind:     by_value
      - .address_space:  global
        .offset:         40
        .size:           8
        .value_kind:     global_buffer
      - .offset:         48
        .size:           4
        .value_kind:     hidden_block_count_x
      - .offset:         52
        .size:           4
        .value_kind:     hidden_block_count_y
      - .offset:         56
        .size:           4
        .value_kind:     hidden_block_count_z
      - .offset:         60
        .size:           2
        .value_kind:     hidden_group_size_x
      - .offset:         62
        .size:           2
        .value_kind:     hidden_group_size_y
      - .offset:         64
        .size:           2
        .value_kind:     hidden_group_size_z
      - .offset:         66
        .size:           2
        .value_kind:     hidden_remainder_x
      - .offset:         68
        .size:           2
        .value_kind:     hidden_remainder_y
      - .offset:         70
        .size:           2
        .value_kind:     hidden_remainder_z
      - .offset:         88
        .size:           8
        .value_kind:     hidden_global_offset_x
      - .offset:         96
        .size:           8
        .value_kind:     hidden_global_offset_y
      - .offset:         104
        .size:           8
        .value_kind:     hidden_global_offset_z
      - .offset:         112
        .size:           2
        .value_kind:     hidden_grid_dims
    .group_segment_fixed_size: 0
    .kernarg_segment_align: 8
    .kernarg_segment_size: 304
    .language:       OpenCL C
    .language_version:
      - 2
      - 0
    .max_flat_workgroup_size: 1024
    .name:           _ZN12_GLOBAL__N_121softmax_warp_backwardIfN3c104HalfEfLi6ELb1ELb0ELi32EEEvPT0_PKT_S7_iiiPKb
    .private_segment_fixed_size: 0
    .sgpr_count:     18
    .sgpr_spill_count: 0
    .symbol:         _ZN12_GLOBAL__N_121softmax_warp_backwardIfN3c104HalfEfLi6ELb1ELb0ELi32EEEvPT0_PKT_S7_iiiPKb.kd
    .uniform_work_group_size: 1
    .uses_dynamic_stack: false
    .vgpr_count:     19
    .vgpr_spill_count: 0
    .wavefront_size: 32
    .workgroup_processor_mode: 1
  - .args:
      - .address_space:  global
        .offset:         0
        .size:           8
        .value_kind:     global_buffer
      - .address_space:  global
        .offset:         8
        .size:           8
        .value_kind:     global_buffer
      - .address_space:  global
        .offset:         16
        .size:           8
        .value_kind:     global_buffer
      - .offset:         24
        .size:           4
        .value_kind:     by_value
      - .offset:         28
        .size:           4
        .value_kind:     by_value
      - .offset:         32
        .size:           4
        .value_kind:     by_value
      - .address_space:  global
        .offset:         40
        .size:           8
        .value_kind:     global_buffer
      - .offset:         48
        .size:           4
        .value_kind:     hidden_block_count_x
      - .offset:         52
        .size:           4
        .value_kind:     hidden_block_count_y
      - .offset:         56
        .size:           4
        .value_kind:     hidden_block_count_z
      - .offset:         60
        .size:           2
        .value_kind:     hidden_group_size_x
      - .offset:         62
        .size:           2
        .value_kind:     hidden_group_size_y
      - .offset:         64
        .size:           2
        .value_kind:     hidden_group_size_z
      - .offset:         66
        .size:           2
        .value_kind:     hidden_remainder_x
      - .offset:         68
        .size:           2
        .value_kind:     hidden_remainder_y
      - .offset:         70
        .size:           2
        .value_kind:     hidden_remainder_z
      - .offset:         88
        .size:           8
        .value_kind:     hidden_global_offset_x
      - .offset:         96
        .size:           8
        .value_kind:     hidden_global_offset_y
      - .offset:         104
        .size:           8
        .value_kind:     hidden_global_offset_z
      - .offset:         112
        .size:           2
        .value_kind:     hidden_grid_dims
    .group_segment_fixed_size: 0
    .kernarg_segment_align: 8
    .kernarg_segment_size: 304
    .language:       OpenCL C
    .language_version:
      - 2
      - 0
    .max_flat_workgroup_size: 1024
    .name:           _ZN12_GLOBAL__N_121softmax_warp_backwardIfN3c104HalfEfLi7ELb1ELb0ELi64EEEvPT0_PKT_S7_iiiPKb
    .private_segment_fixed_size: 0
    .sgpr_count:     18
    .sgpr_spill_count: 0
    .symbol:         _ZN12_GLOBAL__N_121softmax_warp_backwardIfN3c104HalfEfLi7ELb1ELb0ELi64EEEvPT0_PKT_S7_iiiPKb.kd
    .uniform_work_group_size: 1
    .uses_dynamic_stack: false
    .vgpr_count:     19
    .vgpr_spill_count: 0
    .wavefront_size: 32
    .workgroup_processor_mode: 1
  - .args:
      - .address_space:  global
        .offset:         0
        .size:           8
        .value_kind:     global_buffer
      - .address_space:  global
        .offset:         8
        .size:           8
        .value_kind:     global_buffer
      - .address_space:  global
        .offset:         16
        .size:           8
        .value_kind:     global_buffer
      - .offset:         24
        .size:           4
        .value_kind:     by_value
      - .offset:         28
        .size:           4
        .value_kind:     by_value
      - .offset:         32
        .size:           4
        .value_kind:     by_value
      - .address_space:  global
        .offset:         40
        .size:           8
        .value_kind:     global_buffer
      - .offset:         48
        .size:           4
        .value_kind:     hidden_block_count_x
      - .offset:         52
        .size:           4
        .value_kind:     hidden_block_count_y
      - .offset:         56
        .size:           4
        .value_kind:     hidden_block_count_z
      - .offset:         60
        .size:           2
        .value_kind:     hidden_group_size_x
      - .offset:         62
        .size:           2
        .value_kind:     hidden_group_size_y
      - .offset:         64
        .size:           2
        .value_kind:     hidden_group_size_z
      - .offset:         66
        .size:           2
        .value_kind:     hidden_remainder_x
      - .offset:         68
        .size:           2
        .value_kind:     hidden_remainder_y
      - .offset:         70
        .size:           2
        .value_kind:     hidden_remainder_z
      - .offset:         88
        .size:           8
        .value_kind:     hidden_global_offset_x
      - .offset:         96
        .size:           8
        .value_kind:     hidden_global_offset_y
      - .offset:         104
        .size:           8
        .value_kind:     hidden_global_offset_z
      - .offset:         112
        .size:           2
        .value_kind:     hidden_grid_dims
    .group_segment_fixed_size: 0
    .kernarg_segment_align: 8
    .kernarg_segment_size: 304
    .language:       OpenCL C
    .language_version:
      - 2
      - 0
    .max_flat_workgroup_size: 1024
    .name:           _ZN12_GLOBAL__N_121softmax_warp_backwardIfN3c104HalfEfLi7ELb1ELb0ELi32EEEvPT0_PKT_S7_iiiPKb
    .private_segment_fixed_size: 0
    .sgpr_count:     18
    .sgpr_spill_count: 0
    .symbol:         _ZN12_GLOBAL__N_121softmax_warp_backwardIfN3c104HalfEfLi7ELb1ELb0ELi32EEEvPT0_PKT_S7_iiiPKb.kd
    .uniform_work_group_size: 1
    .uses_dynamic_stack: false
    .vgpr_count:     26
    .vgpr_spill_count: 0
    .wavefront_size: 32
    .workgroup_processor_mode: 1
  - .args:
      - .address_space:  global
        .offset:         0
        .size:           8
        .value_kind:     global_buffer
      - .address_space:  global
        .offset:         8
        .size:           8
        .value_kind:     global_buffer
      - .address_space:  global
        .offset:         16
        .size:           8
        .value_kind:     global_buffer
      - .offset:         24
        .size:           4
        .value_kind:     by_value
      - .offset:         28
        .size:           4
        .value_kind:     by_value
      - .offset:         32
        .size:           4
        .value_kind:     by_value
      - .address_space:  global
        .offset:         40
        .size:           8
        .value_kind:     global_buffer
      - .offset:         48
        .size:           4
        .value_kind:     hidden_block_count_x
      - .offset:         52
        .size:           4
        .value_kind:     hidden_block_count_y
      - .offset:         56
        .size:           4
        .value_kind:     hidden_block_count_z
      - .offset:         60
        .size:           2
        .value_kind:     hidden_group_size_x
      - .offset:         62
        .size:           2
        .value_kind:     hidden_group_size_y
      - .offset:         64
        .size:           2
        .value_kind:     hidden_group_size_z
      - .offset:         66
        .size:           2
        .value_kind:     hidden_remainder_x
      - .offset:         68
        .size:           2
        .value_kind:     hidden_remainder_y
      - .offset:         70
        .size:           2
        .value_kind:     hidden_remainder_z
      - .offset:         88
        .size:           8
        .value_kind:     hidden_global_offset_x
      - .offset:         96
        .size:           8
        .value_kind:     hidden_global_offset_y
      - .offset:         104
        .size:           8
        .value_kind:     hidden_global_offset_z
      - .offset:         112
        .size:           2
        .value_kind:     hidden_grid_dims
    .group_segment_fixed_size: 0
    .kernarg_segment_align: 8
    .kernarg_segment_size: 304
    .language:       OpenCL C
    .language_version:
      - 2
      - 0
    .max_flat_workgroup_size: 1024
    .name:           _ZN12_GLOBAL__N_121softmax_warp_backwardIfN3c104HalfEfLi8ELb1ELb0ELi64EEEvPT0_PKT_S7_iiiPKb
    .private_segment_fixed_size: 0
    .sgpr_count:     18
    .sgpr_spill_count: 0
    .symbol:         _ZN12_GLOBAL__N_121softmax_warp_backwardIfN3c104HalfEfLi8ELb1ELb0ELi64EEEvPT0_PKT_S7_iiiPKb.kd
    .uniform_work_group_size: 1
    .uses_dynamic_stack: false
    .vgpr_count:     15
    .vgpr_spill_count: 0
    .wavefront_size: 32
    .workgroup_processor_mode: 1
  - .args:
      - .address_space:  global
        .offset:         0
        .size:           8
        .value_kind:     global_buffer
      - .address_space:  global
        .offset:         8
        .size:           8
        .value_kind:     global_buffer
      - .address_space:  global
        .offset:         16
        .size:           8
        .value_kind:     global_buffer
      - .offset:         24
        .size:           4
        .value_kind:     by_value
      - .offset:         28
        .size:           4
        .value_kind:     by_value
      - .offset:         32
        .size:           4
        .value_kind:     by_value
      - .address_space:  global
        .offset:         40
        .size:           8
        .value_kind:     global_buffer
      - .offset:         48
        .size:           4
        .value_kind:     hidden_block_count_x
      - .offset:         52
        .size:           4
        .value_kind:     hidden_block_count_y
      - .offset:         56
        .size:           4
        .value_kind:     hidden_block_count_z
      - .offset:         60
        .size:           2
        .value_kind:     hidden_group_size_x
      - .offset:         62
        .size:           2
        .value_kind:     hidden_group_size_y
      - .offset:         64
        .size:           2
        .value_kind:     hidden_group_size_z
      - .offset:         66
        .size:           2
        .value_kind:     hidden_remainder_x
      - .offset:         68
        .size:           2
        .value_kind:     hidden_remainder_y
      - .offset:         70
        .size:           2
        .value_kind:     hidden_remainder_z
      - .offset:         88
        .size:           8
        .value_kind:     hidden_global_offset_x
      - .offset:         96
        .size:           8
        .value_kind:     hidden_global_offset_y
      - .offset:         104
        .size:           8
        .value_kind:     hidden_global_offset_z
      - .offset:         112
        .size:           2
        .value_kind:     hidden_grid_dims
    .group_segment_fixed_size: 0
    .kernarg_segment_align: 8
    .kernarg_segment_size: 304
    .language:       OpenCL C
    .language_version:
      - 2
      - 0
    .max_flat_workgroup_size: 1024
    .name:           _ZN12_GLOBAL__N_121softmax_warp_backwardIfN3c104HalfEfLi8ELb1ELb0ELi32EEEvPT0_PKT_S7_iiiPKb
    .private_segment_fixed_size: 0
    .sgpr_count:     22
    .sgpr_spill_count: 0
    .symbol:         _ZN12_GLOBAL__N_121softmax_warp_backwardIfN3c104HalfEfLi8ELb1ELb0ELi32EEEvPT0_PKT_S7_iiiPKb.kd
    .uniform_work_group_size: 1
    .uses_dynamic_stack: false
    .vgpr_count:     23
    .vgpr_spill_count: 0
    .wavefront_size: 32
    .workgroup_processor_mode: 1
  - .args:
      - .address_space:  global
        .offset:         0
        .size:           8
        .value_kind:     global_buffer
      - .address_space:  global
        .offset:         8
        .size:           8
        .value_kind:     global_buffer
      - .address_space:  global
        .offset:         16
        .size:           8
        .value_kind:     global_buffer
      - .offset:         24
        .size:           4
        .value_kind:     by_value
      - .offset:         28
        .size:           4
        .value_kind:     by_value
      - .offset:         32
        .size:           4
        .value_kind:     by_value
      - .address_space:  global
        .offset:         40
        .size:           8
        .value_kind:     global_buffer
      - .offset:         48
        .size:           4
        .value_kind:     hidden_block_count_x
      - .offset:         52
        .size:           4
        .value_kind:     hidden_block_count_y
      - .offset:         56
        .size:           4
        .value_kind:     hidden_block_count_z
      - .offset:         60
        .size:           2
        .value_kind:     hidden_group_size_x
      - .offset:         62
        .size:           2
        .value_kind:     hidden_group_size_y
      - .offset:         64
        .size:           2
        .value_kind:     hidden_group_size_z
      - .offset:         66
        .size:           2
        .value_kind:     hidden_remainder_x
      - .offset:         68
        .size:           2
        .value_kind:     hidden_remainder_y
      - .offset:         70
        .size:           2
        .value_kind:     hidden_remainder_z
      - .offset:         88
        .size:           8
        .value_kind:     hidden_global_offset_x
      - .offset:         96
        .size:           8
        .value_kind:     hidden_global_offset_y
      - .offset:         104
        .size:           8
        .value_kind:     hidden_global_offset_z
      - .offset:         112
        .size:           2
        .value_kind:     hidden_grid_dims
    .group_segment_fixed_size: 0
    .kernarg_segment_align: 8
    .kernarg_segment_size: 304
    .language:       OpenCL C
    .language_version:
      - 2
      - 0
    .max_flat_workgroup_size: 1024
    .name:           _ZN12_GLOBAL__N_121softmax_warp_backwardIfN3c104HalfEfLi9ELb1ELb0ELi64EEEvPT0_PKT_S7_iiiPKb
    .private_segment_fixed_size: 0
    .sgpr_count:     22
    .sgpr_spill_count: 0
    .symbol:         _ZN12_GLOBAL__N_121softmax_warp_backwardIfN3c104HalfEfLi9ELb1ELb0ELi64EEEvPT0_PKT_S7_iiiPKb.kd
    .uniform_work_group_size: 1
    .uses_dynamic_stack: false
    .vgpr_count:     23
    .vgpr_spill_count: 0
    .wavefront_size: 32
    .workgroup_processor_mode: 1
  - .args:
      - .address_space:  global
        .offset:         0
        .size:           8
        .value_kind:     global_buffer
      - .address_space:  global
        .offset:         8
        .size:           8
        .value_kind:     global_buffer
      - .address_space:  global
        .offset:         16
        .size:           8
        .value_kind:     global_buffer
      - .offset:         24
        .size:           4
        .value_kind:     by_value
      - .offset:         28
        .size:           4
        .value_kind:     by_value
      - .offset:         32
        .size:           4
        .value_kind:     by_value
      - .address_space:  global
        .offset:         40
        .size:           8
        .value_kind:     global_buffer
      - .offset:         48
        .size:           4
        .value_kind:     hidden_block_count_x
      - .offset:         52
        .size:           4
        .value_kind:     hidden_block_count_y
      - .offset:         56
        .size:           4
        .value_kind:     hidden_block_count_z
      - .offset:         60
        .size:           2
        .value_kind:     hidden_group_size_x
      - .offset:         62
        .size:           2
        .value_kind:     hidden_group_size_y
      - .offset:         64
        .size:           2
        .value_kind:     hidden_group_size_z
      - .offset:         66
        .size:           2
        .value_kind:     hidden_remainder_x
      - .offset:         68
        .size:           2
        .value_kind:     hidden_remainder_y
      - .offset:         70
        .size:           2
        .value_kind:     hidden_remainder_z
      - .offset:         88
        .size:           8
        .value_kind:     hidden_global_offset_x
      - .offset:         96
        .size:           8
        .value_kind:     hidden_global_offset_y
      - .offset:         104
        .size:           8
        .value_kind:     hidden_global_offset_z
      - .offset:         112
        .size:           2
        .value_kind:     hidden_grid_dims
    .group_segment_fixed_size: 0
    .kernarg_segment_align: 8
    .kernarg_segment_size: 304
    .language:       OpenCL C
    .language_version:
      - 2
      - 0
    .max_flat_workgroup_size: 1024
    .name:           _ZN12_GLOBAL__N_121softmax_warp_backwardIfN3c104HalfEfLi9ELb1ELb0ELi32EEEvPT0_PKT_S7_iiiPKb
    .private_segment_fixed_size: 0
    .sgpr_count:     26
    .sgpr_spill_count: 0
    .symbol:         _ZN12_GLOBAL__N_121softmax_warp_backwardIfN3c104HalfEfLi9ELb1ELb0ELi32EEEvPT0_PKT_S7_iiiPKb.kd
    .uniform_work_group_size: 1
    .uses_dynamic_stack: false
    .vgpr_count:     39
    .vgpr_spill_count: 0
    .wavefront_size: 32
    .workgroup_processor_mode: 1
  - .args:
      - .address_space:  global
        .offset:         0
        .size:           8
        .value_kind:     global_buffer
      - .address_space:  global
        .offset:         8
        .size:           8
        .value_kind:     global_buffer
      - .address_space:  global
        .offset:         16
        .size:           8
        .value_kind:     global_buffer
      - .offset:         24
        .size:           4
        .value_kind:     by_value
      - .offset:         28
        .size:           4
        .value_kind:     by_value
      - .offset:         32
        .size:           4
        .value_kind:     by_value
      - .address_space:  global
        .offset:         40
        .size:           8
        .value_kind:     global_buffer
      - .offset:         48
        .size:           4
        .value_kind:     hidden_block_count_x
      - .offset:         52
        .size:           4
        .value_kind:     hidden_block_count_y
      - .offset:         56
        .size:           4
        .value_kind:     hidden_block_count_z
      - .offset:         60
        .size:           2
        .value_kind:     hidden_group_size_x
      - .offset:         62
        .size:           2
        .value_kind:     hidden_group_size_y
      - .offset:         64
        .size:           2
        .value_kind:     hidden_group_size_z
      - .offset:         66
        .size:           2
        .value_kind:     hidden_remainder_x
      - .offset:         68
        .size:           2
        .value_kind:     hidden_remainder_y
      - .offset:         70
        .size:           2
        .value_kind:     hidden_remainder_z
      - .offset:         88
        .size:           8
        .value_kind:     hidden_global_offset_x
      - .offset:         96
        .size:           8
        .value_kind:     hidden_global_offset_y
      - .offset:         104
        .size:           8
        .value_kind:     hidden_global_offset_z
      - .offset:         112
        .size:           2
        .value_kind:     hidden_grid_dims
    .group_segment_fixed_size: 0
    .kernarg_segment_align: 8
    .kernarg_segment_size: 304
    .language:       OpenCL C
    .language_version:
      - 2
      - 0
    .max_flat_workgroup_size: 1024
    .name:           _ZN12_GLOBAL__N_121softmax_warp_backwardIfN3c104HalfEfLi10ELb1ELb0ELi64EEEvPT0_PKT_S7_iiiPKb
    .private_segment_fixed_size: 0
    .sgpr_count:     26
    .sgpr_spill_count: 0
    .symbol:         _ZN12_GLOBAL__N_121softmax_warp_backwardIfN3c104HalfEfLi10ELb1ELb0ELi64EEEvPT0_PKT_S7_iiiPKb.kd
    .uniform_work_group_size: 1
    .uses_dynamic_stack: false
    .vgpr_count:     39
    .vgpr_spill_count: 0
    .wavefront_size: 32
    .workgroup_processor_mode: 1
  - .args:
      - .address_space:  global
        .offset:         0
        .size:           8
        .value_kind:     global_buffer
      - .address_space:  global
        .offset:         8
        .size:           8
        .value_kind:     global_buffer
      - .address_space:  global
        .offset:         16
        .size:           8
        .value_kind:     global_buffer
      - .offset:         24
        .size:           4
        .value_kind:     by_value
      - .offset:         28
        .size:           4
        .value_kind:     by_value
      - .offset:         32
        .size:           4
        .value_kind:     by_value
      - .address_space:  global
        .offset:         40
        .size:           8
        .value_kind:     global_buffer
      - .offset:         48
        .size:           4
        .value_kind:     hidden_block_count_x
      - .offset:         52
        .size:           4
        .value_kind:     hidden_block_count_y
      - .offset:         56
        .size:           4
        .value_kind:     hidden_block_count_z
      - .offset:         60
        .size:           2
        .value_kind:     hidden_group_size_x
      - .offset:         62
        .size:           2
        .value_kind:     hidden_group_size_y
      - .offset:         64
        .size:           2
        .value_kind:     hidden_group_size_z
      - .offset:         66
        .size:           2
        .value_kind:     hidden_remainder_x
      - .offset:         68
        .size:           2
        .value_kind:     hidden_remainder_y
      - .offset:         70
        .size:           2
        .value_kind:     hidden_remainder_z
      - .offset:         88
        .size:           8
        .value_kind:     hidden_global_offset_x
      - .offset:         96
        .size:           8
        .value_kind:     hidden_global_offset_y
      - .offset:         104
        .size:           8
        .value_kind:     hidden_global_offset_z
      - .offset:         112
        .size:           2
        .value_kind:     hidden_grid_dims
    .group_segment_fixed_size: 0
    .kernarg_segment_align: 8
    .kernarg_segment_size: 304
    .language:       OpenCL C
    .language_version:
      - 2
      - 0
    .max_flat_workgroup_size: 1024
    .name:           _ZN12_GLOBAL__N_121softmax_warp_backwardIfN3c104HalfEfLi10ELb1ELb0ELi32EEEvPT0_PKT_S7_iiiPKb
    .private_segment_fixed_size: 0
    .sgpr_count:     46
    .sgpr_spill_count: 0
    .symbol:         _ZN12_GLOBAL__N_121softmax_warp_backwardIfN3c104HalfEfLi10ELb1ELb0ELi32EEEvPT0_PKT_S7_iiiPKb.kd
    .uniform_work_group_size: 1
    .uses_dynamic_stack: false
    .vgpr_count:     71
    .vgpr_spill_count: 0
    .wavefront_size: 32
    .workgroup_processor_mode: 1
  - .args:
      - .address_space:  global
        .offset:         0
        .size:           8
        .value_kind:     global_buffer
      - .address_space:  global
        .offset:         8
        .size:           8
        .value_kind:     global_buffer
      - .address_space:  global
        .offset:         16
        .size:           8
        .value_kind:     global_buffer
      - .offset:         24
        .size:           8
        .value_kind:     by_value
      - .offset:         32
        .size:           4
        .value_kind:     hidden_block_count_x
      - .offset:         36
        .size:           4
        .value_kind:     hidden_block_count_y
      - .offset:         40
        .size:           4
        .value_kind:     hidden_block_count_z
      - .offset:         44
        .size:           2
        .value_kind:     hidden_group_size_x
      - .offset:         46
        .size:           2
        .value_kind:     hidden_group_size_y
      - .offset:         48
        .size:           2
        .value_kind:     hidden_group_size_z
      - .offset:         50
        .size:           2
        .value_kind:     hidden_remainder_x
      - .offset:         52
        .size:           2
        .value_kind:     hidden_remainder_y
      - .offset:         54
        .size:           2
        .value_kind:     hidden_remainder_z
      - .offset:         72
        .size:           8
        .value_kind:     hidden_global_offset_x
      - .offset:         80
        .size:           8
        .value_kind:     hidden_global_offset_y
      - .offset:         88
        .size:           8
        .value_kind:     hidden_global_offset_z
      - .offset:         96
        .size:           2
        .value_kind:     hidden_grid_dims
      - .offset:         152
        .size:           4
        .value_kind:     hidden_dynamic_lds_size
    .group_segment_fixed_size: 0
    .kernarg_segment_align: 8
    .kernarg_segment_size: 288
    .language:       OpenCL C
    .language_version:
      - 2
      - 0
    .max_flat_workgroup_size: 1024
    .name:           _ZN2at6native12_GLOBAL__N_124cunn_SoftMaxBackwardSmemILi4EN3c104HalfEffNS1_26LogSoftMaxBackwardEpilogueEEEvPT0_PKT2_SA_l
    .private_segment_fixed_size: 0
    .sgpr_count:     20
    .sgpr_spill_count: 0
    .symbol:         _ZN2at6native12_GLOBAL__N_124cunn_SoftMaxBackwardSmemILi4EN3c104HalfEffNS1_26LogSoftMaxBackwardEpilogueEEEvPT0_PKT2_SA_l.kd
    .uniform_work_group_size: 1
    .uses_dynamic_stack: false
    .vgpr_count:     26
    .vgpr_spill_count: 0
    .wavefront_size: 32
    .workgroup_processor_mode: 1
  - .args:
      - .address_space:  global
        .offset:         0
        .size:           8
        .value_kind:     global_buffer
      - .address_space:  global
        .offset:         8
        .size:           8
        .value_kind:     global_buffer
      - .address_space:  global
        .offset:         16
        .size:           8
        .value_kind:     global_buffer
      - .offset:         24
        .size:           8
        .value_kind:     by_value
      - .offset:         32
        .size:           4
        .value_kind:     hidden_block_count_x
      - .offset:         36
        .size:           4
        .value_kind:     hidden_block_count_y
      - .offset:         40
        .size:           4
        .value_kind:     hidden_block_count_z
      - .offset:         44
        .size:           2
        .value_kind:     hidden_group_size_x
      - .offset:         46
        .size:           2
        .value_kind:     hidden_group_size_y
      - .offset:         48
        .size:           2
        .value_kind:     hidden_group_size_z
      - .offset:         50
        .size:           2
        .value_kind:     hidden_remainder_x
      - .offset:         52
        .size:           2
        .value_kind:     hidden_remainder_y
      - .offset:         54
        .size:           2
        .value_kind:     hidden_remainder_z
      - .offset:         72
        .size:           8
        .value_kind:     hidden_global_offset_x
      - .offset:         80
        .size:           8
        .value_kind:     hidden_global_offset_y
      - .offset:         88
        .size:           8
        .value_kind:     hidden_global_offset_z
      - .offset:         96
        .size:           2
        .value_kind:     hidden_grid_dims
      - .offset:         152
        .size:           4
        .value_kind:     hidden_dynamic_lds_size
    .group_segment_fixed_size: 0
    .kernarg_segment_align: 8
    .kernarg_segment_size: 288
    .language:       OpenCL C
    .language_version:
      - 2
      - 0
    .max_flat_workgroup_size: 1024
    .name:           _ZN2at6native12_GLOBAL__N_120cunn_SoftMaxBackwardILi4EN3c104HalfEffNS1_26LogSoftMaxBackwardEpilogueEEEvPT0_PKT2_SA_l
    .private_segment_fixed_size: 0
    .sgpr_count:     59
    .sgpr_spill_count: 0
    .symbol:         _ZN2at6native12_GLOBAL__N_120cunn_SoftMaxBackwardILi4EN3c104HalfEffNS1_26LogSoftMaxBackwardEpilogueEEEvPT0_PKT2_SA_l.kd
    .uniform_work_group_size: 1
    .uses_dynamic_stack: false
    .vgpr_count:     34
    .vgpr_spill_count: 0
    .wavefront_size: 32
    .workgroup_processor_mode: 1
  - .args:
      - .address_space:  global
        .offset:         0
        .size:           8
        .value_kind:     global_buffer
      - .address_space:  global
        .offset:         8
        .size:           8
        .value_kind:     global_buffer
      - .address_space:  global
        .offset:         16
        .size:           8
        .value_kind:     global_buffer
      - .offset:         24
        .size:           4
        .value_kind:     by_value
      - .offset:         28
        .size:           4
        .value_kind:     by_value
      - .offset:         32
        .size:           4
        .value_kind:     by_value
      - .address_space:  global
        .offset:         40
        .size:           8
        .value_kind:     global_buffer
      - .offset:         48
        .size:           4
        .value_kind:     hidden_block_count_x
      - .offset:         52
        .size:           4
        .value_kind:     hidden_block_count_y
      - .offset:         56
        .size:           4
        .value_kind:     hidden_block_count_z
      - .offset:         60
        .size:           2
        .value_kind:     hidden_group_size_x
      - .offset:         62
        .size:           2
        .value_kind:     hidden_group_size_y
      - .offset:         64
        .size:           2
        .value_kind:     hidden_group_size_z
      - .offset:         66
        .size:           2
        .value_kind:     hidden_remainder_x
      - .offset:         68
        .size:           2
        .value_kind:     hidden_remainder_y
      - .offset:         70
        .size:           2
        .value_kind:     hidden_remainder_z
      - .offset:         88
        .size:           8
        .value_kind:     hidden_global_offset_x
      - .offset:         96
        .size:           8
        .value_kind:     hidden_global_offset_y
      - .offset:         104
        .size:           8
        .value_kind:     hidden_global_offset_z
      - .offset:         112
        .size:           2
        .value_kind:     hidden_grid_dims
    .group_segment_fixed_size: 0
    .kernarg_segment_align: 8
    .kernarg_segment_size: 304
    .language:       OpenCL C
    .language_version:
      - 2
      - 0
    .max_flat_workgroup_size: 1024
    .name:           _ZN12_GLOBAL__N_121softmax_warp_backwardIN3c108BFloat16ES2_fLi0ELb1ELb0ELi64EEEvPT0_PKT_S7_iiiPKb
    .private_segment_fixed_size: 0
    .sgpr_count:     18
    .sgpr_spill_count: 0
    .symbol:         _ZN12_GLOBAL__N_121softmax_warp_backwardIN3c108BFloat16ES2_fLi0ELb1ELb0ELi64EEEvPT0_PKT_S7_iiiPKb.kd
    .uniform_work_group_size: 1
    .uses_dynamic_stack: false
    .vgpr_count:     11
    .vgpr_spill_count: 0
    .wavefront_size: 32
    .workgroup_processor_mode: 1
  - .args:
      - .address_space:  global
        .offset:         0
        .size:           8
        .value_kind:     global_buffer
      - .address_space:  global
        .offset:         8
        .size:           8
        .value_kind:     global_buffer
      - .address_space:  global
        .offset:         16
        .size:           8
        .value_kind:     global_buffer
      - .offset:         24
        .size:           4
        .value_kind:     by_value
      - .offset:         28
        .size:           4
        .value_kind:     by_value
      - .offset:         32
        .size:           4
        .value_kind:     by_value
      - .address_space:  global
        .offset:         40
        .size:           8
        .value_kind:     global_buffer
      - .offset:         48
        .size:           4
        .value_kind:     hidden_block_count_x
      - .offset:         52
        .size:           4
        .value_kind:     hidden_block_count_y
      - .offset:         56
        .size:           4
        .value_kind:     hidden_block_count_z
      - .offset:         60
        .size:           2
        .value_kind:     hidden_group_size_x
      - .offset:         62
        .size:           2
        .value_kind:     hidden_group_size_y
      - .offset:         64
        .size:           2
        .value_kind:     hidden_group_size_z
      - .offset:         66
        .size:           2
        .value_kind:     hidden_remainder_x
      - .offset:         68
        .size:           2
        .value_kind:     hidden_remainder_y
      - .offset:         70
        .size:           2
        .value_kind:     hidden_remainder_z
      - .offset:         88
        .size:           8
        .value_kind:     hidden_global_offset_x
      - .offset:         96
        .size:           8
        .value_kind:     hidden_global_offset_y
      - .offset:         104
        .size:           8
        .value_kind:     hidden_global_offset_z
      - .offset:         112
        .size:           2
        .value_kind:     hidden_grid_dims
    .group_segment_fixed_size: 0
    .kernarg_segment_align: 8
    .kernarg_segment_size: 304
    .language:       OpenCL C
    .language_version:
      - 2
      - 0
    .max_flat_workgroup_size: 1024
    .name:           _ZN12_GLOBAL__N_121softmax_warp_backwardIN3c108BFloat16ES2_fLi0ELb1ELb0ELi32EEEvPT0_PKT_S7_iiiPKb
    .private_segment_fixed_size: 0
    .sgpr_count:     18
    .sgpr_spill_count: 0
    .symbol:         _ZN12_GLOBAL__N_121softmax_warp_backwardIN3c108BFloat16ES2_fLi0ELb1ELb0ELi32EEEvPT0_PKT_S7_iiiPKb.kd
    .uniform_work_group_size: 1
    .uses_dynamic_stack: false
    .vgpr_count:     11
    .vgpr_spill_count: 0
    .wavefront_size: 32
    .workgroup_processor_mode: 1
  - .args:
      - .address_space:  global
        .offset:         0
        .size:           8
        .value_kind:     global_buffer
      - .address_space:  global
        .offset:         8
        .size:           8
        .value_kind:     global_buffer
      - .address_space:  global
        .offset:         16
        .size:           8
        .value_kind:     global_buffer
      - .offset:         24
        .size:           4
        .value_kind:     by_value
      - .offset:         28
        .size:           4
        .value_kind:     by_value
      - .offset:         32
        .size:           4
        .value_kind:     by_value
      - .address_space:  global
        .offset:         40
        .size:           8
        .value_kind:     global_buffer
      - .offset:         48
        .size:           4
        .value_kind:     hidden_block_count_x
      - .offset:         52
        .size:           4
        .value_kind:     hidden_block_count_y
      - .offset:         56
        .size:           4
        .value_kind:     hidden_block_count_z
      - .offset:         60
        .size:           2
        .value_kind:     hidden_group_size_x
      - .offset:         62
        .size:           2
        .value_kind:     hidden_group_size_y
      - .offset:         64
        .size:           2
        .value_kind:     hidden_group_size_z
      - .offset:         66
        .size:           2
        .value_kind:     hidden_remainder_x
      - .offset:         68
        .size:           2
        .value_kind:     hidden_remainder_y
      - .offset:         70
        .size:           2
        .value_kind:     hidden_remainder_z
      - .offset:         88
        .size:           8
        .value_kind:     hidden_global_offset_x
      - .offset:         96
        .size:           8
        .value_kind:     hidden_global_offset_y
      - .offset:         104
        .size:           8
        .value_kind:     hidden_global_offset_z
      - .offset:         112
        .size:           2
        .value_kind:     hidden_grid_dims
    .group_segment_fixed_size: 0
    .kernarg_segment_align: 8
    .kernarg_segment_size: 304
    .language:       OpenCL C
    .language_version:
      - 2
      - 0
    .max_flat_workgroup_size: 1024
    .name:           _ZN12_GLOBAL__N_121softmax_warp_backwardIN3c108BFloat16ES2_fLi1ELb1ELb0ELi64EEEvPT0_PKT_S7_iiiPKb
    .private_segment_fixed_size: 0
    .sgpr_count:     18
    .sgpr_spill_count: 0
    .symbol:         _ZN12_GLOBAL__N_121softmax_warp_backwardIN3c108BFloat16ES2_fLi1ELb1ELb0ELi64EEEvPT0_PKT_S7_iiiPKb.kd
    .uniform_work_group_size: 1
    .uses_dynamic_stack: false
    .vgpr_count:     14
    .vgpr_spill_count: 0
    .wavefront_size: 32
    .workgroup_processor_mode: 1
  - .args:
      - .address_space:  global
        .offset:         0
        .size:           8
        .value_kind:     global_buffer
      - .address_space:  global
        .offset:         8
        .size:           8
        .value_kind:     global_buffer
      - .address_space:  global
        .offset:         16
        .size:           8
        .value_kind:     global_buffer
      - .offset:         24
        .size:           4
        .value_kind:     by_value
      - .offset:         28
        .size:           4
        .value_kind:     by_value
      - .offset:         32
        .size:           4
        .value_kind:     by_value
      - .address_space:  global
        .offset:         40
        .size:           8
        .value_kind:     global_buffer
      - .offset:         48
        .size:           4
        .value_kind:     hidden_block_count_x
      - .offset:         52
        .size:           4
        .value_kind:     hidden_block_count_y
      - .offset:         56
        .size:           4
        .value_kind:     hidden_block_count_z
      - .offset:         60
        .size:           2
        .value_kind:     hidden_group_size_x
      - .offset:         62
        .size:           2
        .value_kind:     hidden_group_size_y
      - .offset:         64
        .size:           2
        .value_kind:     hidden_group_size_z
      - .offset:         66
        .size:           2
        .value_kind:     hidden_remainder_x
      - .offset:         68
        .size:           2
        .value_kind:     hidden_remainder_y
      - .offset:         70
        .size:           2
        .value_kind:     hidden_remainder_z
      - .offset:         88
        .size:           8
        .value_kind:     hidden_global_offset_x
      - .offset:         96
        .size:           8
        .value_kind:     hidden_global_offset_y
      - .offset:         104
        .size:           8
        .value_kind:     hidden_global_offset_z
      - .offset:         112
        .size:           2
        .value_kind:     hidden_grid_dims
    .group_segment_fixed_size: 0
    .kernarg_segment_align: 8
    .kernarg_segment_size: 304
    .language:       OpenCL C
    .language_version:
      - 2
      - 0
    .max_flat_workgroup_size: 1024
    .name:           _ZN12_GLOBAL__N_121softmax_warp_backwardIN3c108BFloat16ES2_fLi1ELb1ELb0ELi32EEEvPT0_PKT_S7_iiiPKb
    .private_segment_fixed_size: 0
    .sgpr_count:     18
    .sgpr_spill_count: 0
    .symbol:         _ZN12_GLOBAL__N_121softmax_warp_backwardIN3c108BFloat16ES2_fLi1ELb1ELb0ELi32EEEvPT0_PKT_S7_iiiPKb.kd
    .uniform_work_group_size: 1
    .uses_dynamic_stack: false
    .vgpr_count:     14
    .vgpr_spill_count: 0
    .wavefront_size: 32
    .workgroup_processor_mode: 1
  - .args:
      - .address_space:  global
        .offset:         0
        .size:           8
        .value_kind:     global_buffer
      - .address_space:  global
        .offset:         8
        .size:           8
        .value_kind:     global_buffer
      - .address_space:  global
        .offset:         16
        .size:           8
        .value_kind:     global_buffer
      - .offset:         24
        .size:           4
        .value_kind:     by_value
      - .offset:         28
        .size:           4
        .value_kind:     by_value
      - .offset:         32
        .size:           4
        .value_kind:     by_value
      - .address_space:  global
        .offset:         40
        .size:           8
        .value_kind:     global_buffer
      - .offset:         48
        .size:           4
        .value_kind:     hidden_block_count_x
      - .offset:         52
        .size:           4
        .value_kind:     hidden_block_count_y
      - .offset:         56
        .size:           4
        .value_kind:     hidden_block_count_z
      - .offset:         60
        .size:           2
        .value_kind:     hidden_group_size_x
      - .offset:         62
        .size:           2
        .value_kind:     hidden_group_size_y
      - .offset:         64
        .size:           2
        .value_kind:     hidden_group_size_z
      - .offset:         66
        .size:           2
        .value_kind:     hidden_remainder_x
      - .offset:         68
        .size:           2
        .value_kind:     hidden_remainder_y
      - .offset:         70
        .size:           2
        .value_kind:     hidden_remainder_z
      - .offset:         88
        .size:           8
        .value_kind:     hidden_global_offset_x
      - .offset:         96
        .size:           8
        .value_kind:     hidden_global_offset_y
      - .offset:         104
        .size:           8
        .value_kind:     hidden_global_offset_z
      - .offset:         112
        .size:           2
        .value_kind:     hidden_grid_dims
    .group_segment_fixed_size: 0
    .kernarg_segment_align: 8
    .kernarg_segment_size: 304
    .language:       OpenCL C
    .language_version:
      - 2
      - 0
    .max_flat_workgroup_size: 1024
    .name:           _ZN12_GLOBAL__N_121softmax_warp_backwardIN3c108BFloat16ES2_fLi2ELb1ELb0ELi64EEEvPT0_PKT_S7_iiiPKb
    .private_segment_fixed_size: 0
    .sgpr_count:     18
    .sgpr_spill_count: 0
    .symbol:         _ZN12_GLOBAL__N_121softmax_warp_backwardIN3c108BFloat16ES2_fLi2ELb1ELb0ELi64EEEvPT0_PKT_S7_iiiPKb.kd
    .uniform_work_group_size: 1
    .uses_dynamic_stack: false
    .vgpr_count:     14
    .vgpr_spill_count: 0
    .wavefront_size: 32
    .workgroup_processor_mode: 1
  - .args:
      - .address_space:  global
        .offset:         0
        .size:           8
        .value_kind:     global_buffer
      - .address_space:  global
        .offset:         8
        .size:           8
        .value_kind:     global_buffer
      - .address_space:  global
        .offset:         16
        .size:           8
        .value_kind:     global_buffer
      - .offset:         24
        .size:           4
        .value_kind:     by_value
      - .offset:         28
        .size:           4
        .value_kind:     by_value
      - .offset:         32
        .size:           4
        .value_kind:     by_value
      - .address_space:  global
        .offset:         40
        .size:           8
        .value_kind:     global_buffer
      - .offset:         48
        .size:           4
        .value_kind:     hidden_block_count_x
      - .offset:         52
        .size:           4
        .value_kind:     hidden_block_count_y
      - .offset:         56
        .size:           4
        .value_kind:     hidden_block_count_z
      - .offset:         60
        .size:           2
        .value_kind:     hidden_group_size_x
      - .offset:         62
        .size:           2
        .value_kind:     hidden_group_size_y
      - .offset:         64
        .size:           2
        .value_kind:     hidden_group_size_z
      - .offset:         66
        .size:           2
        .value_kind:     hidden_remainder_x
      - .offset:         68
        .size:           2
        .value_kind:     hidden_remainder_y
      - .offset:         70
        .size:           2
        .value_kind:     hidden_remainder_z
      - .offset:         88
        .size:           8
        .value_kind:     hidden_global_offset_x
      - .offset:         96
        .size:           8
        .value_kind:     hidden_global_offset_y
      - .offset:         104
        .size:           8
        .value_kind:     hidden_global_offset_z
      - .offset:         112
        .size:           2
        .value_kind:     hidden_grid_dims
    .group_segment_fixed_size: 0
    .kernarg_segment_align: 8
    .kernarg_segment_size: 304
    .language:       OpenCL C
    .language_version:
      - 2
      - 0
    .max_flat_workgroup_size: 1024
    .name:           _ZN12_GLOBAL__N_121softmax_warp_backwardIN3c108BFloat16ES2_fLi2ELb1ELb0ELi32EEEvPT0_PKT_S7_iiiPKb
    .private_segment_fixed_size: 0
    .sgpr_count:     18
    .sgpr_spill_count: 0
    .symbol:         _ZN12_GLOBAL__N_121softmax_warp_backwardIN3c108BFloat16ES2_fLi2ELb1ELb0ELi32EEEvPT0_PKT_S7_iiiPKb.kd
    .uniform_work_group_size: 1
    .uses_dynamic_stack: false
    .vgpr_count:     14
    .vgpr_spill_count: 0
    .wavefront_size: 32
    .workgroup_processor_mode: 1
  - .args:
      - .address_space:  global
        .offset:         0
        .size:           8
        .value_kind:     global_buffer
      - .address_space:  global
        .offset:         8
        .size:           8
        .value_kind:     global_buffer
      - .address_space:  global
        .offset:         16
        .size:           8
        .value_kind:     global_buffer
      - .offset:         24
        .size:           4
        .value_kind:     by_value
      - .offset:         28
        .size:           4
        .value_kind:     by_value
      - .offset:         32
        .size:           4
        .value_kind:     by_value
      - .address_space:  global
        .offset:         40
        .size:           8
        .value_kind:     global_buffer
      - .offset:         48
        .size:           4
        .value_kind:     hidden_block_count_x
      - .offset:         52
        .size:           4
        .value_kind:     hidden_block_count_y
      - .offset:         56
        .size:           4
        .value_kind:     hidden_block_count_z
      - .offset:         60
        .size:           2
        .value_kind:     hidden_group_size_x
      - .offset:         62
        .size:           2
        .value_kind:     hidden_group_size_y
      - .offset:         64
        .size:           2
        .value_kind:     hidden_group_size_z
      - .offset:         66
        .size:           2
        .value_kind:     hidden_remainder_x
      - .offset:         68
        .size:           2
        .value_kind:     hidden_remainder_y
      - .offset:         70
        .size:           2
        .value_kind:     hidden_remainder_z
      - .offset:         88
        .size:           8
        .value_kind:     hidden_global_offset_x
      - .offset:         96
        .size:           8
        .value_kind:     hidden_global_offset_y
      - .offset:         104
        .size:           8
        .value_kind:     hidden_global_offset_z
      - .offset:         112
        .size:           2
        .value_kind:     hidden_grid_dims
    .group_segment_fixed_size: 0
    .kernarg_segment_align: 8
    .kernarg_segment_size: 304
    .language:       OpenCL C
    .language_version:
      - 2
      - 0
    .max_flat_workgroup_size: 1024
    .name:           _ZN12_GLOBAL__N_121softmax_warp_backwardIN3c108BFloat16ES2_fLi3ELb1ELb0ELi64EEEvPT0_PKT_S7_iiiPKb
    .private_segment_fixed_size: 0
    .sgpr_count:     18
    .sgpr_spill_count: 0
    .symbol:         _ZN12_GLOBAL__N_121softmax_warp_backwardIN3c108BFloat16ES2_fLi3ELb1ELb0ELi64EEEvPT0_PKT_S7_iiiPKb.kd
    .uniform_work_group_size: 1
    .uses_dynamic_stack: false
    .vgpr_count:     14
    .vgpr_spill_count: 0
    .wavefront_size: 32
    .workgroup_processor_mode: 1
  - .args:
      - .address_space:  global
        .offset:         0
        .size:           8
        .value_kind:     global_buffer
      - .address_space:  global
        .offset:         8
        .size:           8
        .value_kind:     global_buffer
      - .address_space:  global
        .offset:         16
        .size:           8
        .value_kind:     global_buffer
      - .offset:         24
        .size:           4
        .value_kind:     by_value
      - .offset:         28
        .size:           4
        .value_kind:     by_value
      - .offset:         32
        .size:           4
        .value_kind:     by_value
      - .address_space:  global
        .offset:         40
        .size:           8
        .value_kind:     global_buffer
      - .offset:         48
        .size:           4
        .value_kind:     hidden_block_count_x
      - .offset:         52
        .size:           4
        .value_kind:     hidden_block_count_y
      - .offset:         56
        .size:           4
        .value_kind:     hidden_block_count_z
      - .offset:         60
        .size:           2
        .value_kind:     hidden_group_size_x
      - .offset:         62
        .size:           2
        .value_kind:     hidden_group_size_y
      - .offset:         64
        .size:           2
        .value_kind:     hidden_group_size_z
      - .offset:         66
        .size:           2
        .value_kind:     hidden_remainder_x
      - .offset:         68
        .size:           2
        .value_kind:     hidden_remainder_y
      - .offset:         70
        .size:           2
        .value_kind:     hidden_remainder_z
      - .offset:         88
        .size:           8
        .value_kind:     hidden_global_offset_x
      - .offset:         96
        .size:           8
        .value_kind:     hidden_global_offset_y
      - .offset:         104
        .size:           8
        .value_kind:     hidden_global_offset_z
      - .offset:         112
        .size:           2
        .value_kind:     hidden_grid_dims
    .group_segment_fixed_size: 0
    .kernarg_segment_align: 8
    .kernarg_segment_size: 304
    .language:       OpenCL C
    .language_version:
      - 2
      - 0
    .max_flat_workgroup_size: 1024
    .name:           _ZN12_GLOBAL__N_121softmax_warp_backwardIN3c108BFloat16ES2_fLi3ELb1ELb0ELi32EEEvPT0_PKT_S7_iiiPKb
    .private_segment_fixed_size: 0
    .sgpr_count:     18
    .sgpr_spill_count: 0
    .symbol:         _ZN12_GLOBAL__N_121softmax_warp_backwardIN3c108BFloat16ES2_fLi3ELb1ELb0ELi32EEEvPT0_PKT_S7_iiiPKb.kd
    .uniform_work_group_size: 1
    .uses_dynamic_stack: false
    .vgpr_count:     14
    .vgpr_spill_count: 0
    .wavefront_size: 32
    .workgroup_processor_mode: 1
  - .args:
      - .address_space:  global
        .offset:         0
        .size:           8
        .value_kind:     global_buffer
      - .address_space:  global
        .offset:         8
        .size:           8
        .value_kind:     global_buffer
      - .address_space:  global
        .offset:         16
        .size:           8
        .value_kind:     global_buffer
      - .offset:         24
        .size:           4
        .value_kind:     by_value
      - .offset:         28
        .size:           4
        .value_kind:     by_value
      - .offset:         32
        .size:           4
        .value_kind:     by_value
      - .address_space:  global
        .offset:         40
        .size:           8
        .value_kind:     global_buffer
      - .offset:         48
        .size:           4
        .value_kind:     hidden_block_count_x
      - .offset:         52
        .size:           4
        .value_kind:     hidden_block_count_y
      - .offset:         56
        .size:           4
        .value_kind:     hidden_block_count_z
      - .offset:         60
        .size:           2
        .value_kind:     hidden_group_size_x
      - .offset:         62
        .size:           2
        .value_kind:     hidden_group_size_y
      - .offset:         64
        .size:           2
        .value_kind:     hidden_group_size_z
      - .offset:         66
        .size:           2
        .value_kind:     hidden_remainder_x
      - .offset:         68
        .size:           2
        .value_kind:     hidden_remainder_y
      - .offset:         70
        .size:           2
        .value_kind:     hidden_remainder_z
      - .offset:         88
        .size:           8
        .value_kind:     hidden_global_offset_x
      - .offset:         96
        .size:           8
        .value_kind:     hidden_global_offset_y
      - .offset:         104
        .size:           8
        .value_kind:     hidden_global_offset_z
      - .offset:         112
        .size:           2
        .value_kind:     hidden_grid_dims
    .group_segment_fixed_size: 0
    .kernarg_segment_align: 8
    .kernarg_segment_size: 304
    .language:       OpenCL C
    .language_version:
      - 2
      - 0
    .max_flat_workgroup_size: 1024
    .name:           _ZN12_GLOBAL__N_121softmax_warp_backwardIN3c108BFloat16ES2_fLi4ELb1ELb0ELi64EEEvPT0_PKT_S7_iiiPKb
    .private_segment_fixed_size: 0
    .sgpr_count:     18
    .sgpr_spill_count: 0
    .symbol:         _ZN12_GLOBAL__N_121softmax_warp_backwardIN3c108BFloat16ES2_fLi4ELb1ELb0ELi64EEEvPT0_PKT_S7_iiiPKb.kd
    .uniform_work_group_size: 1
    .uses_dynamic_stack: false
    .vgpr_count:     14
    .vgpr_spill_count: 0
    .wavefront_size: 32
    .workgroup_processor_mode: 1
  - .args:
      - .address_space:  global
        .offset:         0
        .size:           8
        .value_kind:     global_buffer
      - .address_space:  global
        .offset:         8
        .size:           8
        .value_kind:     global_buffer
      - .address_space:  global
        .offset:         16
        .size:           8
        .value_kind:     global_buffer
      - .offset:         24
        .size:           4
        .value_kind:     by_value
      - .offset:         28
        .size:           4
        .value_kind:     by_value
      - .offset:         32
        .size:           4
        .value_kind:     by_value
      - .address_space:  global
        .offset:         40
        .size:           8
        .value_kind:     global_buffer
      - .offset:         48
        .size:           4
        .value_kind:     hidden_block_count_x
      - .offset:         52
        .size:           4
        .value_kind:     hidden_block_count_y
      - .offset:         56
        .size:           4
        .value_kind:     hidden_block_count_z
      - .offset:         60
        .size:           2
        .value_kind:     hidden_group_size_x
      - .offset:         62
        .size:           2
        .value_kind:     hidden_group_size_y
      - .offset:         64
        .size:           2
        .value_kind:     hidden_group_size_z
      - .offset:         66
        .size:           2
        .value_kind:     hidden_remainder_x
      - .offset:         68
        .size:           2
        .value_kind:     hidden_remainder_y
      - .offset:         70
        .size:           2
        .value_kind:     hidden_remainder_z
      - .offset:         88
        .size:           8
        .value_kind:     hidden_global_offset_x
      - .offset:         96
        .size:           8
        .value_kind:     hidden_global_offset_y
      - .offset:         104
        .size:           8
        .value_kind:     hidden_global_offset_z
      - .offset:         112
        .size:           2
        .value_kind:     hidden_grid_dims
    .group_segment_fixed_size: 0
    .kernarg_segment_align: 8
    .kernarg_segment_size: 304
    .language:       OpenCL C
    .language_version:
      - 2
      - 0
    .max_flat_workgroup_size: 1024
    .name:           _ZN12_GLOBAL__N_121softmax_warp_backwardIN3c108BFloat16ES2_fLi4ELb1ELb0ELi32EEEvPT0_PKT_S7_iiiPKb
    .private_segment_fixed_size: 0
    .sgpr_count:     18
    .sgpr_spill_count: 0
    .symbol:         _ZN12_GLOBAL__N_121softmax_warp_backwardIN3c108BFloat16ES2_fLi4ELb1ELb0ELi32EEEvPT0_PKT_S7_iiiPKb.kd
    .uniform_work_group_size: 1
    .uses_dynamic_stack: false
    .vgpr_count:     14
    .vgpr_spill_count: 0
    .wavefront_size: 32
    .workgroup_processor_mode: 1
  - .args:
      - .address_space:  global
        .offset:         0
        .size:           8
        .value_kind:     global_buffer
      - .address_space:  global
        .offset:         8
        .size:           8
        .value_kind:     global_buffer
      - .address_space:  global
        .offset:         16
        .size:           8
        .value_kind:     global_buffer
      - .offset:         24
        .size:           4
        .value_kind:     by_value
      - .offset:         28
        .size:           4
        .value_kind:     by_value
      - .offset:         32
        .size:           4
        .value_kind:     by_value
      - .address_space:  global
        .offset:         40
        .size:           8
        .value_kind:     global_buffer
      - .offset:         48
        .size:           4
        .value_kind:     hidden_block_count_x
      - .offset:         52
        .size:           4
        .value_kind:     hidden_block_count_y
      - .offset:         56
        .size:           4
        .value_kind:     hidden_block_count_z
      - .offset:         60
        .size:           2
        .value_kind:     hidden_group_size_x
      - .offset:         62
        .size:           2
        .value_kind:     hidden_group_size_y
      - .offset:         64
        .size:           2
        .value_kind:     hidden_group_size_z
      - .offset:         66
        .size:           2
        .value_kind:     hidden_remainder_x
      - .offset:         68
        .size:           2
        .value_kind:     hidden_remainder_y
      - .offset:         70
        .size:           2
        .value_kind:     hidden_remainder_z
      - .offset:         88
        .size:           8
        .value_kind:     hidden_global_offset_x
      - .offset:         96
        .size:           8
        .value_kind:     hidden_global_offset_y
      - .offset:         104
        .size:           8
        .value_kind:     hidden_global_offset_z
      - .offset:         112
        .size:           2
        .value_kind:     hidden_grid_dims
    .group_segment_fixed_size: 0
    .kernarg_segment_align: 8
    .kernarg_segment_size: 304
    .language:       OpenCL C
    .language_version:
      - 2
      - 0
    .max_flat_workgroup_size: 1024
    .name:           _ZN12_GLOBAL__N_121softmax_warp_backwardIN3c108BFloat16ES2_fLi5ELb1ELb0ELi64EEEvPT0_PKT_S7_iiiPKb
    .private_segment_fixed_size: 0
    .sgpr_count:     18
    .sgpr_spill_count: 0
    .symbol:         _ZN12_GLOBAL__N_121softmax_warp_backwardIN3c108BFloat16ES2_fLi5ELb1ELb0ELi64EEEvPT0_PKT_S7_iiiPKb.kd
    .uniform_work_group_size: 1
    .uses_dynamic_stack: false
    .vgpr_count:     14
    .vgpr_spill_count: 0
    .wavefront_size: 32
    .workgroup_processor_mode: 1
  - .args:
      - .address_space:  global
        .offset:         0
        .size:           8
        .value_kind:     global_buffer
      - .address_space:  global
        .offset:         8
        .size:           8
        .value_kind:     global_buffer
      - .address_space:  global
        .offset:         16
        .size:           8
        .value_kind:     global_buffer
      - .offset:         24
        .size:           4
        .value_kind:     by_value
      - .offset:         28
        .size:           4
        .value_kind:     by_value
      - .offset:         32
        .size:           4
        .value_kind:     by_value
      - .address_space:  global
        .offset:         40
        .size:           8
        .value_kind:     global_buffer
      - .offset:         48
        .size:           4
        .value_kind:     hidden_block_count_x
      - .offset:         52
        .size:           4
        .value_kind:     hidden_block_count_y
      - .offset:         56
        .size:           4
        .value_kind:     hidden_block_count_z
      - .offset:         60
        .size:           2
        .value_kind:     hidden_group_size_x
      - .offset:         62
        .size:           2
        .value_kind:     hidden_group_size_y
      - .offset:         64
        .size:           2
        .value_kind:     hidden_group_size_z
      - .offset:         66
        .size:           2
        .value_kind:     hidden_remainder_x
      - .offset:         68
        .size:           2
        .value_kind:     hidden_remainder_y
      - .offset:         70
        .size:           2
        .value_kind:     hidden_remainder_z
      - .offset:         88
        .size:           8
        .value_kind:     hidden_global_offset_x
      - .offset:         96
        .size:           8
        .value_kind:     hidden_global_offset_y
      - .offset:         104
        .size:           8
        .value_kind:     hidden_global_offset_z
      - .offset:         112
        .size:           2
        .value_kind:     hidden_grid_dims
    .group_segment_fixed_size: 0
    .kernarg_segment_align: 8
    .kernarg_segment_size: 304
    .language:       OpenCL C
    .language_version:
      - 2
      - 0
    .max_flat_workgroup_size: 1024
    .name:           _ZN12_GLOBAL__N_121softmax_warp_backwardIN3c108BFloat16ES2_fLi5ELb1ELb0ELi32EEEvPT0_PKT_S7_iiiPKb
    .private_segment_fixed_size: 0
    .sgpr_count:     18
    .sgpr_spill_count: 0
    .symbol:         _ZN12_GLOBAL__N_121softmax_warp_backwardIN3c108BFloat16ES2_fLi5ELb1ELb0ELi32EEEvPT0_PKT_S7_iiiPKb.kd
    .uniform_work_group_size: 1
    .uses_dynamic_stack: false
    .vgpr_count:     14
    .vgpr_spill_count: 0
    .wavefront_size: 32
    .workgroup_processor_mode: 1
  - .args:
      - .address_space:  global
        .offset:         0
        .size:           8
        .value_kind:     global_buffer
      - .address_space:  global
        .offset:         8
        .size:           8
        .value_kind:     global_buffer
      - .address_space:  global
        .offset:         16
        .size:           8
        .value_kind:     global_buffer
      - .offset:         24
        .size:           4
        .value_kind:     by_value
      - .offset:         28
        .size:           4
        .value_kind:     by_value
      - .offset:         32
        .size:           4
        .value_kind:     by_value
      - .address_space:  global
        .offset:         40
        .size:           8
        .value_kind:     global_buffer
      - .offset:         48
        .size:           4
        .value_kind:     hidden_block_count_x
      - .offset:         52
        .size:           4
        .value_kind:     hidden_block_count_y
      - .offset:         56
        .size:           4
        .value_kind:     hidden_block_count_z
      - .offset:         60
        .size:           2
        .value_kind:     hidden_group_size_x
      - .offset:         62
        .size:           2
        .value_kind:     hidden_group_size_y
      - .offset:         64
        .size:           2
        .value_kind:     hidden_group_size_z
      - .offset:         66
        .size:           2
        .value_kind:     hidden_remainder_x
      - .offset:         68
        .size:           2
        .value_kind:     hidden_remainder_y
      - .offset:         70
        .size:           2
        .value_kind:     hidden_remainder_z
      - .offset:         88
        .size:           8
        .value_kind:     hidden_global_offset_x
      - .offset:         96
        .size:           8
        .value_kind:     hidden_global_offset_y
      - .offset:         104
        .size:           8
        .value_kind:     hidden_global_offset_z
      - .offset:         112
        .size:           2
        .value_kind:     hidden_grid_dims
    .group_segment_fixed_size: 0
    .kernarg_segment_align: 8
    .kernarg_segment_size: 304
    .language:       OpenCL C
    .language_version:
      - 2
      - 0
    .max_flat_workgroup_size: 1024
    .name:           _ZN12_GLOBAL__N_121softmax_warp_backwardIN3c108BFloat16ES2_fLi6ELb1ELb0ELi64EEEvPT0_PKT_S7_iiiPKb
    .private_segment_fixed_size: 0
    .sgpr_count:     18
    .sgpr_spill_count: 0
    .symbol:         _ZN12_GLOBAL__N_121softmax_warp_backwardIN3c108BFloat16ES2_fLi6ELb1ELb0ELi64EEEvPT0_PKT_S7_iiiPKb.kd
    .uniform_work_group_size: 1
    .uses_dynamic_stack: false
    .vgpr_count:     14
    .vgpr_spill_count: 0
    .wavefront_size: 32
    .workgroup_processor_mode: 1
  - .args:
      - .address_space:  global
        .offset:         0
        .size:           8
        .value_kind:     global_buffer
      - .address_space:  global
        .offset:         8
        .size:           8
        .value_kind:     global_buffer
      - .address_space:  global
        .offset:         16
        .size:           8
        .value_kind:     global_buffer
      - .offset:         24
        .size:           4
        .value_kind:     by_value
      - .offset:         28
        .size:           4
        .value_kind:     by_value
      - .offset:         32
        .size:           4
        .value_kind:     by_value
      - .address_space:  global
        .offset:         40
        .size:           8
        .value_kind:     global_buffer
      - .offset:         48
        .size:           4
        .value_kind:     hidden_block_count_x
      - .offset:         52
        .size:           4
        .value_kind:     hidden_block_count_y
      - .offset:         56
        .size:           4
        .value_kind:     hidden_block_count_z
      - .offset:         60
        .size:           2
        .value_kind:     hidden_group_size_x
      - .offset:         62
        .size:           2
        .value_kind:     hidden_group_size_y
      - .offset:         64
        .size:           2
        .value_kind:     hidden_group_size_z
      - .offset:         66
        .size:           2
        .value_kind:     hidden_remainder_x
      - .offset:         68
        .size:           2
        .value_kind:     hidden_remainder_y
      - .offset:         70
        .size:           2
        .value_kind:     hidden_remainder_z
      - .offset:         88
        .size:           8
        .value_kind:     hidden_global_offset_x
      - .offset:         96
        .size:           8
        .value_kind:     hidden_global_offset_y
      - .offset:         104
        .size:           8
        .value_kind:     hidden_global_offset_z
      - .offset:         112
        .size:           2
        .value_kind:     hidden_grid_dims
    .group_segment_fixed_size: 0
    .kernarg_segment_align: 8
    .kernarg_segment_size: 304
    .language:       OpenCL C
    .language_version:
      - 2
      - 0
    .max_flat_workgroup_size: 1024
    .name:           _ZN12_GLOBAL__N_121softmax_warp_backwardIN3c108BFloat16ES2_fLi6ELb1ELb0ELi32EEEvPT0_PKT_S7_iiiPKb
    .private_segment_fixed_size: 0
    .sgpr_count:     18
    .sgpr_spill_count: 0
    .symbol:         _ZN12_GLOBAL__N_121softmax_warp_backwardIN3c108BFloat16ES2_fLi6ELb1ELb0ELi32EEEvPT0_PKT_S7_iiiPKb.kd
    .uniform_work_group_size: 1
    .uses_dynamic_stack: false
    .vgpr_count:     17
    .vgpr_spill_count: 0
    .wavefront_size: 32
    .workgroup_processor_mode: 1
  - .args:
      - .address_space:  global
        .offset:         0
        .size:           8
        .value_kind:     global_buffer
      - .address_space:  global
        .offset:         8
        .size:           8
        .value_kind:     global_buffer
      - .address_space:  global
        .offset:         16
        .size:           8
        .value_kind:     global_buffer
      - .offset:         24
        .size:           4
        .value_kind:     by_value
      - .offset:         28
        .size:           4
        .value_kind:     by_value
      - .offset:         32
        .size:           4
        .value_kind:     by_value
      - .address_space:  global
        .offset:         40
        .size:           8
        .value_kind:     global_buffer
      - .offset:         48
        .size:           4
        .value_kind:     hidden_block_count_x
      - .offset:         52
        .size:           4
        .value_kind:     hidden_block_count_y
      - .offset:         56
        .size:           4
        .value_kind:     hidden_block_count_z
      - .offset:         60
        .size:           2
        .value_kind:     hidden_group_size_x
      - .offset:         62
        .size:           2
        .value_kind:     hidden_group_size_y
      - .offset:         64
        .size:           2
        .value_kind:     hidden_group_size_z
      - .offset:         66
        .size:           2
        .value_kind:     hidden_remainder_x
      - .offset:         68
        .size:           2
        .value_kind:     hidden_remainder_y
      - .offset:         70
        .size:           2
        .value_kind:     hidden_remainder_z
      - .offset:         88
        .size:           8
        .value_kind:     hidden_global_offset_x
      - .offset:         96
        .size:           8
        .value_kind:     hidden_global_offset_y
      - .offset:         104
        .size:           8
        .value_kind:     hidden_global_offset_z
      - .offset:         112
        .size:           2
        .value_kind:     hidden_grid_dims
    .group_segment_fixed_size: 0
    .kernarg_segment_align: 8
    .kernarg_segment_size: 304
    .language:       OpenCL C
    .language_version:
      - 2
      - 0
    .max_flat_workgroup_size: 1024
    .name:           _ZN12_GLOBAL__N_121softmax_warp_backwardIN3c108BFloat16ES2_fLi7ELb1ELb0ELi64EEEvPT0_PKT_S7_iiiPKb
    .private_segment_fixed_size: 0
    .sgpr_count:     18
    .sgpr_spill_count: 0
    .symbol:         _ZN12_GLOBAL__N_121softmax_warp_backwardIN3c108BFloat16ES2_fLi7ELb1ELb0ELi64EEEvPT0_PKT_S7_iiiPKb.kd
    .uniform_work_group_size: 1
    .uses_dynamic_stack: false
    .vgpr_count:     17
    .vgpr_spill_count: 0
    .wavefront_size: 32
    .workgroup_processor_mode: 1
  - .args:
      - .address_space:  global
        .offset:         0
        .size:           8
        .value_kind:     global_buffer
      - .address_space:  global
        .offset:         8
        .size:           8
        .value_kind:     global_buffer
      - .address_space:  global
        .offset:         16
        .size:           8
        .value_kind:     global_buffer
      - .offset:         24
        .size:           4
        .value_kind:     by_value
      - .offset:         28
        .size:           4
        .value_kind:     by_value
      - .offset:         32
        .size:           4
        .value_kind:     by_value
      - .address_space:  global
        .offset:         40
        .size:           8
        .value_kind:     global_buffer
      - .offset:         48
        .size:           4
        .value_kind:     hidden_block_count_x
      - .offset:         52
        .size:           4
        .value_kind:     hidden_block_count_y
      - .offset:         56
        .size:           4
        .value_kind:     hidden_block_count_z
      - .offset:         60
        .size:           2
        .value_kind:     hidden_group_size_x
      - .offset:         62
        .size:           2
        .value_kind:     hidden_group_size_y
      - .offset:         64
        .size:           2
        .value_kind:     hidden_group_size_z
      - .offset:         66
        .size:           2
        .value_kind:     hidden_remainder_x
      - .offset:         68
        .size:           2
        .value_kind:     hidden_remainder_y
      - .offset:         70
        .size:           2
        .value_kind:     hidden_remainder_z
      - .offset:         88
        .size:           8
        .value_kind:     hidden_global_offset_x
      - .offset:         96
        .size:           8
        .value_kind:     hidden_global_offset_y
      - .offset:         104
        .size:           8
        .value_kind:     hidden_global_offset_z
      - .offset:         112
        .size:           2
        .value_kind:     hidden_grid_dims
    .group_segment_fixed_size: 0
    .kernarg_segment_align: 8
    .kernarg_segment_size: 304
    .language:       OpenCL C
    .language_version:
      - 2
      - 0
    .max_flat_workgroup_size: 1024
    .name:           _ZN12_GLOBAL__N_121softmax_warp_backwardIN3c108BFloat16ES2_fLi7ELb1ELb0ELi32EEEvPT0_PKT_S7_iiiPKb
    .private_segment_fixed_size: 0
    .sgpr_count:     18
    .sgpr_spill_count: 0
    .symbol:         _ZN12_GLOBAL__N_121softmax_warp_backwardIN3c108BFloat16ES2_fLi7ELb1ELb0ELi32EEEvPT0_PKT_S7_iiiPKb.kd
    .uniform_work_group_size: 1
    .uses_dynamic_stack: false
    .vgpr_count:     25
    .vgpr_spill_count: 0
    .wavefront_size: 32
    .workgroup_processor_mode: 1
  - .args:
      - .address_space:  global
        .offset:         0
        .size:           8
        .value_kind:     global_buffer
      - .address_space:  global
        .offset:         8
        .size:           8
        .value_kind:     global_buffer
      - .address_space:  global
        .offset:         16
        .size:           8
        .value_kind:     global_buffer
      - .offset:         24
        .size:           4
        .value_kind:     by_value
      - .offset:         28
        .size:           4
        .value_kind:     by_value
      - .offset:         32
        .size:           4
        .value_kind:     by_value
      - .address_space:  global
        .offset:         40
        .size:           8
        .value_kind:     global_buffer
      - .offset:         48
        .size:           4
        .value_kind:     hidden_block_count_x
      - .offset:         52
        .size:           4
        .value_kind:     hidden_block_count_y
      - .offset:         56
        .size:           4
        .value_kind:     hidden_block_count_z
      - .offset:         60
        .size:           2
        .value_kind:     hidden_group_size_x
      - .offset:         62
        .size:           2
        .value_kind:     hidden_group_size_y
      - .offset:         64
        .size:           2
        .value_kind:     hidden_group_size_z
      - .offset:         66
        .size:           2
        .value_kind:     hidden_remainder_x
      - .offset:         68
        .size:           2
        .value_kind:     hidden_remainder_y
      - .offset:         70
        .size:           2
        .value_kind:     hidden_remainder_z
      - .offset:         88
        .size:           8
        .value_kind:     hidden_global_offset_x
      - .offset:         96
        .size:           8
        .value_kind:     hidden_global_offset_y
      - .offset:         104
        .size:           8
        .value_kind:     hidden_global_offset_z
      - .offset:         112
        .size:           2
        .value_kind:     hidden_grid_dims
    .group_segment_fixed_size: 0
    .kernarg_segment_align: 8
    .kernarg_segment_size: 304
    .language:       OpenCL C
    .language_version:
      - 2
      - 0
    .max_flat_workgroup_size: 1024
    .name:           _ZN12_GLOBAL__N_121softmax_warp_backwardIN3c108BFloat16ES2_fLi8ELb1ELb0ELi64EEEvPT0_PKT_S7_iiiPKb
    .private_segment_fixed_size: 0
    .sgpr_count:     18
    .sgpr_spill_count: 0
    .symbol:         _ZN12_GLOBAL__N_121softmax_warp_backwardIN3c108BFloat16ES2_fLi8ELb1ELb0ELi64EEEvPT0_PKT_S7_iiiPKb.kd
    .uniform_work_group_size: 1
    .uses_dynamic_stack: false
    .vgpr_count:     15
    .vgpr_spill_count: 0
    .wavefront_size: 32
    .workgroup_processor_mode: 1
  - .args:
      - .address_space:  global
        .offset:         0
        .size:           8
        .value_kind:     global_buffer
      - .address_space:  global
        .offset:         8
        .size:           8
        .value_kind:     global_buffer
      - .address_space:  global
        .offset:         16
        .size:           8
        .value_kind:     global_buffer
      - .offset:         24
        .size:           4
        .value_kind:     by_value
      - .offset:         28
        .size:           4
        .value_kind:     by_value
      - .offset:         32
        .size:           4
        .value_kind:     by_value
      - .address_space:  global
        .offset:         40
        .size:           8
        .value_kind:     global_buffer
      - .offset:         48
        .size:           4
        .value_kind:     hidden_block_count_x
      - .offset:         52
        .size:           4
        .value_kind:     hidden_block_count_y
      - .offset:         56
        .size:           4
        .value_kind:     hidden_block_count_z
      - .offset:         60
        .size:           2
        .value_kind:     hidden_group_size_x
      - .offset:         62
        .size:           2
        .value_kind:     hidden_group_size_y
      - .offset:         64
        .size:           2
        .value_kind:     hidden_group_size_z
      - .offset:         66
        .size:           2
        .value_kind:     hidden_remainder_x
      - .offset:         68
        .size:           2
        .value_kind:     hidden_remainder_y
      - .offset:         70
        .size:           2
        .value_kind:     hidden_remainder_z
      - .offset:         88
        .size:           8
        .value_kind:     hidden_global_offset_x
      - .offset:         96
        .size:           8
        .value_kind:     hidden_global_offset_y
      - .offset:         104
        .size:           8
        .value_kind:     hidden_global_offset_z
      - .offset:         112
        .size:           2
        .value_kind:     hidden_grid_dims
    .group_segment_fixed_size: 0
    .kernarg_segment_align: 8
    .kernarg_segment_size: 304
    .language:       OpenCL C
    .language_version:
      - 2
      - 0
    .max_flat_workgroup_size: 1024
    .name:           _ZN12_GLOBAL__N_121softmax_warp_backwardIN3c108BFloat16ES2_fLi8ELb1ELb0ELi32EEEvPT0_PKT_S7_iiiPKb
    .private_segment_fixed_size: 0
    .sgpr_count:     22
    .sgpr_spill_count: 0
    .symbol:         _ZN12_GLOBAL__N_121softmax_warp_backwardIN3c108BFloat16ES2_fLi8ELb1ELb0ELi32EEEvPT0_PKT_S7_iiiPKb.kd
    .uniform_work_group_size: 1
    .uses_dynamic_stack: false
    .vgpr_count:     23
    .vgpr_spill_count: 0
    .wavefront_size: 32
    .workgroup_processor_mode: 1
  - .args:
      - .address_space:  global
        .offset:         0
        .size:           8
        .value_kind:     global_buffer
      - .address_space:  global
        .offset:         8
        .size:           8
        .value_kind:     global_buffer
      - .address_space:  global
        .offset:         16
        .size:           8
        .value_kind:     global_buffer
      - .offset:         24
        .size:           4
        .value_kind:     by_value
      - .offset:         28
        .size:           4
        .value_kind:     by_value
      - .offset:         32
        .size:           4
        .value_kind:     by_value
      - .address_space:  global
        .offset:         40
        .size:           8
        .value_kind:     global_buffer
      - .offset:         48
        .size:           4
        .value_kind:     hidden_block_count_x
      - .offset:         52
        .size:           4
        .value_kind:     hidden_block_count_y
      - .offset:         56
        .size:           4
        .value_kind:     hidden_block_count_z
      - .offset:         60
        .size:           2
        .value_kind:     hidden_group_size_x
      - .offset:         62
        .size:           2
        .value_kind:     hidden_group_size_y
      - .offset:         64
        .size:           2
        .value_kind:     hidden_group_size_z
      - .offset:         66
        .size:           2
        .value_kind:     hidden_remainder_x
      - .offset:         68
        .size:           2
        .value_kind:     hidden_remainder_y
      - .offset:         70
        .size:           2
        .value_kind:     hidden_remainder_z
      - .offset:         88
        .size:           8
        .value_kind:     hidden_global_offset_x
      - .offset:         96
        .size:           8
        .value_kind:     hidden_global_offset_y
      - .offset:         104
        .size:           8
        .value_kind:     hidden_global_offset_z
      - .offset:         112
        .size:           2
        .value_kind:     hidden_grid_dims
    .group_segment_fixed_size: 0
    .kernarg_segment_align: 8
    .kernarg_segment_size: 304
    .language:       OpenCL C
    .language_version:
      - 2
      - 0
    .max_flat_workgroup_size: 1024
    .name:           _ZN12_GLOBAL__N_121softmax_warp_backwardIN3c108BFloat16ES2_fLi9ELb1ELb0ELi64EEEvPT0_PKT_S7_iiiPKb
    .private_segment_fixed_size: 0
    .sgpr_count:     22
    .sgpr_spill_count: 0
    .symbol:         _ZN12_GLOBAL__N_121softmax_warp_backwardIN3c108BFloat16ES2_fLi9ELb1ELb0ELi64EEEvPT0_PKT_S7_iiiPKb.kd
    .uniform_work_group_size: 1
    .uses_dynamic_stack: false
    .vgpr_count:     23
    .vgpr_spill_count: 0
    .wavefront_size: 32
    .workgroup_processor_mode: 1
  - .args:
      - .address_space:  global
        .offset:         0
        .size:           8
        .value_kind:     global_buffer
      - .address_space:  global
        .offset:         8
        .size:           8
        .value_kind:     global_buffer
      - .address_space:  global
        .offset:         16
        .size:           8
        .value_kind:     global_buffer
      - .offset:         24
        .size:           4
        .value_kind:     by_value
      - .offset:         28
        .size:           4
        .value_kind:     by_value
      - .offset:         32
        .size:           4
        .value_kind:     by_value
      - .address_space:  global
        .offset:         40
        .size:           8
        .value_kind:     global_buffer
      - .offset:         48
        .size:           4
        .value_kind:     hidden_block_count_x
      - .offset:         52
        .size:           4
        .value_kind:     hidden_block_count_y
      - .offset:         56
        .size:           4
        .value_kind:     hidden_block_count_z
      - .offset:         60
        .size:           2
        .value_kind:     hidden_group_size_x
      - .offset:         62
        .size:           2
        .value_kind:     hidden_group_size_y
      - .offset:         64
        .size:           2
        .value_kind:     hidden_group_size_z
      - .offset:         66
        .size:           2
        .value_kind:     hidden_remainder_x
      - .offset:         68
        .size:           2
        .value_kind:     hidden_remainder_y
      - .offset:         70
        .size:           2
        .value_kind:     hidden_remainder_z
      - .offset:         88
        .size:           8
        .value_kind:     hidden_global_offset_x
      - .offset:         96
        .size:           8
        .value_kind:     hidden_global_offset_y
      - .offset:         104
        .size:           8
        .value_kind:     hidden_global_offset_z
      - .offset:         112
        .size:           2
        .value_kind:     hidden_grid_dims
    .group_segment_fixed_size: 0
    .kernarg_segment_align: 8
    .kernarg_segment_size: 304
    .language:       OpenCL C
    .language_version:
      - 2
      - 0
    .max_flat_workgroup_size: 1024
    .name:           _ZN12_GLOBAL__N_121softmax_warp_backwardIN3c108BFloat16ES2_fLi9ELb1ELb0ELi32EEEvPT0_PKT_S7_iiiPKb
    .private_segment_fixed_size: 0
    .sgpr_count:     26
    .sgpr_spill_count: 0
    .symbol:         _ZN12_GLOBAL__N_121softmax_warp_backwardIN3c108BFloat16ES2_fLi9ELb1ELb0ELi32EEEvPT0_PKT_S7_iiiPKb.kd
    .uniform_work_group_size: 1
    .uses_dynamic_stack: false
    .vgpr_count:     39
    .vgpr_spill_count: 0
    .wavefront_size: 32
    .workgroup_processor_mode: 1
  - .args:
      - .address_space:  global
        .offset:         0
        .size:           8
        .value_kind:     global_buffer
      - .address_space:  global
        .offset:         8
        .size:           8
        .value_kind:     global_buffer
      - .address_space:  global
        .offset:         16
        .size:           8
        .value_kind:     global_buffer
      - .offset:         24
        .size:           4
        .value_kind:     by_value
      - .offset:         28
        .size:           4
        .value_kind:     by_value
      - .offset:         32
        .size:           4
        .value_kind:     by_value
      - .address_space:  global
        .offset:         40
        .size:           8
        .value_kind:     global_buffer
      - .offset:         48
        .size:           4
        .value_kind:     hidden_block_count_x
      - .offset:         52
        .size:           4
        .value_kind:     hidden_block_count_y
      - .offset:         56
        .size:           4
        .value_kind:     hidden_block_count_z
      - .offset:         60
        .size:           2
        .value_kind:     hidden_group_size_x
      - .offset:         62
        .size:           2
        .value_kind:     hidden_group_size_y
      - .offset:         64
        .size:           2
        .value_kind:     hidden_group_size_z
      - .offset:         66
        .size:           2
        .value_kind:     hidden_remainder_x
      - .offset:         68
        .size:           2
        .value_kind:     hidden_remainder_y
      - .offset:         70
        .size:           2
        .value_kind:     hidden_remainder_z
      - .offset:         88
        .size:           8
        .value_kind:     hidden_global_offset_x
      - .offset:         96
        .size:           8
        .value_kind:     hidden_global_offset_y
      - .offset:         104
        .size:           8
        .value_kind:     hidden_global_offset_z
      - .offset:         112
        .size:           2
        .value_kind:     hidden_grid_dims
    .group_segment_fixed_size: 0
    .kernarg_segment_align: 8
    .kernarg_segment_size: 304
    .language:       OpenCL C
    .language_version:
      - 2
      - 0
    .max_flat_workgroup_size: 1024
    .name:           _ZN12_GLOBAL__N_121softmax_warp_backwardIN3c108BFloat16ES2_fLi10ELb1ELb0ELi64EEEvPT0_PKT_S7_iiiPKb
    .private_segment_fixed_size: 0
    .sgpr_count:     26
    .sgpr_spill_count: 0
    .symbol:         _ZN12_GLOBAL__N_121softmax_warp_backwardIN3c108BFloat16ES2_fLi10ELb1ELb0ELi64EEEvPT0_PKT_S7_iiiPKb.kd
    .uniform_work_group_size: 1
    .uses_dynamic_stack: false
    .vgpr_count:     39
    .vgpr_spill_count: 0
    .wavefront_size: 32
    .workgroup_processor_mode: 1
  - .args:
      - .address_space:  global
        .offset:         0
        .size:           8
        .value_kind:     global_buffer
      - .address_space:  global
        .offset:         8
        .size:           8
        .value_kind:     global_buffer
      - .address_space:  global
        .offset:         16
        .size:           8
        .value_kind:     global_buffer
      - .offset:         24
        .size:           4
        .value_kind:     by_value
      - .offset:         28
        .size:           4
        .value_kind:     by_value
      - .offset:         32
        .size:           4
        .value_kind:     by_value
      - .address_space:  global
        .offset:         40
        .size:           8
        .value_kind:     global_buffer
      - .offset:         48
        .size:           4
        .value_kind:     hidden_block_count_x
      - .offset:         52
        .size:           4
        .value_kind:     hidden_block_count_y
      - .offset:         56
        .size:           4
        .value_kind:     hidden_block_count_z
      - .offset:         60
        .size:           2
        .value_kind:     hidden_group_size_x
      - .offset:         62
        .size:           2
        .value_kind:     hidden_group_size_y
      - .offset:         64
        .size:           2
        .value_kind:     hidden_group_size_z
      - .offset:         66
        .size:           2
        .value_kind:     hidden_remainder_x
      - .offset:         68
        .size:           2
        .value_kind:     hidden_remainder_y
      - .offset:         70
        .size:           2
        .value_kind:     hidden_remainder_z
      - .offset:         88
        .size:           8
        .value_kind:     hidden_global_offset_x
      - .offset:         96
        .size:           8
        .value_kind:     hidden_global_offset_y
      - .offset:         104
        .size:           8
        .value_kind:     hidden_global_offset_z
      - .offset:         112
        .size:           2
        .value_kind:     hidden_grid_dims
    .group_segment_fixed_size: 0
    .kernarg_segment_align: 8
    .kernarg_segment_size: 304
    .language:       OpenCL C
    .language_version:
      - 2
      - 0
    .max_flat_workgroup_size: 1024
    .name:           _ZN12_GLOBAL__N_121softmax_warp_backwardIN3c108BFloat16ES2_fLi10ELb1ELb0ELi32EEEvPT0_PKT_S7_iiiPKb
    .private_segment_fixed_size: 0
    .sgpr_count:     46
    .sgpr_spill_count: 0
    .symbol:         _ZN12_GLOBAL__N_121softmax_warp_backwardIN3c108BFloat16ES2_fLi10ELb1ELb0ELi32EEEvPT0_PKT_S7_iiiPKb.kd
    .uniform_work_group_size: 1
    .uses_dynamic_stack: false
    .vgpr_count:     71
    .vgpr_spill_count: 0
    .wavefront_size: 32
    .workgroup_processor_mode: 1
  - .args:
      - .address_space:  global
        .offset:         0
        .size:           8
        .value_kind:     global_buffer
      - .address_space:  global
        .offset:         8
        .size:           8
        .value_kind:     global_buffer
      - .address_space:  global
        .offset:         16
        .size:           8
        .value_kind:     global_buffer
      - .offset:         24
        .size:           8
        .value_kind:     by_value
      - .offset:         32
        .size:           4
        .value_kind:     hidden_block_count_x
      - .offset:         36
        .size:           4
        .value_kind:     hidden_block_count_y
      - .offset:         40
        .size:           4
        .value_kind:     hidden_block_count_z
      - .offset:         44
        .size:           2
        .value_kind:     hidden_group_size_x
      - .offset:         46
        .size:           2
        .value_kind:     hidden_group_size_y
      - .offset:         48
        .size:           2
        .value_kind:     hidden_group_size_z
      - .offset:         50
        .size:           2
        .value_kind:     hidden_remainder_x
      - .offset:         52
        .size:           2
        .value_kind:     hidden_remainder_y
      - .offset:         54
        .size:           2
        .value_kind:     hidden_remainder_z
      - .offset:         72
        .size:           8
        .value_kind:     hidden_global_offset_x
      - .offset:         80
        .size:           8
        .value_kind:     hidden_global_offset_y
      - .offset:         88
        .size:           8
        .value_kind:     hidden_global_offset_z
      - .offset:         96
        .size:           2
        .value_kind:     hidden_grid_dims
      - .offset:         152
        .size:           4
        .value_kind:     hidden_dynamic_lds_size
    .group_segment_fixed_size: 0
    .kernarg_segment_align: 8
    .kernarg_segment_size: 288
    .language:       OpenCL C
    .language_version:
      - 2
      - 0
    .max_flat_workgroup_size: 1024
    .name:           _ZN2at6native12_GLOBAL__N_124cunn_SoftMaxBackwardSmemILi8EN3c108BFloat16EfS4_NS1_26LogSoftMaxBackwardEpilogueEEEvPT0_PKT2_SA_l
    .private_segment_fixed_size: 0
    .sgpr_count:     21
    .sgpr_spill_count: 0
    .symbol:         _ZN2at6native12_GLOBAL__N_124cunn_SoftMaxBackwardSmemILi8EN3c108BFloat16EfS4_NS1_26LogSoftMaxBackwardEpilogueEEEvPT0_PKT2_SA_l.kd
    .uniform_work_group_size: 1
    .uses_dynamic_stack: false
    .vgpr_count:     46
    .vgpr_spill_count: 0
    .wavefront_size: 32
    .workgroup_processor_mode: 1
  - .args:
      - .address_space:  global
        .offset:         0
        .size:           8
        .value_kind:     global_buffer
      - .address_space:  global
        .offset:         8
        .size:           8
        .value_kind:     global_buffer
      - .address_space:  global
        .offset:         16
        .size:           8
        .value_kind:     global_buffer
      - .offset:         24
        .size:           8
        .value_kind:     by_value
      - .offset:         32
        .size:           4
        .value_kind:     hidden_block_count_x
      - .offset:         36
        .size:           4
        .value_kind:     hidden_block_count_y
      - .offset:         40
        .size:           4
        .value_kind:     hidden_block_count_z
      - .offset:         44
        .size:           2
        .value_kind:     hidden_group_size_x
      - .offset:         46
        .size:           2
        .value_kind:     hidden_group_size_y
      - .offset:         48
        .size:           2
        .value_kind:     hidden_group_size_z
      - .offset:         50
        .size:           2
        .value_kind:     hidden_remainder_x
      - .offset:         52
        .size:           2
        .value_kind:     hidden_remainder_y
      - .offset:         54
        .size:           2
        .value_kind:     hidden_remainder_z
      - .offset:         72
        .size:           8
        .value_kind:     hidden_global_offset_x
      - .offset:         80
        .size:           8
        .value_kind:     hidden_global_offset_y
      - .offset:         88
        .size:           8
        .value_kind:     hidden_global_offset_z
      - .offset:         96
        .size:           2
        .value_kind:     hidden_grid_dims
      - .offset:         152
        .size:           4
        .value_kind:     hidden_dynamic_lds_size
    .group_segment_fixed_size: 0
    .kernarg_segment_align: 8
    .kernarg_segment_size: 288
    .language:       OpenCL C
    .language_version:
      - 2
      - 0
    .max_flat_workgroup_size: 1024
    .name:           _ZN2at6native12_GLOBAL__N_120cunn_SoftMaxBackwardILi8EN3c108BFloat16EfS4_NS1_26LogSoftMaxBackwardEpilogueEEEvPT0_PKT2_SA_l
    .private_segment_fixed_size: 0
    .sgpr_count:     42
    .sgpr_spill_count: 0
    .symbol:         _ZN2at6native12_GLOBAL__N_120cunn_SoftMaxBackwardILi8EN3c108BFloat16EfS4_NS1_26LogSoftMaxBackwardEpilogueEEEvPT0_PKT2_SA_l.kd
    .uniform_work_group_size: 1
    .uses_dynamic_stack: false
    .vgpr_count:     60
    .vgpr_spill_count: 0
    .wavefront_size: 32
    .workgroup_processor_mode: 1
  - .args:
      - .address_space:  global
        .offset:         0
        .size:           8
        .value_kind:     global_buffer
      - .address_space:  global
        .offset:         8
        .size:           8
        .value_kind:     global_buffer
      - .address_space:  global
        .offset:         16
        .size:           8
        .value_kind:     global_buffer
      - .offset:         24
        .size:           4
        .value_kind:     by_value
      - .offset:         28
        .size:           4
        .value_kind:     by_value
      - .offset:         32
        .size:           4
        .value_kind:     by_value
      - .address_space:  global
        .offset:         40
        .size:           8
        .value_kind:     global_buffer
      - .offset:         48
        .size:           4
        .value_kind:     hidden_block_count_x
      - .offset:         52
        .size:           4
        .value_kind:     hidden_block_count_y
      - .offset:         56
        .size:           4
        .value_kind:     hidden_block_count_z
      - .offset:         60
        .size:           2
        .value_kind:     hidden_group_size_x
      - .offset:         62
        .size:           2
        .value_kind:     hidden_group_size_y
      - .offset:         64
        .size:           2
        .value_kind:     hidden_group_size_z
      - .offset:         66
        .size:           2
        .value_kind:     hidden_remainder_x
      - .offset:         68
        .size:           2
        .value_kind:     hidden_remainder_y
      - .offset:         70
        .size:           2
        .value_kind:     hidden_remainder_z
      - .offset:         88
        .size:           8
        .value_kind:     hidden_global_offset_x
      - .offset:         96
        .size:           8
        .value_kind:     hidden_global_offset_y
      - .offset:         104
        .size:           8
        .value_kind:     hidden_global_offset_z
      - .offset:         112
        .size:           2
        .value_kind:     hidden_grid_dims
    .group_segment_fixed_size: 0
    .kernarg_segment_align: 8
    .kernarg_segment_size: 304
    .language:       OpenCL C
    .language_version:
      - 2
      - 0
    .max_flat_workgroup_size: 1024
    .name:           _ZN12_GLOBAL__N_121softmax_warp_backwardIfN3c108BFloat16EfLi0ELb1ELb0ELi64EEEvPT0_PKT_S7_iiiPKb
    .private_segment_fixed_size: 0
    .sgpr_count:     18
    .sgpr_spill_count: 0
    .symbol:         _ZN12_GLOBAL__N_121softmax_warp_backwardIfN3c108BFloat16EfLi0ELb1ELb0ELi64EEEvPT0_PKT_S7_iiiPKb.kd
    .uniform_work_group_size: 1
    .uses_dynamic_stack: false
    .vgpr_count:     11
    .vgpr_spill_count: 0
    .wavefront_size: 32
    .workgroup_processor_mode: 1
  - .args:
      - .address_space:  global
        .offset:         0
        .size:           8
        .value_kind:     global_buffer
      - .address_space:  global
        .offset:         8
        .size:           8
        .value_kind:     global_buffer
      - .address_space:  global
        .offset:         16
        .size:           8
        .value_kind:     global_buffer
      - .offset:         24
        .size:           4
        .value_kind:     by_value
      - .offset:         28
        .size:           4
        .value_kind:     by_value
      - .offset:         32
        .size:           4
        .value_kind:     by_value
      - .address_space:  global
        .offset:         40
        .size:           8
        .value_kind:     global_buffer
      - .offset:         48
        .size:           4
        .value_kind:     hidden_block_count_x
      - .offset:         52
        .size:           4
        .value_kind:     hidden_block_count_y
      - .offset:         56
        .size:           4
        .value_kind:     hidden_block_count_z
      - .offset:         60
        .size:           2
        .value_kind:     hidden_group_size_x
      - .offset:         62
        .size:           2
        .value_kind:     hidden_group_size_y
      - .offset:         64
        .size:           2
        .value_kind:     hidden_group_size_z
      - .offset:         66
        .size:           2
        .value_kind:     hidden_remainder_x
      - .offset:         68
        .size:           2
        .value_kind:     hidden_remainder_y
      - .offset:         70
        .size:           2
        .value_kind:     hidden_remainder_z
      - .offset:         88
        .size:           8
        .value_kind:     hidden_global_offset_x
      - .offset:         96
        .size:           8
        .value_kind:     hidden_global_offset_y
      - .offset:         104
        .size:           8
        .value_kind:     hidden_global_offset_z
      - .offset:         112
        .size:           2
        .value_kind:     hidden_grid_dims
    .group_segment_fixed_size: 0
    .kernarg_segment_align: 8
    .kernarg_segment_size: 304
    .language:       OpenCL C
    .language_version:
      - 2
      - 0
    .max_flat_workgroup_size: 1024
    .name:           _ZN12_GLOBAL__N_121softmax_warp_backwardIfN3c108BFloat16EfLi0ELb1ELb0ELi32EEEvPT0_PKT_S7_iiiPKb
    .private_segment_fixed_size: 0
    .sgpr_count:     18
    .sgpr_spill_count: 0
    .symbol:         _ZN12_GLOBAL__N_121softmax_warp_backwardIfN3c108BFloat16EfLi0ELb1ELb0ELi32EEEvPT0_PKT_S7_iiiPKb.kd
    .uniform_work_group_size: 1
    .uses_dynamic_stack: false
    .vgpr_count:     11
    .vgpr_spill_count: 0
    .wavefront_size: 32
    .workgroup_processor_mode: 1
  - .args:
      - .address_space:  global
        .offset:         0
        .size:           8
        .value_kind:     global_buffer
      - .address_space:  global
        .offset:         8
        .size:           8
        .value_kind:     global_buffer
      - .address_space:  global
        .offset:         16
        .size:           8
        .value_kind:     global_buffer
      - .offset:         24
        .size:           4
        .value_kind:     by_value
      - .offset:         28
        .size:           4
        .value_kind:     by_value
      - .offset:         32
        .size:           4
        .value_kind:     by_value
      - .address_space:  global
        .offset:         40
        .size:           8
        .value_kind:     global_buffer
      - .offset:         48
        .size:           4
        .value_kind:     hidden_block_count_x
      - .offset:         52
        .size:           4
        .value_kind:     hidden_block_count_y
      - .offset:         56
        .size:           4
        .value_kind:     hidden_block_count_z
      - .offset:         60
        .size:           2
        .value_kind:     hidden_group_size_x
      - .offset:         62
        .size:           2
        .value_kind:     hidden_group_size_y
      - .offset:         64
        .size:           2
        .value_kind:     hidden_group_size_z
      - .offset:         66
        .size:           2
        .value_kind:     hidden_remainder_x
      - .offset:         68
        .size:           2
        .value_kind:     hidden_remainder_y
      - .offset:         70
        .size:           2
        .value_kind:     hidden_remainder_z
      - .offset:         88
        .size:           8
        .value_kind:     hidden_global_offset_x
      - .offset:         96
        .size:           8
        .value_kind:     hidden_global_offset_y
      - .offset:         104
        .size:           8
        .value_kind:     hidden_global_offset_z
      - .offset:         112
        .size:           2
        .value_kind:     hidden_grid_dims
    .group_segment_fixed_size: 0
    .kernarg_segment_align: 8
    .kernarg_segment_size: 304
    .language:       OpenCL C
    .language_version:
      - 2
      - 0
    .max_flat_workgroup_size: 1024
    .name:           _ZN12_GLOBAL__N_121softmax_warp_backwardIfN3c108BFloat16EfLi1ELb1ELb0ELi64EEEvPT0_PKT_S7_iiiPKb
    .private_segment_fixed_size: 0
    .sgpr_count:     18
    .sgpr_spill_count: 0
    .symbol:         _ZN12_GLOBAL__N_121softmax_warp_backwardIfN3c108BFloat16EfLi1ELb1ELb0ELi64EEEvPT0_PKT_S7_iiiPKb.kd
    .uniform_work_group_size: 1
    .uses_dynamic_stack: false
    .vgpr_count:     14
    .vgpr_spill_count: 0
    .wavefront_size: 32
    .workgroup_processor_mode: 1
  - .args:
      - .address_space:  global
        .offset:         0
        .size:           8
        .value_kind:     global_buffer
      - .address_space:  global
        .offset:         8
        .size:           8
        .value_kind:     global_buffer
      - .address_space:  global
        .offset:         16
        .size:           8
        .value_kind:     global_buffer
      - .offset:         24
        .size:           4
        .value_kind:     by_value
      - .offset:         28
        .size:           4
        .value_kind:     by_value
      - .offset:         32
        .size:           4
        .value_kind:     by_value
      - .address_space:  global
        .offset:         40
        .size:           8
        .value_kind:     global_buffer
      - .offset:         48
        .size:           4
        .value_kind:     hidden_block_count_x
      - .offset:         52
        .size:           4
        .value_kind:     hidden_block_count_y
      - .offset:         56
        .size:           4
        .value_kind:     hidden_block_count_z
      - .offset:         60
        .size:           2
        .value_kind:     hidden_group_size_x
      - .offset:         62
        .size:           2
        .value_kind:     hidden_group_size_y
      - .offset:         64
        .size:           2
        .value_kind:     hidden_group_size_z
      - .offset:         66
        .size:           2
        .value_kind:     hidden_remainder_x
      - .offset:         68
        .size:           2
        .value_kind:     hidden_remainder_y
      - .offset:         70
        .size:           2
        .value_kind:     hidden_remainder_z
      - .offset:         88
        .size:           8
        .value_kind:     hidden_global_offset_x
      - .offset:         96
        .size:           8
        .value_kind:     hidden_global_offset_y
      - .offset:         104
        .size:           8
        .value_kind:     hidden_global_offset_z
      - .offset:         112
        .size:           2
        .value_kind:     hidden_grid_dims
    .group_segment_fixed_size: 0
    .kernarg_segment_align: 8
    .kernarg_segment_size: 304
    .language:       OpenCL C
    .language_version:
      - 2
      - 0
    .max_flat_workgroup_size: 1024
    .name:           _ZN12_GLOBAL__N_121softmax_warp_backwardIfN3c108BFloat16EfLi1ELb1ELb0ELi32EEEvPT0_PKT_S7_iiiPKb
    .private_segment_fixed_size: 0
    .sgpr_count:     18
    .sgpr_spill_count: 0
    .symbol:         _ZN12_GLOBAL__N_121softmax_warp_backwardIfN3c108BFloat16EfLi1ELb1ELb0ELi32EEEvPT0_PKT_S7_iiiPKb.kd
    .uniform_work_group_size: 1
    .uses_dynamic_stack: false
    .vgpr_count:     14
    .vgpr_spill_count: 0
    .wavefront_size: 32
    .workgroup_processor_mode: 1
  - .args:
      - .address_space:  global
        .offset:         0
        .size:           8
        .value_kind:     global_buffer
      - .address_space:  global
        .offset:         8
        .size:           8
        .value_kind:     global_buffer
      - .address_space:  global
        .offset:         16
        .size:           8
        .value_kind:     global_buffer
      - .offset:         24
        .size:           4
        .value_kind:     by_value
      - .offset:         28
        .size:           4
        .value_kind:     by_value
      - .offset:         32
        .size:           4
        .value_kind:     by_value
      - .address_space:  global
        .offset:         40
        .size:           8
        .value_kind:     global_buffer
      - .offset:         48
        .size:           4
        .value_kind:     hidden_block_count_x
      - .offset:         52
        .size:           4
        .value_kind:     hidden_block_count_y
      - .offset:         56
        .size:           4
        .value_kind:     hidden_block_count_z
      - .offset:         60
        .size:           2
        .value_kind:     hidden_group_size_x
      - .offset:         62
        .size:           2
        .value_kind:     hidden_group_size_y
      - .offset:         64
        .size:           2
        .value_kind:     hidden_group_size_z
      - .offset:         66
        .size:           2
        .value_kind:     hidden_remainder_x
      - .offset:         68
        .size:           2
        .value_kind:     hidden_remainder_y
      - .offset:         70
        .size:           2
        .value_kind:     hidden_remainder_z
      - .offset:         88
        .size:           8
        .value_kind:     hidden_global_offset_x
      - .offset:         96
        .size:           8
        .value_kind:     hidden_global_offset_y
      - .offset:         104
        .size:           8
        .value_kind:     hidden_global_offset_z
      - .offset:         112
        .size:           2
        .value_kind:     hidden_grid_dims
    .group_segment_fixed_size: 0
    .kernarg_segment_align: 8
    .kernarg_segment_size: 304
    .language:       OpenCL C
    .language_version:
      - 2
      - 0
    .max_flat_workgroup_size: 1024
    .name:           _ZN12_GLOBAL__N_121softmax_warp_backwardIfN3c108BFloat16EfLi2ELb1ELb0ELi64EEEvPT0_PKT_S7_iiiPKb
    .private_segment_fixed_size: 0
    .sgpr_count:     18
    .sgpr_spill_count: 0
    .symbol:         _ZN12_GLOBAL__N_121softmax_warp_backwardIfN3c108BFloat16EfLi2ELb1ELb0ELi64EEEvPT0_PKT_S7_iiiPKb.kd
    .uniform_work_group_size: 1
    .uses_dynamic_stack: false
    .vgpr_count:     14
    .vgpr_spill_count: 0
    .wavefront_size: 32
    .workgroup_processor_mode: 1
  - .args:
      - .address_space:  global
        .offset:         0
        .size:           8
        .value_kind:     global_buffer
      - .address_space:  global
        .offset:         8
        .size:           8
        .value_kind:     global_buffer
      - .address_space:  global
        .offset:         16
        .size:           8
        .value_kind:     global_buffer
      - .offset:         24
        .size:           4
        .value_kind:     by_value
      - .offset:         28
        .size:           4
        .value_kind:     by_value
      - .offset:         32
        .size:           4
        .value_kind:     by_value
      - .address_space:  global
        .offset:         40
        .size:           8
        .value_kind:     global_buffer
      - .offset:         48
        .size:           4
        .value_kind:     hidden_block_count_x
      - .offset:         52
        .size:           4
        .value_kind:     hidden_block_count_y
      - .offset:         56
        .size:           4
        .value_kind:     hidden_block_count_z
      - .offset:         60
        .size:           2
        .value_kind:     hidden_group_size_x
      - .offset:         62
        .size:           2
        .value_kind:     hidden_group_size_y
      - .offset:         64
        .size:           2
        .value_kind:     hidden_group_size_z
      - .offset:         66
        .size:           2
        .value_kind:     hidden_remainder_x
      - .offset:         68
        .size:           2
        .value_kind:     hidden_remainder_y
      - .offset:         70
        .size:           2
        .value_kind:     hidden_remainder_z
      - .offset:         88
        .size:           8
        .value_kind:     hidden_global_offset_x
      - .offset:         96
        .size:           8
        .value_kind:     hidden_global_offset_y
      - .offset:         104
        .size:           8
        .value_kind:     hidden_global_offset_z
      - .offset:         112
        .size:           2
        .value_kind:     hidden_grid_dims
    .group_segment_fixed_size: 0
    .kernarg_segment_align: 8
    .kernarg_segment_size: 304
    .language:       OpenCL C
    .language_version:
      - 2
      - 0
    .max_flat_workgroup_size: 1024
    .name:           _ZN12_GLOBAL__N_121softmax_warp_backwardIfN3c108BFloat16EfLi2ELb1ELb0ELi32EEEvPT0_PKT_S7_iiiPKb
    .private_segment_fixed_size: 0
    .sgpr_count:     18
    .sgpr_spill_count: 0
    .symbol:         _ZN12_GLOBAL__N_121softmax_warp_backwardIfN3c108BFloat16EfLi2ELb1ELb0ELi32EEEvPT0_PKT_S7_iiiPKb.kd
    .uniform_work_group_size: 1
    .uses_dynamic_stack: false
    .vgpr_count:     14
    .vgpr_spill_count: 0
    .wavefront_size: 32
    .workgroup_processor_mode: 1
  - .args:
      - .address_space:  global
        .offset:         0
        .size:           8
        .value_kind:     global_buffer
      - .address_space:  global
        .offset:         8
        .size:           8
        .value_kind:     global_buffer
      - .address_space:  global
        .offset:         16
        .size:           8
        .value_kind:     global_buffer
      - .offset:         24
        .size:           4
        .value_kind:     by_value
      - .offset:         28
        .size:           4
        .value_kind:     by_value
      - .offset:         32
        .size:           4
        .value_kind:     by_value
      - .address_space:  global
        .offset:         40
        .size:           8
        .value_kind:     global_buffer
      - .offset:         48
        .size:           4
        .value_kind:     hidden_block_count_x
      - .offset:         52
        .size:           4
        .value_kind:     hidden_block_count_y
      - .offset:         56
        .size:           4
        .value_kind:     hidden_block_count_z
      - .offset:         60
        .size:           2
        .value_kind:     hidden_group_size_x
      - .offset:         62
        .size:           2
        .value_kind:     hidden_group_size_y
      - .offset:         64
        .size:           2
        .value_kind:     hidden_group_size_z
      - .offset:         66
        .size:           2
        .value_kind:     hidden_remainder_x
      - .offset:         68
        .size:           2
        .value_kind:     hidden_remainder_y
      - .offset:         70
        .size:           2
        .value_kind:     hidden_remainder_z
      - .offset:         88
        .size:           8
        .value_kind:     hidden_global_offset_x
      - .offset:         96
        .size:           8
        .value_kind:     hidden_global_offset_y
      - .offset:         104
        .size:           8
        .value_kind:     hidden_global_offset_z
      - .offset:         112
        .size:           2
        .value_kind:     hidden_grid_dims
    .group_segment_fixed_size: 0
    .kernarg_segment_align: 8
    .kernarg_segment_size: 304
    .language:       OpenCL C
    .language_version:
      - 2
      - 0
    .max_flat_workgroup_size: 1024
    .name:           _ZN12_GLOBAL__N_121softmax_warp_backwardIfN3c108BFloat16EfLi3ELb1ELb0ELi64EEEvPT0_PKT_S7_iiiPKb
    .private_segment_fixed_size: 0
    .sgpr_count:     18
    .sgpr_spill_count: 0
    .symbol:         _ZN12_GLOBAL__N_121softmax_warp_backwardIfN3c108BFloat16EfLi3ELb1ELb0ELi64EEEvPT0_PKT_S7_iiiPKb.kd
    .uniform_work_group_size: 1
    .uses_dynamic_stack: false
    .vgpr_count:     14
    .vgpr_spill_count: 0
    .wavefront_size: 32
    .workgroup_processor_mode: 1
  - .args:
      - .address_space:  global
        .offset:         0
        .size:           8
        .value_kind:     global_buffer
      - .address_space:  global
        .offset:         8
        .size:           8
        .value_kind:     global_buffer
      - .address_space:  global
        .offset:         16
        .size:           8
        .value_kind:     global_buffer
      - .offset:         24
        .size:           4
        .value_kind:     by_value
      - .offset:         28
        .size:           4
        .value_kind:     by_value
      - .offset:         32
        .size:           4
        .value_kind:     by_value
      - .address_space:  global
        .offset:         40
        .size:           8
        .value_kind:     global_buffer
      - .offset:         48
        .size:           4
        .value_kind:     hidden_block_count_x
      - .offset:         52
        .size:           4
        .value_kind:     hidden_block_count_y
      - .offset:         56
        .size:           4
        .value_kind:     hidden_block_count_z
      - .offset:         60
        .size:           2
        .value_kind:     hidden_group_size_x
      - .offset:         62
        .size:           2
        .value_kind:     hidden_group_size_y
      - .offset:         64
        .size:           2
        .value_kind:     hidden_group_size_z
      - .offset:         66
        .size:           2
        .value_kind:     hidden_remainder_x
      - .offset:         68
        .size:           2
        .value_kind:     hidden_remainder_y
      - .offset:         70
        .size:           2
        .value_kind:     hidden_remainder_z
      - .offset:         88
        .size:           8
        .value_kind:     hidden_global_offset_x
      - .offset:         96
        .size:           8
        .value_kind:     hidden_global_offset_y
      - .offset:         104
        .size:           8
        .value_kind:     hidden_global_offset_z
      - .offset:         112
        .size:           2
        .value_kind:     hidden_grid_dims
    .group_segment_fixed_size: 0
    .kernarg_segment_align: 8
    .kernarg_segment_size: 304
    .language:       OpenCL C
    .language_version:
      - 2
      - 0
    .max_flat_workgroup_size: 1024
    .name:           _ZN12_GLOBAL__N_121softmax_warp_backwardIfN3c108BFloat16EfLi3ELb1ELb0ELi32EEEvPT0_PKT_S7_iiiPKb
    .private_segment_fixed_size: 0
    .sgpr_count:     18
    .sgpr_spill_count: 0
    .symbol:         _ZN12_GLOBAL__N_121softmax_warp_backwardIfN3c108BFloat16EfLi3ELb1ELb0ELi32EEEvPT0_PKT_S7_iiiPKb.kd
    .uniform_work_group_size: 1
    .uses_dynamic_stack: false
    .vgpr_count:     14
    .vgpr_spill_count: 0
    .wavefront_size: 32
    .workgroup_processor_mode: 1
  - .args:
      - .address_space:  global
        .offset:         0
        .size:           8
        .value_kind:     global_buffer
      - .address_space:  global
        .offset:         8
        .size:           8
        .value_kind:     global_buffer
      - .address_space:  global
        .offset:         16
        .size:           8
        .value_kind:     global_buffer
      - .offset:         24
        .size:           4
        .value_kind:     by_value
      - .offset:         28
        .size:           4
        .value_kind:     by_value
      - .offset:         32
        .size:           4
        .value_kind:     by_value
      - .address_space:  global
        .offset:         40
        .size:           8
        .value_kind:     global_buffer
      - .offset:         48
        .size:           4
        .value_kind:     hidden_block_count_x
      - .offset:         52
        .size:           4
        .value_kind:     hidden_block_count_y
      - .offset:         56
        .size:           4
        .value_kind:     hidden_block_count_z
      - .offset:         60
        .size:           2
        .value_kind:     hidden_group_size_x
      - .offset:         62
        .size:           2
        .value_kind:     hidden_group_size_y
      - .offset:         64
        .size:           2
        .value_kind:     hidden_group_size_z
      - .offset:         66
        .size:           2
        .value_kind:     hidden_remainder_x
      - .offset:         68
        .size:           2
        .value_kind:     hidden_remainder_y
      - .offset:         70
        .size:           2
        .value_kind:     hidden_remainder_z
      - .offset:         88
        .size:           8
        .value_kind:     hidden_global_offset_x
      - .offset:         96
        .size:           8
        .value_kind:     hidden_global_offset_y
      - .offset:         104
        .size:           8
        .value_kind:     hidden_global_offset_z
      - .offset:         112
        .size:           2
        .value_kind:     hidden_grid_dims
    .group_segment_fixed_size: 0
    .kernarg_segment_align: 8
    .kernarg_segment_size: 304
    .language:       OpenCL C
    .language_version:
      - 2
      - 0
    .max_flat_workgroup_size: 1024
    .name:           _ZN12_GLOBAL__N_121softmax_warp_backwardIfN3c108BFloat16EfLi4ELb1ELb0ELi64EEEvPT0_PKT_S7_iiiPKb
    .private_segment_fixed_size: 0
    .sgpr_count:     18
    .sgpr_spill_count: 0
    .symbol:         _ZN12_GLOBAL__N_121softmax_warp_backwardIfN3c108BFloat16EfLi4ELb1ELb0ELi64EEEvPT0_PKT_S7_iiiPKb.kd
    .uniform_work_group_size: 1
    .uses_dynamic_stack: false
    .vgpr_count:     14
    .vgpr_spill_count: 0
    .wavefront_size: 32
    .workgroup_processor_mode: 1
  - .args:
      - .address_space:  global
        .offset:         0
        .size:           8
        .value_kind:     global_buffer
      - .address_space:  global
        .offset:         8
        .size:           8
        .value_kind:     global_buffer
      - .address_space:  global
        .offset:         16
        .size:           8
        .value_kind:     global_buffer
      - .offset:         24
        .size:           4
        .value_kind:     by_value
      - .offset:         28
        .size:           4
        .value_kind:     by_value
      - .offset:         32
        .size:           4
        .value_kind:     by_value
      - .address_space:  global
        .offset:         40
        .size:           8
        .value_kind:     global_buffer
      - .offset:         48
        .size:           4
        .value_kind:     hidden_block_count_x
      - .offset:         52
        .size:           4
        .value_kind:     hidden_block_count_y
      - .offset:         56
        .size:           4
        .value_kind:     hidden_block_count_z
      - .offset:         60
        .size:           2
        .value_kind:     hidden_group_size_x
      - .offset:         62
        .size:           2
        .value_kind:     hidden_group_size_y
      - .offset:         64
        .size:           2
        .value_kind:     hidden_group_size_z
      - .offset:         66
        .size:           2
        .value_kind:     hidden_remainder_x
      - .offset:         68
        .size:           2
        .value_kind:     hidden_remainder_y
      - .offset:         70
        .size:           2
        .value_kind:     hidden_remainder_z
      - .offset:         88
        .size:           8
        .value_kind:     hidden_global_offset_x
      - .offset:         96
        .size:           8
        .value_kind:     hidden_global_offset_y
      - .offset:         104
        .size:           8
        .value_kind:     hidden_global_offset_z
      - .offset:         112
        .size:           2
        .value_kind:     hidden_grid_dims
    .group_segment_fixed_size: 0
    .kernarg_segment_align: 8
    .kernarg_segment_size: 304
    .language:       OpenCL C
    .language_version:
      - 2
      - 0
    .max_flat_workgroup_size: 1024
    .name:           _ZN12_GLOBAL__N_121softmax_warp_backwardIfN3c108BFloat16EfLi4ELb1ELb0ELi32EEEvPT0_PKT_S7_iiiPKb
    .private_segment_fixed_size: 0
    .sgpr_count:     18
    .sgpr_spill_count: 0
    .symbol:         _ZN12_GLOBAL__N_121softmax_warp_backwardIfN3c108BFloat16EfLi4ELb1ELb0ELi32EEEvPT0_PKT_S7_iiiPKb.kd
    .uniform_work_group_size: 1
    .uses_dynamic_stack: false
    .vgpr_count:     14
    .vgpr_spill_count: 0
    .wavefront_size: 32
    .workgroup_processor_mode: 1
  - .args:
      - .address_space:  global
        .offset:         0
        .size:           8
        .value_kind:     global_buffer
      - .address_space:  global
        .offset:         8
        .size:           8
        .value_kind:     global_buffer
      - .address_space:  global
        .offset:         16
        .size:           8
        .value_kind:     global_buffer
      - .offset:         24
        .size:           4
        .value_kind:     by_value
      - .offset:         28
        .size:           4
        .value_kind:     by_value
      - .offset:         32
        .size:           4
        .value_kind:     by_value
      - .address_space:  global
        .offset:         40
        .size:           8
        .value_kind:     global_buffer
      - .offset:         48
        .size:           4
        .value_kind:     hidden_block_count_x
      - .offset:         52
        .size:           4
        .value_kind:     hidden_block_count_y
      - .offset:         56
        .size:           4
        .value_kind:     hidden_block_count_z
      - .offset:         60
        .size:           2
        .value_kind:     hidden_group_size_x
      - .offset:         62
        .size:           2
        .value_kind:     hidden_group_size_y
      - .offset:         64
        .size:           2
        .value_kind:     hidden_group_size_z
      - .offset:         66
        .size:           2
        .value_kind:     hidden_remainder_x
      - .offset:         68
        .size:           2
        .value_kind:     hidden_remainder_y
      - .offset:         70
        .size:           2
        .value_kind:     hidden_remainder_z
      - .offset:         88
        .size:           8
        .value_kind:     hidden_global_offset_x
      - .offset:         96
        .size:           8
        .value_kind:     hidden_global_offset_y
      - .offset:         104
        .size:           8
        .value_kind:     hidden_global_offset_z
      - .offset:         112
        .size:           2
        .value_kind:     hidden_grid_dims
    .group_segment_fixed_size: 0
    .kernarg_segment_align: 8
    .kernarg_segment_size: 304
    .language:       OpenCL C
    .language_version:
      - 2
      - 0
    .max_flat_workgroup_size: 1024
    .name:           _ZN12_GLOBAL__N_121softmax_warp_backwardIfN3c108BFloat16EfLi5ELb1ELb0ELi64EEEvPT0_PKT_S7_iiiPKb
    .private_segment_fixed_size: 0
    .sgpr_count:     18
    .sgpr_spill_count: 0
    .symbol:         _ZN12_GLOBAL__N_121softmax_warp_backwardIfN3c108BFloat16EfLi5ELb1ELb0ELi64EEEvPT0_PKT_S7_iiiPKb.kd
    .uniform_work_group_size: 1
    .uses_dynamic_stack: false
    .vgpr_count:     14
    .vgpr_spill_count: 0
    .wavefront_size: 32
    .workgroup_processor_mode: 1
  - .args:
      - .address_space:  global
        .offset:         0
        .size:           8
        .value_kind:     global_buffer
      - .address_space:  global
        .offset:         8
        .size:           8
        .value_kind:     global_buffer
      - .address_space:  global
        .offset:         16
        .size:           8
        .value_kind:     global_buffer
      - .offset:         24
        .size:           4
        .value_kind:     by_value
      - .offset:         28
        .size:           4
        .value_kind:     by_value
      - .offset:         32
        .size:           4
        .value_kind:     by_value
      - .address_space:  global
        .offset:         40
        .size:           8
        .value_kind:     global_buffer
      - .offset:         48
        .size:           4
        .value_kind:     hidden_block_count_x
      - .offset:         52
        .size:           4
        .value_kind:     hidden_block_count_y
      - .offset:         56
        .size:           4
        .value_kind:     hidden_block_count_z
      - .offset:         60
        .size:           2
        .value_kind:     hidden_group_size_x
      - .offset:         62
        .size:           2
        .value_kind:     hidden_group_size_y
      - .offset:         64
        .size:           2
        .value_kind:     hidden_group_size_z
      - .offset:         66
        .size:           2
        .value_kind:     hidden_remainder_x
      - .offset:         68
        .size:           2
        .value_kind:     hidden_remainder_y
      - .offset:         70
        .size:           2
        .value_kind:     hidden_remainder_z
      - .offset:         88
        .size:           8
        .value_kind:     hidden_global_offset_x
      - .offset:         96
        .size:           8
        .value_kind:     hidden_global_offset_y
      - .offset:         104
        .size:           8
        .value_kind:     hidden_global_offset_z
      - .offset:         112
        .size:           2
        .value_kind:     hidden_grid_dims
    .group_segment_fixed_size: 0
    .kernarg_segment_align: 8
    .kernarg_segment_size: 304
    .language:       OpenCL C
    .language_version:
      - 2
      - 0
    .max_flat_workgroup_size: 1024
    .name:           _ZN12_GLOBAL__N_121softmax_warp_backwardIfN3c108BFloat16EfLi5ELb1ELb0ELi32EEEvPT0_PKT_S7_iiiPKb
    .private_segment_fixed_size: 0
    .sgpr_count:     18
    .sgpr_spill_count: 0
    .symbol:         _ZN12_GLOBAL__N_121softmax_warp_backwardIfN3c108BFloat16EfLi5ELb1ELb0ELi32EEEvPT0_PKT_S7_iiiPKb.kd
    .uniform_work_group_size: 1
    .uses_dynamic_stack: false
    .vgpr_count:     14
    .vgpr_spill_count: 0
    .wavefront_size: 32
    .workgroup_processor_mode: 1
  - .args:
      - .address_space:  global
        .offset:         0
        .size:           8
        .value_kind:     global_buffer
      - .address_space:  global
        .offset:         8
        .size:           8
        .value_kind:     global_buffer
      - .address_space:  global
        .offset:         16
        .size:           8
        .value_kind:     global_buffer
      - .offset:         24
        .size:           4
        .value_kind:     by_value
      - .offset:         28
        .size:           4
        .value_kind:     by_value
      - .offset:         32
        .size:           4
        .value_kind:     by_value
      - .address_space:  global
        .offset:         40
        .size:           8
        .value_kind:     global_buffer
      - .offset:         48
        .size:           4
        .value_kind:     hidden_block_count_x
      - .offset:         52
        .size:           4
        .value_kind:     hidden_block_count_y
      - .offset:         56
        .size:           4
        .value_kind:     hidden_block_count_z
      - .offset:         60
        .size:           2
        .value_kind:     hidden_group_size_x
      - .offset:         62
        .size:           2
        .value_kind:     hidden_group_size_y
      - .offset:         64
        .size:           2
        .value_kind:     hidden_group_size_z
      - .offset:         66
        .size:           2
        .value_kind:     hidden_remainder_x
      - .offset:         68
        .size:           2
        .value_kind:     hidden_remainder_y
      - .offset:         70
        .size:           2
        .value_kind:     hidden_remainder_z
      - .offset:         88
        .size:           8
        .value_kind:     hidden_global_offset_x
      - .offset:         96
        .size:           8
        .value_kind:     hidden_global_offset_y
      - .offset:         104
        .size:           8
        .value_kind:     hidden_global_offset_z
      - .offset:         112
        .size:           2
        .value_kind:     hidden_grid_dims
    .group_segment_fixed_size: 0
    .kernarg_segment_align: 8
    .kernarg_segment_size: 304
    .language:       OpenCL C
    .language_version:
      - 2
      - 0
    .max_flat_workgroup_size: 1024
    .name:           _ZN12_GLOBAL__N_121softmax_warp_backwardIfN3c108BFloat16EfLi6ELb1ELb0ELi64EEEvPT0_PKT_S7_iiiPKb
    .private_segment_fixed_size: 0
    .sgpr_count:     18
    .sgpr_spill_count: 0
    .symbol:         _ZN12_GLOBAL__N_121softmax_warp_backwardIfN3c108BFloat16EfLi6ELb1ELb0ELi64EEEvPT0_PKT_S7_iiiPKb.kd
    .uniform_work_group_size: 1
    .uses_dynamic_stack: false
    .vgpr_count:     14
    .vgpr_spill_count: 0
    .wavefront_size: 32
    .workgroup_processor_mode: 1
  - .args:
      - .address_space:  global
        .offset:         0
        .size:           8
        .value_kind:     global_buffer
      - .address_space:  global
        .offset:         8
        .size:           8
        .value_kind:     global_buffer
      - .address_space:  global
        .offset:         16
        .size:           8
        .value_kind:     global_buffer
      - .offset:         24
        .size:           4
        .value_kind:     by_value
      - .offset:         28
        .size:           4
        .value_kind:     by_value
      - .offset:         32
        .size:           4
        .value_kind:     by_value
      - .address_space:  global
        .offset:         40
        .size:           8
        .value_kind:     global_buffer
      - .offset:         48
        .size:           4
        .value_kind:     hidden_block_count_x
      - .offset:         52
        .size:           4
        .value_kind:     hidden_block_count_y
      - .offset:         56
        .size:           4
        .value_kind:     hidden_block_count_z
      - .offset:         60
        .size:           2
        .value_kind:     hidden_group_size_x
      - .offset:         62
        .size:           2
        .value_kind:     hidden_group_size_y
      - .offset:         64
        .size:           2
        .value_kind:     hidden_group_size_z
      - .offset:         66
        .size:           2
        .value_kind:     hidden_remainder_x
      - .offset:         68
        .size:           2
        .value_kind:     hidden_remainder_y
      - .offset:         70
        .size:           2
        .value_kind:     hidden_remainder_z
      - .offset:         88
        .size:           8
        .value_kind:     hidden_global_offset_x
      - .offset:         96
        .size:           8
        .value_kind:     hidden_global_offset_y
      - .offset:         104
        .size:           8
        .value_kind:     hidden_global_offset_z
      - .offset:         112
        .size:           2
        .value_kind:     hidden_grid_dims
    .group_segment_fixed_size: 0
    .kernarg_segment_align: 8
    .kernarg_segment_size: 304
    .language:       OpenCL C
    .language_version:
      - 2
      - 0
    .max_flat_workgroup_size: 1024
    .name:           _ZN12_GLOBAL__N_121softmax_warp_backwardIfN3c108BFloat16EfLi6ELb1ELb0ELi32EEEvPT0_PKT_S7_iiiPKb
    .private_segment_fixed_size: 0
    .sgpr_count:     18
    .sgpr_spill_count: 0
    .symbol:         _ZN12_GLOBAL__N_121softmax_warp_backwardIfN3c108BFloat16EfLi6ELb1ELb0ELi32EEEvPT0_PKT_S7_iiiPKb.kd
    .uniform_work_group_size: 1
    .uses_dynamic_stack: false
    .vgpr_count:     17
    .vgpr_spill_count: 0
    .wavefront_size: 32
    .workgroup_processor_mode: 1
  - .args:
      - .address_space:  global
        .offset:         0
        .size:           8
        .value_kind:     global_buffer
      - .address_space:  global
        .offset:         8
        .size:           8
        .value_kind:     global_buffer
      - .address_space:  global
        .offset:         16
        .size:           8
        .value_kind:     global_buffer
      - .offset:         24
        .size:           4
        .value_kind:     by_value
      - .offset:         28
        .size:           4
        .value_kind:     by_value
      - .offset:         32
        .size:           4
        .value_kind:     by_value
      - .address_space:  global
        .offset:         40
        .size:           8
        .value_kind:     global_buffer
      - .offset:         48
        .size:           4
        .value_kind:     hidden_block_count_x
      - .offset:         52
        .size:           4
        .value_kind:     hidden_block_count_y
      - .offset:         56
        .size:           4
        .value_kind:     hidden_block_count_z
      - .offset:         60
        .size:           2
        .value_kind:     hidden_group_size_x
      - .offset:         62
        .size:           2
        .value_kind:     hidden_group_size_y
      - .offset:         64
        .size:           2
        .value_kind:     hidden_group_size_z
      - .offset:         66
        .size:           2
        .value_kind:     hidden_remainder_x
      - .offset:         68
        .size:           2
        .value_kind:     hidden_remainder_y
      - .offset:         70
        .size:           2
        .value_kind:     hidden_remainder_z
      - .offset:         88
        .size:           8
        .value_kind:     hidden_global_offset_x
      - .offset:         96
        .size:           8
        .value_kind:     hidden_global_offset_y
      - .offset:         104
        .size:           8
        .value_kind:     hidden_global_offset_z
      - .offset:         112
        .size:           2
        .value_kind:     hidden_grid_dims
    .group_segment_fixed_size: 0
    .kernarg_segment_align: 8
    .kernarg_segment_size: 304
    .language:       OpenCL C
    .language_version:
      - 2
      - 0
    .max_flat_workgroup_size: 1024
    .name:           _ZN12_GLOBAL__N_121softmax_warp_backwardIfN3c108BFloat16EfLi7ELb1ELb0ELi64EEEvPT0_PKT_S7_iiiPKb
    .private_segment_fixed_size: 0
    .sgpr_count:     18
    .sgpr_spill_count: 0
    .symbol:         _ZN12_GLOBAL__N_121softmax_warp_backwardIfN3c108BFloat16EfLi7ELb1ELb0ELi64EEEvPT0_PKT_S7_iiiPKb.kd
    .uniform_work_group_size: 1
    .uses_dynamic_stack: false
    .vgpr_count:     17
    .vgpr_spill_count: 0
    .wavefront_size: 32
    .workgroup_processor_mode: 1
  - .args:
      - .address_space:  global
        .offset:         0
        .size:           8
        .value_kind:     global_buffer
      - .address_space:  global
        .offset:         8
        .size:           8
        .value_kind:     global_buffer
      - .address_space:  global
        .offset:         16
        .size:           8
        .value_kind:     global_buffer
      - .offset:         24
        .size:           4
        .value_kind:     by_value
      - .offset:         28
        .size:           4
        .value_kind:     by_value
      - .offset:         32
        .size:           4
        .value_kind:     by_value
      - .address_space:  global
        .offset:         40
        .size:           8
        .value_kind:     global_buffer
      - .offset:         48
        .size:           4
        .value_kind:     hidden_block_count_x
      - .offset:         52
        .size:           4
        .value_kind:     hidden_block_count_y
      - .offset:         56
        .size:           4
        .value_kind:     hidden_block_count_z
      - .offset:         60
        .size:           2
        .value_kind:     hidden_group_size_x
      - .offset:         62
        .size:           2
        .value_kind:     hidden_group_size_y
      - .offset:         64
        .size:           2
        .value_kind:     hidden_group_size_z
      - .offset:         66
        .size:           2
        .value_kind:     hidden_remainder_x
      - .offset:         68
        .size:           2
        .value_kind:     hidden_remainder_y
      - .offset:         70
        .size:           2
        .value_kind:     hidden_remainder_z
      - .offset:         88
        .size:           8
        .value_kind:     hidden_global_offset_x
      - .offset:         96
        .size:           8
        .value_kind:     hidden_global_offset_y
      - .offset:         104
        .size:           8
        .value_kind:     hidden_global_offset_z
      - .offset:         112
        .size:           2
        .value_kind:     hidden_grid_dims
    .group_segment_fixed_size: 0
    .kernarg_segment_align: 8
    .kernarg_segment_size: 304
    .language:       OpenCL C
    .language_version:
      - 2
      - 0
    .max_flat_workgroup_size: 1024
    .name:           _ZN12_GLOBAL__N_121softmax_warp_backwardIfN3c108BFloat16EfLi7ELb1ELb0ELi32EEEvPT0_PKT_S7_iiiPKb
    .private_segment_fixed_size: 0
    .sgpr_count:     18
    .sgpr_spill_count: 0
    .symbol:         _ZN12_GLOBAL__N_121softmax_warp_backwardIfN3c108BFloat16EfLi7ELb1ELb0ELi32EEEvPT0_PKT_S7_iiiPKb.kd
    .uniform_work_group_size: 1
    .uses_dynamic_stack: false
    .vgpr_count:     25
    .vgpr_spill_count: 0
    .wavefront_size: 32
    .workgroup_processor_mode: 1
  - .args:
      - .address_space:  global
        .offset:         0
        .size:           8
        .value_kind:     global_buffer
      - .address_space:  global
        .offset:         8
        .size:           8
        .value_kind:     global_buffer
      - .address_space:  global
        .offset:         16
        .size:           8
        .value_kind:     global_buffer
      - .offset:         24
        .size:           4
        .value_kind:     by_value
      - .offset:         28
        .size:           4
        .value_kind:     by_value
      - .offset:         32
        .size:           4
        .value_kind:     by_value
      - .address_space:  global
        .offset:         40
        .size:           8
        .value_kind:     global_buffer
      - .offset:         48
        .size:           4
        .value_kind:     hidden_block_count_x
      - .offset:         52
        .size:           4
        .value_kind:     hidden_block_count_y
      - .offset:         56
        .size:           4
        .value_kind:     hidden_block_count_z
      - .offset:         60
        .size:           2
        .value_kind:     hidden_group_size_x
      - .offset:         62
        .size:           2
        .value_kind:     hidden_group_size_y
      - .offset:         64
        .size:           2
        .value_kind:     hidden_group_size_z
      - .offset:         66
        .size:           2
        .value_kind:     hidden_remainder_x
      - .offset:         68
        .size:           2
        .value_kind:     hidden_remainder_y
      - .offset:         70
        .size:           2
        .value_kind:     hidden_remainder_z
      - .offset:         88
        .size:           8
        .value_kind:     hidden_global_offset_x
      - .offset:         96
        .size:           8
        .value_kind:     hidden_global_offset_y
      - .offset:         104
        .size:           8
        .value_kind:     hidden_global_offset_z
      - .offset:         112
        .size:           2
        .value_kind:     hidden_grid_dims
    .group_segment_fixed_size: 0
    .kernarg_segment_align: 8
    .kernarg_segment_size: 304
    .language:       OpenCL C
    .language_version:
      - 2
      - 0
    .max_flat_workgroup_size: 1024
    .name:           _ZN12_GLOBAL__N_121softmax_warp_backwardIfN3c108BFloat16EfLi8ELb1ELb0ELi64EEEvPT0_PKT_S7_iiiPKb
    .private_segment_fixed_size: 0
    .sgpr_count:     18
    .sgpr_spill_count: 0
    .symbol:         _ZN12_GLOBAL__N_121softmax_warp_backwardIfN3c108BFloat16EfLi8ELb1ELb0ELi64EEEvPT0_PKT_S7_iiiPKb.kd
    .uniform_work_group_size: 1
    .uses_dynamic_stack: false
    .vgpr_count:     15
    .vgpr_spill_count: 0
    .wavefront_size: 32
    .workgroup_processor_mode: 1
  - .args:
      - .address_space:  global
        .offset:         0
        .size:           8
        .value_kind:     global_buffer
      - .address_space:  global
        .offset:         8
        .size:           8
        .value_kind:     global_buffer
      - .address_space:  global
        .offset:         16
        .size:           8
        .value_kind:     global_buffer
      - .offset:         24
        .size:           4
        .value_kind:     by_value
      - .offset:         28
        .size:           4
        .value_kind:     by_value
      - .offset:         32
        .size:           4
        .value_kind:     by_value
      - .address_space:  global
        .offset:         40
        .size:           8
        .value_kind:     global_buffer
      - .offset:         48
        .size:           4
        .value_kind:     hidden_block_count_x
      - .offset:         52
        .size:           4
        .value_kind:     hidden_block_count_y
      - .offset:         56
        .size:           4
        .value_kind:     hidden_block_count_z
      - .offset:         60
        .size:           2
        .value_kind:     hidden_group_size_x
      - .offset:         62
        .size:           2
        .value_kind:     hidden_group_size_y
      - .offset:         64
        .size:           2
        .value_kind:     hidden_group_size_z
      - .offset:         66
        .size:           2
        .value_kind:     hidden_remainder_x
      - .offset:         68
        .size:           2
        .value_kind:     hidden_remainder_y
      - .offset:         70
        .size:           2
        .value_kind:     hidden_remainder_z
      - .offset:         88
        .size:           8
        .value_kind:     hidden_global_offset_x
      - .offset:         96
        .size:           8
        .value_kind:     hidden_global_offset_y
      - .offset:         104
        .size:           8
        .value_kind:     hidden_global_offset_z
      - .offset:         112
        .size:           2
        .value_kind:     hidden_grid_dims
    .group_segment_fixed_size: 0
    .kernarg_segment_align: 8
    .kernarg_segment_size: 304
    .language:       OpenCL C
    .language_version:
      - 2
      - 0
    .max_flat_workgroup_size: 1024
    .name:           _ZN12_GLOBAL__N_121softmax_warp_backwardIfN3c108BFloat16EfLi8ELb1ELb0ELi32EEEvPT0_PKT_S7_iiiPKb
    .private_segment_fixed_size: 0
    .sgpr_count:     22
    .sgpr_spill_count: 0
    .symbol:         _ZN12_GLOBAL__N_121softmax_warp_backwardIfN3c108BFloat16EfLi8ELb1ELb0ELi32EEEvPT0_PKT_S7_iiiPKb.kd
    .uniform_work_group_size: 1
    .uses_dynamic_stack: false
    .vgpr_count:     23
    .vgpr_spill_count: 0
    .wavefront_size: 32
    .workgroup_processor_mode: 1
  - .args:
      - .address_space:  global
        .offset:         0
        .size:           8
        .value_kind:     global_buffer
      - .address_space:  global
        .offset:         8
        .size:           8
        .value_kind:     global_buffer
      - .address_space:  global
        .offset:         16
        .size:           8
        .value_kind:     global_buffer
      - .offset:         24
        .size:           4
        .value_kind:     by_value
      - .offset:         28
        .size:           4
        .value_kind:     by_value
      - .offset:         32
        .size:           4
        .value_kind:     by_value
      - .address_space:  global
        .offset:         40
        .size:           8
        .value_kind:     global_buffer
      - .offset:         48
        .size:           4
        .value_kind:     hidden_block_count_x
      - .offset:         52
        .size:           4
        .value_kind:     hidden_block_count_y
      - .offset:         56
        .size:           4
        .value_kind:     hidden_block_count_z
      - .offset:         60
        .size:           2
        .value_kind:     hidden_group_size_x
      - .offset:         62
        .size:           2
        .value_kind:     hidden_group_size_y
      - .offset:         64
        .size:           2
        .value_kind:     hidden_group_size_z
      - .offset:         66
        .size:           2
        .value_kind:     hidden_remainder_x
      - .offset:         68
        .size:           2
        .value_kind:     hidden_remainder_y
      - .offset:         70
        .size:           2
        .value_kind:     hidden_remainder_z
      - .offset:         88
        .size:           8
        .value_kind:     hidden_global_offset_x
      - .offset:         96
        .size:           8
        .value_kind:     hidden_global_offset_y
      - .offset:         104
        .size:           8
        .value_kind:     hidden_global_offset_z
      - .offset:         112
        .size:           2
        .value_kind:     hidden_grid_dims
    .group_segment_fixed_size: 0
    .kernarg_segment_align: 8
    .kernarg_segment_size: 304
    .language:       OpenCL C
    .language_version:
      - 2
      - 0
    .max_flat_workgroup_size: 1024
    .name:           _ZN12_GLOBAL__N_121softmax_warp_backwardIfN3c108BFloat16EfLi9ELb1ELb0ELi64EEEvPT0_PKT_S7_iiiPKb
    .private_segment_fixed_size: 0
    .sgpr_count:     22
    .sgpr_spill_count: 0
    .symbol:         _ZN12_GLOBAL__N_121softmax_warp_backwardIfN3c108BFloat16EfLi9ELb1ELb0ELi64EEEvPT0_PKT_S7_iiiPKb.kd
    .uniform_work_group_size: 1
    .uses_dynamic_stack: false
    .vgpr_count:     23
    .vgpr_spill_count: 0
    .wavefront_size: 32
    .workgroup_processor_mode: 1
  - .args:
      - .address_space:  global
        .offset:         0
        .size:           8
        .value_kind:     global_buffer
      - .address_space:  global
        .offset:         8
        .size:           8
        .value_kind:     global_buffer
      - .address_space:  global
        .offset:         16
        .size:           8
        .value_kind:     global_buffer
      - .offset:         24
        .size:           4
        .value_kind:     by_value
      - .offset:         28
        .size:           4
        .value_kind:     by_value
      - .offset:         32
        .size:           4
        .value_kind:     by_value
      - .address_space:  global
        .offset:         40
        .size:           8
        .value_kind:     global_buffer
      - .offset:         48
        .size:           4
        .value_kind:     hidden_block_count_x
      - .offset:         52
        .size:           4
        .value_kind:     hidden_block_count_y
      - .offset:         56
        .size:           4
        .value_kind:     hidden_block_count_z
      - .offset:         60
        .size:           2
        .value_kind:     hidden_group_size_x
      - .offset:         62
        .size:           2
        .value_kind:     hidden_group_size_y
      - .offset:         64
        .size:           2
        .value_kind:     hidden_group_size_z
      - .offset:         66
        .size:           2
        .value_kind:     hidden_remainder_x
      - .offset:         68
        .size:           2
        .value_kind:     hidden_remainder_y
      - .offset:         70
        .size:           2
        .value_kind:     hidden_remainder_z
      - .offset:         88
        .size:           8
        .value_kind:     hidden_global_offset_x
      - .offset:         96
        .size:           8
        .value_kind:     hidden_global_offset_y
      - .offset:         104
        .size:           8
        .value_kind:     hidden_global_offset_z
      - .offset:         112
        .size:           2
        .value_kind:     hidden_grid_dims
    .group_segment_fixed_size: 0
    .kernarg_segment_align: 8
    .kernarg_segment_size: 304
    .language:       OpenCL C
    .language_version:
      - 2
      - 0
    .max_flat_workgroup_size: 1024
    .name:           _ZN12_GLOBAL__N_121softmax_warp_backwardIfN3c108BFloat16EfLi9ELb1ELb0ELi32EEEvPT0_PKT_S7_iiiPKb
    .private_segment_fixed_size: 0
    .sgpr_count:     26
    .sgpr_spill_count: 0
    .symbol:         _ZN12_GLOBAL__N_121softmax_warp_backwardIfN3c108BFloat16EfLi9ELb1ELb0ELi32EEEvPT0_PKT_S7_iiiPKb.kd
    .uniform_work_group_size: 1
    .uses_dynamic_stack: false
    .vgpr_count:     39
    .vgpr_spill_count: 0
    .wavefront_size: 32
    .workgroup_processor_mode: 1
  - .args:
      - .address_space:  global
        .offset:         0
        .size:           8
        .value_kind:     global_buffer
      - .address_space:  global
        .offset:         8
        .size:           8
        .value_kind:     global_buffer
      - .address_space:  global
        .offset:         16
        .size:           8
        .value_kind:     global_buffer
      - .offset:         24
        .size:           4
        .value_kind:     by_value
      - .offset:         28
        .size:           4
        .value_kind:     by_value
      - .offset:         32
        .size:           4
        .value_kind:     by_value
      - .address_space:  global
        .offset:         40
        .size:           8
        .value_kind:     global_buffer
      - .offset:         48
        .size:           4
        .value_kind:     hidden_block_count_x
      - .offset:         52
        .size:           4
        .value_kind:     hidden_block_count_y
      - .offset:         56
        .size:           4
        .value_kind:     hidden_block_count_z
      - .offset:         60
        .size:           2
        .value_kind:     hidden_group_size_x
      - .offset:         62
        .size:           2
        .value_kind:     hidden_group_size_y
      - .offset:         64
        .size:           2
        .value_kind:     hidden_group_size_z
      - .offset:         66
        .size:           2
        .value_kind:     hidden_remainder_x
      - .offset:         68
        .size:           2
        .value_kind:     hidden_remainder_y
      - .offset:         70
        .size:           2
        .value_kind:     hidden_remainder_z
      - .offset:         88
        .size:           8
        .value_kind:     hidden_global_offset_x
      - .offset:         96
        .size:           8
        .value_kind:     hidden_global_offset_y
      - .offset:         104
        .size:           8
        .value_kind:     hidden_global_offset_z
      - .offset:         112
        .size:           2
        .value_kind:     hidden_grid_dims
    .group_segment_fixed_size: 0
    .kernarg_segment_align: 8
    .kernarg_segment_size: 304
    .language:       OpenCL C
    .language_version:
      - 2
      - 0
    .max_flat_workgroup_size: 1024
    .name:           _ZN12_GLOBAL__N_121softmax_warp_backwardIfN3c108BFloat16EfLi10ELb1ELb0ELi64EEEvPT0_PKT_S7_iiiPKb
    .private_segment_fixed_size: 0
    .sgpr_count:     26
    .sgpr_spill_count: 0
    .symbol:         _ZN12_GLOBAL__N_121softmax_warp_backwardIfN3c108BFloat16EfLi10ELb1ELb0ELi64EEEvPT0_PKT_S7_iiiPKb.kd
    .uniform_work_group_size: 1
    .uses_dynamic_stack: false
    .vgpr_count:     39
    .vgpr_spill_count: 0
    .wavefront_size: 32
    .workgroup_processor_mode: 1
  - .args:
      - .address_space:  global
        .offset:         0
        .size:           8
        .value_kind:     global_buffer
      - .address_space:  global
        .offset:         8
        .size:           8
        .value_kind:     global_buffer
      - .address_space:  global
        .offset:         16
        .size:           8
        .value_kind:     global_buffer
      - .offset:         24
        .size:           4
        .value_kind:     by_value
      - .offset:         28
        .size:           4
        .value_kind:     by_value
      - .offset:         32
        .size:           4
        .value_kind:     by_value
      - .address_space:  global
        .offset:         40
        .size:           8
        .value_kind:     global_buffer
      - .offset:         48
        .size:           4
        .value_kind:     hidden_block_count_x
      - .offset:         52
        .size:           4
        .value_kind:     hidden_block_count_y
      - .offset:         56
        .size:           4
        .value_kind:     hidden_block_count_z
      - .offset:         60
        .size:           2
        .value_kind:     hidden_group_size_x
      - .offset:         62
        .size:           2
        .value_kind:     hidden_group_size_y
      - .offset:         64
        .size:           2
        .value_kind:     hidden_group_size_z
      - .offset:         66
        .size:           2
        .value_kind:     hidden_remainder_x
      - .offset:         68
        .size:           2
        .value_kind:     hidden_remainder_y
      - .offset:         70
        .size:           2
        .value_kind:     hidden_remainder_z
      - .offset:         88
        .size:           8
        .value_kind:     hidden_global_offset_x
      - .offset:         96
        .size:           8
        .value_kind:     hidden_global_offset_y
      - .offset:         104
        .size:           8
        .value_kind:     hidden_global_offset_z
      - .offset:         112
        .size:           2
        .value_kind:     hidden_grid_dims
    .group_segment_fixed_size: 0
    .kernarg_segment_align: 8
    .kernarg_segment_size: 304
    .language:       OpenCL C
    .language_version:
      - 2
      - 0
    .max_flat_workgroup_size: 1024
    .name:           _ZN12_GLOBAL__N_121softmax_warp_backwardIfN3c108BFloat16EfLi10ELb1ELb0ELi32EEEvPT0_PKT_S7_iiiPKb
    .private_segment_fixed_size: 0
    .sgpr_count:     46
    .sgpr_spill_count: 0
    .symbol:         _ZN12_GLOBAL__N_121softmax_warp_backwardIfN3c108BFloat16EfLi10ELb1ELb0ELi32EEEvPT0_PKT_S7_iiiPKb.kd
    .uniform_work_group_size: 1
    .uses_dynamic_stack: false
    .vgpr_count:     71
    .vgpr_spill_count: 0
    .wavefront_size: 32
    .workgroup_processor_mode: 1
  - .args:
      - .address_space:  global
        .offset:         0
        .size:           8
        .value_kind:     global_buffer
      - .address_space:  global
        .offset:         8
        .size:           8
        .value_kind:     global_buffer
      - .address_space:  global
        .offset:         16
        .size:           8
        .value_kind:     global_buffer
      - .offset:         24
        .size:           8
        .value_kind:     by_value
      - .offset:         32
        .size:           4
        .value_kind:     hidden_block_count_x
      - .offset:         36
        .size:           4
        .value_kind:     hidden_block_count_y
      - .offset:         40
        .size:           4
        .value_kind:     hidden_block_count_z
      - .offset:         44
        .size:           2
        .value_kind:     hidden_group_size_x
      - .offset:         46
        .size:           2
        .value_kind:     hidden_group_size_y
      - .offset:         48
        .size:           2
        .value_kind:     hidden_group_size_z
      - .offset:         50
        .size:           2
        .value_kind:     hidden_remainder_x
      - .offset:         52
        .size:           2
        .value_kind:     hidden_remainder_y
      - .offset:         54
        .size:           2
        .value_kind:     hidden_remainder_z
      - .offset:         72
        .size:           8
        .value_kind:     hidden_global_offset_x
      - .offset:         80
        .size:           8
        .value_kind:     hidden_global_offset_y
      - .offset:         88
        .size:           8
        .value_kind:     hidden_global_offset_z
      - .offset:         96
        .size:           2
        .value_kind:     hidden_grid_dims
      - .offset:         152
        .size:           4
        .value_kind:     hidden_dynamic_lds_size
    .group_segment_fixed_size: 0
    .kernarg_segment_align: 8
    .kernarg_segment_size: 288
    .language:       OpenCL C
    .language_version:
      - 2
      - 0
    .max_flat_workgroup_size: 1024
    .name:           _ZN2at6native12_GLOBAL__N_124cunn_SoftMaxBackwardSmemILi4EN3c108BFloat16EffNS1_26LogSoftMaxBackwardEpilogueEEEvPT0_PKT2_SA_l
    .private_segment_fixed_size: 0
    .sgpr_count:     20
    .sgpr_spill_count: 0
    .symbol:         _ZN2at6native12_GLOBAL__N_124cunn_SoftMaxBackwardSmemILi4EN3c108BFloat16EffNS1_26LogSoftMaxBackwardEpilogueEEEvPT0_PKT2_SA_l.kd
    .uniform_work_group_size: 1
    .uses_dynamic_stack: false
    .vgpr_count:     26
    .vgpr_spill_count: 0
    .wavefront_size: 32
    .workgroup_processor_mode: 1
  - .args:
      - .address_space:  global
        .offset:         0
        .size:           8
        .value_kind:     global_buffer
      - .address_space:  global
        .offset:         8
        .size:           8
        .value_kind:     global_buffer
      - .address_space:  global
        .offset:         16
        .size:           8
        .value_kind:     global_buffer
      - .offset:         24
        .size:           8
        .value_kind:     by_value
      - .offset:         32
        .size:           4
        .value_kind:     hidden_block_count_x
      - .offset:         36
        .size:           4
        .value_kind:     hidden_block_count_y
      - .offset:         40
        .size:           4
        .value_kind:     hidden_block_count_z
      - .offset:         44
        .size:           2
        .value_kind:     hidden_group_size_x
      - .offset:         46
        .size:           2
        .value_kind:     hidden_group_size_y
      - .offset:         48
        .size:           2
        .value_kind:     hidden_group_size_z
      - .offset:         50
        .size:           2
        .value_kind:     hidden_remainder_x
      - .offset:         52
        .size:           2
        .value_kind:     hidden_remainder_y
      - .offset:         54
        .size:           2
        .value_kind:     hidden_remainder_z
      - .offset:         72
        .size:           8
        .value_kind:     hidden_global_offset_x
      - .offset:         80
        .size:           8
        .value_kind:     hidden_global_offset_y
      - .offset:         88
        .size:           8
        .value_kind:     hidden_global_offset_z
      - .offset:         96
        .size:           2
        .value_kind:     hidden_grid_dims
      - .offset:         152
        .size:           4
        .value_kind:     hidden_dynamic_lds_size
    .group_segment_fixed_size: 0
    .kernarg_segment_align: 8
    .kernarg_segment_size: 288
    .language:       OpenCL C
    .language_version:
      - 2
      - 0
    .max_flat_workgroup_size: 1024
    .name:           _ZN2at6native12_GLOBAL__N_120cunn_SoftMaxBackwardILi4EN3c108BFloat16EffNS1_26LogSoftMaxBackwardEpilogueEEEvPT0_PKT2_SA_l
    .private_segment_fixed_size: 0
    .sgpr_count:     59
    .sgpr_spill_count: 0
    .symbol:         _ZN2at6native12_GLOBAL__N_120cunn_SoftMaxBackwardILi4EN3c108BFloat16EffNS1_26LogSoftMaxBackwardEpilogueEEEvPT0_PKT2_SA_l.kd
    .uniform_work_group_size: 1
    .uses_dynamic_stack: false
    .vgpr_count:     34
    .vgpr_spill_count: 0
    .wavefront_size: 32
    .workgroup_processor_mode: 1
  - .args:
      - .address_space:  global
        .offset:         0
        .size:           8
        .value_kind:     global_buffer
      - .address_space:  global
        .offset:         8
        .size:           8
        .value_kind:     global_buffer
      - .address_space:  global
        .offset:         16
        .size:           8
        .value_kind:     global_buffer
      - .offset:         24
        .size:           4
        .value_kind:     by_value
      - .offset:         28
        .size:           4
        .value_kind:     by_value
      - .offset:         32
        .size:           4
        .value_kind:     by_value
      - .offset:         40
        .size:           4
        .value_kind:     hidden_block_count_x
      - .offset:         44
        .size:           4
        .value_kind:     hidden_block_count_y
      - .offset:         48
        .size:           4
        .value_kind:     hidden_block_count_z
      - .offset:         52
        .size:           2
        .value_kind:     hidden_group_size_x
      - .offset:         54
        .size:           2
        .value_kind:     hidden_group_size_y
      - .offset:         56
        .size:           2
        .value_kind:     hidden_group_size_z
      - .offset:         58
        .size:           2
        .value_kind:     hidden_remainder_x
      - .offset:         60
        .size:           2
        .value_kind:     hidden_remainder_y
      - .offset:         62
        .size:           2
        .value_kind:     hidden_remainder_z
      - .offset:         80
        .size:           8
        .value_kind:     hidden_global_offset_x
      - .offset:         88
        .size:           8
        .value_kind:     hidden_global_offset_y
      - .offset:         96
        .size:           8
        .value_kind:     hidden_global_offset_z
      - .offset:         104
        .size:           2
        .value_kind:     hidden_grid_dims
      - .offset:         160
        .size:           4
        .value_kind:     hidden_dynamic_lds_size
    .group_segment_fixed_size: 0
    .kernarg_segment_align: 8
    .kernarg_segment_size: 296
    .language:       OpenCL C
    .language_version:
      - 2
      - 0
    .max_flat_workgroup_size: 1024
    .name:           _ZN2at6native12_GLOBAL__N_127cunn_SpatialSoftMaxBackwardIdddNS1_26LogSoftMaxBackwardEpilogueEEEvPT_PKT1_S8_jjj
    .private_segment_fixed_size: 0
    .sgpr_count:     55
    .sgpr_spill_count: 0
    .symbol:         _ZN2at6native12_GLOBAL__N_127cunn_SpatialSoftMaxBackwardIdddNS1_26LogSoftMaxBackwardEpilogueEEEvPT_PKT1_S8_jjj.kd
    .uniform_work_group_size: 1
    .uses_dynamic_stack: false
    .vgpr_count:     28
    .vgpr_spill_count: 0
    .wavefront_size: 32
    .workgroup_processor_mode: 1
  - .args:
      - .address_space:  global
        .offset:         0
        .size:           8
        .value_kind:     global_buffer
      - .address_space:  global
        .offset:         8
        .size:           8
        .value_kind:     global_buffer
      - .address_space:  global
        .offset:         16
        .size:           8
        .value_kind:     global_buffer
      - .offset:         24
        .size:           4
        .value_kind:     by_value
      - .offset:         28
        .size:           4
        .value_kind:     by_value
      - .offset:         32
        .size:           4
        .value_kind:     by_value
      - .offset:         40
        .size:           4
        .value_kind:     hidden_block_count_x
      - .offset:         44
        .size:           4
        .value_kind:     hidden_block_count_y
      - .offset:         48
        .size:           4
        .value_kind:     hidden_block_count_z
      - .offset:         52
        .size:           2
        .value_kind:     hidden_group_size_x
      - .offset:         54
        .size:           2
        .value_kind:     hidden_group_size_y
      - .offset:         56
        .size:           2
        .value_kind:     hidden_group_size_z
      - .offset:         58
        .size:           2
        .value_kind:     hidden_remainder_x
      - .offset:         60
        .size:           2
        .value_kind:     hidden_remainder_y
      - .offset:         62
        .size:           2
        .value_kind:     hidden_remainder_z
      - .offset:         80
        .size:           8
        .value_kind:     hidden_global_offset_x
      - .offset:         88
        .size:           8
        .value_kind:     hidden_global_offset_y
      - .offset:         96
        .size:           8
        .value_kind:     hidden_global_offset_z
      - .offset:         104
        .size:           2
        .value_kind:     hidden_grid_dims
      - .offset:         160
        .size:           4
        .value_kind:     hidden_dynamic_lds_size
    .group_segment_fixed_size: 0
    .kernarg_segment_align: 8
    .kernarg_segment_size: 296
    .language:       OpenCL C
    .language_version:
      - 2
      - 0
    .max_flat_workgroup_size: 1024
    .name:           _ZN2at6native12_GLOBAL__N_127cunn_SpatialSoftMaxBackwardIfffNS1_26LogSoftMaxBackwardEpilogueEEEvPT_PKT1_S8_jjj
    .private_segment_fixed_size: 0
    .sgpr_count:     28
    .sgpr_spill_count: 0
    .symbol:         _ZN2at6native12_GLOBAL__N_127cunn_SpatialSoftMaxBackwardIfffNS1_26LogSoftMaxBackwardEpilogueEEEvPT_PKT1_S8_jjj.kd
    .uniform_work_group_size: 1
    .uses_dynamic_stack: false
    .vgpr_count:     21
    .vgpr_spill_count: 0
    .wavefront_size: 32
    .workgroup_processor_mode: 1
  - .args:
      - .address_space:  global
        .offset:         0
        .size:           8
        .value_kind:     global_buffer
      - .address_space:  global
        .offset:         8
        .size:           8
        .value_kind:     global_buffer
      - .address_space:  global
        .offset:         16
        .size:           8
        .value_kind:     global_buffer
      - .offset:         24
        .size:           4
        .value_kind:     by_value
      - .offset:         28
        .size:           4
        .value_kind:     by_value
      - .offset:         32
        .size:           4
        .value_kind:     by_value
      - .offset:         40
        .size:           4
        .value_kind:     hidden_block_count_x
      - .offset:         44
        .size:           4
        .value_kind:     hidden_block_count_y
      - .offset:         48
        .size:           4
        .value_kind:     hidden_block_count_z
      - .offset:         52
        .size:           2
        .value_kind:     hidden_group_size_x
      - .offset:         54
        .size:           2
        .value_kind:     hidden_group_size_y
      - .offset:         56
        .size:           2
        .value_kind:     hidden_group_size_z
      - .offset:         58
        .size:           2
        .value_kind:     hidden_remainder_x
      - .offset:         60
        .size:           2
        .value_kind:     hidden_remainder_y
      - .offset:         62
        .size:           2
        .value_kind:     hidden_remainder_z
      - .offset:         80
        .size:           8
        .value_kind:     hidden_global_offset_x
      - .offset:         88
        .size:           8
        .value_kind:     hidden_global_offset_y
      - .offset:         96
        .size:           8
        .value_kind:     hidden_global_offset_z
      - .offset:         104
        .size:           2
        .value_kind:     hidden_grid_dims
      - .offset:         160
        .size:           4
        .value_kind:     hidden_dynamic_lds_size
    .group_segment_fixed_size: 0
    .kernarg_segment_align: 8
    .kernarg_segment_size: 296
    .language:       OpenCL C
    .language_version:
      - 2
      - 0
    .max_flat_workgroup_size: 1024
    .name:           _ZN2at6native12_GLOBAL__N_127cunn_SpatialSoftMaxBackwardIN3c104HalfEfS4_NS1_26LogSoftMaxBackwardEpilogueEEEvPT_PKT1_SA_jjj
    .private_segment_fixed_size: 0
    .sgpr_count:     30
    .sgpr_spill_count: 0
    .symbol:         _ZN2at6native12_GLOBAL__N_127cunn_SpatialSoftMaxBackwardIN3c104HalfEfS4_NS1_26LogSoftMaxBackwardEpilogueEEEvPT_PKT1_SA_jjj.kd
    .uniform_work_group_size: 1
    .uses_dynamic_stack: false
    .vgpr_count:     22
    .vgpr_spill_count: 0
    .wavefront_size: 32
    .workgroup_processor_mode: 1
  - .args:
      - .address_space:  global
        .offset:         0
        .size:           8
        .value_kind:     global_buffer
      - .address_space:  global
        .offset:         8
        .size:           8
        .value_kind:     global_buffer
      - .address_space:  global
        .offset:         16
        .size:           8
        .value_kind:     global_buffer
      - .offset:         24
        .size:           4
        .value_kind:     by_value
      - .offset:         28
        .size:           4
        .value_kind:     by_value
      - .offset:         32
        .size:           4
        .value_kind:     by_value
      - .offset:         40
        .size:           4
        .value_kind:     hidden_block_count_x
      - .offset:         44
        .size:           4
        .value_kind:     hidden_block_count_y
      - .offset:         48
        .size:           4
        .value_kind:     hidden_block_count_z
      - .offset:         52
        .size:           2
        .value_kind:     hidden_group_size_x
      - .offset:         54
        .size:           2
        .value_kind:     hidden_group_size_y
      - .offset:         56
        .size:           2
        .value_kind:     hidden_group_size_z
      - .offset:         58
        .size:           2
        .value_kind:     hidden_remainder_x
      - .offset:         60
        .size:           2
        .value_kind:     hidden_remainder_y
      - .offset:         62
        .size:           2
        .value_kind:     hidden_remainder_z
      - .offset:         80
        .size:           8
        .value_kind:     hidden_global_offset_x
      - .offset:         88
        .size:           8
        .value_kind:     hidden_global_offset_y
      - .offset:         96
        .size:           8
        .value_kind:     hidden_global_offset_z
      - .offset:         104
        .size:           2
        .value_kind:     hidden_grid_dims
      - .offset:         160
        .size:           4
        .value_kind:     hidden_dynamic_lds_size
    .group_segment_fixed_size: 0
    .kernarg_segment_align: 8
    .kernarg_segment_size: 296
    .language:       OpenCL C
    .language_version:
      - 2
      - 0
    .max_flat_workgroup_size: 1024
    .name:           _ZN2at6native12_GLOBAL__N_127cunn_SpatialSoftMaxBackwardIN3c104HalfEffNS1_26LogSoftMaxBackwardEpilogueEEEvPT_PKT1_SA_jjj
    .private_segment_fixed_size: 0
    .sgpr_count:     28
    .sgpr_spill_count: 0
    .symbol:         _ZN2at6native12_GLOBAL__N_127cunn_SpatialSoftMaxBackwardIN3c104HalfEffNS1_26LogSoftMaxBackwardEpilogueEEEvPT_PKT1_SA_jjj.kd
    .uniform_work_group_size: 1
    .uses_dynamic_stack: false
    .vgpr_count:     19
    .vgpr_spill_count: 0
    .wavefront_size: 32
    .workgroup_processor_mode: 1
  - .args:
      - .address_space:  global
        .offset:         0
        .size:           8
        .value_kind:     global_buffer
      - .address_space:  global
        .offset:         8
        .size:           8
        .value_kind:     global_buffer
      - .address_space:  global
        .offset:         16
        .size:           8
        .value_kind:     global_buffer
      - .offset:         24
        .size:           4
        .value_kind:     by_value
      - .offset:         28
        .size:           4
        .value_kind:     by_value
      - .offset:         32
        .size:           4
        .value_kind:     by_value
      - .offset:         40
        .size:           4
        .value_kind:     hidden_block_count_x
      - .offset:         44
        .size:           4
        .value_kind:     hidden_block_count_y
      - .offset:         48
        .size:           4
        .value_kind:     hidden_block_count_z
      - .offset:         52
        .size:           2
        .value_kind:     hidden_group_size_x
      - .offset:         54
        .size:           2
        .value_kind:     hidden_group_size_y
      - .offset:         56
        .size:           2
        .value_kind:     hidden_group_size_z
      - .offset:         58
        .size:           2
        .value_kind:     hidden_remainder_x
      - .offset:         60
        .size:           2
        .value_kind:     hidden_remainder_y
      - .offset:         62
        .size:           2
        .value_kind:     hidden_remainder_z
      - .offset:         80
        .size:           8
        .value_kind:     hidden_global_offset_x
      - .offset:         88
        .size:           8
        .value_kind:     hidden_global_offset_y
      - .offset:         96
        .size:           8
        .value_kind:     hidden_global_offset_z
      - .offset:         104
        .size:           2
        .value_kind:     hidden_grid_dims
      - .offset:         160
        .size:           4
        .value_kind:     hidden_dynamic_lds_size
    .group_segment_fixed_size: 0
    .kernarg_segment_align: 8
    .kernarg_segment_size: 296
    .language:       OpenCL C
    .language_version:
      - 2
      - 0
    .max_flat_workgroup_size: 1024
    .name:           _ZN2at6native12_GLOBAL__N_127cunn_SpatialSoftMaxBackwardIN3c108BFloat16EfS4_NS1_26LogSoftMaxBackwardEpilogueEEEvPT_PKT1_SA_jjj
    .private_segment_fixed_size: 0
    .sgpr_count:     28
    .sgpr_spill_count: 0
    .symbol:         _ZN2at6native12_GLOBAL__N_127cunn_SpatialSoftMaxBackwardIN3c108BFloat16EfS4_NS1_26LogSoftMaxBackwardEpilogueEEEvPT_PKT1_SA_jjj.kd
    .uniform_work_group_size: 1
    .uses_dynamic_stack: false
    .vgpr_count:     21
    .vgpr_spill_count: 0
    .wavefront_size: 32
    .workgroup_processor_mode: 1
  - .args:
      - .address_space:  global
        .offset:         0
        .size:           8
        .value_kind:     global_buffer
      - .address_space:  global
        .offset:         8
        .size:           8
        .value_kind:     global_buffer
      - .address_space:  global
        .offset:         16
        .size:           8
        .value_kind:     global_buffer
      - .offset:         24
        .size:           4
        .value_kind:     by_value
      - .offset:         28
        .size:           4
        .value_kind:     by_value
      - .offset:         32
        .size:           4
        .value_kind:     by_value
      - .offset:         40
        .size:           4
        .value_kind:     hidden_block_count_x
      - .offset:         44
        .size:           4
        .value_kind:     hidden_block_count_y
      - .offset:         48
        .size:           4
        .value_kind:     hidden_block_count_z
      - .offset:         52
        .size:           2
        .value_kind:     hidden_group_size_x
      - .offset:         54
        .size:           2
        .value_kind:     hidden_group_size_y
      - .offset:         56
        .size:           2
        .value_kind:     hidden_group_size_z
      - .offset:         58
        .size:           2
        .value_kind:     hidden_remainder_x
      - .offset:         60
        .size:           2
        .value_kind:     hidden_remainder_y
      - .offset:         62
        .size:           2
        .value_kind:     hidden_remainder_z
      - .offset:         80
        .size:           8
        .value_kind:     hidden_global_offset_x
      - .offset:         88
        .size:           8
        .value_kind:     hidden_global_offset_y
      - .offset:         96
        .size:           8
        .value_kind:     hidden_global_offset_z
      - .offset:         104
        .size:           2
        .value_kind:     hidden_grid_dims
      - .offset:         160
        .size:           4
        .value_kind:     hidden_dynamic_lds_size
    .group_segment_fixed_size: 0
    .kernarg_segment_align: 8
    .kernarg_segment_size: 296
    .language:       OpenCL C
    .language_version:
      - 2
      - 0
    .max_flat_workgroup_size: 1024
    .name:           _ZN2at6native12_GLOBAL__N_127cunn_SpatialSoftMaxBackwardIN3c108BFloat16EffNS1_26LogSoftMaxBackwardEpilogueEEEvPT_PKT1_SA_jjj
    .private_segment_fixed_size: 0
    .sgpr_count:     28
    .sgpr_spill_count: 0
    .symbol:         _ZN2at6native12_GLOBAL__N_127cunn_SpatialSoftMaxBackwardIN3c108BFloat16EffNS1_26LogSoftMaxBackwardEpilogueEEEvPT_PKT1_SA_jjj.kd
    .uniform_work_group_size: 1
    .uses_dynamic_stack: false
    .vgpr_count:     19
    .vgpr_spill_count: 0
    .wavefront_size: 32
    .workgroup_processor_mode: 1
  - .args:
      - .address_space:  global
        .offset:         0
        .size:           8
        .value_kind:     global_buffer
      - .address_space:  global
        .offset:         8
        .size:           8
        .value_kind:     global_buffer
      - .offset:         16
        .size:           4
        .value_kind:     by_value
      - .offset:         20
        .size:           4
        .value_kind:     by_value
      - .offset:         24
        .size:           4
        .value_kind:     by_value
      - .address_space:  global
        .offset:         32
        .size:           8
        .value_kind:     global_buffer
      - .offset:         40
        .size:           4
        .value_kind:     by_value
      - .offset:         44
        .size:           1
        .value_kind:     by_value
      - .offset:         48
        .size:           4
        .value_kind:     hidden_block_count_x
      - .offset:         52
        .size:           4
        .value_kind:     hidden_block_count_y
      - .offset:         56
        .size:           4
        .value_kind:     hidden_block_count_z
      - .offset:         60
        .size:           2
        .value_kind:     hidden_group_size_x
      - .offset:         62
        .size:           2
        .value_kind:     hidden_group_size_y
      - .offset:         64
        .size:           2
        .value_kind:     hidden_group_size_z
      - .offset:         66
        .size:           2
        .value_kind:     hidden_remainder_x
      - .offset:         68
        .size:           2
        .value_kind:     hidden_remainder_y
      - .offset:         70
        .size:           2
        .value_kind:     hidden_remainder_z
      - .offset:         88
        .size:           8
        .value_kind:     hidden_global_offset_x
      - .offset:         96
        .size:           8
        .value_kind:     hidden_global_offset_y
      - .offset:         104
        .size:           8
        .value_kind:     hidden_global_offset_z
      - .offset:         112
        .size:           2
        .value_kind:     hidden_grid_dims
    .group_segment_fixed_size: 0
    .kernarg_segment_align: 8
    .kernarg_segment_size: 304
    .language:       OpenCL C
    .language_version:
      - 2
      - 0
    .max_flat_workgroup_size: 1024
    .name:           _ZN12_GLOBAL__N_120softmax_warp_forwardIdddLi0ELb0ELb0ELi64EEEvPT0_PKT_iiiPKbib
    .private_segment_fixed_size: 0
    .sgpr_count:     18
    .sgpr_spill_count: 0
    .symbol:         _ZN12_GLOBAL__N_120softmax_warp_forwardIdddLi0ELb0ELb0ELi64EEEvPT0_PKT_iiiPKbib.kd
    .uniform_work_group_size: 1
    .uses_dynamic_stack: false
    .vgpr_count:     17
    .vgpr_spill_count: 0
    .wavefront_size: 32
    .workgroup_processor_mode: 1
  - .args:
      - .address_space:  global
        .offset:         0
        .size:           8
        .value_kind:     global_buffer
      - .address_space:  global
        .offset:         8
        .size:           8
        .value_kind:     global_buffer
      - .offset:         16
        .size:           4
        .value_kind:     by_value
      - .offset:         20
        .size:           4
        .value_kind:     by_value
      - .offset:         24
        .size:           4
        .value_kind:     by_value
      - .address_space:  global
        .offset:         32
        .size:           8
        .value_kind:     global_buffer
      - .offset:         40
        .size:           4
        .value_kind:     by_value
      - .offset:         44
        .size:           1
        .value_kind:     by_value
      - .offset:         48
        .size:           4
        .value_kind:     hidden_block_count_x
      - .offset:         52
        .size:           4
        .value_kind:     hidden_block_count_y
      - .offset:         56
        .size:           4
        .value_kind:     hidden_block_count_z
      - .offset:         60
        .size:           2
        .value_kind:     hidden_group_size_x
      - .offset:         62
        .size:           2
        .value_kind:     hidden_group_size_y
      - .offset:         64
        .size:           2
        .value_kind:     hidden_group_size_z
      - .offset:         66
        .size:           2
        .value_kind:     hidden_remainder_x
      - .offset:         68
        .size:           2
        .value_kind:     hidden_remainder_y
      - .offset:         70
        .size:           2
        .value_kind:     hidden_remainder_z
      - .offset:         88
        .size:           8
        .value_kind:     hidden_global_offset_x
      - .offset:         96
        .size:           8
        .value_kind:     hidden_global_offset_y
      - .offset:         104
        .size:           8
        .value_kind:     hidden_global_offset_z
      - .offset:         112
        .size:           2
        .value_kind:     hidden_grid_dims
    .group_segment_fixed_size: 0
    .kernarg_segment_align: 8
    .kernarg_segment_size: 304
    .language:       OpenCL C
    .language_version:
      - 2
      - 0
    .max_flat_workgroup_size: 1024
    .name:           _ZN12_GLOBAL__N_120softmax_warp_forwardIdddLi0ELb0ELb0ELi32EEEvPT0_PKT_iiiPKbib
    .private_segment_fixed_size: 0
    .sgpr_count:     18
    .sgpr_spill_count: 0
    .symbol:         _ZN12_GLOBAL__N_120softmax_warp_forwardIdddLi0ELb0ELb0ELi32EEEvPT0_PKT_iiiPKbib.kd
    .uniform_work_group_size: 1
    .uses_dynamic_stack: false
    .vgpr_count:     17
    .vgpr_spill_count: 0
    .wavefront_size: 32
    .workgroup_processor_mode: 1
  - .args:
      - .address_space:  global
        .offset:         0
        .size:           8
        .value_kind:     global_buffer
      - .address_space:  global
        .offset:         8
        .size:           8
        .value_kind:     global_buffer
      - .offset:         16
        .size:           4
        .value_kind:     by_value
      - .offset:         20
        .size:           4
        .value_kind:     by_value
      - .offset:         24
        .size:           4
        .value_kind:     by_value
      - .address_space:  global
        .offset:         32
        .size:           8
        .value_kind:     global_buffer
      - .offset:         40
        .size:           4
        .value_kind:     by_value
      - .offset:         44
        .size:           1
        .value_kind:     by_value
      - .offset:         48
        .size:           4
        .value_kind:     hidden_block_count_x
      - .offset:         52
        .size:           4
        .value_kind:     hidden_block_count_y
      - .offset:         56
        .size:           4
        .value_kind:     hidden_block_count_z
      - .offset:         60
        .size:           2
        .value_kind:     hidden_group_size_x
      - .offset:         62
        .size:           2
        .value_kind:     hidden_group_size_y
      - .offset:         64
        .size:           2
        .value_kind:     hidden_group_size_z
      - .offset:         66
        .size:           2
        .value_kind:     hidden_remainder_x
      - .offset:         68
        .size:           2
        .value_kind:     hidden_remainder_y
      - .offset:         70
        .size:           2
        .value_kind:     hidden_remainder_z
      - .offset:         88
        .size:           8
        .value_kind:     hidden_global_offset_x
      - .offset:         96
        .size:           8
        .value_kind:     hidden_global_offset_y
      - .offset:         104
        .size:           8
        .value_kind:     hidden_global_offset_z
      - .offset:         112
        .size:           2
        .value_kind:     hidden_grid_dims
    .group_segment_fixed_size: 0
    .kernarg_segment_align: 8
    .kernarg_segment_size: 304
    .language:       OpenCL C
    .language_version:
      - 2
      - 0
    .max_flat_workgroup_size: 1024
    .name:           _ZN12_GLOBAL__N_120softmax_warp_forwardIdddLi1ELb0ELb0ELi64EEEvPT0_PKT_iiiPKbib
    .private_segment_fixed_size: 0
    .sgpr_count:     26
    .sgpr_spill_count: 0
    .symbol:         _ZN12_GLOBAL__N_120softmax_warp_forwardIdddLi1ELb0ELb0ELi64EEEvPT0_PKT_iiiPKbib.kd
    .uniform_work_group_size: 1
    .uses_dynamic_stack: false
    .vgpr_count:     21
    .vgpr_spill_count: 0
    .wavefront_size: 32
    .workgroup_processor_mode: 1
  - .args:
      - .address_space:  global
        .offset:         0
        .size:           8
        .value_kind:     global_buffer
      - .address_space:  global
        .offset:         8
        .size:           8
        .value_kind:     global_buffer
      - .offset:         16
        .size:           4
        .value_kind:     by_value
      - .offset:         20
        .size:           4
        .value_kind:     by_value
      - .offset:         24
        .size:           4
        .value_kind:     by_value
      - .address_space:  global
        .offset:         32
        .size:           8
        .value_kind:     global_buffer
      - .offset:         40
        .size:           4
        .value_kind:     by_value
      - .offset:         44
        .size:           1
        .value_kind:     by_value
      - .offset:         48
        .size:           4
        .value_kind:     hidden_block_count_x
      - .offset:         52
        .size:           4
        .value_kind:     hidden_block_count_y
      - .offset:         56
        .size:           4
        .value_kind:     hidden_block_count_z
      - .offset:         60
        .size:           2
        .value_kind:     hidden_group_size_x
      - .offset:         62
        .size:           2
        .value_kind:     hidden_group_size_y
      - .offset:         64
        .size:           2
        .value_kind:     hidden_group_size_z
      - .offset:         66
        .size:           2
        .value_kind:     hidden_remainder_x
      - .offset:         68
        .size:           2
        .value_kind:     hidden_remainder_y
      - .offset:         70
        .size:           2
        .value_kind:     hidden_remainder_z
      - .offset:         88
        .size:           8
        .value_kind:     hidden_global_offset_x
      - .offset:         96
        .size:           8
        .value_kind:     hidden_global_offset_y
      - .offset:         104
        .size:           8
        .value_kind:     hidden_global_offset_z
      - .offset:         112
        .size:           2
        .value_kind:     hidden_grid_dims
    .group_segment_fixed_size: 0
    .kernarg_segment_align: 8
    .kernarg_segment_size: 304
    .language:       OpenCL C
    .language_version:
      - 2
      - 0
    .max_flat_workgroup_size: 1024
    .name:           _ZN12_GLOBAL__N_120softmax_warp_forwardIdddLi1ELb0ELb0ELi32EEEvPT0_PKT_iiiPKbib
    .private_segment_fixed_size: 0
    .sgpr_count:     26
    .sgpr_spill_count: 0
    .symbol:         _ZN12_GLOBAL__N_120softmax_warp_forwardIdddLi1ELb0ELb0ELi32EEEvPT0_PKT_iiiPKbib.kd
    .uniform_work_group_size: 1
    .uses_dynamic_stack: false
    .vgpr_count:     21
    .vgpr_spill_count: 0
    .wavefront_size: 32
    .workgroup_processor_mode: 1
  - .args:
      - .address_space:  global
        .offset:         0
        .size:           8
        .value_kind:     global_buffer
      - .address_space:  global
        .offset:         8
        .size:           8
        .value_kind:     global_buffer
      - .offset:         16
        .size:           4
        .value_kind:     by_value
      - .offset:         20
        .size:           4
        .value_kind:     by_value
      - .offset:         24
        .size:           4
        .value_kind:     by_value
      - .address_space:  global
        .offset:         32
        .size:           8
        .value_kind:     global_buffer
      - .offset:         40
        .size:           4
        .value_kind:     by_value
      - .offset:         44
        .size:           1
        .value_kind:     by_value
      - .offset:         48
        .size:           4
        .value_kind:     hidden_block_count_x
      - .offset:         52
        .size:           4
        .value_kind:     hidden_block_count_y
      - .offset:         56
        .size:           4
        .value_kind:     hidden_block_count_z
      - .offset:         60
        .size:           2
        .value_kind:     hidden_group_size_x
      - .offset:         62
        .size:           2
        .value_kind:     hidden_group_size_y
      - .offset:         64
        .size:           2
        .value_kind:     hidden_group_size_z
      - .offset:         66
        .size:           2
        .value_kind:     hidden_remainder_x
      - .offset:         68
        .size:           2
        .value_kind:     hidden_remainder_y
      - .offset:         70
        .size:           2
        .value_kind:     hidden_remainder_z
      - .offset:         88
        .size:           8
        .value_kind:     hidden_global_offset_x
      - .offset:         96
        .size:           8
        .value_kind:     hidden_global_offset_y
      - .offset:         104
        .size:           8
        .value_kind:     hidden_global_offset_z
      - .offset:         112
        .size:           2
        .value_kind:     hidden_grid_dims
    .group_segment_fixed_size: 0
    .kernarg_segment_align: 8
    .kernarg_segment_size: 304
    .language:       OpenCL C
    .language_version:
      - 2
      - 0
    .max_flat_workgroup_size: 1024
    .name:           _ZN12_GLOBAL__N_120softmax_warp_forwardIdddLi2ELb0ELb0ELi64EEEvPT0_PKT_iiiPKbib
    .private_segment_fixed_size: 0
    .sgpr_count:     26
    .sgpr_spill_count: 0
    .symbol:         _ZN12_GLOBAL__N_120softmax_warp_forwardIdddLi2ELb0ELb0ELi64EEEvPT0_PKT_iiiPKbib.kd
    .uniform_work_group_size: 1
    .uses_dynamic_stack: false
    .vgpr_count:     22
    .vgpr_spill_count: 0
    .wavefront_size: 32
    .workgroup_processor_mode: 1
  - .args:
      - .address_space:  global
        .offset:         0
        .size:           8
        .value_kind:     global_buffer
      - .address_space:  global
        .offset:         8
        .size:           8
        .value_kind:     global_buffer
      - .offset:         16
        .size:           4
        .value_kind:     by_value
      - .offset:         20
        .size:           4
        .value_kind:     by_value
      - .offset:         24
        .size:           4
        .value_kind:     by_value
      - .address_space:  global
        .offset:         32
        .size:           8
        .value_kind:     global_buffer
      - .offset:         40
        .size:           4
        .value_kind:     by_value
      - .offset:         44
        .size:           1
        .value_kind:     by_value
      - .offset:         48
        .size:           4
        .value_kind:     hidden_block_count_x
      - .offset:         52
        .size:           4
        .value_kind:     hidden_block_count_y
      - .offset:         56
        .size:           4
        .value_kind:     hidden_block_count_z
      - .offset:         60
        .size:           2
        .value_kind:     hidden_group_size_x
      - .offset:         62
        .size:           2
        .value_kind:     hidden_group_size_y
      - .offset:         64
        .size:           2
        .value_kind:     hidden_group_size_z
      - .offset:         66
        .size:           2
        .value_kind:     hidden_remainder_x
      - .offset:         68
        .size:           2
        .value_kind:     hidden_remainder_y
      - .offset:         70
        .size:           2
        .value_kind:     hidden_remainder_z
      - .offset:         88
        .size:           8
        .value_kind:     hidden_global_offset_x
      - .offset:         96
        .size:           8
        .value_kind:     hidden_global_offset_y
      - .offset:         104
        .size:           8
        .value_kind:     hidden_global_offset_z
      - .offset:         112
        .size:           2
        .value_kind:     hidden_grid_dims
    .group_segment_fixed_size: 0
    .kernarg_segment_align: 8
    .kernarg_segment_size: 304
    .language:       OpenCL C
    .language_version:
      - 2
      - 0
    .max_flat_workgroup_size: 1024
    .name:           _ZN12_GLOBAL__N_120softmax_warp_forwardIdddLi2ELb0ELb0ELi32EEEvPT0_PKT_iiiPKbib
    .private_segment_fixed_size: 0
    .sgpr_count:     26
    .sgpr_spill_count: 0
    .symbol:         _ZN12_GLOBAL__N_120softmax_warp_forwardIdddLi2ELb0ELb0ELi32EEEvPT0_PKT_iiiPKbib.kd
    .uniform_work_group_size: 1
    .uses_dynamic_stack: false
    .vgpr_count:     22
    .vgpr_spill_count: 0
    .wavefront_size: 32
    .workgroup_processor_mode: 1
  - .args:
      - .address_space:  global
        .offset:         0
        .size:           8
        .value_kind:     global_buffer
      - .address_space:  global
        .offset:         8
        .size:           8
        .value_kind:     global_buffer
      - .offset:         16
        .size:           4
        .value_kind:     by_value
      - .offset:         20
        .size:           4
        .value_kind:     by_value
      - .offset:         24
        .size:           4
        .value_kind:     by_value
      - .address_space:  global
        .offset:         32
        .size:           8
        .value_kind:     global_buffer
      - .offset:         40
        .size:           4
        .value_kind:     by_value
      - .offset:         44
        .size:           1
        .value_kind:     by_value
      - .offset:         48
        .size:           4
        .value_kind:     hidden_block_count_x
      - .offset:         52
        .size:           4
        .value_kind:     hidden_block_count_y
      - .offset:         56
        .size:           4
        .value_kind:     hidden_block_count_z
      - .offset:         60
        .size:           2
        .value_kind:     hidden_group_size_x
      - .offset:         62
        .size:           2
        .value_kind:     hidden_group_size_y
      - .offset:         64
        .size:           2
        .value_kind:     hidden_group_size_z
      - .offset:         66
        .size:           2
        .value_kind:     hidden_remainder_x
      - .offset:         68
        .size:           2
        .value_kind:     hidden_remainder_y
      - .offset:         70
        .size:           2
        .value_kind:     hidden_remainder_z
      - .offset:         88
        .size:           8
        .value_kind:     hidden_global_offset_x
      - .offset:         96
        .size:           8
        .value_kind:     hidden_global_offset_y
      - .offset:         104
        .size:           8
        .value_kind:     hidden_global_offset_z
      - .offset:         112
        .size:           2
        .value_kind:     hidden_grid_dims
    .group_segment_fixed_size: 0
    .kernarg_segment_align: 8
    .kernarg_segment_size: 304
    .language:       OpenCL C
    .language_version:
      - 2
      - 0
    .max_flat_workgroup_size: 1024
    .name:           _ZN12_GLOBAL__N_120softmax_warp_forwardIdddLi3ELb0ELb0ELi64EEEvPT0_PKT_iiiPKbib
    .private_segment_fixed_size: 0
    .sgpr_count:     26
    .sgpr_spill_count: 0
    .symbol:         _ZN12_GLOBAL__N_120softmax_warp_forwardIdddLi3ELb0ELb0ELi64EEEvPT0_PKT_iiiPKbib.kd
    .uniform_work_group_size: 1
    .uses_dynamic_stack: false
    .vgpr_count:     23
    .vgpr_spill_count: 0
    .wavefront_size: 32
    .workgroup_processor_mode: 1
  - .args:
      - .address_space:  global
        .offset:         0
        .size:           8
        .value_kind:     global_buffer
      - .address_space:  global
        .offset:         8
        .size:           8
        .value_kind:     global_buffer
      - .offset:         16
        .size:           4
        .value_kind:     by_value
      - .offset:         20
        .size:           4
        .value_kind:     by_value
      - .offset:         24
        .size:           4
        .value_kind:     by_value
      - .address_space:  global
        .offset:         32
        .size:           8
        .value_kind:     global_buffer
      - .offset:         40
        .size:           4
        .value_kind:     by_value
      - .offset:         44
        .size:           1
        .value_kind:     by_value
      - .offset:         48
        .size:           4
        .value_kind:     hidden_block_count_x
      - .offset:         52
        .size:           4
        .value_kind:     hidden_block_count_y
      - .offset:         56
        .size:           4
        .value_kind:     hidden_block_count_z
      - .offset:         60
        .size:           2
        .value_kind:     hidden_group_size_x
      - .offset:         62
        .size:           2
        .value_kind:     hidden_group_size_y
      - .offset:         64
        .size:           2
        .value_kind:     hidden_group_size_z
      - .offset:         66
        .size:           2
        .value_kind:     hidden_remainder_x
      - .offset:         68
        .size:           2
        .value_kind:     hidden_remainder_y
      - .offset:         70
        .size:           2
        .value_kind:     hidden_remainder_z
      - .offset:         88
        .size:           8
        .value_kind:     hidden_global_offset_x
      - .offset:         96
        .size:           8
        .value_kind:     hidden_global_offset_y
      - .offset:         104
        .size:           8
        .value_kind:     hidden_global_offset_z
      - .offset:         112
        .size:           2
        .value_kind:     hidden_grid_dims
    .group_segment_fixed_size: 0
    .kernarg_segment_align: 8
    .kernarg_segment_size: 304
    .language:       OpenCL C
    .language_version:
      - 2
      - 0
    .max_flat_workgroup_size: 1024
    .name:           _ZN12_GLOBAL__N_120softmax_warp_forwardIdddLi3ELb0ELb0ELi32EEEvPT0_PKT_iiiPKbib
    .private_segment_fixed_size: 0
    .sgpr_count:     26
    .sgpr_spill_count: 0
    .symbol:         _ZN12_GLOBAL__N_120softmax_warp_forwardIdddLi3ELb0ELb0ELi32EEEvPT0_PKT_iiiPKbib.kd
    .uniform_work_group_size: 1
    .uses_dynamic_stack: false
    .vgpr_count:     23
    .vgpr_spill_count: 0
    .wavefront_size: 32
    .workgroup_processor_mode: 1
  - .args:
      - .address_space:  global
        .offset:         0
        .size:           8
        .value_kind:     global_buffer
      - .address_space:  global
        .offset:         8
        .size:           8
        .value_kind:     global_buffer
      - .offset:         16
        .size:           4
        .value_kind:     by_value
      - .offset:         20
        .size:           4
        .value_kind:     by_value
      - .offset:         24
        .size:           4
        .value_kind:     by_value
      - .address_space:  global
        .offset:         32
        .size:           8
        .value_kind:     global_buffer
      - .offset:         40
        .size:           4
        .value_kind:     by_value
      - .offset:         44
        .size:           1
        .value_kind:     by_value
      - .offset:         48
        .size:           4
        .value_kind:     hidden_block_count_x
      - .offset:         52
        .size:           4
        .value_kind:     hidden_block_count_y
      - .offset:         56
        .size:           4
        .value_kind:     hidden_block_count_z
      - .offset:         60
        .size:           2
        .value_kind:     hidden_group_size_x
      - .offset:         62
        .size:           2
        .value_kind:     hidden_group_size_y
      - .offset:         64
        .size:           2
        .value_kind:     hidden_group_size_z
      - .offset:         66
        .size:           2
        .value_kind:     hidden_remainder_x
      - .offset:         68
        .size:           2
        .value_kind:     hidden_remainder_y
      - .offset:         70
        .size:           2
        .value_kind:     hidden_remainder_z
      - .offset:         88
        .size:           8
        .value_kind:     hidden_global_offset_x
      - .offset:         96
        .size:           8
        .value_kind:     hidden_global_offset_y
      - .offset:         104
        .size:           8
        .value_kind:     hidden_global_offset_z
      - .offset:         112
        .size:           2
        .value_kind:     hidden_grid_dims
    .group_segment_fixed_size: 0
    .kernarg_segment_align: 8
    .kernarg_segment_size: 304
    .language:       OpenCL C
    .language_version:
      - 2
      - 0
    .max_flat_workgroup_size: 1024
    .name:           _ZN12_GLOBAL__N_120softmax_warp_forwardIdddLi4ELb0ELb0ELi64EEEvPT0_PKT_iiiPKbib
    .private_segment_fixed_size: 0
    .sgpr_count:     26
    .sgpr_spill_count: 0
    .symbol:         _ZN12_GLOBAL__N_120softmax_warp_forwardIdddLi4ELb0ELb0ELi64EEEvPT0_PKT_iiiPKbib.kd
    .uniform_work_group_size: 1
    .uses_dynamic_stack: false
    .vgpr_count:     24
    .vgpr_spill_count: 0
    .wavefront_size: 32
    .workgroup_processor_mode: 1
  - .args:
      - .address_space:  global
        .offset:         0
        .size:           8
        .value_kind:     global_buffer
      - .address_space:  global
        .offset:         8
        .size:           8
        .value_kind:     global_buffer
      - .offset:         16
        .size:           4
        .value_kind:     by_value
      - .offset:         20
        .size:           4
        .value_kind:     by_value
      - .offset:         24
        .size:           4
        .value_kind:     by_value
      - .address_space:  global
        .offset:         32
        .size:           8
        .value_kind:     global_buffer
      - .offset:         40
        .size:           4
        .value_kind:     by_value
      - .offset:         44
        .size:           1
        .value_kind:     by_value
      - .offset:         48
        .size:           4
        .value_kind:     hidden_block_count_x
      - .offset:         52
        .size:           4
        .value_kind:     hidden_block_count_y
      - .offset:         56
        .size:           4
        .value_kind:     hidden_block_count_z
      - .offset:         60
        .size:           2
        .value_kind:     hidden_group_size_x
      - .offset:         62
        .size:           2
        .value_kind:     hidden_group_size_y
      - .offset:         64
        .size:           2
        .value_kind:     hidden_group_size_z
      - .offset:         66
        .size:           2
        .value_kind:     hidden_remainder_x
      - .offset:         68
        .size:           2
        .value_kind:     hidden_remainder_y
      - .offset:         70
        .size:           2
        .value_kind:     hidden_remainder_z
      - .offset:         88
        .size:           8
        .value_kind:     hidden_global_offset_x
      - .offset:         96
        .size:           8
        .value_kind:     hidden_global_offset_y
      - .offset:         104
        .size:           8
        .value_kind:     hidden_global_offset_z
      - .offset:         112
        .size:           2
        .value_kind:     hidden_grid_dims
    .group_segment_fixed_size: 0
    .kernarg_segment_align: 8
    .kernarg_segment_size: 304
    .language:       OpenCL C
    .language_version:
      - 2
      - 0
    .max_flat_workgroup_size: 1024
    .name:           _ZN12_GLOBAL__N_120softmax_warp_forwardIdddLi4ELb0ELb0ELi32EEEvPT0_PKT_iiiPKbib
    .private_segment_fixed_size: 0
    .sgpr_count:     26
    .sgpr_spill_count: 0
    .symbol:         _ZN12_GLOBAL__N_120softmax_warp_forwardIdddLi4ELb0ELb0ELi32EEEvPT0_PKT_iiiPKbib.kd
    .uniform_work_group_size: 1
    .uses_dynamic_stack: false
    .vgpr_count:     24
    .vgpr_spill_count: 0
    .wavefront_size: 32
    .workgroup_processor_mode: 1
  - .args:
      - .address_space:  global
        .offset:         0
        .size:           8
        .value_kind:     global_buffer
      - .address_space:  global
        .offset:         8
        .size:           8
        .value_kind:     global_buffer
      - .offset:         16
        .size:           4
        .value_kind:     by_value
      - .offset:         20
        .size:           4
        .value_kind:     by_value
      - .offset:         24
        .size:           4
        .value_kind:     by_value
      - .address_space:  global
        .offset:         32
        .size:           8
        .value_kind:     global_buffer
      - .offset:         40
        .size:           4
        .value_kind:     by_value
      - .offset:         44
        .size:           1
        .value_kind:     by_value
      - .offset:         48
        .size:           4
        .value_kind:     hidden_block_count_x
      - .offset:         52
        .size:           4
        .value_kind:     hidden_block_count_y
      - .offset:         56
        .size:           4
        .value_kind:     hidden_block_count_z
      - .offset:         60
        .size:           2
        .value_kind:     hidden_group_size_x
      - .offset:         62
        .size:           2
        .value_kind:     hidden_group_size_y
      - .offset:         64
        .size:           2
        .value_kind:     hidden_group_size_z
      - .offset:         66
        .size:           2
        .value_kind:     hidden_remainder_x
      - .offset:         68
        .size:           2
        .value_kind:     hidden_remainder_y
      - .offset:         70
        .size:           2
        .value_kind:     hidden_remainder_z
      - .offset:         88
        .size:           8
        .value_kind:     hidden_global_offset_x
      - .offset:         96
        .size:           8
        .value_kind:     hidden_global_offset_y
      - .offset:         104
        .size:           8
        .value_kind:     hidden_global_offset_z
      - .offset:         112
        .size:           2
        .value_kind:     hidden_grid_dims
    .group_segment_fixed_size: 0
    .kernarg_segment_align: 8
    .kernarg_segment_size: 304
    .language:       OpenCL C
    .language_version:
      - 2
      - 0
    .max_flat_workgroup_size: 1024
    .name:           _ZN12_GLOBAL__N_120softmax_warp_forwardIdddLi5ELb0ELb0ELi64EEEvPT0_PKT_iiiPKbib
    .private_segment_fixed_size: 0
    .sgpr_count:     26
    .sgpr_spill_count: 0
    .symbol:         _ZN12_GLOBAL__N_120softmax_warp_forwardIdddLi5ELb0ELb0ELi64EEEvPT0_PKT_iiiPKbib.kd
    .uniform_work_group_size: 1
    .uses_dynamic_stack: false
    .vgpr_count:     25
    .vgpr_spill_count: 0
    .wavefront_size: 32
    .workgroup_processor_mode: 1
  - .args:
      - .address_space:  global
        .offset:         0
        .size:           8
        .value_kind:     global_buffer
      - .address_space:  global
        .offset:         8
        .size:           8
        .value_kind:     global_buffer
      - .offset:         16
        .size:           4
        .value_kind:     by_value
      - .offset:         20
        .size:           4
        .value_kind:     by_value
      - .offset:         24
        .size:           4
        .value_kind:     by_value
      - .address_space:  global
        .offset:         32
        .size:           8
        .value_kind:     global_buffer
      - .offset:         40
        .size:           4
        .value_kind:     by_value
      - .offset:         44
        .size:           1
        .value_kind:     by_value
      - .offset:         48
        .size:           4
        .value_kind:     hidden_block_count_x
      - .offset:         52
        .size:           4
        .value_kind:     hidden_block_count_y
      - .offset:         56
        .size:           4
        .value_kind:     hidden_block_count_z
      - .offset:         60
        .size:           2
        .value_kind:     hidden_group_size_x
      - .offset:         62
        .size:           2
        .value_kind:     hidden_group_size_y
      - .offset:         64
        .size:           2
        .value_kind:     hidden_group_size_z
      - .offset:         66
        .size:           2
        .value_kind:     hidden_remainder_x
      - .offset:         68
        .size:           2
        .value_kind:     hidden_remainder_y
      - .offset:         70
        .size:           2
        .value_kind:     hidden_remainder_z
      - .offset:         88
        .size:           8
        .value_kind:     hidden_global_offset_x
      - .offset:         96
        .size:           8
        .value_kind:     hidden_global_offset_y
      - .offset:         104
        .size:           8
        .value_kind:     hidden_global_offset_z
      - .offset:         112
        .size:           2
        .value_kind:     hidden_grid_dims
    .group_segment_fixed_size: 0
    .kernarg_segment_align: 8
    .kernarg_segment_size: 304
    .language:       OpenCL C
    .language_version:
      - 2
      - 0
    .max_flat_workgroup_size: 1024
    .name:           _ZN12_GLOBAL__N_120softmax_warp_forwardIdddLi5ELb0ELb0ELi32EEEvPT0_PKT_iiiPKbib
    .private_segment_fixed_size: 0
    .sgpr_count:     26
    .sgpr_spill_count: 0
    .symbol:         _ZN12_GLOBAL__N_120softmax_warp_forwardIdddLi5ELb0ELb0ELi32EEEvPT0_PKT_iiiPKbib.kd
    .uniform_work_group_size: 1
    .uses_dynamic_stack: false
    .vgpr_count:     25
    .vgpr_spill_count: 0
    .wavefront_size: 32
    .workgroup_processor_mode: 1
  - .args:
      - .address_space:  global
        .offset:         0
        .size:           8
        .value_kind:     global_buffer
      - .address_space:  global
        .offset:         8
        .size:           8
        .value_kind:     global_buffer
      - .offset:         16
        .size:           4
        .value_kind:     by_value
      - .offset:         20
        .size:           4
        .value_kind:     by_value
      - .offset:         24
        .size:           4
        .value_kind:     by_value
      - .address_space:  global
        .offset:         32
        .size:           8
        .value_kind:     global_buffer
      - .offset:         40
        .size:           4
        .value_kind:     by_value
      - .offset:         44
        .size:           1
        .value_kind:     by_value
      - .offset:         48
        .size:           4
        .value_kind:     hidden_block_count_x
      - .offset:         52
        .size:           4
        .value_kind:     hidden_block_count_y
      - .offset:         56
        .size:           4
        .value_kind:     hidden_block_count_z
      - .offset:         60
        .size:           2
        .value_kind:     hidden_group_size_x
      - .offset:         62
        .size:           2
        .value_kind:     hidden_group_size_y
      - .offset:         64
        .size:           2
        .value_kind:     hidden_group_size_z
      - .offset:         66
        .size:           2
        .value_kind:     hidden_remainder_x
      - .offset:         68
        .size:           2
        .value_kind:     hidden_remainder_y
      - .offset:         70
        .size:           2
        .value_kind:     hidden_remainder_z
      - .offset:         88
        .size:           8
        .value_kind:     hidden_global_offset_x
      - .offset:         96
        .size:           8
        .value_kind:     hidden_global_offset_y
      - .offset:         104
        .size:           8
        .value_kind:     hidden_global_offset_z
      - .offset:         112
        .size:           2
        .value_kind:     hidden_grid_dims
    .group_segment_fixed_size: 0
    .kernarg_segment_align: 8
    .kernarg_segment_size: 304
    .language:       OpenCL C
    .language_version:
      - 2
      - 0
    .max_flat_workgroup_size: 1024
    .name:           _ZN12_GLOBAL__N_120softmax_warp_forwardIdddLi6ELb0ELb0ELi64EEEvPT0_PKT_iiiPKbib
    .private_segment_fixed_size: 0
    .sgpr_count:     26
    .sgpr_spill_count: 0
    .symbol:         _ZN12_GLOBAL__N_120softmax_warp_forwardIdddLi6ELb0ELb0ELi64EEEvPT0_PKT_iiiPKbib.kd
    .uniform_work_group_size: 1
    .uses_dynamic_stack: false
    .vgpr_count:     26
    .vgpr_spill_count: 0
    .wavefront_size: 32
    .workgroup_processor_mode: 1
  - .args:
      - .address_space:  global
        .offset:         0
        .size:           8
        .value_kind:     global_buffer
      - .address_space:  global
        .offset:         8
        .size:           8
        .value_kind:     global_buffer
      - .offset:         16
        .size:           4
        .value_kind:     by_value
      - .offset:         20
        .size:           4
        .value_kind:     by_value
      - .offset:         24
        .size:           4
        .value_kind:     by_value
      - .address_space:  global
        .offset:         32
        .size:           8
        .value_kind:     global_buffer
      - .offset:         40
        .size:           4
        .value_kind:     by_value
      - .offset:         44
        .size:           1
        .value_kind:     by_value
      - .offset:         48
        .size:           4
        .value_kind:     hidden_block_count_x
      - .offset:         52
        .size:           4
        .value_kind:     hidden_block_count_y
      - .offset:         56
        .size:           4
        .value_kind:     hidden_block_count_z
      - .offset:         60
        .size:           2
        .value_kind:     hidden_group_size_x
      - .offset:         62
        .size:           2
        .value_kind:     hidden_group_size_y
      - .offset:         64
        .size:           2
        .value_kind:     hidden_group_size_z
      - .offset:         66
        .size:           2
        .value_kind:     hidden_remainder_x
      - .offset:         68
        .size:           2
        .value_kind:     hidden_remainder_y
      - .offset:         70
        .size:           2
        .value_kind:     hidden_remainder_z
      - .offset:         88
        .size:           8
        .value_kind:     hidden_global_offset_x
      - .offset:         96
        .size:           8
        .value_kind:     hidden_global_offset_y
      - .offset:         104
        .size:           8
        .value_kind:     hidden_global_offset_z
      - .offset:         112
        .size:           2
        .value_kind:     hidden_grid_dims
    .group_segment_fixed_size: 0
    .kernarg_segment_align: 8
    .kernarg_segment_size: 304
    .language:       OpenCL C
    .language_version:
      - 2
      - 0
    .max_flat_workgroup_size: 1024
    .name:           _ZN12_GLOBAL__N_120softmax_warp_forwardIdddLi6ELb0ELb0ELi32EEEvPT0_PKT_iiiPKbib
    .private_segment_fixed_size: 0
    .sgpr_count:     26
    .sgpr_spill_count: 0
    .symbol:         _ZN12_GLOBAL__N_120softmax_warp_forwardIdddLi6ELb0ELb0ELi32EEEvPT0_PKT_iiiPKbib.kd
    .uniform_work_group_size: 1
    .uses_dynamic_stack: false
    .vgpr_count:     41
    .vgpr_spill_count: 0
    .wavefront_size: 32
    .workgroup_processor_mode: 1
  - .args:
      - .address_space:  global
        .offset:         0
        .size:           8
        .value_kind:     global_buffer
      - .address_space:  global
        .offset:         8
        .size:           8
        .value_kind:     global_buffer
      - .offset:         16
        .size:           4
        .value_kind:     by_value
      - .offset:         20
        .size:           4
        .value_kind:     by_value
      - .offset:         24
        .size:           4
        .value_kind:     by_value
      - .address_space:  global
        .offset:         32
        .size:           8
        .value_kind:     global_buffer
      - .offset:         40
        .size:           4
        .value_kind:     by_value
      - .offset:         44
        .size:           1
        .value_kind:     by_value
      - .offset:         48
        .size:           4
        .value_kind:     hidden_block_count_x
      - .offset:         52
        .size:           4
        .value_kind:     hidden_block_count_y
      - .offset:         56
        .size:           4
        .value_kind:     hidden_block_count_z
      - .offset:         60
        .size:           2
        .value_kind:     hidden_group_size_x
      - .offset:         62
        .size:           2
        .value_kind:     hidden_group_size_y
      - .offset:         64
        .size:           2
        .value_kind:     hidden_group_size_z
      - .offset:         66
        .size:           2
        .value_kind:     hidden_remainder_x
      - .offset:         68
        .size:           2
        .value_kind:     hidden_remainder_y
      - .offset:         70
        .size:           2
        .value_kind:     hidden_remainder_z
      - .offset:         88
        .size:           8
        .value_kind:     hidden_global_offset_x
      - .offset:         96
        .size:           8
        .value_kind:     hidden_global_offset_y
      - .offset:         104
        .size:           8
        .value_kind:     hidden_global_offset_z
      - .offset:         112
        .size:           2
        .value_kind:     hidden_grid_dims
    .group_segment_fixed_size: 0
    .kernarg_segment_align: 8
    .kernarg_segment_size: 304
    .language:       OpenCL C
    .language_version:
      - 2
      - 0
    .max_flat_workgroup_size: 1024
    .name:           _ZN12_GLOBAL__N_120softmax_warp_forwardIdddLi7ELb0ELb0ELi64EEEvPT0_PKT_iiiPKbib
    .private_segment_fixed_size: 0
    .sgpr_count:     26
    .sgpr_spill_count: 0
    .symbol:         _ZN12_GLOBAL__N_120softmax_warp_forwardIdddLi7ELb0ELb0ELi64EEEvPT0_PKT_iiiPKbib.kd
    .uniform_work_group_size: 1
    .uses_dynamic_stack: false
    .vgpr_count:     42
    .vgpr_spill_count: 0
    .wavefront_size: 32
    .workgroup_processor_mode: 1
  - .args:
      - .address_space:  global
        .offset:         0
        .size:           8
        .value_kind:     global_buffer
      - .address_space:  global
        .offset:         8
        .size:           8
        .value_kind:     global_buffer
      - .offset:         16
        .size:           4
        .value_kind:     by_value
      - .offset:         20
        .size:           4
        .value_kind:     by_value
      - .offset:         24
        .size:           4
        .value_kind:     by_value
      - .address_space:  global
        .offset:         32
        .size:           8
        .value_kind:     global_buffer
      - .offset:         40
        .size:           4
        .value_kind:     by_value
      - .offset:         44
        .size:           1
        .value_kind:     by_value
      - .offset:         48
        .size:           4
        .value_kind:     hidden_block_count_x
      - .offset:         52
        .size:           4
        .value_kind:     hidden_block_count_y
      - .offset:         56
        .size:           4
        .value_kind:     hidden_block_count_z
      - .offset:         60
        .size:           2
        .value_kind:     hidden_group_size_x
      - .offset:         62
        .size:           2
        .value_kind:     hidden_group_size_y
      - .offset:         64
        .size:           2
        .value_kind:     hidden_group_size_z
      - .offset:         66
        .size:           2
        .value_kind:     hidden_remainder_x
      - .offset:         68
        .size:           2
        .value_kind:     hidden_remainder_y
      - .offset:         70
        .size:           2
        .value_kind:     hidden_remainder_z
      - .offset:         88
        .size:           8
        .value_kind:     hidden_global_offset_x
      - .offset:         96
        .size:           8
        .value_kind:     hidden_global_offset_y
      - .offset:         104
        .size:           8
        .value_kind:     hidden_global_offset_z
      - .offset:         112
        .size:           2
        .value_kind:     hidden_grid_dims
    .group_segment_fixed_size: 0
    .kernarg_segment_align: 8
    .kernarg_segment_size: 304
    .language:       OpenCL C
    .language_version:
      - 2
      - 0
    .max_flat_workgroup_size: 1024
    .name:           _ZN12_GLOBAL__N_120softmax_warp_forwardIdddLi7ELb0ELb0ELi32EEEvPT0_PKT_iiiPKbib
    .private_segment_fixed_size: 0
    .sgpr_count:     26
    .sgpr_spill_count: 0
    .symbol:         _ZN12_GLOBAL__N_120softmax_warp_forwardIdddLi7ELb0ELb0ELi32EEEvPT0_PKT_iiiPKbib.kd
    .uniform_work_group_size: 1
    .uses_dynamic_stack: false
    .vgpr_count:     74
    .vgpr_spill_count: 0
    .wavefront_size: 32
    .workgroup_processor_mode: 1
  - .args:
      - .address_space:  global
        .offset:         0
        .size:           8
        .value_kind:     global_buffer
      - .address_space:  global
        .offset:         8
        .size:           8
        .value_kind:     global_buffer
      - .offset:         16
        .size:           4
        .value_kind:     by_value
      - .offset:         20
        .size:           4
        .value_kind:     by_value
      - .offset:         24
        .size:           4
        .value_kind:     by_value
      - .address_space:  global
        .offset:         32
        .size:           8
        .value_kind:     global_buffer
      - .offset:         40
        .size:           4
        .value_kind:     by_value
      - .offset:         44
        .size:           1
        .value_kind:     by_value
      - .offset:         48
        .size:           4
        .value_kind:     hidden_block_count_x
      - .offset:         52
        .size:           4
        .value_kind:     hidden_block_count_y
      - .offset:         56
        .size:           4
        .value_kind:     hidden_block_count_z
      - .offset:         60
        .size:           2
        .value_kind:     hidden_group_size_x
      - .offset:         62
        .size:           2
        .value_kind:     hidden_group_size_y
      - .offset:         64
        .size:           2
        .value_kind:     hidden_group_size_z
      - .offset:         66
        .size:           2
        .value_kind:     hidden_remainder_x
      - .offset:         68
        .size:           2
        .value_kind:     hidden_remainder_y
      - .offset:         70
        .size:           2
        .value_kind:     hidden_remainder_z
      - .offset:         88
        .size:           8
        .value_kind:     hidden_global_offset_x
      - .offset:         96
        .size:           8
        .value_kind:     hidden_global_offset_y
      - .offset:         104
        .size:           8
        .value_kind:     hidden_global_offset_z
      - .offset:         112
        .size:           2
        .value_kind:     hidden_grid_dims
    .group_segment_fixed_size: 0
    .kernarg_segment_align: 8
    .kernarg_segment_size: 304
    .language:       OpenCL C
    .language_version:
      - 2
      - 0
    .max_flat_workgroup_size: 1024
    .name:           _ZN12_GLOBAL__N_120softmax_warp_forwardIdddLi8ELb0ELb0ELi64EEEvPT0_PKT_iiiPKbib
    .private_segment_fixed_size: 0
    .sgpr_count:     26
    .sgpr_spill_count: 0
    .symbol:         _ZN12_GLOBAL__N_120softmax_warp_forwardIdddLi8ELb0ELb0ELi64EEEvPT0_PKT_iiiPKbib.kd
    .uniform_work_group_size: 1
    .uses_dynamic_stack: false
    .vgpr_count:     42
    .vgpr_spill_count: 0
    .wavefront_size: 32
    .workgroup_processor_mode: 1
  - .args:
      - .address_space:  global
        .offset:         0
        .size:           8
        .value_kind:     global_buffer
      - .address_space:  global
        .offset:         8
        .size:           8
        .value_kind:     global_buffer
      - .offset:         16
        .size:           4
        .value_kind:     by_value
      - .offset:         20
        .size:           4
        .value_kind:     by_value
      - .offset:         24
        .size:           4
        .value_kind:     by_value
      - .address_space:  global
        .offset:         32
        .size:           8
        .value_kind:     global_buffer
      - .offset:         40
        .size:           4
        .value_kind:     by_value
      - .offset:         44
        .size:           1
        .value_kind:     by_value
      - .offset:         48
        .size:           4
        .value_kind:     hidden_block_count_x
      - .offset:         52
        .size:           4
        .value_kind:     hidden_block_count_y
      - .offset:         56
        .size:           4
        .value_kind:     hidden_block_count_z
      - .offset:         60
        .size:           2
        .value_kind:     hidden_group_size_x
      - .offset:         62
        .size:           2
        .value_kind:     hidden_group_size_y
      - .offset:         64
        .size:           2
        .value_kind:     hidden_group_size_z
      - .offset:         66
        .size:           2
        .value_kind:     hidden_remainder_x
      - .offset:         68
        .size:           2
        .value_kind:     hidden_remainder_y
      - .offset:         70
        .size:           2
        .value_kind:     hidden_remainder_z
      - .offset:         88
        .size:           8
        .value_kind:     hidden_global_offset_x
      - .offset:         96
        .size:           8
        .value_kind:     hidden_global_offset_y
      - .offset:         104
        .size:           8
        .value_kind:     hidden_global_offset_z
      - .offset:         112
        .size:           2
        .value_kind:     hidden_grid_dims
    .group_segment_fixed_size: 0
    .kernarg_segment_align: 8
    .kernarg_segment_size: 304
    .language:       OpenCL C
    .language_version:
      - 2
      - 0
    .max_flat_workgroup_size: 1024
    .name:           _ZN12_GLOBAL__N_120softmax_warp_forwardIdddLi8ELb0ELb0ELi32EEEvPT0_PKT_iiiPKbib
    .private_segment_fixed_size: 0
    .sgpr_count:     28
    .sgpr_spill_count: 0
    .symbol:         _ZN12_GLOBAL__N_120softmax_warp_forwardIdddLi8ELb0ELb0ELi32EEEvPT0_PKT_iiiPKbib.kd
    .uniform_work_group_size: 1
    .uses_dynamic_stack: false
    .vgpr_count:     73
    .vgpr_spill_count: 0
    .wavefront_size: 32
    .workgroup_processor_mode: 1
  - .args:
      - .address_space:  global
        .offset:         0
        .size:           8
        .value_kind:     global_buffer
      - .address_space:  global
        .offset:         8
        .size:           8
        .value_kind:     global_buffer
      - .offset:         16
        .size:           4
        .value_kind:     by_value
      - .offset:         20
        .size:           4
        .value_kind:     by_value
      - .offset:         24
        .size:           4
        .value_kind:     by_value
      - .address_space:  global
        .offset:         32
        .size:           8
        .value_kind:     global_buffer
      - .offset:         40
        .size:           4
        .value_kind:     by_value
      - .offset:         44
        .size:           1
        .value_kind:     by_value
      - .offset:         48
        .size:           4
        .value_kind:     hidden_block_count_x
      - .offset:         52
        .size:           4
        .value_kind:     hidden_block_count_y
      - .offset:         56
        .size:           4
        .value_kind:     hidden_block_count_z
      - .offset:         60
        .size:           2
        .value_kind:     hidden_group_size_x
      - .offset:         62
        .size:           2
        .value_kind:     hidden_group_size_y
      - .offset:         64
        .size:           2
        .value_kind:     hidden_group_size_z
      - .offset:         66
        .size:           2
        .value_kind:     hidden_remainder_x
      - .offset:         68
        .size:           2
        .value_kind:     hidden_remainder_y
      - .offset:         70
        .size:           2
        .value_kind:     hidden_remainder_z
      - .offset:         88
        .size:           8
        .value_kind:     hidden_global_offset_x
      - .offset:         96
        .size:           8
        .value_kind:     hidden_global_offset_y
      - .offset:         104
        .size:           8
        .value_kind:     hidden_global_offset_z
      - .offset:         112
        .size:           2
        .value_kind:     hidden_grid_dims
    .group_segment_fixed_size: 0
    .kernarg_segment_align: 8
    .kernarg_segment_size: 304
    .language:       OpenCL C
    .language_version:
      - 2
      - 0
    .max_flat_workgroup_size: 1024
    .name:           _ZN12_GLOBAL__N_120softmax_warp_forwardIdddLi9ELb0ELb0ELi64EEEvPT0_PKT_iiiPKbib
    .private_segment_fixed_size: 0
    .sgpr_count:     28
    .sgpr_spill_count: 0
    .symbol:         _ZN12_GLOBAL__N_120softmax_warp_forwardIdddLi9ELb0ELb0ELi64EEEvPT0_PKT_iiiPKbib.kd
    .uniform_work_group_size: 1
    .uses_dynamic_stack: false
    .vgpr_count:     74
    .vgpr_spill_count: 0
    .wavefront_size: 32
    .workgroup_processor_mode: 1
  - .args:
      - .address_space:  global
        .offset:         0
        .size:           8
        .value_kind:     global_buffer
      - .address_space:  global
        .offset:         8
        .size:           8
        .value_kind:     global_buffer
      - .offset:         16
        .size:           4
        .value_kind:     by_value
      - .offset:         20
        .size:           4
        .value_kind:     by_value
      - .offset:         24
        .size:           4
        .value_kind:     by_value
      - .address_space:  global
        .offset:         32
        .size:           8
        .value_kind:     global_buffer
      - .offset:         40
        .size:           4
        .value_kind:     by_value
      - .offset:         44
        .size:           1
        .value_kind:     by_value
      - .offset:         48
        .size:           4
        .value_kind:     hidden_block_count_x
      - .offset:         52
        .size:           4
        .value_kind:     hidden_block_count_y
      - .offset:         56
        .size:           4
        .value_kind:     hidden_block_count_z
      - .offset:         60
        .size:           2
        .value_kind:     hidden_group_size_x
      - .offset:         62
        .size:           2
        .value_kind:     hidden_group_size_y
      - .offset:         64
        .size:           2
        .value_kind:     hidden_group_size_z
      - .offset:         66
        .size:           2
        .value_kind:     hidden_remainder_x
      - .offset:         68
        .size:           2
        .value_kind:     hidden_remainder_y
      - .offset:         70
        .size:           2
        .value_kind:     hidden_remainder_z
      - .offset:         88
        .size:           8
        .value_kind:     hidden_global_offset_x
      - .offset:         96
        .size:           8
        .value_kind:     hidden_global_offset_y
      - .offset:         104
        .size:           8
        .value_kind:     hidden_global_offset_z
      - .offset:         112
        .size:           2
        .value_kind:     hidden_grid_dims
    .group_segment_fixed_size: 0
    .kernarg_segment_align: 8
    .kernarg_segment_size: 304
    .language:       OpenCL C
    .language_version:
      - 2
      - 0
    .max_flat_workgroup_size: 1024
    .name:           _ZN12_GLOBAL__N_120softmax_warp_forwardIdddLi9ELb0ELb0ELi32EEEvPT0_PKT_iiiPKbib
    .private_segment_fixed_size: 0
    .sgpr_count:     58
    .sgpr_spill_count: 0
    .symbol:         _ZN12_GLOBAL__N_120softmax_warp_forwardIdddLi9ELb0ELb0ELi32EEEvPT0_PKT_iiiPKbib.kd
    .uniform_work_group_size: 1
    .uses_dynamic_stack: false
    .vgpr_count:     97
    .vgpr_spill_count: 0
    .wavefront_size: 32
    .workgroup_processor_mode: 1
  - .args:
      - .address_space:  global
        .offset:         0
        .size:           8
        .value_kind:     global_buffer
      - .address_space:  global
        .offset:         8
        .size:           8
        .value_kind:     global_buffer
      - .offset:         16
        .size:           4
        .value_kind:     by_value
      - .offset:         20
        .size:           4
        .value_kind:     by_value
      - .offset:         24
        .size:           4
        .value_kind:     by_value
      - .address_space:  global
        .offset:         32
        .size:           8
        .value_kind:     global_buffer
      - .offset:         40
        .size:           4
        .value_kind:     by_value
      - .offset:         44
        .size:           1
        .value_kind:     by_value
      - .offset:         48
        .size:           4
        .value_kind:     hidden_block_count_x
      - .offset:         52
        .size:           4
        .value_kind:     hidden_block_count_y
      - .offset:         56
        .size:           4
        .value_kind:     hidden_block_count_z
      - .offset:         60
        .size:           2
        .value_kind:     hidden_group_size_x
      - .offset:         62
        .size:           2
        .value_kind:     hidden_group_size_y
      - .offset:         64
        .size:           2
        .value_kind:     hidden_group_size_z
      - .offset:         66
        .size:           2
        .value_kind:     hidden_remainder_x
      - .offset:         68
        .size:           2
        .value_kind:     hidden_remainder_y
      - .offset:         70
        .size:           2
        .value_kind:     hidden_remainder_z
      - .offset:         88
        .size:           8
        .value_kind:     hidden_global_offset_x
      - .offset:         96
        .size:           8
        .value_kind:     hidden_global_offset_y
      - .offset:         104
        .size:           8
        .value_kind:     hidden_global_offset_z
      - .offset:         112
        .size:           2
        .value_kind:     hidden_grid_dims
    .group_segment_fixed_size: 0
    .kernarg_segment_align: 8
    .kernarg_segment_size: 304
    .language:       OpenCL C
    .language_version:
      - 2
      - 0
    .max_flat_workgroup_size: 1024
    .name:           _ZN12_GLOBAL__N_120softmax_warp_forwardIdddLi10ELb0ELb0ELi64EEEvPT0_PKT_iiiPKbib
    .private_segment_fixed_size: 0
    .sgpr_count:     58
    .sgpr_spill_count: 0
    .symbol:         _ZN12_GLOBAL__N_120softmax_warp_forwardIdddLi10ELb0ELb0ELi64EEEvPT0_PKT_iiiPKbib.kd
    .uniform_work_group_size: 1
    .uses_dynamic_stack: false
    .vgpr_count:     97
    .vgpr_spill_count: 0
    .wavefront_size: 32
    .workgroup_processor_mode: 1
  - .args:
      - .address_space:  global
        .offset:         0
        .size:           8
        .value_kind:     global_buffer
      - .address_space:  global
        .offset:         8
        .size:           8
        .value_kind:     global_buffer
      - .offset:         16
        .size:           4
        .value_kind:     by_value
      - .offset:         20
        .size:           4
        .value_kind:     by_value
      - .offset:         24
        .size:           4
        .value_kind:     by_value
      - .address_space:  global
        .offset:         32
        .size:           8
        .value_kind:     global_buffer
      - .offset:         40
        .size:           4
        .value_kind:     by_value
      - .offset:         44
        .size:           1
        .value_kind:     by_value
      - .offset:         48
        .size:           4
        .value_kind:     hidden_block_count_x
      - .offset:         52
        .size:           4
        .value_kind:     hidden_block_count_y
      - .offset:         56
        .size:           4
        .value_kind:     hidden_block_count_z
      - .offset:         60
        .size:           2
        .value_kind:     hidden_group_size_x
      - .offset:         62
        .size:           2
        .value_kind:     hidden_group_size_y
      - .offset:         64
        .size:           2
        .value_kind:     hidden_group_size_z
      - .offset:         66
        .size:           2
        .value_kind:     hidden_remainder_x
      - .offset:         68
        .size:           2
        .value_kind:     hidden_remainder_y
      - .offset:         70
        .size:           2
        .value_kind:     hidden_remainder_z
      - .offset:         88
        .size:           8
        .value_kind:     hidden_global_offset_x
      - .offset:         96
        .size:           8
        .value_kind:     hidden_global_offset_y
      - .offset:         104
        .size:           8
        .value_kind:     hidden_global_offset_z
      - .offset:         112
        .size:           2
        .value_kind:     hidden_grid_dims
    .group_segment_fixed_size: 0
    .kernarg_segment_align: 8
    .kernarg_segment_size: 304
    .language:       OpenCL C
    .language_version:
      - 2
      - 0
    .max_flat_workgroup_size: 1024
    .name:           _ZN12_GLOBAL__N_120softmax_warp_forwardIdddLi10ELb0ELb0ELi32EEEvPT0_PKT_iiiPKbib
    .private_segment_fixed_size: 0
    .sgpr_count:     64
    .sgpr_spill_count: 0
    .symbol:         _ZN12_GLOBAL__N_120softmax_warp_forwardIdddLi10ELb0ELb0ELi32EEEvPT0_PKT_iiiPKbib.kd
    .uniform_work_group_size: 1
    .uses_dynamic_stack: false
    .vgpr_count:     82
    .vgpr_spill_count: 0
    .wavefront_size: 32
    .workgroup_processor_mode: 1
  - .args:
      - .address_space:  global
        .offset:         0
        .size:           8
        .value_kind:     global_buffer
      - .address_space:  global
        .offset:         8
        .size:           8
        .value_kind:     global_buffer
      - .offset:         16
        .size:           4
        .value_kind:     by_value
      - .offset:         20
        .size:           4
        .value_kind:     by_value
      - .offset:         24
        .size:           4
        .value_kind:     by_value
      - .address_space:  global
        .offset:         32
        .size:           8
        .value_kind:     global_buffer
      - .offset:         40
        .size:           4
        .value_kind:     by_value
      - .offset:         44
        .size:           1
        .value_kind:     by_value
      - .offset:         48
        .size:           4
        .value_kind:     hidden_block_count_x
      - .offset:         52
        .size:           4
        .value_kind:     hidden_block_count_y
      - .offset:         56
        .size:           4
        .value_kind:     hidden_block_count_z
      - .offset:         60
        .size:           2
        .value_kind:     hidden_group_size_x
      - .offset:         62
        .size:           2
        .value_kind:     hidden_group_size_y
      - .offset:         64
        .size:           2
        .value_kind:     hidden_group_size_z
      - .offset:         66
        .size:           2
        .value_kind:     hidden_remainder_x
      - .offset:         68
        .size:           2
        .value_kind:     hidden_remainder_y
      - .offset:         70
        .size:           2
        .value_kind:     hidden_remainder_z
      - .offset:         88
        .size:           8
        .value_kind:     hidden_global_offset_x
      - .offset:         96
        .size:           8
        .value_kind:     hidden_global_offset_y
      - .offset:         104
        .size:           8
        .value_kind:     hidden_global_offset_z
      - .offset:         112
        .size:           2
        .value_kind:     hidden_grid_dims
    .group_segment_fixed_size: 0
    .kernarg_segment_align: 8
    .kernarg_segment_size: 304
    .language:       OpenCL C
    .language_version:
      - 2
      - 0
    .max_flat_workgroup_size: 1024
    .name:           _ZN12_GLOBAL__N_120softmax_warp_forwardIdddLi11ELb0ELb0ELi64EEEvPT0_PKT_iiiPKbib
    .private_segment_fixed_size: 0
    .sgpr_count:     64
    .sgpr_spill_count: 0
    .symbol:         _ZN12_GLOBAL__N_120softmax_warp_forwardIdddLi11ELb0ELb0ELi64EEEvPT0_PKT_iiiPKbib.kd
    .uniform_work_group_size: 1
    .uses_dynamic_stack: false
    .vgpr_count:     83
    .vgpr_spill_count: 0
    .wavefront_size: 32
    .workgroup_processor_mode: 1
  - .args:
      - .address_space:  global
        .offset:         0
        .size:           8
        .value_kind:     global_buffer
      - .address_space:  global
        .offset:         8
        .size:           8
        .value_kind:     global_buffer
      - .offset:         16
        .size:           4
        .value_kind:     by_value
      - .offset:         20
        .size:           4
        .value_kind:     by_value
      - .offset:         24
        .size:           4
        .value_kind:     by_value
      - .address_space:  global
        .offset:         32
        .size:           8
        .value_kind:     global_buffer
      - .offset:         40
        .size:           4
        .value_kind:     by_value
      - .offset:         44
        .size:           1
        .value_kind:     by_value
      - .offset:         48
        .size:           4
        .value_kind:     hidden_block_count_x
      - .offset:         52
        .size:           4
        .value_kind:     hidden_block_count_y
      - .offset:         56
        .size:           4
        .value_kind:     hidden_block_count_z
      - .offset:         60
        .size:           2
        .value_kind:     hidden_group_size_x
      - .offset:         62
        .size:           2
        .value_kind:     hidden_group_size_y
      - .offset:         64
        .size:           2
        .value_kind:     hidden_group_size_z
      - .offset:         66
        .size:           2
        .value_kind:     hidden_remainder_x
      - .offset:         68
        .size:           2
        .value_kind:     hidden_remainder_y
      - .offset:         70
        .size:           2
        .value_kind:     hidden_remainder_z
      - .offset:         88
        .size:           8
        .value_kind:     hidden_global_offset_x
      - .offset:         96
        .size:           8
        .value_kind:     hidden_global_offset_y
      - .offset:         104
        .size:           8
        .value_kind:     hidden_global_offset_z
      - .offset:         112
        .size:           2
        .value_kind:     hidden_grid_dims
    .group_segment_fixed_size: 0
    .kernarg_segment_align: 8
    .kernarg_segment_size: 304
    .language:       OpenCL C
    .language_version:
      - 2
      - 0
    .max_flat_workgroup_size: 1024
    .name:           _ZN12_GLOBAL__N_120softmax_warp_forwardIdddLi11ELb0ELb0ELi32EEEvPT0_PKT_iiiPKbib
    .private_segment_fixed_size: 0
    .sgpr_count:     96
    .sgpr_spill_count: 0
    .symbol:         _ZN12_GLOBAL__N_120softmax_warp_forwardIdddLi11ELb0ELb0ELi32EEEvPT0_PKT_iiiPKbib.kd
    .uniform_work_group_size: 1
    .uses_dynamic_stack: false
    .vgpr_count:     146
    .vgpr_spill_count: 0
    .wavefront_size: 32
    .workgroup_processor_mode: 1
  - .args:
      - .address_space:  global
        .offset:         0
        .size:           8
        .value_kind:     global_buffer
      - .address_space:  global
        .offset:         8
        .size:           8
        .value_kind:     global_buffer
      - .offset:         16
        .size:           8
        .value_kind:     by_value
      - .offset:         24
        .size:           4
        .value_kind:     hidden_block_count_x
      - .offset:         28
        .size:           4
        .value_kind:     hidden_block_count_y
      - .offset:         32
        .size:           4
        .value_kind:     hidden_block_count_z
      - .offset:         36
        .size:           2
        .value_kind:     hidden_group_size_x
      - .offset:         38
        .size:           2
        .value_kind:     hidden_group_size_y
      - .offset:         40
        .size:           2
        .value_kind:     hidden_group_size_z
      - .offset:         42
        .size:           2
        .value_kind:     hidden_remainder_x
      - .offset:         44
        .size:           2
        .value_kind:     hidden_remainder_y
      - .offset:         46
        .size:           2
        .value_kind:     hidden_remainder_z
      - .offset:         64
        .size:           8
        .value_kind:     hidden_global_offset_x
      - .offset:         72
        .size:           8
        .value_kind:     hidden_global_offset_y
      - .offset:         80
        .size:           8
        .value_kind:     hidden_global_offset_z
      - .offset:         88
        .size:           2
        .value_kind:     hidden_grid_dims
      - .offset:         144
        .size:           4
        .value_kind:     hidden_dynamic_lds_size
    .group_segment_fixed_size: 0
    .kernarg_segment_align: 8
    .kernarg_segment_size: 280
    .language:       OpenCL C
    .language_version:
      - 2
      - 0
    .max_flat_workgroup_size: 1024
    .name:           _ZN2at6native12_GLOBAL__N_123cunn_SoftMaxForwardGmemILi2EdddNS1_29SoftMaxForwardWithMulEpilogueElEEvPT2_PKT0_T4_
    .private_segment_fixed_size: 0
    .sgpr_count:     22
    .sgpr_spill_count: 0
    .symbol:         _ZN2at6native12_GLOBAL__N_123cunn_SoftMaxForwardGmemILi2EdddNS1_29SoftMaxForwardWithMulEpilogueElEEvPT2_PKT0_T4_.kd
    .uniform_work_group_size: 1
    .uses_dynamic_stack: false
    .vgpr_count:     22
    .vgpr_spill_count: 0
    .wavefront_size: 32
    .workgroup_processor_mode: 1
  - .args:
      - .address_space:  global
        .offset:         0
        .size:           8
        .value_kind:     global_buffer
      - .address_space:  global
        .offset:         8
        .size:           8
        .value_kind:     global_buffer
      - .offset:         16
        .size:           4
        .value_kind:     by_value
      - .offset:         24
        .size:           4
        .value_kind:     hidden_block_count_x
      - .offset:         28
        .size:           4
        .value_kind:     hidden_block_count_y
      - .offset:         32
        .size:           4
        .value_kind:     hidden_block_count_z
      - .offset:         36
        .size:           2
        .value_kind:     hidden_group_size_x
      - .offset:         38
        .size:           2
        .value_kind:     hidden_group_size_y
      - .offset:         40
        .size:           2
        .value_kind:     hidden_group_size_z
      - .offset:         42
        .size:           2
        .value_kind:     hidden_remainder_x
      - .offset:         44
        .size:           2
        .value_kind:     hidden_remainder_y
      - .offset:         46
        .size:           2
        .value_kind:     hidden_remainder_z
      - .offset:         64
        .size:           8
        .value_kind:     hidden_global_offset_x
      - .offset:         72
        .size:           8
        .value_kind:     hidden_global_offset_y
      - .offset:         80
        .size:           8
        .value_kind:     hidden_global_offset_z
      - .offset:         88
        .size:           2
        .value_kind:     hidden_grid_dims
      - .offset:         144
        .size:           4
        .value_kind:     hidden_dynamic_lds_size
    .group_segment_fixed_size: 0
    .kernarg_segment_align: 8
    .kernarg_segment_size: 280
    .language:       OpenCL C
    .language_version:
      - 2
      - 0
    .max_flat_workgroup_size: 1024
    .name:           _ZN2at6native12_GLOBAL__N_123cunn_SoftMaxForwardFastILi2EdddNS1_29SoftMaxForwardWithMulEpilogueEEEvPT2_PKT0_i
    .private_segment_fixed_size: 0
    .sgpr_count:     21
    .sgpr_spill_count: 0
    .symbol:         _ZN2at6native12_GLOBAL__N_123cunn_SoftMaxForwardFastILi2EdddNS1_29SoftMaxForwardWithMulEpilogueEEEvPT2_PKT0_i.kd
    .uniform_work_group_size: 1
    .uses_dynamic_stack: false
    .vgpr_count:     19
    .vgpr_spill_count: 0
    .wavefront_size: 32
    .workgroup_processor_mode: 1
  - .args:
      - .address_space:  global
        .offset:         0
        .size:           8
        .value_kind:     global_buffer
      - .address_space:  global
        .offset:         8
        .size:           8
        .value_kind:     global_buffer
      - .offset:         16
        .size:           4
        .value_kind:     by_value
      - .offset:         20
        .size:           4
        .value_kind:     by_value
      - .offset:         24
        .size:           4
        .value_kind:     by_value
      - .address_space:  global
        .offset:         32
        .size:           8
        .value_kind:     global_buffer
      - .offset:         40
        .size:           4
        .value_kind:     by_value
      - .offset:         44
        .size:           1
        .value_kind:     by_value
      - .offset:         48
        .size:           4
        .value_kind:     hidden_block_count_x
      - .offset:         52
        .size:           4
        .value_kind:     hidden_block_count_y
      - .offset:         56
        .size:           4
        .value_kind:     hidden_block_count_z
      - .offset:         60
        .size:           2
        .value_kind:     hidden_group_size_x
      - .offset:         62
        .size:           2
        .value_kind:     hidden_group_size_y
      - .offset:         64
        .size:           2
        .value_kind:     hidden_group_size_z
      - .offset:         66
        .size:           2
        .value_kind:     hidden_remainder_x
      - .offset:         68
        .size:           2
        .value_kind:     hidden_remainder_y
      - .offset:         70
        .size:           2
        .value_kind:     hidden_remainder_z
      - .offset:         88
        .size:           8
        .value_kind:     hidden_global_offset_x
      - .offset:         96
        .size:           8
        .value_kind:     hidden_global_offset_y
      - .offset:         104
        .size:           8
        .value_kind:     hidden_global_offset_z
      - .offset:         112
        .size:           2
        .value_kind:     hidden_grid_dims
    .group_segment_fixed_size: 0
    .kernarg_segment_align: 8
    .kernarg_segment_size: 304
    .language:       OpenCL C
    .language_version:
      - 2
      - 0
    .max_flat_workgroup_size: 1024
    .name:           _ZN12_GLOBAL__N_120softmax_warp_forwardIfffLi0ELb0ELb0ELi64EEEvPT0_PKT_iiiPKbib
    .private_segment_fixed_size: 0
    .sgpr_count:     18
    .sgpr_spill_count: 0
    .symbol:         _ZN12_GLOBAL__N_120softmax_warp_forwardIfffLi0ELb0ELb0ELi64EEEvPT0_PKT_iiiPKbib.kd
    .uniform_work_group_size: 1
    .uses_dynamic_stack: false
    .vgpr_count:     9
    .vgpr_spill_count: 0
    .wavefront_size: 32
    .workgroup_processor_mode: 1
  - .args:
      - .address_space:  global
        .offset:         0
        .size:           8
        .value_kind:     global_buffer
      - .address_space:  global
        .offset:         8
        .size:           8
        .value_kind:     global_buffer
      - .offset:         16
        .size:           4
        .value_kind:     by_value
      - .offset:         20
        .size:           4
        .value_kind:     by_value
      - .offset:         24
        .size:           4
        .value_kind:     by_value
      - .address_space:  global
        .offset:         32
        .size:           8
        .value_kind:     global_buffer
      - .offset:         40
        .size:           4
        .value_kind:     by_value
      - .offset:         44
        .size:           1
        .value_kind:     by_value
      - .offset:         48
        .size:           4
        .value_kind:     hidden_block_count_x
      - .offset:         52
        .size:           4
        .value_kind:     hidden_block_count_y
      - .offset:         56
        .size:           4
        .value_kind:     hidden_block_count_z
      - .offset:         60
        .size:           2
        .value_kind:     hidden_group_size_x
      - .offset:         62
        .size:           2
        .value_kind:     hidden_group_size_y
      - .offset:         64
        .size:           2
        .value_kind:     hidden_group_size_z
      - .offset:         66
        .size:           2
        .value_kind:     hidden_remainder_x
      - .offset:         68
        .size:           2
        .value_kind:     hidden_remainder_y
      - .offset:         70
        .size:           2
        .value_kind:     hidden_remainder_z
      - .offset:         88
        .size:           8
        .value_kind:     hidden_global_offset_x
      - .offset:         96
        .size:           8
        .value_kind:     hidden_global_offset_y
      - .offset:         104
        .size:           8
        .value_kind:     hidden_global_offset_z
      - .offset:         112
        .size:           2
        .value_kind:     hidden_grid_dims
    .group_segment_fixed_size: 0
    .kernarg_segment_align: 8
    .kernarg_segment_size: 304
    .language:       OpenCL C
    .language_version:
      - 2
      - 0
    .max_flat_workgroup_size: 1024
    .name:           _ZN12_GLOBAL__N_120softmax_warp_forwardIfffLi0ELb0ELb0ELi32EEEvPT0_PKT_iiiPKbib
    .private_segment_fixed_size: 0
    .sgpr_count:     18
    .sgpr_spill_count: 0
    .symbol:         _ZN12_GLOBAL__N_120softmax_warp_forwardIfffLi0ELb0ELb0ELi32EEEvPT0_PKT_iiiPKbib.kd
    .uniform_work_group_size: 1
    .uses_dynamic_stack: false
    .vgpr_count:     9
    .vgpr_spill_count: 0
    .wavefront_size: 32
    .workgroup_processor_mode: 1
  - .args:
      - .address_space:  global
        .offset:         0
        .size:           8
        .value_kind:     global_buffer
      - .address_space:  global
        .offset:         8
        .size:           8
        .value_kind:     global_buffer
      - .offset:         16
        .size:           4
        .value_kind:     by_value
      - .offset:         20
        .size:           4
        .value_kind:     by_value
      - .offset:         24
        .size:           4
        .value_kind:     by_value
      - .address_space:  global
        .offset:         32
        .size:           8
        .value_kind:     global_buffer
      - .offset:         40
        .size:           4
        .value_kind:     by_value
      - .offset:         44
        .size:           1
        .value_kind:     by_value
      - .offset:         48
        .size:           4
        .value_kind:     hidden_block_count_x
      - .offset:         52
        .size:           4
        .value_kind:     hidden_block_count_y
      - .offset:         56
        .size:           4
        .value_kind:     hidden_block_count_z
      - .offset:         60
        .size:           2
        .value_kind:     hidden_group_size_x
      - .offset:         62
        .size:           2
        .value_kind:     hidden_group_size_y
      - .offset:         64
        .size:           2
        .value_kind:     hidden_group_size_z
      - .offset:         66
        .size:           2
        .value_kind:     hidden_remainder_x
      - .offset:         68
        .size:           2
        .value_kind:     hidden_remainder_y
      - .offset:         70
        .size:           2
        .value_kind:     hidden_remainder_z
      - .offset:         88
        .size:           8
        .value_kind:     hidden_global_offset_x
      - .offset:         96
        .size:           8
        .value_kind:     hidden_global_offset_y
      - .offset:         104
        .size:           8
        .value_kind:     hidden_global_offset_z
      - .offset:         112
        .size:           2
        .value_kind:     hidden_grid_dims
    .group_segment_fixed_size: 0
    .kernarg_segment_align: 8
    .kernarg_segment_size: 304
    .language:       OpenCL C
    .language_version:
      - 2
      - 0
    .max_flat_workgroup_size: 1024
    .name:           _ZN12_GLOBAL__N_120softmax_warp_forwardIfffLi1ELb0ELb0ELi64EEEvPT0_PKT_iiiPKbib
    .private_segment_fixed_size: 0
    .sgpr_count:     18
    .sgpr_spill_count: 0
    .symbol:         _ZN12_GLOBAL__N_120softmax_warp_forwardIfffLi1ELb0ELb0ELi64EEEvPT0_PKT_iiiPKbib.kd
    .uniform_work_group_size: 1
    .uses_dynamic_stack: false
    .vgpr_count:     12
    .vgpr_spill_count: 0
    .wavefront_size: 32
    .workgroup_processor_mode: 1
  - .args:
      - .address_space:  global
        .offset:         0
        .size:           8
        .value_kind:     global_buffer
      - .address_space:  global
        .offset:         8
        .size:           8
        .value_kind:     global_buffer
      - .offset:         16
        .size:           4
        .value_kind:     by_value
      - .offset:         20
        .size:           4
        .value_kind:     by_value
      - .offset:         24
        .size:           4
        .value_kind:     by_value
      - .address_space:  global
        .offset:         32
        .size:           8
        .value_kind:     global_buffer
      - .offset:         40
        .size:           4
        .value_kind:     by_value
      - .offset:         44
        .size:           1
        .value_kind:     by_value
      - .offset:         48
        .size:           4
        .value_kind:     hidden_block_count_x
      - .offset:         52
        .size:           4
        .value_kind:     hidden_block_count_y
      - .offset:         56
        .size:           4
        .value_kind:     hidden_block_count_z
      - .offset:         60
        .size:           2
        .value_kind:     hidden_group_size_x
      - .offset:         62
        .size:           2
        .value_kind:     hidden_group_size_y
      - .offset:         64
        .size:           2
        .value_kind:     hidden_group_size_z
      - .offset:         66
        .size:           2
        .value_kind:     hidden_remainder_x
      - .offset:         68
        .size:           2
        .value_kind:     hidden_remainder_y
      - .offset:         70
        .size:           2
        .value_kind:     hidden_remainder_z
      - .offset:         88
        .size:           8
        .value_kind:     hidden_global_offset_x
      - .offset:         96
        .size:           8
        .value_kind:     hidden_global_offset_y
      - .offset:         104
        .size:           8
        .value_kind:     hidden_global_offset_z
      - .offset:         112
        .size:           2
        .value_kind:     hidden_grid_dims
    .group_segment_fixed_size: 0
    .kernarg_segment_align: 8
    .kernarg_segment_size: 304
    .language:       OpenCL C
    .language_version:
      - 2
      - 0
    .max_flat_workgroup_size: 1024
    .name:           _ZN12_GLOBAL__N_120softmax_warp_forwardIfffLi1ELb0ELb0ELi32EEEvPT0_PKT_iiiPKbib
    .private_segment_fixed_size: 0
    .sgpr_count:     18
    .sgpr_spill_count: 0
    .symbol:         _ZN12_GLOBAL__N_120softmax_warp_forwardIfffLi1ELb0ELb0ELi32EEEvPT0_PKT_iiiPKbib.kd
    .uniform_work_group_size: 1
    .uses_dynamic_stack: false
    .vgpr_count:     12
    .vgpr_spill_count: 0
    .wavefront_size: 32
    .workgroup_processor_mode: 1
  - .args:
      - .address_space:  global
        .offset:         0
        .size:           8
        .value_kind:     global_buffer
      - .address_space:  global
        .offset:         8
        .size:           8
        .value_kind:     global_buffer
      - .offset:         16
        .size:           4
        .value_kind:     by_value
      - .offset:         20
        .size:           4
        .value_kind:     by_value
      - .offset:         24
        .size:           4
        .value_kind:     by_value
      - .address_space:  global
        .offset:         32
        .size:           8
        .value_kind:     global_buffer
      - .offset:         40
        .size:           4
        .value_kind:     by_value
      - .offset:         44
        .size:           1
        .value_kind:     by_value
      - .offset:         48
        .size:           4
        .value_kind:     hidden_block_count_x
      - .offset:         52
        .size:           4
        .value_kind:     hidden_block_count_y
      - .offset:         56
        .size:           4
        .value_kind:     hidden_block_count_z
      - .offset:         60
        .size:           2
        .value_kind:     hidden_group_size_x
      - .offset:         62
        .size:           2
        .value_kind:     hidden_group_size_y
      - .offset:         64
        .size:           2
        .value_kind:     hidden_group_size_z
      - .offset:         66
        .size:           2
        .value_kind:     hidden_remainder_x
      - .offset:         68
        .size:           2
        .value_kind:     hidden_remainder_y
      - .offset:         70
        .size:           2
        .value_kind:     hidden_remainder_z
      - .offset:         88
        .size:           8
        .value_kind:     hidden_global_offset_x
      - .offset:         96
        .size:           8
        .value_kind:     hidden_global_offset_y
      - .offset:         104
        .size:           8
        .value_kind:     hidden_global_offset_z
      - .offset:         112
        .size:           2
        .value_kind:     hidden_grid_dims
    .group_segment_fixed_size: 0
    .kernarg_segment_align: 8
    .kernarg_segment_size: 304
    .language:       OpenCL C
    .language_version:
      - 2
      - 0
    .max_flat_workgroup_size: 1024
    .name:           _ZN12_GLOBAL__N_120softmax_warp_forwardIfffLi2ELb0ELb0ELi64EEEvPT0_PKT_iiiPKbib
    .private_segment_fixed_size: 0
    .sgpr_count:     18
    .sgpr_spill_count: 0
    .symbol:         _ZN12_GLOBAL__N_120softmax_warp_forwardIfffLi2ELb0ELb0ELi64EEEvPT0_PKT_iiiPKbib.kd
    .uniform_work_group_size: 1
    .uses_dynamic_stack: false
    .vgpr_count:     13
    .vgpr_spill_count: 0
    .wavefront_size: 32
    .workgroup_processor_mode: 1
  - .args:
      - .address_space:  global
        .offset:         0
        .size:           8
        .value_kind:     global_buffer
      - .address_space:  global
        .offset:         8
        .size:           8
        .value_kind:     global_buffer
      - .offset:         16
        .size:           4
        .value_kind:     by_value
      - .offset:         20
        .size:           4
        .value_kind:     by_value
      - .offset:         24
        .size:           4
        .value_kind:     by_value
      - .address_space:  global
        .offset:         32
        .size:           8
        .value_kind:     global_buffer
      - .offset:         40
        .size:           4
        .value_kind:     by_value
      - .offset:         44
        .size:           1
        .value_kind:     by_value
      - .offset:         48
        .size:           4
        .value_kind:     hidden_block_count_x
      - .offset:         52
        .size:           4
        .value_kind:     hidden_block_count_y
      - .offset:         56
        .size:           4
        .value_kind:     hidden_block_count_z
      - .offset:         60
        .size:           2
        .value_kind:     hidden_group_size_x
      - .offset:         62
        .size:           2
        .value_kind:     hidden_group_size_y
      - .offset:         64
        .size:           2
        .value_kind:     hidden_group_size_z
      - .offset:         66
        .size:           2
        .value_kind:     hidden_remainder_x
      - .offset:         68
        .size:           2
        .value_kind:     hidden_remainder_y
      - .offset:         70
        .size:           2
        .value_kind:     hidden_remainder_z
      - .offset:         88
        .size:           8
        .value_kind:     hidden_global_offset_x
      - .offset:         96
        .size:           8
        .value_kind:     hidden_global_offset_y
      - .offset:         104
        .size:           8
        .value_kind:     hidden_global_offset_z
      - .offset:         112
        .size:           2
        .value_kind:     hidden_grid_dims
    .group_segment_fixed_size: 0
    .kernarg_segment_align: 8
    .kernarg_segment_size: 304
    .language:       OpenCL C
    .language_version:
      - 2
      - 0
    .max_flat_workgroup_size: 1024
    .name:           _ZN12_GLOBAL__N_120softmax_warp_forwardIfffLi2ELb0ELb0ELi32EEEvPT0_PKT_iiiPKbib
    .private_segment_fixed_size: 0
    .sgpr_count:     18
    .sgpr_spill_count: 0
    .symbol:         _ZN12_GLOBAL__N_120softmax_warp_forwardIfffLi2ELb0ELb0ELi32EEEvPT0_PKT_iiiPKbib.kd
    .uniform_work_group_size: 1
    .uses_dynamic_stack: false
    .vgpr_count:     13
    .vgpr_spill_count: 0
    .wavefront_size: 32
    .workgroup_processor_mode: 1
  - .args:
      - .address_space:  global
        .offset:         0
        .size:           8
        .value_kind:     global_buffer
      - .address_space:  global
        .offset:         8
        .size:           8
        .value_kind:     global_buffer
      - .offset:         16
        .size:           4
        .value_kind:     by_value
      - .offset:         20
        .size:           4
        .value_kind:     by_value
      - .offset:         24
        .size:           4
        .value_kind:     by_value
      - .address_space:  global
        .offset:         32
        .size:           8
        .value_kind:     global_buffer
      - .offset:         40
        .size:           4
        .value_kind:     by_value
      - .offset:         44
        .size:           1
        .value_kind:     by_value
      - .offset:         48
        .size:           4
        .value_kind:     hidden_block_count_x
      - .offset:         52
        .size:           4
        .value_kind:     hidden_block_count_y
      - .offset:         56
        .size:           4
        .value_kind:     hidden_block_count_z
      - .offset:         60
        .size:           2
        .value_kind:     hidden_group_size_x
      - .offset:         62
        .size:           2
        .value_kind:     hidden_group_size_y
      - .offset:         64
        .size:           2
        .value_kind:     hidden_group_size_z
      - .offset:         66
        .size:           2
        .value_kind:     hidden_remainder_x
      - .offset:         68
        .size:           2
        .value_kind:     hidden_remainder_y
      - .offset:         70
        .size:           2
        .value_kind:     hidden_remainder_z
      - .offset:         88
        .size:           8
        .value_kind:     hidden_global_offset_x
      - .offset:         96
        .size:           8
        .value_kind:     hidden_global_offset_y
      - .offset:         104
        .size:           8
        .value_kind:     hidden_global_offset_z
      - .offset:         112
        .size:           2
        .value_kind:     hidden_grid_dims
    .group_segment_fixed_size: 0
    .kernarg_segment_align: 8
    .kernarg_segment_size: 304
    .language:       OpenCL C
    .language_version:
      - 2
      - 0
    .max_flat_workgroup_size: 1024
    .name:           _ZN12_GLOBAL__N_120softmax_warp_forwardIfffLi3ELb0ELb0ELi64EEEvPT0_PKT_iiiPKbib
    .private_segment_fixed_size: 0
    .sgpr_count:     18
    .sgpr_spill_count: 0
    .symbol:         _ZN12_GLOBAL__N_120softmax_warp_forwardIfffLi3ELb0ELb0ELi64EEEvPT0_PKT_iiiPKbib.kd
    .uniform_work_group_size: 1
    .uses_dynamic_stack: false
    .vgpr_count:     14
    .vgpr_spill_count: 0
    .wavefront_size: 32
    .workgroup_processor_mode: 1
  - .args:
      - .address_space:  global
        .offset:         0
        .size:           8
        .value_kind:     global_buffer
      - .address_space:  global
        .offset:         8
        .size:           8
        .value_kind:     global_buffer
      - .offset:         16
        .size:           4
        .value_kind:     by_value
      - .offset:         20
        .size:           4
        .value_kind:     by_value
      - .offset:         24
        .size:           4
        .value_kind:     by_value
      - .address_space:  global
        .offset:         32
        .size:           8
        .value_kind:     global_buffer
      - .offset:         40
        .size:           4
        .value_kind:     by_value
      - .offset:         44
        .size:           1
        .value_kind:     by_value
      - .offset:         48
        .size:           4
        .value_kind:     hidden_block_count_x
      - .offset:         52
        .size:           4
        .value_kind:     hidden_block_count_y
      - .offset:         56
        .size:           4
        .value_kind:     hidden_block_count_z
      - .offset:         60
        .size:           2
        .value_kind:     hidden_group_size_x
      - .offset:         62
        .size:           2
        .value_kind:     hidden_group_size_y
      - .offset:         64
        .size:           2
        .value_kind:     hidden_group_size_z
      - .offset:         66
        .size:           2
        .value_kind:     hidden_remainder_x
      - .offset:         68
        .size:           2
        .value_kind:     hidden_remainder_y
      - .offset:         70
        .size:           2
        .value_kind:     hidden_remainder_z
      - .offset:         88
        .size:           8
        .value_kind:     hidden_global_offset_x
      - .offset:         96
        .size:           8
        .value_kind:     hidden_global_offset_y
      - .offset:         104
        .size:           8
        .value_kind:     hidden_global_offset_z
      - .offset:         112
        .size:           2
        .value_kind:     hidden_grid_dims
    .group_segment_fixed_size: 0
    .kernarg_segment_align: 8
    .kernarg_segment_size: 304
    .language:       OpenCL C
    .language_version:
      - 2
      - 0
    .max_flat_workgroup_size: 1024
    .name:           _ZN12_GLOBAL__N_120softmax_warp_forwardIfffLi3ELb0ELb0ELi32EEEvPT0_PKT_iiiPKbib
    .private_segment_fixed_size: 0
    .sgpr_count:     18
    .sgpr_spill_count: 0
    .symbol:         _ZN12_GLOBAL__N_120softmax_warp_forwardIfffLi3ELb0ELb0ELi32EEEvPT0_PKT_iiiPKbib.kd
    .uniform_work_group_size: 1
    .uses_dynamic_stack: false
    .vgpr_count:     14
    .vgpr_spill_count: 0
    .wavefront_size: 32
    .workgroup_processor_mode: 1
  - .args:
      - .address_space:  global
        .offset:         0
        .size:           8
        .value_kind:     global_buffer
      - .address_space:  global
        .offset:         8
        .size:           8
        .value_kind:     global_buffer
      - .offset:         16
        .size:           4
        .value_kind:     by_value
      - .offset:         20
        .size:           4
        .value_kind:     by_value
      - .offset:         24
        .size:           4
        .value_kind:     by_value
      - .address_space:  global
        .offset:         32
        .size:           8
        .value_kind:     global_buffer
      - .offset:         40
        .size:           4
        .value_kind:     by_value
      - .offset:         44
        .size:           1
        .value_kind:     by_value
      - .offset:         48
        .size:           4
        .value_kind:     hidden_block_count_x
      - .offset:         52
        .size:           4
        .value_kind:     hidden_block_count_y
      - .offset:         56
        .size:           4
        .value_kind:     hidden_block_count_z
      - .offset:         60
        .size:           2
        .value_kind:     hidden_group_size_x
      - .offset:         62
        .size:           2
        .value_kind:     hidden_group_size_y
      - .offset:         64
        .size:           2
        .value_kind:     hidden_group_size_z
      - .offset:         66
        .size:           2
        .value_kind:     hidden_remainder_x
      - .offset:         68
        .size:           2
        .value_kind:     hidden_remainder_y
      - .offset:         70
        .size:           2
        .value_kind:     hidden_remainder_z
      - .offset:         88
        .size:           8
        .value_kind:     hidden_global_offset_x
      - .offset:         96
        .size:           8
        .value_kind:     hidden_global_offset_y
      - .offset:         104
        .size:           8
        .value_kind:     hidden_global_offset_z
      - .offset:         112
        .size:           2
        .value_kind:     hidden_grid_dims
    .group_segment_fixed_size: 0
    .kernarg_segment_align: 8
    .kernarg_segment_size: 304
    .language:       OpenCL C
    .language_version:
      - 2
      - 0
    .max_flat_workgroup_size: 1024
    .name:           _ZN12_GLOBAL__N_120softmax_warp_forwardIfffLi4ELb0ELb0ELi64EEEvPT0_PKT_iiiPKbib
    .private_segment_fixed_size: 0
    .sgpr_count:     18
    .sgpr_spill_count: 0
    .symbol:         _ZN12_GLOBAL__N_120softmax_warp_forwardIfffLi4ELb0ELb0ELi64EEEvPT0_PKT_iiiPKbib.kd
    .uniform_work_group_size: 1
    .uses_dynamic_stack: false
    .vgpr_count:     15
    .vgpr_spill_count: 0
    .wavefront_size: 32
    .workgroup_processor_mode: 1
  - .args:
      - .address_space:  global
        .offset:         0
        .size:           8
        .value_kind:     global_buffer
      - .address_space:  global
        .offset:         8
        .size:           8
        .value_kind:     global_buffer
      - .offset:         16
        .size:           4
        .value_kind:     by_value
      - .offset:         20
        .size:           4
        .value_kind:     by_value
      - .offset:         24
        .size:           4
        .value_kind:     by_value
      - .address_space:  global
        .offset:         32
        .size:           8
        .value_kind:     global_buffer
      - .offset:         40
        .size:           4
        .value_kind:     by_value
      - .offset:         44
        .size:           1
        .value_kind:     by_value
      - .offset:         48
        .size:           4
        .value_kind:     hidden_block_count_x
      - .offset:         52
        .size:           4
        .value_kind:     hidden_block_count_y
      - .offset:         56
        .size:           4
        .value_kind:     hidden_block_count_z
      - .offset:         60
        .size:           2
        .value_kind:     hidden_group_size_x
      - .offset:         62
        .size:           2
        .value_kind:     hidden_group_size_y
      - .offset:         64
        .size:           2
        .value_kind:     hidden_group_size_z
      - .offset:         66
        .size:           2
        .value_kind:     hidden_remainder_x
      - .offset:         68
        .size:           2
        .value_kind:     hidden_remainder_y
      - .offset:         70
        .size:           2
        .value_kind:     hidden_remainder_z
      - .offset:         88
        .size:           8
        .value_kind:     hidden_global_offset_x
      - .offset:         96
        .size:           8
        .value_kind:     hidden_global_offset_y
      - .offset:         104
        .size:           8
        .value_kind:     hidden_global_offset_z
      - .offset:         112
        .size:           2
        .value_kind:     hidden_grid_dims
    .group_segment_fixed_size: 0
    .kernarg_segment_align: 8
    .kernarg_segment_size: 304
    .language:       OpenCL C
    .language_version:
      - 2
      - 0
    .max_flat_workgroup_size: 1024
    .name:           _ZN12_GLOBAL__N_120softmax_warp_forwardIfffLi4ELb0ELb0ELi32EEEvPT0_PKT_iiiPKbib
    .private_segment_fixed_size: 0
    .sgpr_count:     18
    .sgpr_spill_count: 0
    .symbol:         _ZN12_GLOBAL__N_120softmax_warp_forwardIfffLi4ELb0ELb0ELi32EEEvPT0_PKT_iiiPKbib.kd
    .uniform_work_group_size: 1
    .uses_dynamic_stack: false
    .vgpr_count:     15
    .vgpr_spill_count: 0
    .wavefront_size: 32
    .workgroup_processor_mode: 1
  - .args:
      - .address_space:  global
        .offset:         0
        .size:           8
        .value_kind:     global_buffer
      - .address_space:  global
        .offset:         8
        .size:           8
        .value_kind:     global_buffer
      - .offset:         16
        .size:           4
        .value_kind:     by_value
      - .offset:         20
        .size:           4
        .value_kind:     by_value
      - .offset:         24
        .size:           4
        .value_kind:     by_value
      - .address_space:  global
        .offset:         32
        .size:           8
        .value_kind:     global_buffer
      - .offset:         40
        .size:           4
        .value_kind:     by_value
      - .offset:         44
        .size:           1
        .value_kind:     by_value
      - .offset:         48
        .size:           4
        .value_kind:     hidden_block_count_x
      - .offset:         52
        .size:           4
        .value_kind:     hidden_block_count_y
      - .offset:         56
        .size:           4
        .value_kind:     hidden_block_count_z
      - .offset:         60
        .size:           2
        .value_kind:     hidden_group_size_x
      - .offset:         62
        .size:           2
        .value_kind:     hidden_group_size_y
      - .offset:         64
        .size:           2
        .value_kind:     hidden_group_size_z
      - .offset:         66
        .size:           2
        .value_kind:     hidden_remainder_x
      - .offset:         68
        .size:           2
        .value_kind:     hidden_remainder_y
      - .offset:         70
        .size:           2
        .value_kind:     hidden_remainder_z
      - .offset:         88
        .size:           8
        .value_kind:     hidden_global_offset_x
      - .offset:         96
        .size:           8
        .value_kind:     hidden_global_offset_y
      - .offset:         104
        .size:           8
        .value_kind:     hidden_global_offset_z
      - .offset:         112
        .size:           2
        .value_kind:     hidden_grid_dims
    .group_segment_fixed_size: 0
    .kernarg_segment_align: 8
    .kernarg_segment_size: 304
    .language:       OpenCL C
    .language_version:
      - 2
      - 0
    .max_flat_workgroup_size: 1024
    .name:           _ZN12_GLOBAL__N_120softmax_warp_forwardIfffLi5ELb0ELb0ELi64EEEvPT0_PKT_iiiPKbib
    .private_segment_fixed_size: 0
    .sgpr_count:     18
    .sgpr_spill_count: 0
    .symbol:         _ZN12_GLOBAL__N_120softmax_warp_forwardIfffLi5ELb0ELb0ELi64EEEvPT0_PKT_iiiPKbib.kd
    .uniform_work_group_size: 1
    .uses_dynamic_stack: false
    .vgpr_count:     16
    .vgpr_spill_count: 0
    .wavefront_size: 32
    .workgroup_processor_mode: 1
  - .args:
      - .address_space:  global
        .offset:         0
        .size:           8
        .value_kind:     global_buffer
      - .address_space:  global
        .offset:         8
        .size:           8
        .value_kind:     global_buffer
      - .offset:         16
        .size:           4
        .value_kind:     by_value
      - .offset:         20
        .size:           4
        .value_kind:     by_value
      - .offset:         24
        .size:           4
        .value_kind:     by_value
      - .address_space:  global
        .offset:         32
        .size:           8
        .value_kind:     global_buffer
      - .offset:         40
        .size:           4
        .value_kind:     by_value
      - .offset:         44
        .size:           1
        .value_kind:     by_value
      - .offset:         48
        .size:           4
        .value_kind:     hidden_block_count_x
      - .offset:         52
        .size:           4
        .value_kind:     hidden_block_count_y
      - .offset:         56
        .size:           4
        .value_kind:     hidden_block_count_z
      - .offset:         60
        .size:           2
        .value_kind:     hidden_group_size_x
      - .offset:         62
        .size:           2
        .value_kind:     hidden_group_size_y
      - .offset:         64
        .size:           2
        .value_kind:     hidden_group_size_z
      - .offset:         66
        .size:           2
        .value_kind:     hidden_remainder_x
      - .offset:         68
        .size:           2
        .value_kind:     hidden_remainder_y
      - .offset:         70
        .size:           2
        .value_kind:     hidden_remainder_z
      - .offset:         88
        .size:           8
        .value_kind:     hidden_global_offset_x
      - .offset:         96
        .size:           8
        .value_kind:     hidden_global_offset_y
      - .offset:         104
        .size:           8
        .value_kind:     hidden_global_offset_z
      - .offset:         112
        .size:           2
        .value_kind:     hidden_grid_dims
    .group_segment_fixed_size: 0
    .kernarg_segment_align: 8
    .kernarg_segment_size: 304
    .language:       OpenCL C
    .language_version:
      - 2
      - 0
    .max_flat_workgroup_size: 1024
    .name:           _ZN12_GLOBAL__N_120softmax_warp_forwardIfffLi5ELb0ELb0ELi32EEEvPT0_PKT_iiiPKbib
    .private_segment_fixed_size: 0
    .sgpr_count:     18
    .sgpr_spill_count: 0
    .symbol:         _ZN12_GLOBAL__N_120softmax_warp_forwardIfffLi5ELb0ELb0ELi32EEEvPT0_PKT_iiiPKbib.kd
    .uniform_work_group_size: 1
    .uses_dynamic_stack: false
    .vgpr_count:     16
    .vgpr_spill_count: 0
    .wavefront_size: 32
    .workgroup_processor_mode: 1
  - .args:
      - .address_space:  global
        .offset:         0
        .size:           8
        .value_kind:     global_buffer
      - .address_space:  global
        .offset:         8
        .size:           8
        .value_kind:     global_buffer
      - .offset:         16
        .size:           4
        .value_kind:     by_value
      - .offset:         20
        .size:           4
        .value_kind:     by_value
      - .offset:         24
        .size:           4
        .value_kind:     by_value
      - .address_space:  global
        .offset:         32
        .size:           8
        .value_kind:     global_buffer
      - .offset:         40
        .size:           4
        .value_kind:     by_value
      - .offset:         44
        .size:           1
        .value_kind:     by_value
      - .offset:         48
        .size:           4
        .value_kind:     hidden_block_count_x
      - .offset:         52
        .size:           4
        .value_kind:     hidden_block_count_y
      - .offset:         56
        .size:           4
        .value_kind:     hidden_block_count_z
      - .offset:         60
        .size:           2
        .value_kind:     hidden_group_size_x
      - .offset:         62
        .size:           2
        .value_kind:     hidden_group_size_y
      - .offset:         64
        .size:           2
        .value_kind:     hidden_group_size_z
      - .offset:         66
        .size:           2
        .value_kind:     hidden_remainder_x
      - .offset:         68
        .size:           2
        .value_kind:     hidden_remainder_y
      - .offset:         70
        .size:           2
        .value_kind:     hidden_remainder_z
      - .offset:         88
        .size:           8
        .value_kind:     hidden_global_offset_x
      - .offset:         96
        .size:           8
        .value_kind:     hidden_global_offset_y
      - .offset:         104
        .size:           8
        .value_kind:     hidden_global_offset_z
      - .offset:         112
        .size:           2
        .value_kind:     hidden_grid_dims
    .group_segment_fixed_size: 0
    .kernarg_segment_align: 8
    .kernarg_segment_size: 304
    .language:       OpenCL C
    .language_version:
      - 2
      - 0
    .max_flat_workgroup_size: 1024
    .name:           _ZN12_GLOBAL__N_120softmax_warp_forwardIfffLi6ELb0ELb0ELi64EEEvPT0_PKT_iiiPKbib
    .private_segment_fixed_size: 0
    .sgpr_count:     18
    .sgpr_spill_count: 0
    .symbol:         _ZN12_GLOBAL__N_120softmax_warp_forwardIfffLi6ELb0ELb0ELi64EEEvPT0_PKT_iiiPKbib.kd
    .uniform_work_group_size: 1
    .uses_dynamic_stack: false
    .vgpr_count:     17
    .vgpr_spill_count: 0
    .wavefront_size: 32
    .workgroup_processor_mode: 1
  - .args:
      - .address_space:  global
        .offset:         0
        .size:           8
        .value_kind:     global_buffer
      - .address_space:  global
        .offset:         8
        .size:           8
        .value_kind:     global_buffer
      - .offset:         16
        .size:           4
        .value_kind:     by_value
      - .offset:         20
        .size:           4
        .value_kind:     by_value
      - .offset:         24
        .size:           4
        .value_kind:     by_value
      - .address_space:  global
        .offset:         32
        .size:           8
        .value_kind:     global_buffer
      - .offset:         40
        .size:           4
        .value_kind:     by_value
      - .offset:         44
        .size:           1
        .value_kind:     by_value
      - .offset:         48
        .size:           4
        .value_kind:     hidden_block_count_x
      - .offset:         52
        .size:           4
        .value_kind:     hidden_block_count_y
      - .offset:         56
        .size:           4
        .value_kind:     hidden_block_count_z
      - .offset:         60
        .size:           2
        .value_kind:     hidden_group_size_x
      - .offset:         62
        .size:           2
        .value_kind:     hidden_group_size_y
      - .offset:         64
        .size:           2
        .value_kind:     hidden_group_size_z
      - .offset:         66
        .size:           2
        .value_kind:     hidden_remainder_x
      - .offset:         68
        .size:           2
        .value_kind:     hidden_remainder_y
      - .offset:         70
        .size:           2
        .value_kind:     hidden_remainder_z
      - .offset:         88
        .size:           8
        .value_kind:     hidden_global_offset_x
      - .offset:         96
        .size:           8
        .value_kind:     hidden_global_offset_y
      - .offset:         104
        .size:           8
        .value_kind:     hidden_global_offset_z
      - .offset:         112
        .size:           2
        .value_kind:     hidden_grid_dims
    .group_segment_fixed_size: 0
    .kernarg_segment_align: 8
    .kernarg_segment_size: 304
    .language:       OpenCL C
    .language_version:
      - 2
      - 0
    .max_flat_workgroup_size: 1024
    .name:           _ZN12_GLOBAL__N_120softmax_warp_forwardIfffLi6ELb0ELb0ELi32EEEvPT0_PKT_iiiPKbib
    .private_segment_fixed_size: 0
    .sgpr_count:     18
    .sgpr_spill_count: 0
    .symbol:         _ZN12_GLOBAL__N_120softmax_warp_forwardIfffLi6ELb0ELb0ELi32EEEvPT0_PKT_iiiPKbib.kd
    .uniform_work_group_size: 1
    .uses_dynamic_stack: false
    .vgpr_count:     24
    .vgpr_spill_count: 0
    .wavefront_size: 32
    .workgroup_processor_mode: 1
  - .args:
      - .address_space:  global
        .offset:         0
        .size:           8
        .value_kind:     global_buffer
      - .address_space:  global
        .offset:         8
        .size:           8
        .value_kind:     global_buffer
      - .offset:         16
        .size:           4
        .value_kind:     by_value
      - .offset:         20
        .size:           4
        .value_kind:     by_value
      - .offset:         24
        .size:           4
        .value_kind:     by_value
      - .address_space:  global
        .offset:         32
        .size:           8
        .value_kind:     global_buffer
      - .offset:         40
        .size:           4
        .value_kind:     by_value
      - .offset:         44
        .size:           1
        .value_kind:     by_value
      - .offset:         48
        .size:           4
        .value_kind:     hidden_block_count_x
      - .offset:         52
        .size:           4
        .value_kind:     hidden_block_count_y
      - .offset:         56
        .size:           4
        .value_kind:     hidden_block_count_z
      - .offset:         60
        .size:           2
        .value_kind:     hidden_group_size_x
      - .offset:         62
        .size:           2
        .value_kind:     hidden_group_size_y
      - .offset:         64
        .size:           2
        .value_kind:     hidden_group_size_z
      - .offset:         66
        .size:           2
        .value_kind:     hidden_remainder_x
      - .offset:         68
        .size:           2
        .value_kind:     hidden_remainder_y
      - .offset:         70
        .size:           2
        .value_kind:     hidden_remainder_z
      - .offset:         88
        .size:           8
        .value_kind:     hidden_global_offset_x
      - .offset:         96
        .size:           8
        .value_kind:     hidden_global_offset_y
      - .offset:         104
        .size:           8
        .value_kind:     hidden_global_offset_z
      - .offset:         112
        .size:           2
        .value_kind:     hidden_grid_dims
    .group_segment_fixed_size: 0
    .kernarg_segment_align: 8
    .kernarg_segment_size: 304
    .language:       OpenCL C
    .language_version:
      - 2
      - 0
    .max_flat_workgroup_size: 1024
    .name:           _ZN12_GLOBAL__N_120softmax_warp_forwardIfffLi7ELb0ELb0ELi64EEEvPT0_PKT_iiiPKbib
    .private_segment_fixed_size: 0
    .sgpr_count:     18
    .sgpr_spill_count: 0
    .symbol:         _ZN12_GLOBAL__N_120softmax_warp_forwardIfffLi7ELb0ELb0ELi64EEEvPT0_PKT_iiiPKbib.kd
    .uniform_work_group_size: 1
    .uses_dynamic_stack: false
    .vgpr_count:     25
    .vgpr_spill_count: 0
    .wavefront_size: 32
    .workgroup_processor_mode: 1
  - .args:
      - .address_space:  global
        .offset:         0
        .size:           8
        .value_kind:     global_buffer
      - .address_space:  global
        .offset:         8
        .size:           8
        .value_kind:     global_buffer
      - .offset:         16
        .size:           4
        .value_kind:     by_value
      - .offset:         20
        .size:           4
        .value_kind:     by_value
      - .offset:         24
        .size:           4
        .value_kind:     by_value
      - .address_space:  global
        .offset:         32
        .size:           8
        .value_kind:     global_buffer
      - .offset:         40
        .size:           4
        .value_kind:     by_value
      - .offset:         44
        .size:           1
        .value_kind:     by_value
      - .offset:         48
        .size:           4
        .value_kind:     hidden_block_count_x
      - .offset:         52
        .size:           4
        .value_kind:     hidden_block_count_y
      - .offset:         56
        .size:           4
        .value_kind:     hidden_block_count_z
      - .offset:         60
        .size:           2
        .value_kind:     hidden_group_size_x
      - .offset:         62
        .size:           2
        .value_kind:     hidden_group_size_y
      - .offset:         64
        .size:           2
        .value_kind:     hidden_group_size_z
      - .offset:         66
        .size:           2
        .value_kind:     hidden_remainder_x
      - .offset:         68
        .size:           2
        .value_kind:     hidden_remainder_y
      - .offset:         70
        .size:           2
        .value_kind:     hidden_remainder_z
      - .offset:         88
        .size:           8
        .value_kind:     hidden_global_offset_x
      - .offset:         96
        .size:           8
        .value_kind:     hidden_global_offset_y
      - .offset:         104
        .size:           8
        .value_kind:     hidden_global_offset_z
      - .offset:         112
        .size:           2
        .value_kind:     hidden_grid_dims
    .group_segment_fixed_size: 0
    .kernarg_segment_align: 8
    .kernarg_segment_size: 304
    .language:       OpenCL C
    .language_version:
      - 2
      - 0
    .max_flat_workgroup_size: 1024
    .name:           _ZN12_GLOBAL__N_120softmax_warp_forwardIfffLi7ELb0ELb0ELi32EEEvPT0_PKT_iiiPKbib
    .private_segment_fixed_size: 0
    .sgpr_count:     26
    .sgpr_spill_count: 0
    .symbol:         _ZN12_GLOBAL__N_120softmax_warp_forwardIfffLi7ELb0ELb0ELi32EEEvPT0_PKT_iiiPKbib.kd
    .uniform_work_group_size: 1
    .uses_dynamic_stack: false
    .vgpr_count:     40
    .vgpr_spill_count: 0
    .wavefront_size: 32
    .workgroup_processor_mode: 1
  - .args:
      - .address_space:  global
        .offset:         0
        .size:           8
        .value_kind:     global_buffer
      - .address_space:  global
        .offset:         8
        .size:           8
        .value_kind:     global_buffer
      - .offset:         16
        .size:           4
        .value_kind:     by_value
      - .offset:         20
        .size:           4
        .value_kind:     by_value
      - .offset:         24
        .size:           4
        .value_kind:     by_value
      - .address_space:  global
        .offset:         32
        .size:           8
        .value_kind:     global_buffer
      - .offset:         40
        .size:           4
        .value_kind:     by_value
      - .offset:         44
        .size:           1
        .value_kind:     by_value
      - .offset:         48
        .size:           4
        .value_kind:     hidden_block_count_x
      - .offset:         52
        .size:           4
        .value_kind:     hidden_block_count_y
      - .offset:         56
        .size:           4
        .value_kind:     hidden_block_count_z
      - .offset:         60
        .size:           2
        .value_kind:     hidden_group_size_x
      - .offset:         62
        .size:           2
        .value_kind:     hidden_group_size_y
      - .offset:         64
        .size:           2
        .value_kind:     hidden_group_size_z
      - .offset:         66
        .size:           2
        .value_kind:     hidden_remainder_x
      - .offset:         68
        .size:           2
        .value_kind:     hidden_remainder_y
      - .offset:         70
        .size:           2
        .value_kind:     hidden_remainder_z
      - .offset:         88
        .size:           8
        .value_kind:     hidden_global_offset_x
      - .offset:         96
        .size:           8
        .value_kind:     hidden_global_offset_y
      - .offset:         104
        .size:           8
        .value_kind:     hidden_global_offset_z
      - .offset:         112
        .size:           2
        .value_kind:     hidden_grid_dims
    .group_segment_fixed_size: 0
    .kernarg_segment_align: 8
    .kernarg_segment_size: 304
    .language:       OpenCL C
    .language_version:
      - 2
      - 0
    .max_flat_workgroup_size: 1024
    .name:           _ZN12_GLOBAL__N_120softmax_warp_forwardIfffLi8ELb0ELb0ELi64EEEvPT0_PKT_iiiPKbib
    .private_segment_fixed_size: 0
    .sgpr_count:     18
    .sgpr_spill_count: 0
    .symbol:         _ZN12_GLOBAL__N_120softmax_warp_forwardIfffLi8ELb0ELb0ELi64EEEvPT0_PKT_iiiPKbib.kd
    .uniform_work_group_size: 1
    .uses_dynamic_stack: false
    .vgpr_count:     24
    .vgpr_spill_count: 0
    .wavefront_size: 32
    .workgroup_processor_mode: 1
  - .args:
      - .address_space:  global
        .offset:         0
        .size:           8
        .value_kind:     global_buffer
      - .address_space:  global
        .offset:         8
        .size:           8
        .value_kind:     global_buffer
      - .offset:         16
        .size:           4
        .value_kind:     by_value
      - .offset:         20
        .size:           4
        .value_kind:     by_value
      - .offset:         24
        .size:           4
        .value_kind:     by_value
      - .address_space:  global
        .offset:         32
        .size:           8
        .value_kind:     global_buffer
      - .offset:         40
        .size:           4
        .value_kind:     by_value
      - .offset:         44
        .size:           1
        .value_kind:     by_value
      - .offset:         48
        .size:           4
        .value_kind:     hidden_block_count_x
      - .offset:         52
        .size:           4
        .value_kind:     hidden_block_count_y
      - .offset:         56
        .size:           4
        .value_kind:     hidden_block_count_z
      - .offset:         60
        .size:           2
        .value_kind:     hidden_group_size_x
      - .offset:         62
        .size:           2
        .value_kind:     hidden_group_size_y
      - .offset:         64
        .size:           2
        .value_kind:     hidden_group_size_z
      - .offset:         66
        .size:           2
        .value_kind:     hidden_remainder_x
      - .offset:         68
        .size:           2
        .value_kind:     hidden_remainder_y
      - .offset:         70
        .size:           2
        .value_kind:     hidden_remainder_z
      - .offset:         88
        .size:           8
        .value_kind:     hidden_global_offset_x
      - .offset:         96
        .size:           8
        .value_kind:     hidden_global_offset_y
      - .offset:         104
        .size:           8
        .value_kind:     hidden_global_offset_z
      - .offset:         112
        .size:           2
        .value_kind:     hidden_grid_dims
    .group_segment_fixed_size: 0
    .kernarg_segment_align: 8
    .kernarg_segment_size: 304
    .language:       OpenCL C
    .language_version:
      - 2
      - 0
    .max_flat_workgroup_size: 1024
    .name:           _ZN12_GLOBAL__N_120softmax_warp_forwardIfffLi8ELb0ELb0ELi32EEEvPT0_PKT_iiiPKbib
    .private_segment_fixed_size: 0
    .sgpr_count:     26
    .sgpr_spill_count: 0
    .symbol:         _ZN12_GLOBAL__N_120softmax_warp_forwardIfffLi8ELb0ELb0ELi32EEEvPT0_PKT_iiiPKbib.kd
    .uniform_work_group_size: 1
    .uses_dynamic_stack: false
    .vgpr_count:     40
    .vgpr_spill_count: 0
    .wavefront_size: 32
    .workgroup_processor_mode: 1
  - .args:
      - .address_space:  global
        .offset:         0
        .size:           8
        .value_kind:     global_buffer
      - .address_space:  global
        .offset:         8
        .size:           8
        .value_kind:     global_buffer
      - .offset:         16
        .size:           4
        .value_kind:     by_value
      - .offset:         20
        .size:           4
        .value_kind:     by_value
      - .offset:         24
        .size:           4
        .value_kind:     by_value
      - .address_space:  global
        .offset:         32
        .size:           8
        .value_kind:     global_buffer
      - .offset:         40
        .size:           4
        .value_kind:     by_value
      - .offset:         44
        .size:           1
        .value_kind:     by_value
      - .offset:         48
        .size:           4
        .value_kind:     hidden_block_count_x
      - .offset:         52
        .size:           4
        .value_kind:     hidden_block_count_y
      - .offset:         56
        .size:           4
        .value_kind:     hidden_block_count_z
      - .offset:         60
        .size:           2
        .value_kind:     hidden_group_size_x
      - .offset:         62
        .size:           2
        .value_kind:     hidden_group_size_y
      - .offset:         64
        .size:           2
        .value_kind:     hidden_group_size_z
      - .offset:         66
        .size:           2
        .value_kind:     hidden_remainder_x
      - .offset:         68
        .size:           2
        .value_kind:     hidden_remainder_y
      - .offset:         70
        .size:           2
        .value_kind:     hidden_remainder_z
      - .offset:         88
        .size:           8
        .value_kind:     hidden_global_offset_x
      - .offset:         96
        .size:           8
        .value_kind:     hidden_global_offset_y
      - .offset:         104
        .size:           8
        .value_kind:     hidden_global_offset_z
      - .offset:         112
        .size:           2
        .value_kind:     hidden_grid_dims
    .group_segment_fixed_size: 0
    .kernarg_segment_align: 8
    .kernarg_segment_size: 304
    .language:       OpenCL C
    .language_version:
      - 2
      - 0
    .max_flat_workgroup_size: 1024
    .name:           _ZN12_GLOBAL__N_120softmax_warp_forwardIfffLi9ELb0ELb0ELi64EEEvPT0_PKT_iiiPKbib
    .private_segment_fixed_size: 0
    .sgpr_count:     26
    .sgpr_spill_count: 0
    .symbol:         _ZN12_GLOBAL__N_120softmax_warp_forwardIfffLi9ELb0ELb0ELi64EEEvPT0_PKT_iiiPKbib.kd
    .uniform_work_group_size: 1
    .uses_dynamic_stack: false
    .vgpr_count:     41
    .vgpr_spill_count: 0
    .wavefront_size: 32
    .workgroup_processor_mode: 1
  - .args:
      - .address_space:  global
        .offset:         0
        .size:           8
        .value_kind:     global_buffer
      - .address_space:  global
        .offset:         8
        .size:           8
        .value_kind:     global_buffer
      - .offset:         16
        .size:           4
        .value_kind:     by_value
      - .offset:         20
        .size:           4
        .value_kind:     by_value
      - .offset:         24
        .size:           4
        .value_kind:     by_value
      - .address_space:  global
        .offset:         32
        .size:           8
        .value_kind:     global_buffer
      - .offset:         40
        .size:           4
        .value_kind:     by_value
      - .offset:         44
        .size:           1
        .value_kind:     by_value
      - .offset:         48
        .size:           4
        .value_kind:     hidden_block_count_x
      - .offset:         52
        .size:           4
        .value_kind:     hidden_block_count_y
      - .offset:         56
        .size:           4
        .value_kind:     hidden_block_count_z
      - .offset:         60
        .size:           2
        .value_kind:     hidden_group_size_x
      - .offset:         62
        .size:           2
        .value_kind:     hidden_group_size_y
      - .offset:         64
        .size:           2
        .value_kind:     hidden_group_size_z
      - .offset:         66
        .size:           2
        .value_kind:     hidden_remainder_x
      - .offset:         68
        .size:           2
        .value_kind:     hidden_remainder_y
      - .offset:         70
        .size:           2
        .value_kind:     hidden_remainder_z
      - .offset:         88
        .size:           8
        .value_kind:     hidden_global_offset_x
      - .offset:         96
        .size:           8
        .value_kind:     hidden_global_offset_y
      - .offset:         104
        .size:           8
        .value_kind:     hidden_global_offset_z
      - .offset:         112
        .size:           2
        .value_kind:     hidden_grid_dims
    .group_segment_fixed_size: 0
    .kernarg_segment_align: 8
    .kernarg_segment_size: 304
    .language:       OpenCL C
    .language_version:
      - 2
      - 0
    .max_flat_workgroup_size: 1024
    .name:           _ZN12_GLOBAL__N_120softmax_warp_forwardIfffLi9ELb0ELb0ELi32EEEvPT0_PKT_iiiPKbib
    .private_segment_fixed_size: 0
    .sgpr_count:     26
    .sgpr_spill_count: 0
    .symbol:         _ZN12_GLOBAL__N_120softmax_warp_forwardIfffLi9ELb0ELb0ELi32EEEvPT0_PKT_iiiPKbib.kd
    .uniform_work_group_size: 1
    .uses_dynamic_stack: false
    .vgpr_count:     72
    .vgpr_spill_count: 0
    .wavefront_size: 32
    .workgroup_processor_mode: 1
  - .args:
      - .address_space:  global
        .offset:         0
        .size:           8
        .value_kind:     global_buffer
      - .address_space:  global
        .offset:         8
        .size:           8
        .value_kind:     global_buffer
      - .offset:         16
        .size:           4
        .value_kind:     by_value
      - .offset:         20
        .size:           4
        .value_kind:     by_value
      - .offset:         24
        .size:           4
        .value_kind:     by_value
      - .address_space:  global
        .offset:         32
        .size:           8
        .value_kind:     global_buffer
      - .offset:         40
        .size:           4
        .value_kind:     by_value
      - .offset:         44
        .size:           1
        .value_kind:     by_value
      - .offset:         48
        .size:           4
        .value_kind:     hidden_block_count_x
      - .offset:         52
        .size:           4
        .value_kind:     hidden_block_count_y
      - .offset:         56
        .size:           4
        .value_kind:     hidden_block_count_z
      - .offset:         60
        .size:           2
        .value_kind:     hidden_group_size_x
      - .offset:         62
        .size:           2
        .value_kind:     hidden_group_size_y
      - .offset:         64
        .size:           2
        .value_kind:     hidden_group_size_z
      - .offset:         66
        .size:           2
        .value_kind:     hidden_remainder_x
      - .offset:         68
        .size:           2
        .value_kind:     hidden_remainder_y
      - .offset:         70
        .size:           2
        .value_kind:     hidden_remainder_z
      - .offset:         88
        .size:           8
        .value_kind:     hidden_global_offset_x
      - .offset:         96
        .size:           8
        .value_kind:     hidden_global_offset_y
      - .offset:         104
        .size:           8
        .value_kind:     hidden_global_offset_z
      - .offset:         112
        .size:           2
        .value_kind:     hidden_grid_dims
    .group_segment_fixed_size: 0
    .kernarg_segment_align: 8
    .kernarg_segment_size: 304
    .language:       OpenCL C
    .language_version:
      - 2
      - 0
    .max_flat_workgroup_size: 1024
    .name:           _ZN12_GLOBAL__N_120softmax_warp_forwardIfffLi10ELb0ELb0ELi64EEEvPT0_PKT_iiiPKbib
    .private_segment_fixed_size: 0
    .sgpr_count:     26
    .sgpr_spill_count: 0
    .symbol:         _ZN12_GLOBAL__N_120softmax_warp_forwardIfffLi10ELb0ELb0ELi64EEEvPT0_PKT_iiiPKbib.kd
    .uniform_work_group_size: 1
    .uses_dynamic_stack: false
    .vgpr_count:     73
    .vgpr_spill_count: 0
    .wavefront_size: 32
    .workgroup_processor_mode: 1
  - .args:
      - .address_space:  global
        .offset:         0
        .size:           8
        .value_kind:     global_buffer
      - .address_space:  global
        .offset:         8
        .size:           8
        .value_kind:     global_buffer
      - .offset:         16
        .size:           4
        .value_kind:     by_value
      - .offset:         20
        .size:           4
        .value_kind:     by_value
      - .offset:         24
        .size:           4
        .value_kind:     by_value
      - .address_space:  global
        .offset:         32
        .size:           8
        .value_kind:     global_buffer
      - .offset:         40
        .size:           4
        .value_kind:     by_value
      - .offset:         44
        .size:           1
        .value_kind:     by_value
      - .offset:         48
        .size:           4
        .value_kind:     hidden_block_count_x
      - .offset:         52
        .size:           4
        .value_kind:     hidden_block_count_y
      - .offset:         56
        .size:           4
        .value_kind:     hidden_block_count_z
      - .offset:         60
        .size:           2
        .value_kind:     hidden_group_size_x
      - .offset:         62
        .size:           2
        .value_kind:     hidden_group_size_y
      - .offset:         64
        .size:           2
        .value_kind:     hidden_group_size_z
      - .offset:         66
        .size:           2
        .value_kind:     hidden_remainder_x
      - .offset:         68
        .size:           2
        .value_kind:     hidden_remainder_y
      - .offset:         70
        .size:           2
        .value_kind:     hidden_remainder_z
      - .offset:         88
        .size:           8
        .value_kind:     hidden_global_offset_x
      - .offset:         96
        .size:           8
        .value_kind:     hidden_global_offset_y
      - .offset:         104
        .size:           8
        .value_kind:     hidden_global_offset_z
      - .offset:         112
        .size:           2
        .value_kind:     hidden_grid_dims
    .group_segment_fixed_size: 0
    .kernarg_segment_align: 8
    .kernarg_segment_size: 304
    .language:       OpenCL C
    .language_version:
      - 2
      - 0
    .max_flat_workgroup_size: 1024
    .name:           _ZN12_GLOBAL__N_120softmax_warp_forwardIfffLi10ELb0ELb0ELi32EEEvPT0_PKT_iiiPKbib
    .private_segment_fixed_size: 0
    .sgpr_count:     46
    .sgpr_spill_count: 0
    .symbol:         _ZN12_GLOBAL__N_120softmax_warp_forwardIfffLi10ELb0ELb0ELi32EEEvPT0_PKT_iiiPKbib.kd
    .uniform_work_group_size: 1
    .uses_dynamic_stack: false
    .vgpr_count:     94
    .vgpr_spill_count: 0
    .wavefront_size: 32
    .workgroup_processor_mode: 1
  - .args:
      - .address_space:  global
        .offset:         0
        .size:           8
        .value_kind:     global_buffer
      - .address_space:  global
        .offset:         8
        .size:           8
        .value_kind:     global_buffer
      - .offset:         16
        .size:           4
        .value_kind:     by_value
      - .offset:         20
        .size:           4
        .value_kind:     by_value
      - .offset:         24
        .size:           4
        .value_kind:     by_value
      - .address_space:  global
        .offset:         32
        .size:           8
        .value_kind:     global_buffer
      - .offset:         40
        .size:           4
        .value_kind:     by_value
      - .offset:         44
        .size:           1
        .value_kind:     by_value
      - .offset:         48
        .size:           4
        .value_kind:     hidden_block_count_x
      - .offset:         52
        .size:           4
        .value_kind:     hidden_block_count_y
      - .offset:         56
        .size:           4
        .value_kind:     hidden_block_count_z
      - .offset:         60
        .size:           2
        .value_kind:     hidden_group_size_x
      - .offset:         62
        .size:           2
        .value_kind:     hidden_group_size_y
      - .offset:         64
        .size:           2
        .value_kind:     hidden_group_size_z
      - .offset:         66
        .size:           2
        .value_kind:     hidden_remainder_x
      - .offset:         68
        .size:           2
        .value_kind:     hidden_remainder_y
      - .offset:         70
        .size:           2
        .value_kind:     hidden_remainder_z
      - .offset:         88
        .size:           8
        .value_kind:     hidden_global_offset_x
      - .offset:         96
        .size:           8
        .value_kind:     hidden_global_offset_y
      - .offset:         104
        .size:           8
        .value_kind:     hidden_global_offset_z
      - .offset:         112
        .size:           2
        .value_kind:     hidden_grid_dims
    .group_segment_fixed_size: 0
    .kernarg_segment_align: 8
    .kernarg_segment_size: 304
    .language:       OpenCL C
    .language_version:
      - 2
      - 0
    .max_flat_workgroup_size: 1024
    .name:           _ZN12_GLOBAL__N_120softmax_warp_forwardIfffLi11ELb0ELb0ELi64EEEvPT0_PKT_iiiPKbib
    .private_segment_fixed_size: 0
    .sgpr_count:     46
    .sgpr_spill_count: 0
    .symbol:         _ZN12_GLOBAL__N_120softmax_warp_forwardIfffLi11ELb0ELb0ELi64EEEvPT0_PKT_iiiPKbib.kd
    .uniform_work_group_size: 1
    .uses_dynamic_stack: false
    .vgpr_count:     94
    .vgpr_spill_count: 0
    .wavefront_size: 32
    .workgroup_processor_mode: 1
  - .args:
      - .address_space:  global
        .offset:         0
        .size:           8
        .value_kind:     global_buffer
      - .address_space:  global
        .offset:         8
        .size:           8
        .value_kind:     global_buffer
      - .offset:         16
        .size:           4
        .value_kind:     by_value
      - .offset:         20
        .size:           4
        .value_kind:     by_value
      - .offset:         24
        .size:           4
        .value_kind:     by_value
      - .address_space:  global
        .offset:         32
        .size:           8
        .value_kind:     global_buffer
      - .offset:         40
        .size:           4
        .value_kind:     by_value
      - .offset:         44
        .size:           1
        .value_kind:     by_value
      - .offset:         48
        .size:           4
        .value_kind:     hidden_block_count_x
      - .offset:         52
        .size:           4
        .value_kind:     hidden_block_count_y
      - .offset:         56
        .size:           4
        .value_kind:     hidden_block_count_z
      - .offset:         60
        .size:           2
        .value_kind:     hidden_group_size_x
      - .offset:         62
        .size:           2
        .value_kind:     hidden_group_size_y
      - .offset:         64
        .size:           2
        .value_kind:     hidden_group_size_z
      - .offset:         66
        .size:           2
        .value_kind:     hidden_remainder_x
      - .offset:         68
        .size:           2
        .value_kind:     hidden_remainder_y
      - .offset:         70
        .size:           2
        .value_kind:     hidden_remainder_z
      - .offset:         88
        .size:           8
        .value_kind:     hidden_global_offset_x
      - .offset:         96
        .size:           8
        .value_kind:     hidden_global_offset_y
      - .offset:         104
        .size:           8
        .value_kind:     hidden_global_offset_z
      - .offset:         112
        .size:           2
        .value_kind:     hidden_grid_dims
    .group_segment_fixed_size: 0
    .kernarg_segment_align: 8
    .kernarg_segment_size: 304
    .language:       OpenCL C
    .language_version:
      - 2
      - 0
    .max_flat_workgroup_size: 1024
    .name:           _ZN12_GLOBAL__N_120softmax_warp_forwardIfffLi11ELb0ELb0ELi32EEEvPT0_PKT_iiiPKbib
    .private_segment_fixed_size: 0
    .sgpr_count:     78
    .sgpr_spill_count: 0
    .symbol:         _ZN12_GLOBAL__N_120softmax_warp_forwardIfffLi11ELb0ELb0ELi32EEEvPT0_PKT_iiiPKbib.kd
    .uniform_work_group_size: 1
    .uses_dynamic_stack: false
    .vgpr_count:     77
    .vgpr_spill_count: 0
    .wavefront_size: 32
    .workgroup_processor_mode: 1
  - .args:
      - .address_space:  global
        .offset:         0
        .size:           8
        .value_kind:     global_buffer
      - .address_space:  global
        .offset:         8
        .size:           8
        .value_kind:     global_buffer
      - .offset:         16
        .size:           8
        .value_kind:     by_value
      - .offset:         24
        .size:           4
        .value_kind:     hidden_block_count_x
      - .offset:         28
        .size:           4
        .value_kind:     hidden_block_count_y
      - .offset:         32
        .size:           4
        .value_kind:     hidden_block_count_z
      - .offset:         36
        .size:           2
        .value_kind:     hidden_group_size_x
      - .offset:         38
        .size:           2
        .value_kind:     hidden_group_size_y
      - .offset:         40
        .size:           2
        .value_kind:     hidden_group_size_z
      - .offset:         42
        .size:           2
        .value_kind:     hidden_remainder_x
      - .offset:         44
        .size:           2
        .value_kind:     hidden_remainder_y
      - .offset:         46
        .size:           2
        .value_kind:     hidden_remainder_z
      - .offset:         64
        .size:           8
        .value_kind:     hidden_global_offset_x
      - .offset:         72
        .size:           8
        .value_kind:     hidden_global_offset_y
      - .offset:         80
        .size:           8
        .value_kind:     hidden_global_offset_z
      - .offset:         88
        .size:           2
        .value_kind:     hidden_grid_dims
      - .offset:         144
        .size:           4
        .value_kind:     hidden_dynamic_lds_size
    .group_segment_fixed_size: 0
    .kernarg_segment_align: 8
    .kernarg_segment_size: 280
    .language:       OpenCL C
    .language_version:
      - 2
      - 0
    .max_flat_workgroup_size: 1024
    .name:           _ZN2at6native12_GLOBAL__N_123cunn_SoftMaxForwardGmemILi4EfffNS1_29SoftMaxForwardWithMulEpilogueElEEvPT2_PKT0_T4_
    .private_segment_fixed_size: 0
    .sgpr_count:     22
    .sgpr_spill_count: 0
    .symbol:         _ZN2at6native12_GLOBAL__N_123cunn_SoftMaxForwardGmemILi4EfffNS1_29SoftMaxForwardWithMulEpilogueElEEvPT2_PKT0_T4_.kd
    .uniform_work_group_size: 1
    .uses_dynamic_stack: false
    .vgpr_count:     21
    .vgpr_spill_count: 0
    .wavefront_size: 32
    .workgroup_processor_mode: 1
  - .args:
      - .address_space:  global
        .offset:         0
        .size:           8
        .value_kind:     global_buffer
      - .address_space:  global
        .offset:         8
        .size:           8
        .value_kind:     global_buffer
      - .offset:         16
        .size:           4
        .value_kind:     by_value
      - .offset:         24
        .size:           4
        .value_kind:     hidden_block_count_x
      - .offset:         28
        .size:           4
        .value_kind:     hidden_block_count_y
      - .offset:         32
        .size:           4
        .value_kind:     hidden_block_count_z
      - .offset:         36
        .size:           2
        .value_kind:     hidden_group_size_x
      - .offset:         38
        .size:           2
        .value_kind:     hidden_group_size_y
      - .offset:         40
        .size:           2
        .value_kind:     hidden_group_size_z
      - .offset:         42
        .size:           2
        .value_kind:     hidden_remainder_x
      - .offset:         44
        .size:           2
        .value_kind:     hidden_remainder_y
      - .offset:         46
        .size:           2
        .value_kind:     hidden_remainder_z
      - .offset:         64
        .size:           8
        .value_kind:     hidden_global_offset_x
      - .offset:         72
        .size:           8
        .value_kind:     hidden_global_offset_y
      - .offset:         80
        .size:           8
        .value_kind:     hidden_global_offset_z
      - .offset:         88
        .size:           2
        .value_kind:     hidden_grid_dims
      - .offset:         144
        .size:           4
        .value_kind:     hidden_dynamic_lds_size
    .group_segment_fixed_size: 0
    .kernarg_segment_align: 8
    .kernarg_segment_size: 280
    .language:       OpenCL C
    .language_version:
      - 2
      - 0
    .max_flat_workgroup_size: 1024
    .name:           _ZN2at6native12_GLOBAL__N_123cunn_SoftMaxForwardFastILi4EfffNS1_29SoftMaxForwardWithMulEpilogueEEEvPT2_PKT0_i
    .private_segment_fixed_size: 0
    .sgpr_count:     22
    .sgpr_spill_count: 0
    .symbol:         _ZN2at6native12_GLOBAL__N_123cunn_SoftMaxForwardFastILi4EfffNS1_29SoftMaxForwardWithMulEpilogueEEEvPT2_PKT0_i.kd
    .uniform_work_group_size: 1
    .uses_dynamic_stack: false
    .vgpr_count:     18
    .vgpr_spill_count: 0
    .wavefront_size: 32
    .workgroup_processor_mode: 1
  - .args:
      - .address_space:  global
        .offset:         0
        .size:           8
        .value_kind:     global_buffer
      - .address_space:  global
        .offset:         8
        .size:           8
        .value_kind:     global_buffer
      - .offset:         16
        .size:           4
        .value_kind:     by_value
      - .offset:         20
        .size:           4
        .value_kind:     by_value
      - .offset:         24
        .size:           4
        .value_kind:     by_value
      - .address_space:  global
        .offset:         32
        .size:           8
        .value_kind:     global_buffer
      - .offset:         40
        .size:           4
        .value_kind:     by_value
      - .offset:         44
        .size:           1
        .value_kind:     by_value
      - .offset:         48
        .size:           4
        .value_kind:     hidden_block_count_x
      - .offset:         52
        .size:           4
        .value_kind:     hidden_block_count_y
      - .offset:         56
        .size:           4
        .value_kind:     hidden_block_count_z
      - .offset:         60
        .size:           2
        .value_kind:     hidden_group_size_x
      - .offset:         62
        .size:           2
        .value_kind:     hidden_group_size_y
      - .offset:         64
        .size:           2
        .value_kind:     hidden_group_size_z
      - .offset:         66
        .size:           2
        .value_kind:     hidden_remainder_x
      - .offset:         68
        .size:           2
        .value_kind:     hidden_remainder_y
      - .offset:         70
        .size:           2
        .value_kind:     hidden_remainder_z
      - .offset:         88
        .size:           8
        .value_kind:     hidden_global_offset_x
      - .offset:         96
        .size:           8
        .value_kind:     hidden_global_offset_y
      - .offset:         104
        .size:           8
        .value_kind:     hidden_global_offset_z
      - .offset:         112
        .size:           2
        .value_kind:     hidden_grid_dims
    .group_segment_fixed_size: 0
    .kernarg_segment_align: 8
    .kernarg_segment_size: 304
    .language:       OpenCL C
    .language_version:
      - 2
      - 0
    .max_flat_workgroup_size: 1024
    .name:           _ZN12_GLOBAL__N_120softmax_warp_forwardIN3c104HalfES2_fLi0ELb0ELb0ELi64EEEvPT0_PKT_iiiPKbib
    .private_segment_fixed_size: 0
    .sgpr_count:     18
    .sgpr_spill_count: 0
    .symbol:         _ZN12_GLOBAL__N_120softmax_warp_forwardIN3c104HalfES2_fLi0ELb0ELb0ELi64EEEvPT0_PKT_iiiPKbib.kd
    .uniform_work_group_size: 1
    .uses_dynamic_stack: false
    .vgpr_count:     9
    .vgpr_spill_count: 0
    .wavefront_size: 32
    .workgroup_processor_mode: 1
  - .args:
      - .address_space:  global
        .offset:         0
        .size:           8
        .value_kind:     global_buffer
      - .address_space:  global
        .offset:         8
        .size:           8
        .value_kind:     global_buffer
      - .offset:         16
        .size:           4
        .value_kind:     by_value
      - .offset:         20
        .size:           4
        .value_kind:     by_value
      - .offset:         24
        .size:           4
        .value_kind:     by_value
      - .address_space:  global
        .offset:         32
        .size:           8
        .value_kind:     global_buffer
      - .offset:         40
        .size:           4
        .value_kind:     by_value
      - .offset:         44
        .size:           1
        .value_kind:     by_value
      - .offset:         48
        .size:           4
        .value_kind:     hidden_block_count_x
      - .offset:         52
        .size:           4
        .value_kind:     hidden_block_count_y
      - .offset:         56
        .size:           4
        .value_kind:     hidden_block_count_z
      - .offset:         60
        .size:           2
        .value_kind:     hidden_group_size_x
      - .offset:         62
        .size:           2
        .value_kind:     hidden_group_size_y
      - .offset:         64
        .size:           2
        .value_kind:     hidden_group_size_z
      - .offset:         66
        .size:           2
        .value_kind:     hidden_remainder_x
      - .offset:         68
        .size:           2
        .value_kind:     hidden_remainder_y
      - .offset:         70
        .size:           2
        .value_kind:     hidden_remainder_z
      - .offset:         88
        .size:           8
        .value_kind:     hidden_global_offset_x
      - .offset:         96
        .size:           8
        .value_kind:     hidden_global_offset_y
      - .offset:         104
        .size:           8
        .value_kind:     hidden_global_offset_z
      - .offset:         112
        .size:           2
        .value_kind:     hidden_grid_dims
    .group_segment_fixed_size: 0
    .kernarg_segment_align: 8
    .kernarg_segment_size: 304
    .language:       OpenCL C
    .language_version:
      - 2
      - 0
    .max_flat_workgroup_size: 1024
    .name:           _ZN12_GLOBAL__N_120softmax_warp_forwardIN3c104HalfES2_fLi0ELb0ELb0ELi32EEEvPT0_PKT_iiiPKbib
    .private_segment_fixed_size: 0
    .sgpr_count:     18
    .sgpr_spill_count: 0
    .symbol:         _ZN12_GLOBAL__N_120softmax_warp_forwardIN3c104HalfES2_fLi0ELb0ELb0ELi32EEEvPT0_PKT_iiiPKbib.kd
    .uniform_work_group_size: 1
    .uses_dynamic_stack: false
    .vgpr_count:     9
    .vgpr_spill_count: 0
    .wavefront_size: 32
    .workgroup_processor_mode: 1
  - .args:
      - .address_space:  global
        .offset:         0
        .size:           8
        .value_kind:     global_buffer
      - .address_space:  global
        .offset:         8
        .size:           8
        .value_kind:     global_buffer
      - .offset:         16
        .size:           4
        .value_kind:     by_value
      - .offset:         20
        .size:           4
        .value_kind:     by_value
      - .offset:         24
        .size:           4
        .value_kind:     by_value
      - .address_space:  global
        .offset:         32
        .size:           8
        .value_kind:     global_buffer
      - .offset:         40
        .size:           4
        .value_kind:     by_value
      - .offset:         44
        .size:           1
        .value_kind:     by_value
      - .offset:         48
        .size:           4
        .value_kind:     hidden_block_count_x
      - .offset:         52
        .size:           4
        .value_kind:     hidden_block_count_y
      - .offset:         56
        .size:           4
        .value_kind:     hidden_block_count_z
      - .offset:         60
        .size:           2
        .value_kind:     hidden_group_size_x
      - .offset:         62
        .size:           2
        .value_kind:     hidden_group_size_y
      - .offset:         64
        .size:           2
        .value_kind:     hidden_group_size_z
      - .offset:         66
        .size:           2
        .value_kind:     hidden_remainder_x
      - .offset:         68
        .size:           2
        .value_kind:     hidden_remainder_y
      - .offset:         70
        .size:           2
        .value_kind:     hidden_remainder_z
      - .offset:         88
        .size:           8
        .value_kind:     hidden_global_offset_x
      - .offset:         96
        .size:           8
        .value_kind:     hidden_global_offset_y
      - .offset:         104
        .size:           8
        .value_kind:     hidden_global_offset_z
      - .offset:         112
        .size:           2
        .value_kind:     hidden_grid_dims
    .group_segment_fixed_size: 0
    .kernarg_segment_align: 8
    .kernarg_segment_size: 304
    .language:       OpenCL C
    .language_version:
      - 2
      - 0
    .max_flat_workgroup_size: 1024
    .name:           _ZN12_GLOBAL__N_120softmax_warp_forwardIN3c104HalfES2_fLi1ELb0ELb0ELi64EEEvPT0_PKT_iiiPKbib
    .private_segment_fixed_size: 0
    .sgpr_count:     18
    .sgpr_spill_count: 0
    .symbol:         _ZN12_GLOBAL__N_120softmax_warp_forwardIN3c104HalfES2_fLi1ELb0ELb0ELi64EEEvPT0_PKT_iiiPKbib.kd
    .uniform_work_group_size: 1
    .uses_dynamic_stack: false
    .vgpr_count:     12
    .vgpr_spill_count: 0
    .wavefront_size: 32
    .workgroup_processor_mode: 1
  - .args:
      - .address_space:  global
        .offset:         0
        .size:           8
        .value_kind:     global_buffer
      - .address_space:  global
        .offset:         8
        .size:           8
        .value_kind:     global_buffer
      - .offset:         16
        .size:           4
        .value_kind:     by_value
      - .offset:         20
        .size:           4
        .value_kind:     by_value
      - .offset:         24
        .size:           4
        .value_kind:     by_value
      - .address_space:  global
        .offset:         32
        .size:           8
        .value_kind:     global_buffer
      - .offset:         40
        .size:           4
        .value_kind:     by_value
      - .offset:         44
        .size:           1
        .value_kind:     by_value
      - .offset:         48
        .size:           4
        .value_kind:     hidden_block_count_x
      - .offset:         52
        .size:           4
        .value_kind:     hidden_block_count_y
      - .offset:         56
        .size:           4
        .value_kind:     hidden_block_count_z
      - .offset:         60
        .size:           2
        .value_kind:     hidden_group_size_x
      - .offset:         62
        .size:           2
        .value_kind:     hidden_group_size_y
      - .offset:         64
        .size:           2
        .value_kind:     hidden_group_size_z
      - .offset:         66
        .size:           2
        .value_kind:     hidden_remainder_x
      - .offset:         68
        .size:           2
        .value_kind:     hidden_remainder_y
      - .offset:         70
        .size:           2
        .value_kind:     hidden_remainder_z
      - .offset:         88
        .size:           8
        .value_kind:     hidden_global_offset_x
      - .offset:         96
        .size:           8
        .value_kind:     hidden_global_offset_y
      - .offset:         104
        .size:           8
        .value_kind:     hidden_global_offset_z
      - .offset:         112
        .size:           2
        .value_kind:     hidden_grid_dims
    .group_segment_fixed_size: 0
    .kernarg_segment_align: 8
    .kernarg_segment_size: 304
    .language:       OpenCL C
    .language_version:
      - 2
      - 0
    .max_flat_workgroup_size: 1024
    .name:           _ZN12_GLOBAL__N_120softmax_warp_forwardIN3c104HalfES2_fLi1ELb0ELb0ELi32EEEvPT0_PKT_iiiPKbib
    .private_segment_fixed_size: 0
    .sgpr_count:     18
    .sgpr_spill_count: 0
    .symbol:         _ZN12_GLOBAL__N_120softmax_warp_forwardIN3c104HalfES2_fLi1ELb0ELb0ELi32EEEvPT0_PKT_iiiPKbib.kd
    .uniform_work_group_size: 1
    .uses_dynamic_stack: false
    .vgpr_count:     12
    .vgpr_spill_count: 0
    .wavefront_size: 32
    .workgroup_processor_mode: 1
  - .args:
      - .address_space:  global
        .offset:         0
        .size:           8
        .value_kind:     global_buffer
      - .address_space:  global
        .offset:         8
        .size:           8
        .value_kind:     global_buffer
      - .offset:         16
        .size:           4
        .value_kind:     by_value
      - .offset:         20
        .size:           4
        .value_kind:     by_value
      - .offset:         24
        .size:           4
        .value_kind:     by_value
      - .address_space:  global
        .offset:         32
        .size:           8
        .value_kind:     global_buffer
      - .offset:         40
        .size:           4
        .value_kind:     by_value
      - .offset:         44
        .size:           1
        .value_kind:     by_value
      - .offset:         48
        .size:           4
        .value_kind:     hidden_block_count_x
      - .offset:         52
        .size:           4
        .value_kind:     hidden_block_count_y
      - .offset:         56
        .size:           4
        .value_kind:     hidden_block_count_z
      - .offset:         60
        .size:           2
        .value_kind:     hidden_group_size_x
      - .offset:         62
        .size:           2
        .value_kind:     hidden_group_size_y
      - .offset:         64
        .size:           2
        .value_kind:     hidden_group_size_z
      - .offset:         66
        .size:           2
        .value_kind:     hidden_remainder_x
      - .offset:         68
        .size:           2
        .value_kind:     hidden_remainder_y
      - .offset:         70
        .size:           2
        .value_kind:     hidden_remainder_z
      - .offset:         88
        .size:           8
        .value_kind:     hidden_global_offset_x
      - .offset:         96
        .size:           8
        .value_kind:     hidden_global_offset_y
      - .offset:         104
        .size:           8
        .value_kind:     hidden_global_offset_z
      - .offset:         112
        .size:           2
        .value_kind:     hidden_grid_dims
    .group_segment_fixed_size: 0
    .kernarg_segment_align: 8
    .kernarg_segment_size: 304
    .language:       OpenCL C
    .language_version:
      - 2
      - 0
    .max_flat_workgroup_size: 1024
    .name:           _ZN12_GLOBAL__N_120softmax_warp_forwardIN3c104HalfES2_fLi2ELb0ELb0ELi64EEEvPT0_PKT_iiiPKbib
    .private_segment_fixed_size: 0
    .sgpr_count:     18
    .sgpr_spill_count: 0
    .symbol:         _ZN12_GLOBAL__N_120softmax_warp_forwardIN3c104HalfES2_fLi2ELb0ELb0ELi64EEEvPT0_PKT_iiiPKbib.kd
    .uniform_work_group_size: 1
    .uses_dynamic_stack: false
    .vgpr_count:     13
    .vgpr_spill_count: 0
    .wavefront_size: 32
    .workgroup_processor_mode: 1
  - .args:
      - .address_space:  global
        .offset:         0
        .size:           8
        .value_kind:     global_buffer
      - .address_space:  global
        .offset:         8
        .size:           8
        .value_kind:     global_buffer
      - .offset:         16
        .size:           4
        .value_kind:     by_value
      - .offset:         20
        .size:           4
        .value_kind:     by_value
      - .offset:         24
        .size:           4
        .value_kind:     by_value
      - .address_space:  global
        .offset:         32
        .size:           8
        .value_kind:     global_buffer
      - .offset:         40
        .size:           4
        .value_kind:     by_value
      - .offset:         44
        .size:           1
        .value_kind:     by_value
      - .offset:         48
        .size:           4
        .value_kind:     hidden_block_count_x
      - .offset:         52
        .size:           4
        .value_kind:     hidden_block_count_y
      - .offset:         56
        .size:           4
        .value_kind:     hidden_block_count_z
      - .offset:         60
        .size:           2
        .value_kind:     hidden_group_size_x
      - .offset:         62
        .size:           2
        .value_kind:     hidden_group_size_y
      - .offset:         64
        .size:           2
        .value_kind:     hidden_group_size_z
      - .offset:         66
        .size:           2
        .value_kind:     hidden_remainder_x
      - .offset:         68
        .size:           2
        .value_kind:     hidden_remainder_y
      - .offset:         70
        .size:           2
        .value_kind:     hidden_remainder_z
      - .offset:         88
        .size:           8
        .value_kind:     hidden_global_offset_x
      - .offset:         96
        .size:           8
        .value_kind:     hidden_global_offset_y
      - .offset:         104
        .size:           8
        .value_kind:     hidden_global_offset_z
      - .offset:         112
        .size:           2
        .value_kind:     hidden_grid_dims
    .group_segment_fixed_size: 0
    .kernarg_segment_align: 8
    .kernarg_segment_size: 304
    .language:       OpenCL C
    .language_version:
      - 2
      - 0
    .max_flat_workgroup_size: 1024
    .name:           _ZN12_GLOBAL__N_120softmax_warp_forwardIN3c104HalfES2_fLi2ELb0ELb0ELi32EEEvPT0_PKT_iiiPKbib
    .private_segment_fixed_size: 0
    .sgpr_count:     18
    .sgpr_spill_count: 0
    .symbol:         _ZN12_GLOBAL__N_120softmax_warp_forwardIN3c104HalfES2_fLi2ELb0ELb0ELi32EEEvPT0_PKT_iiiPKbib.kd
    .uniform_work_group_size: 1
    .uses_dynamic_stack: false
    .vgpr_count:     13
    .vgpr_spill_count: 0
    .wavefront_size: 32
    .workgroup_processor_mode: 1
  - .args:
      - .address_space:  global
        .offset:         0
        .size:           8
        .value_kind:     global_buffer
      - .address_space:  global
        .offset:         8
        .size:           8
        .value_kind:     global_buffer
      - .offset:         16
        .size:           4
        .value_kind:     by_value
      - .offset:         20
        .size:           4
        .value_kind:     by_value
      - .offset:         24
        .size:           4
        .value_kind:     by_value
      - .address_space:  global
        .offset:         32
        .size:           8
        .value_kind:     global_buffer
      - .offset:         40
        .size:           4
        .value_kind:     by_value
      - .offset:         44
        .size:           1
        .value_kind:     by_value
      - .offset:         48
        .size:           4
        .value_kind:     hidden_block_count_x
      - .offset:         52
        .size:           4
        .value_kind:     hidden_block_count_y
      - .offset:         56
        .size:           4
        .value_kind:     hidden_block_count_z
      - .offset:         60
        .size:           2
        .value_kind:     hidden_group_size_x
      - .offset:         62
        .size:           2
        .value_kind:     hidden_group_size_y
      - .offset:         64
        .size:           2
        .value_kind:     hidden_group_size_z
      - .offset:         66
        .size:           2
        .value_kind:     hidden_remainder_x
      - .offset:         68
        .size:           2
        .value_kind:     hidden_remainder_y
      - .offset:         70
        .size:           2
        .value_kind:     hidden_remainder_z
      - .offset:         88
        .size:           8
        .value_kind:     hidden_global_offset_x
      - .offset:         96
        .size:           8
        .value_kind:     hidden_global_offset_y
      - .offset:         104
        .size:           8
        .value_kind:     hidden_global_offset_z
      - .offset:         112
        .size:           2
        .value_kind:     hidden_grid_dims
    .group_segment_fixed_size: 0
    .kernarg_segment_align: 8
    .kernarg_segment_size: 304
    .language:       OpenCL C
    .language_version:
      - 2
      - 0
    .max_flat_workgroup_size: 1024
    .name:           _ZN12_GLOBAL__N_120softmax_warp_forwardIN3c104HalfES2_fLi3ELb0ELb0ELi64EEEvPT0_PKT_iiiPKbib
    .private_segment_fixed_size: 0
    .sgpr_count:     18
    .sgpr_spill_count: 0
    .symbol:         _ZN12_GLOBAL__N_120softmax_warp_forwardIN3c104HalfES2_fLi3ELb0ELb0ELi64EEEvPT0_PKT_iiiPKbib.kd
    .uniform_work_group_size: 1
    .uses_dynamic_stack: false
    .vgpr_count:     14
    .vgpr_spill_count: 0
    .wavefront_size: 32
    .workgroup_processor_mode: 1
  - .args:
      - .address_space:  global
        .offset:         0
        .size:           8
        .value_kind:     global_buffer
      - .address_space:  global
        .offset:         8
        .size:           8
        .value_kind:     global_buffer
      - .offset:         16
        .size:           4
        .value_kind:     by_value
      - .offset:         20
        .size:           4
        .value_kind:     by_value
      - .offset:         24
        .size:           4
        .value_kind:     by_value
      - .address_space:  global
        .offset:         32
        .size:           8
        .value_kind:     global_buffer
      - .offset:         40
        .size:           4
        .value_kind:     by_value
      - .offset:         44
        .size:           1
        .value_kind:     by_value
      - .offset:         48
        .size:           4
        .value_kind:     hidden_block_count_x
      - .offset:         52
        .size:           4
        .value_kind:     hidden_block_count_y
      - .offset:         56
        .size:           4
        .value_kind:     hidden_block_count_z
      - .offset:         60
        .size:           2
        .value_kind:     hidden_group_size_x
      - .offset:         62
        .size:           2
        .value_kind:     hidden_group_size_y
      - .offset:         64
        .size:           2
        .value_kind:     hidden_group_size_z
      - .offset:         66
        .size:           2
        .value_kind:     hidden_remainder_x
      - .offset:         68
        .size:           2
        .value_kind:     hidden_remainder_y
      - .offset:         70
        .size:           2
        .value_kind:     hidden_remainder_z
      - .offset:         88
        .size:           8
        .value_kind:     hidden_global_offset_x
      - .offset:         96
        .size:           8
        .value_kind:     hidden_global_offset_y
      - .offset:         104
        .size:           8
        .value_kind:     hidden_global_offset_z
      - .offset:         112
        .size:           2
        .value_kind:     hidden_grid_dims
    .group_segment_fixed_size: 0
    .kernarg_segment_align: 8
    .kernarg_segment_size: 304
    .language:       OpenCL C
    .language_version:
      - 2
      - 0
    .max_flat_workgroup_size: 1024
    .name:           _ZN12_GLOBAL__N_120softmax_warp_forwardIN3c104HalfES2_fLi3ELb0ELb0ELi32EEEvPT0_PKT_iiiPKbib
    .private_segment_fixed_size: 0
    .sgpr_count:     18
    .sgpr_spill_count: 0
    .symbol:         _ZN12_GLOBAL__N_120softmax_warp_forwardIN3c104HalfES2_fLi3ELb0ELb0ELi32EEEvPT0_PKT_iiiPKbib.kd
    .uniform_work_group_size: 1
    .uses_dynamic_stack: false
    .vgpr_count:     14
    .vgpr_spill_count: 0
    .wavefront_size: 32
    .workgroup_processor_mode: 1
  - .args:
      - .address_space:  global
        .offset:         0
        .size:           8
        .value_kind:     global_buffer
      - .address_space:  global
        .offset:         8
        .size:           8
        .value_kind:     global_buffer
      - .offset:         16
        .size:           4
        .value_kind:     by_value
      - .offset:         20
        .size:           4
        .value_kind:     by_value
      - .offset:         24
        .size:           4
        .value_kind:     by_value
      - .address_space:  global
        .offset:         32
        .size:           8
        .value_kind:     global_buffer
      - .offset:         40
        .size:           4
        .value_kind:     by_value
      - .offset:         44
        .size:           1
        .value_kind:     by_value
      - .offset:         48
        .size:           4
        .value_kind:     hidden_block_count_x
      - .offset:         52
        .size:           4
        .value_kind:     hidden_block_count_y
      - .offset:         56
        .size:           4
        .value_kind:     hidden_block_count_z
      - .offset:         60
        .size:           2
        .value_kind:     hidden_group_size_x
      - .offset:         62
        .size:           2
        .value_kind:     hidden_group_size_y
      - .offset:         64
        .size:           2
        .value_kind:     hidden_group_size_z
      - .offset:         66
        .size:           2
        .value_kind:     hidden_remainder_x
      - .offset:         68
        .size:           2
        .value_kind:     hidden_remainder_y
      - .offset:         70
        .size:           2
        .value_kind:     hidden_remainder_z
      - .offset:         88
        .size:           8
        .value_kind:     hidden_global_offset_x
      - .offset:         96
        .size:           8
        .value_kind:     hidden_global_offset_y
      - .offset:         104
        .size:           8
        .value_kind:     hidden_global_offset_z
      - .offset:         112
        .size:           2
        .value_kind:     hidden_grid_dims
    .group_segment_fixed_size: 0
    .kernarg_segment_align: 8
    .kernarg_segment_size: 304
    .language:       OpenCL C
    .language_version:
      - 2
      - 0
    .max_flat_workgroup_size: 1024
    .name:           _ZN12_GLOBAL__N_120softmax_warp_forwardIN3c104HalfES2_fLi4ELb0ELb0ELi64EEEvPT0_PKT_iiiPKbib
    .private_segment_fixed_size: 0
    .sgpr_count:     18
    .sgpr_spill_count: 0
    .symbol:         _ZN12_GLOBAL__N_120softmax_warp_forwardIN3c104HalfES2_fLi4ELb0ELb0ELi64EEEvPT0_PKT_iiiPKbib.kd
    .uniform_work_group_size: 1
    .uses_dynamic_stack: false
    .vgpr_count:     15
    .vgpr_spill_count: 0
    .wavefront_size: 32
    .workgroup_processor_mode: 1
  - .args:
      - .address_space:  global
        .offset:         0
        .size:           8
        .value_kind:     global_buffer
      - .address_space:  global
        .offset:         8
        .size:           8
        .value_kind:     global_buffer
      - .offset:         16
        .size:           4
        .value_kind:     by_value
      - .offset:         20
        .size:           4
        .value_kind:     by_value
      - .offset:         24
        .size:           4
        .value_kind:     by_value
      - .address_space:  global
        .offset:         32
        .size:           8
        .value_kind:     global_buffer
      - .offset:         40
        .size:           4
        .value_kind:     by_value
      - .offset:         44
        .size:           1
        .value_kind:     by_value
      - .offset:         48
        .size:           4
        .value_kind:     hidden_block_count_x
      - .offset:         52
        .size:           4
        .value_kind:     hidden_block_count_y
      - .offset:         56
        .size:           4
        .value_kind:     hidden_block_count_z
      - .offset:         60
        .size:           2
        .value_kind:     hidden_group_size_x
      - .offset:         62
        .size:           2
        .value_kind:     hidden_group_size_y
      - .offset:         64
        .size:           2
        .value_kind:     hidden_group_size_z
      - .offset:         66
        .size:           2
        .value_kind:     hidden_remainder_x
      - .offset:         68
        .size:           2
        .value_kind:     hidden_remainder_y
      - .offset:         70
        .size:           2
        .value_kind:     hidden_remainder_z
      - .offset:         88
        .size:           8
        .value_kind:     hidden_global_offset_x
      - .offset:         96
        .size:           8
        .value_kind:     hidden_global_offset_y
      - .offset:         104
        .size:           8
        .value_kind:     hidden_global_offset_z
      - .offset:         112
        .size:           2
        .value_kind:     hidden_grid_dims
    .group_segment_fixed_size: 0
    .kernarg_segment_align: 8
    .kernarg_segment_size: 304
    .language:       OpenCL C
    .language_version:
      - 2
      - 0
    .max_flat_workgroup_size: 1024
    .name:           _ZN12_GLOBAL__N_120softmax_warp_forwardIN3c104HalfES2_fLi4ELb0ELb0ELi32EEEvPT0_PKT_iiiPKbib
    .private_segment_fixed_size: 0
    .sgpr_count:     18
    .sgpr_spill_count: 0
    .symbol:         _ZN12_GLOBAL__N_120softmax_warp_forwardIN3c104HalfES2_fLi4ELb0ELb0ELi32EEEvPT0_PKT_iiiPKbib.kd
    .uniform_work_group_size: 1
    .uses_dynamic_stack: false
    .vgpr_count:     15
    .vgpr_spill_count: 0
    .wavefront_size: 32
    .workgroup_processor_mode: 1
  - .args:
      - .address_space:  global
        .offset:         0
        .size:           8
        .value_kind:     global_buffer
      - .address_space:  global
        .offset:         8
        .size:           8
        .value_kind:     global_buffer
      - .offset:         16
        .size:           4
        .value_kind:     by_value
      - .offset:         20
        .size:           4
        .value_kind:     by_value
      - .offset:         24
        .size:           4
        .value_kind:     by_value
      - .address_space:  global
        .offset:         32
        .size:           8
        .value_kind:     global_buffer
      - .offset:         40
        .size:           4
        .value_kind:     by_value
      - .offset:         44
        .size:           1
        .value_kind:     by_value
      - .offset:         48
        .size:           4
        .value_kind:     hidden_block_count_x
      - .offset:         52
        .size:           4
        .value_kind:     hidden_block_count_y
      - .offset:         56
        .size:           4
        .value_kind:     hidden_block_count_z
      - .offset:         60
        .size:           2
        .value_kind:     hidden_group_size_x
      - .offset:         62
        .size:           2
        .value_kind:     hidden_group_size_y
      - .offset:         64
        .size:           2
        .value_kind:     hidden_group_size_z
      - .offset:         66
        .size:           2
        .value_kind:     hidden_remainder_x
      - .offset:         68
        .size:           2
        .value_kind:     hidden_remainder_y
      - .offset:         70
        .size:           2
        .value_kind:     hidden_remainder_z
      - .offset:         88
        .size:           8
        .value_kind:     hidden_global_offset_x
      - .offset:         96
        .size:           8
        .value_kind:     hidden_global_offset_y
      - .offset:         104
        .size:           8
        .value_kind:     hidden_global_offset_z
      - .offset:         112
        .size:           2
        .value_kind:     hidden_grid_dims
    .group_segment_fixed_size: 0
    .kernarg_segment_align: 8
    .kernarg_segment_size: 304
    .language:       OpenCL C
    .language_version:
      - 2
      - 0
    .max_flat_workgroup_size: 1024
    .name:           _ZN12_GLOBAL__N_120softmax_warp_forwardIN3c104HalfES2_fLi5ELb0ELb0ELi64EEEvPT0_PKT_iiiPKbib
    .private_segment_fixed_size: 0
    .sgpr_count:     18
    .sgpr_spill_count: 0
    .symbol:         _ZN12_GLOBAL__N_120softmax_warp_forwardIN3c104HalfES2_fLi5ELb0ELb0ELi64EEEvPT0_PKT_iiiPKbib.kd
    .uniform_work_group_size: 1
    .uses_dynamic_stack: false
    .vgpr_count:     16
    .vgpr_spill_count: 0
    .wavefront_size: 32
    .workgroup_processor_mode: 1
  - .args:
      - .address_space:  global
        .offset:         0
        .size:           8
        .value_kind:     global_buffer
      - .address_space:  global
        .offset:         8
        .size:           8
        .value_kind:     global_buffer
      - .offset:         16
        .size:           4
        .value_kind:     by_value
      - .offset:         20
        .size:           4
        .value_kind:     by_value
      - .offset:         24
        .size:           4
        .value_kind:     by_value
      - .address_space:  global
        .offset:         32
        .size:           8
        .value_kind:     global_buffer
      - .offset:         40
        .size:           4
        .value_kind:     by_value
      - .offset:         44
        .size:           1
        .value_kind:     by_value
      - .offset:         48
        .size:           4
        .value_kind:     hidden_block_count_x
      - .offset:         52
        .size:           4
        .value_kind:     hidden_block_count_y
      - .offset:         56
        .size:           4
        .value_kind:     hidden_block_count_z
      - .offset:         60
        .size:           2
        .value_kind:     hidden_group_size_x
      - .offset:         62
        .size:           2
        .value_kind:     hidden_group_size_y
      - .offset:         64
        .size:           2
        .value_kind:     hidden_group_size_z
      - .offset:         66
        .size:           2
        .value_kind:     hidden_remainder_x
      - .offset:         68
        .size:           2
        .value_kind:     hidden_remainder_y
      - .offset:         70
        .size:           2
        .value_kind:     hidden_remainder_z
      - .offset:         88
        .size:           8
        .value_kind:     hidden_global_offset_x
      - .offset:         96
        .size:           8
        .value_kind:     hidden_global_offset_y
      - .offset:         104
        .size:           8
        .value_kind:     hidden_global_offset_z
      - .offset:         112
        .size:           2
        .value_kind:     hidden_grid_dims
    .group_segment_fixed_size: 0
    .kernarg_segment_align: 8
    .kernarg_segment_size: 304
    .language:       OpenCL C
    .language_version:
      - 2
      - 0
    .max_flat_workgroup_size: 1024
    .name:           _ZN12_GLOBAL__N_120softmax_warp_forwardIN3c104HalfES2_fLi5ELb0ELb0ELi32EEEvPT0_PKT_iiiPKbib
    .private_segment_fixed_size: 0
    .sgpr_count:     18
    .sgpr_spill_count: 0
    .symbol:         _ZN12_GLOBAL__N_120softmax_warp_forwardIN3c104HalfES2_fLi5ELb0ELb0ELi32EEEvPT0_PKT_iiiPKbib.kd
    .uniform_work_group_size: 1
    .uses_dynamic_stack: false
    .vgpr_count:     16
    .vgpr_spill_count: 0
    .wavefront_size: 32
    .workgroup_processor_mode: 1
  - .args:
      - .address_space:  global
        .offset:         0
        .size:           8
        .value_kind:     global_buffer
      - .address_space:  global
        .offset:         8
        .size:           8
        .value_kind:     global_buffer
      - .offset:         16
        .size:           4
        .value_kind:     by_value
      - .offset:         20
        .size:           4
        .value_kind:     by_value
      - .offset:         24
        .size:           4
        .value_kind:     by_value
      - .address_space:  global
        .offset:         32
        .size:           8
        .value_kind:     global_buffer
      - .offset:         40
        .size:           4
        .value_kind:     by_value
      - .offset:         44
        .size:           1
        .value_kind:     by_value
      - .offset:         48
        .size:           4
        .value_kind:     hidden_block_count_x
      - .offset:         52
        .size:           4
        .value_kind:     hidden_block_count_y
      - .offset:         56
        .size:           4
        .value_kind:     hidden_block_count_z
      - .offset:         60
        .size:           2
        .value_kind:     hidden_group_size_x
      - .offset:         62
        .size:           2
        .value_kind:     hidden_group_size_y
      - .offset:         64
        .size:           2
        .value_kind:     hidden_group_size_z
      - .offset:         66
        .size:           2
        .value_kind:     hidden_remainder_x
      - .offset:         68
        .size:           2
        .value_kind:     hidden_remainder_y
      - .offset:         70
        .size:           2
        .value_kind:     hidden_remainder_z
      - .offset:         88
        .size:           8
        .value_kind:     hidden_global_offset_x
      - .offset:         96
        .size:           8
        .value_kind:     hidden_global_offset_y
      - .offset:         104
        .size:           8
        .value_kind:     hidden_global_offset_z
      - .offset:         112
        .size:           2
        .value_kind:     hidden_grid_dims
    .group_segment_fixed_size: 0
    .kernarg_segment_align: 8
    .kernarg_segment_size: 304
    .language:       OpenCL C
    .language_version:
      - 2
      - 0
    .max_flat_workgroup_size: 1024
    .name:           _ZN12_GLOBAL__N_120softmax_warp_forwardIN3c104HalfES2_fLi6ELb0ELb0ELi64EEEvPT0_PKT_iiiPKbib
    .private_segment_fixed_size: 0
    .sgpr_count:     18
    .sgpr_spill_count: 0
    .symbol:         _ZN12_GLOBAL__N_120softmax_warp_forwardIN3c104HalfES2_fLi6ELb0ELb0ELi64EEEvPT0_PKT_iiiPKbib.kd
    .uniform_work_group_size: 1
    .uses_dynamic_stack: false
    .vgpr_count:     17
    .vgpr_spill_count: 0
    .wavefront_size: 32
    .workgroup_processor_mode: 1
  - .args:
      - .address_space:  global
        .offset:         0
        .size:           8
        .value_kind:     global_buffer
      - .address_space:  global
        .offset:         8
        .size:           8
        .value_kind:     global_buffer
      - .offset:         16
        .size:           4
        .value_kind:     by_value
      - .offset:         20
        .size:           4
        .value_kind:     by_value
      - .offset:         24
        .size:           4
        .value_kind:     by_value
      - .address_space:  global
        .offset:         32
        .size:           8
        .value_kind:     global_buffer
      - .offset:         40
        .size:           4
        .value_kind:     by_value
      - .offset:         44
        .size:           1
        .value_kind:     by_value
      - .offset:         48
        .size:           4
        .value_kind:     hidden_block_count_x
      - .offset:         52
        .size:           4
        .value_kind:     hidden_block_count_y
      - .offset:         56
        .size:           4
        .value_kind:     hidden_block_count_z
      - .offset:         60
        .size:           2
        .value_kind:     hidden_group_size_x
      - .offset:         62
        .size:           2
        .value_kind:     hidden_group_size_y
      - .offset:         64
        .size:           2
        .value_kind:     hidden_group_size_z
      - .offset:         66
        .size:           2
        .value_kind:     hidden_remainder_x
      - .offset:         68
        .size:           2
        .value_kind:     hidden_remainder_y
      - .offset:         70
        .size:           2
        .value_kind:     hidden_remainder_z
      - .offset:         88
        .size:           8
        .value_kind:     hidden_global_offset_x
      - .offset:         96
        .size:           8
        .value_kind:     hidden_global_offset_y
      - .offset:         104
        .size:           8
        .value_kind:     hidden_global_offset_z
      - .offset:         112
        .size:           2
        .value_kind:     hidden_grid_dims
    .group_segment_fixed_size: 0
    .kernarg_segment_align: 8
    .kernarg_segment_size: 304
    .language:       OpenCL C
    .language_version:
      - 2
      - 0
    .max_flat_workgroup_size: 1024
    .name:           _ZN12_GLOBAL__N_120softmax_warp_forwardIN3c104HalfES2_fLi6ELb0ELb0ELi32EEEvPT0_PKT_iiiPKbib
    .private_segment_fixed_size: 0
    .sgpr_count:     18
    .sgpr_spill_count: 0
    .symbol:         _ZN12_GLOBAL__N_120softmax_warp_forwardIN3c104HalfES2_fLi6ELb0ELb0ELi32EEEvPT0_PKT_iiiPKbib.kd
    .uniform_work_group_size: 1
    .uses_dynamic_stack: false
    .vgpr_count:     24
    .vgpr_spill_count: 0
    .wavefront_size: 32
    .workgroup_processor_mode: 1
  - .args:
      - .address_space:  global
        .offset:         0
        .size:           8
        .value_kind:     global_buffer
      - .address_space:  global
        .offset:         8
        .size:           8
        .value_kind:     global_buffer
      - .offset:         16
        .size:           4
        .value_kind:     by_value
      - .offset:         20
        .size:           4
        .value_kind:     by_value
      - .offset:         24
        .size:           4
        .value_kind:     by_value
      - .address_space:  global
        .offset:         32
        .size:           8
        .value_kind:     global_buffer
      - .offset:         40
        .size:           4
        .value_kind:     by_value
      - .offset:         44
        .size:           1
        .value_kind:     by_value
      - .offset:         48
        .size:           4
        .value_kind:     hidden_block_count_x
      - .offset:         52
        .size:           4
        .value_kind:     hidden_block_count_y
      - .offset:         56
        .size:           4
        .value_kind:     hidden_block_count_z
      - .offset:         60
        .size:           2
        .value_kind:     hidden_group_size_x
      - .offset:         62
        .size:           2
        .value_kind:     hidden_group_size_y
      - .offset:         64
        .size:           2
        .value_kind:     hidden_group_size_z
      - .offset:         66
        .size:           2
        .value_kind:     hidden_remainder_x
      - .offset:         68
        .size:           2
        .value_kind:     hidden_remainder_y
      - .offset:         70
        .size:           2
        .value_kind:     hidden_remainder_z
      - .offset:         88
        .size:           8
        .value_kind:     hidden_global_offset_x
      - .offset:         96
        .size:           8
        .value_kind:     hidden_global_offset_y
      - .offset:         104
        .size:           8
        .value_kind:     hidden_global_offset_z
      - .offset:         112
        .size:           2
        .value_kind:     hidden_grid_dims
    .group_segment_fixed_size: 0
    .kernarg_segment_align: 8
    .kernarg_segment_size: 304
    .language:       OpenCL C
    .language_version:
      - 2
      - 0
    .max_flat_workgroup_size: 1024
    .name:           _ZN12_GLOBAL__N_120softmax_warp_forwardIN3c104HalfES2_fLi7ELb0ELb0ELi64EEEvPT0_PKT_iiiPKbib
    .private_segment_fixed_size: 0
    .sgpr_count:     18
    .sgpr_spill_count: 0
    .symbol:         _ZN12_GLOBAL__N_120softmax_warp_forwardIN3c104HalfES2_fLi7ELb0ELb0ELi64EEEvPT0_PKT_iiiPKbib.kd
    .uniform_work_group_size: 1
    .uses_dynamic_stack: false
    .vgpr_count:     25
    .vgpr_spill_count: 0
    .wavefront_size: 32
    .workgroup_processor_mode: 1
  - .args:
      - .address_space:  global
        .offset:         0
        .size:           8
        .value_kind:     global_buffer
      - .address_space:  global
        .offset:         8
        .size:           8
        .value_kind:     global_buffer
      - .offset:         16
        .size:           4
        .value_kind:     by_value
      - .offset:         20
        .size:           4
        .value_kind:     by_value
      - .offset:         24
        .size:           4
        .value_kind:     by_value
      - .address_space:  global
        .offset:         32
        .size:           8
        .value_kind:     global_buffer
      - .offset:         40
        .size:           4
        .value_kind:     by_value
      - .offset:         44
        .size:           1
        .value_kind:     by_value
      - .offset:         48
        .size:           4
        .value_kind:     hidden_block_count_x
      - .offset:         52
        .size:           4
        .value_kind:     hidden_block_count_y
      - .offset:         56
        .size:           4
        .value_kind:     hidden_block_count_z
      - .offset:         60
        .size:           2
        .value_kind:     hidden_group_size_x
      - .offset:         62
        .size:           2
        .value_kind:     hidden_group_size_y
      - .offset:         64
        .size:           2
        .value_kind:     hidden_group_size_z
      - .offset:         66
        .size:           2
        .value_kind:     hidden_remainder_x
      - .offset:         68
        .size:           2
        .value_kind:     hidden_remainder_y
      - .offset:         70
        .size:           2
        .value_kind:     hidden_remainder_z
      - .offset:         88
        .size:           8
        .value_kind:     hidden_global_offset_x
      - .offset:         96
        .size:           8
        .value_kind:     hidden_global_offset_y
      - .offset:         104
        .size:           8
        .value_kind:     hidden_global_offset_z
      - .offset:         112
        .size:           2
        .value_kind:     hidden_grid_dims
    .group_segment_fixed_size: 0
    .kernarg_segment_align: 8
    .kernarg_segment_size: 304
    .language:       OpenCL C
    .language_version:
      - 2
      - 0
    .max_flat_workgroup_size: 1024
    .name:           _ZN12_GLOBAL__N_120softmax_warp_forwardIN3c104HalfES2_fLi7ELb0ELb0ELi32EEEvPT0_PKT_iiiPKbib
    .private_segment_fixed_size: 0
    .sgpr_count:     26
    .sgpr_spill_count: 0
    .symbol:         _ZN12_GLOBAL__N_120softmax_warp_forwardIN3c104HalfES2_fLi7ELb0ELb0ELi32EEEvPT0_PKT_iiiPKbib.kd
    .uniform_work_group_size: 1
    .uses_dynamic_stack: false
    .vgpr_count:     40
    .vgpr_spill_count: 0
    .wavefront_size: 32
    .workgroup_processor_mode: 1
  - .args:
      - .address_space:  global
        .offset:         0
        .size:           8
        .value_kind:     global_buffer
      - .address_space:  global
        .offset:         8
        .size:           8
        .value_kind:     global_buffer
      - .offset:         16
        .size:           4
        .value_kind:     by_value
      - .offset:         20
        .size:           4
        .value_kind:     by_value
      - .offset:         24
        .size:           4
        .value_kind:     by_value
      - .address_space:  global
        .offset:         32
        .size:           8
        .value_kind:     global_buffer
      - .offset:         40
        .size:           4
        .value_kind:     by_value
      - .offset:         44
        .size:           1
        .value_kind:     by_value
      - .offset:         48
        .size:           4
        .value_kind:     hidden_block_count_x
      - .offset:         52
        .size:           4
        .value_kind:     hidden_block_count_y
      - .offset:         56
        .size:           4
        .value_kind:     hidden_block_count_z
      - .offset:         60
        .size:           2
        .value_kind:     hidden_group_size_x
      - .offset:         62
        .size:           2
        .value_kind:     hidden_group_size_y
      - .offset:         64
        .size:           2
        .value_kind:     hidden_group_size_z
      - .offset:         66
        .size:           2
        .value_kind:     hidden_remainder_x
      - .offset:         68
        .size:           2
        .value_kind:     hidden_remainder_y
      - .offset:         70
        .size:           2
        .value_kind:     hidden_remainder_z
      - .offset:         88
        .size:           8
        .value_kind:     hidden_global_offset_x
      - .offset:         96
        .size:           8
        .value_kind:     hidden_global_offset_y
      - .offset:         104
        .size:           8
        .value_kind:     hidden_global_offset_z
      - .offset:         112
        .size:           2
        .value_kind:     hidden_grid_dims
    .group_segment_fixed_size: 0
    .kernarg_segment_align: 8
    .kernarg_segment_size: 304
    .language:       OpenCL C
    .language_version:
      - 2
      - 0
    .max_flat_workgroup_size: 1024
    .name:           _ZN12_GLOBAL__N_120softmax_warp_forwardIN3c104HalfES2_fLi8ELb0ELb0ELi64EEEvPT0_PKT_iiiPKbib
    .private_segment_fixed_size: 0
    .sgpr_count:     18
    .sgpr_spill_count: 0
    .symbol:         _ZN12_GLOBAL__N_120softmax_warp_forwardIN3c104HalfES2_fLi8ELb0ELb0ELi64EEEvPT0_PKT_iiiPKbib.kd
    .uniform_work_group_size: 1
    .uses_dynamic_stack: false
    .vgpr_count:     24
    .vgpr_spill_count: 0
    .wavefront_size: 32
    .workgroup_processor_mode: 1
  - .args:
      - .address_space:  global
        .offset:         0
        .size:           8
        .value_kind:     global_buffer
      - .address_space:  global
        .offset:         8
        .size:           8
        .value_kind:     global_buffer
      - .offset:         16
        .size:           4
        .value_kind:     by_value
      - .offset:         20
        .size:           4
        .value_kind:     by_value
      - .offset:         24
        .size:           4
        .value_kind:     by_value
      - .address_space:  global
        .offset:         32
        .size:           8
        .value_kind:     global_buffer
      - .offset:         40
        .size:           4
        .value_kind:     by_value
      - .offset:         44
        .size:           1
        .value_kind:     by_value
      - .offset:         48
        .size:           4
        .value_kind:     hidden_block_count_x
      - .offset:         52
        .size:           4
        .value_kind:     hidden_block_count_y
      - .offset:         56
        .size:           4
        .value_kind:     hidden_block_count_z
      - .offset:         60
        .size:           2
        .value_kind:     hidden_group_size_x
      - .offset:         62
        .size:           2
        .value_kind:     hidden_group_size_y
      - .offset:         64
        .size:           2
        .value_kind:     hidden_group_size_z
      - .offset:         66
        .size:           2
        .value_kind:     hidden_remainder_x
      - .offset:         68
        .size:           2
        .value_kind:     hidden_remainder_y
      - .offset:         70
        .size:           2
        .value_kind:     hidden_remainder_z
      - .offset:         88
        .size:           8
        .value_kind:     hidden_global_offset_x
      - .offset:         96
        .size:           8
        .value_kind:     hidden_global_offset_y
      - .offset:         104
        .size:           8
        .value_kind:     hidden_global_offset_z
      - .offset:         112
        .size:           2
        .value_kind:     hidden_grid_dims
    .group_segment_fixed_size: 0
    .kernarg_segment_align: 8
    .kernarg_segment_size: 304
    .language:       OpenCL C
    .language_version:
      - 2
      - 0
    .max_flat_workgroup_size: 1024
    .name:           _ZN12_GLOBAL__N_120softmax_warp_forwardIN3c104HalfES2_fLi8ELb0ELb0ELi32EEEvPT0_PKT_iiiPKbib
    .private_segment_fixed_size: 0
    .sgpr_count:     26
    .sgpr_spill_count: 0
    .symbol:         _ZN12_GLOBAL__N_120softmax_warp_forwardIN3c104HalfES2_fLi8ELb0ELb0ELi32EEEvPT0_PKT_iiiPKbib.kd
    .uniform_work_group_size: 1
    .uses_dynamic_stack: false
    .vgpr_count:     40
    .vgpr_spill_count: 0
    .wavefront_size: 32
    .workgroup_processor_mode: 1
  - .args:
      - .address_space:  global
        .offset:         0
        .size:           8
        .value_kind:     global_buffer
      - .address_space:  global
        .offset:         8
        .size:           8
        .value_kind:     global_buffer
      - .offset:         16
        .size:           4
        .value_kind:     by_value
      - .offset:         20
        .size:           4
        .value_kind:     by_value
      - .offset:         24
        .size:           4
        .value_kind:     by_value
      - .address_space:  global
        .offset:         32
        .size:           8
        .value_kind:     global_buffer
      - .offset:         40
        .size:           4
        .value_kind:     by_value
      - .offset:         44
        .size:           1
        .value_kind:     by_value
      - .offset:         48
        .size:           4
        .value_kind:     hidden_block_count_x
      - .offset:         52
        .size:           4
        .value_kind:     hidden_block_count_y
      - .offset:         56
        .size:           4
        .value_kind:     hidden_block_count_z
      - .offset:         60
        .size:           2
        .value_kind:     hidden_group_size_x
      - .offset:         62
        .size:           2
        .value_kind:     hidden_group_size_y
      - .offset:         64
        .size:           2
        .value_kind:     hidden_group_size_z
      - .offset:         66
        .size:           2
        .value_kind:     hidden_remainder_x
      - .offset:         68
        .size:           2
        .value_kind:     hidden_remainder_y
      - .offset:         70
        .size:           2
        .value_kind:     hidden_remainder_z
      - .offset:         88
        .size:           8
        .value_kind:     hidden_global_offset_x
      - .offset:         96
        .size:           8
        .value_kind:     hidden_global_offset_y
      - .offset:         104
        .size:           8
        .value_kind:     hidden_global_offset_z
      - .offset:         112
        .size:           2
        .value_kind:     hidden_grid_dims
    .group_segment_fixed_size: 0
    .kernarg_segment_align: 8
    .kernarg_segment_size: 304
    .language:       OpenCL C
    .language_version:
      - 2
      - 0
    .max_flat_workgroup_size: 1024
    .name:           _ZN12_GLOBAL__N_120softmax_warp_forwardIN3c104HalfES2_fLi9ELb0ELb0ELi64EEEvPT0_PKT_iiiPKbib
    .private_segment_fixed_size: 0
    .sgpr_count:     26
    .sgpr_spill_count: 0
    .symbol:         _ZN12_GLOBAL__N_120softmax_warp_forwardIN3c104HalfES2_fLi9ELb0ELb0ELi64EEEvPT0_PKT_iiiPKbib.kd
    .uniform_work_group_size: 1
    .uses_dynamic_stack: false
    .vgpr_count:     41
    .vgpr_spill_count: 0
    .wavefront_size: 32
    .workgroup_processor_mode: 1
  - .args:
      - .address_space:  global
        .offset:         0
        .size:           8
        .value_kind:     global_buffer
      - .address_space:  global
        .offset:         8
        .size:           8
        .value_kind:     global_buffer
      - .offset:         16
        .size:           4
        .value_kind:     by_value
      - .offset:         20
        .size:           4
        .value_kind:     by_value
      - .offset:         24
        .size:           4
        .value_kind:     by_value
      - .address_space:  global
        .offset:         32
        .size:           8
        .value_kind:     global_buffer
      - .offset:         40
        .size:           4
        .value_kind:     by_value
      - .offset:         44
        .size:           1
        .value_kind:     by_value
      - .offset:         48
        .size:           4
        .value_kind:     hidden_block_count_x
      - .offset:         52
        .size:           4
        .value_kind:     hidden_block_count_y
      - .offset:         56
        .size:           4
        .value_kind:     hidden_block_count_z
      - .offset:         60
        .size:           2
        .value_kind:     hidden_group_size_x
      - .offset:         62
        .size:           2
        .value_kind:     hidden_group_size_y
      - .offset:         64
        .size:           2
        .value_kind:     hidden_group_size_z
      - .offset:         66
        .size:           2
        .value_kind:     hidden_remainder_x
      - .offset:         68
        .size:           2
        .value_kind:     hidden_remainder_y
      - .offset:         70
        .size:           2
        .value_kind:     hidden_remainder_z
      - .offset:         88
        .size:           8
        .value_kind:     hidden_global_offset_x
      - .offset:         96
        .size:           8
        .value_kind:     hidden_global_offset_y
      - .offset:         104
        .size:           8
        .value_kind:     hidden_global_offset_z
      - .offset:         112
        .size:           2
        .value_kind:     hidden_grid_dims
    .group_segment_fixed_size: 0
    .kernarg_segment_align: 8
    .kernarg_segment_size: 304
    .language:       OpenCL C
    .language_version:
      - 2
      - 0
    .max_flat_workgroup_size: 1024
    .name:           _ZN12_GLOBAL__N_120softmax_warp_forwardIN3c104HalfES2_fLi9ELb0ELb0ELi32EEEvPT0_PKT_iiiPKbib
    .private_segment_fixed_size: 0
    .sgpr_count:     26
    .sgpr_spill_count: 0
    .symbol:         _ZN12_GLOBAL__N_120softmax_warp_forwardIN3c104HalfES2_fLi9ELb0ELb0ELi32EEEvPT0_PKT_iiiPKbib.kd
    .uniform_work_group_size: 1
    .uses_dynamic_stack: false
    .vgpr_count:     72
    .vgpr_spill_count: 0
    .wavefront_size: 32
    .workgroup_processor_mode: 1
  - .args:
      - .address_space:  global
        .offset:         0
        .size:           8
        .value_kind:     global_buffer
      - .address_space:  global
        .offset:         8
        .size:           8
        .value_kind:     global_buffer
      - .offset:         16
        .size:           4
        .value_kind:     by_value
      - .offset:         20
        .size:           4
        .value_kind:     by_value
      - .offset:         24
        .size:           4
        .value_kind:     by_value
      - .address_space:  global
        .offset:         32
        .size:           8
        .value_kind:     global_buffer
      - .offset:         40
        .size:           4
        .value_kind:     by_value
      - .offset:         44
        .size:           1
        .value_kind:     by_value
      - .offset:         48
        .size:           4
        .value_kind:     hidden_block_count_x
      - .offset:         52
        .size:           4
        .value_kind:     hidden_block_count_y
      - .offset:         56
        .size:           4
        .value_kind:     hidden_block_count_z
      - .offset:         60
        .size:           2
        .value_kind:     hidden_group_size_x
      - .offset:         62
        .size:           2
        .value_kind:     hidden_group_size_y
      - .offset:         64
        .size:           2
        .value_kind:     hidden_group_size_z
      - .offset:         66
        .size:           2
        .value_kind:     hidden_remainder_x
      - .offset:         68
        .size:           2
        .value_kind:     hidden_remainder_y
      - .offset:         70
        .size:           2
        .value_kind:     hidden_remainder_z
      - .offset:         88
        .size:           8
        .value_kind:     hidden_global_offset_x
      - .offset:         96
        .size:           8
        .value_kind:     hidden_global_offset_y
      - .offset:         104
        .size:           8
        .value_kind:     hidden_global_offset_z
      - .offset:         112
        .size:           2
        .value_kind:     hidden_grid_dims
    .group_segment_fixed_size: 0
    .kernarg_segment_align: 8
    .kernarg_segment_size: 304
    .language:       OpenCL C
    .language_version:
      - 2
      - 0
    .max_flat_workgroup_size: 1024
    .name:           _ZN12_GLOBAL__N_120softmax_warp_forwardIN3c104HalfES2_fLi10ELb0ELb0ELi64EEEvPT0_PKT_iiiPKbib
    .private_segment_fixed_size: 0
    .sgpr_count:     26
    .sgpr_spill_count: 0
    .symbol:         _ZN12_GLOBAL__N_120softmax_warp_forwardIN3c104HalfES2_fLi10ELb0ELb0ELi64EEEvPT0_PKT_iiiPKbib.kd
    .uniform_work_group_size: 1
    .uses_dynamic_stack: false
    .vgpr_count:     73
    .vgpr_spill_count: 0
    .wavefront_size: 32
    .workgroup_processor_mode: 1
  - .args:
      - .address_space:  global
        .offset:         0
        .size:           8
        .value_kind:     global_buffer
      - .address_space:  global
        .offset:         8
        .size:           8
        .value_kind:     global_buffer
      - .offset:         16
        .size:           4
        .value_kind:     by_value
      - .offset:         20
        .size:           4
        .value_kind:     by_value
      - .offset:         24
        .size:           4
        .value_kind:     by_value
      - .address_space:  global
        .offset:         32
        .size:           8
        .value_kind:     global_buffer
      - .offset:         40
        .size:           4
        .value_kind:     by_value
      - .offset:         44
        .size:           1
        .value_kind:     by_value
      - .offset:         48
        .size:           4
        .value_kind:     hidden_block_count_x
      - .offset:         52
        .size:           4
        .value_kind:     hidden_block_count_y
      - .offset:         56
        .size:           4
        .value_kind:     hidden_block_count_z
      - .offset:         60
        .size:           2
        .value_kind:     hidden_group_size_x
      - .offset:         62
        .size:           2
        .value_kind:     hidden_group_size_y
      - .offset:         64
        .size:           2
        .value_kind:     hidden_group_size_z
      - .offset:         66
        .size:           2
        .value_kind:     hidden_remainder_x
      - .offset:         68
        .size:           2
        .value_kind:     hidden_remainder_y
      - .offset:         70
        .size:           2
        .value_kind:     hidden_remainder_z
      - .offset:         88
        .size:           8
        .value_kind:     hidden_global_offset_x
      - .offset:         96
        .size:           8
        .value_kind:     hidden_global_offset_y
      - .offset:         104
        .size:           8
        .value_kind:     hidden_global_offset_z
      - .offset:         112
        .size:           2
        .value_kind:     hidden_grid_dims
    .group_segment_fixed_size: 0
    .kernarg_segment_align: 8
    .kernarg_segment_size: 304
    .language:       OpenCL C
    .language_version:
      - 2
      - 0
    .max_flat_workgroup_size: 1024
    .name:           _ZN12_GLOBAL__N_120softmax_warp_forwardIN3c104HalfES2_fLi10ELb0ELb0ELi32EEEvPT0_PKT_iiiPKbib
    .private_segment_fixed_size: 0
    .sgpr_count:     46
    .sgpr_spill_count: 0
    .symbol:         _ZN12_GLOBAL__N_120softmax_warp_forwardIN3c104HalfES2_fLi10ELb0ELb0ELi32EEEvPT0_PKT_iiiPKbib.kd
    .uniform_work_group_size: 1
    .uses_dynamic_stack: false
    .vgpr_count:     94
    .vgpr_spill_count: 0
    .wavefront_size: 32
    .workgroup_processor_mode: 1
  - .args:
      - .address_space:  global
        .offset:         0
        .size:           8
        .value_kind:     global_buffer
      - .address_space:  global
        .offset:         8
        .size:           8
        .value_kind:     global_buffer
      - .offset:         16
        .size:           4
        .value_kind:     by_value
      - .offset:         20
        .size:           4
        .value_kind:     by_value
      - .offset:         24
        .size:           4
        .value_kind:     by_value
      - .address_space:  global
        .offset:         32
        .size:           8
        .value_kind:     global_buffer
      - .offset:         40
        .size:           4
        .value_kind:     by_value
      - .offset:         44
        .size:           1
        .value_kind:     by_value
      - .offset:         48
        .size:           4
        .value_kind:     hidden_block_count_x
      - .offset:         52
        .size:           4
        .value_kind:     hidden_block_count_y
      - .offset:         56
        .size:           4
        .value_kind:     hidden_block_count_z
      - .offset:         60
        .size:           2
        .value_kind:     hidden_group_size_x
      - .offset:         62
        .size:           2
        .value_kind:     hidden_group_size_y
      - .offset:         64
        .size:           2
        .value_kind:     hidden_group_size_z
      - .offset:         66
        .size:           2
        .value_kind:     hidden_remainder_x
      - .offset:         68
        .size:           2
        .value_kind:     hidden_remainder_y
      - .offset:         70
        .size:           2
        .value_kind:     hidden_remainder_z
      - .offset:         88
        .size:           8
        .value_kind:     hidden_global_offset_x
      - .offset:         96
        .size:           8
        .value_kind:     hidden_global_offset_y
      - .offset:         104
        .size:           8
        .value_kind:     hidden_global_offset_z
      - .offset:         112
        .size:           2
        .value_kind:     hidden_grid_dims
    .group_segment_fixed_size: 0
    .kernarg_segment_align: 8
    .kernarg_segment_size: 304
    .language:       OpenCL C
    .language_version:
      - 2
      - 0
    .max_flat_workgroup_size: 1024
    .name:           _ZN12_GLOBAL__N_120softmax_warp_forwardIN3c104HalfES2_fLi11ELb0ELb0ELi64EEEvPT0_PKT_iiiPKbib
    .private_segment_fixed_size: 0
    .sgpr_count:     46
    .sgpr_spill_count: 0
    .symbol:         _ZN12_GLOBAL__N_120softmax_warp_forwardIN3c104HalfES2_fLi11ELb0ELb0ELi64EEEvPT0_PKT_iiiPKbib.kd
    .uniform_work_group_size: 1
    .uses_dynamic_stack: false
    .vgpr_count:     94
    .vgpr_spill_count: 0
    .wavefront_size: 32
    .workgroup_processor_mode: 1
  - .args:
      - .address_space:  global
        .offset:         0
        .size:           8
        .value_kind:     global_buffer
      - .address_space:  global
        .offset:         8
        .size:           8
        .value_kind:     global_buffer
      - .offset:         16
        .size:           4
        .value_kind:     by_value
      - .offset:         20
        .size:           4
        .value_kind:     by_value
      - .offset:         24
        .size:           4
        .value_kind:     by_value
      - .address_space:  global
        .offset:         32
        .size:           8
        .value_kind:     global_buffer
      - .offset:         40
        .size:           4
        .value_kind:     by_value
      - .offset:         44
        .size:           1
        .value_kind:     by_value
      - .offset:         48
        .size:           4
        .value_kind:     hidden_block_count_x
      - .offset:         52
        .size:           4
        .value_kind:     hidden_block_count_y
      - .offset:         56
        .size:           4
        .value_kind:     hidden_block_count_z
      - .offset:         60
        .size:           2
        .value_kind:     hidden_group_size_x
      - .offset:         62
        .size:           2
        .value_kind:     hidden_group_size_y
      - .offset:         64
        .size:           2
        .value_kind:     hidden_group_size_z
      - .offset:         66
        .size:           2
        .value_kind:     hidden_remainder_x
      - .offset:         68
        .size:           2
        .value_kind:     hidden_remainder_y
      - .offset:         70
        .size:           2
        .value_kind:     hidden_remainder_z
      - .offset:         88
        .size:           8
        .value_kind:     hidden_global_offset_x
      - .offset:         96
        .size:           8
        .value_kind:     hidden_global_offset_y
      - .offset:         104
        .size:           8
        .value_kind:     hidden_global_offset_z
      - .offset:         112
        .size:           2
        .value_kind:     hidden_grid_dims
    .group_segment_fixed_size: 0
    .kernarg_segment_align: 8
    .kernarg_segment_size: 304
    .language:       OpenCL C
    .language_version:
      - 2
      - 0
    .max_flat_workgroup_size: 1024
    .name:           _ZN12_GLOBAL__N_120softmax_warp_forwardIN3c104HalfES2_fLi11ELb0ELb0ELi32EEEvPT0_PKT_iiiPKbib
    .private_segment_fixed_size: 0
    .sgpr_count:     78
    .sgpr_spill_count: 0
    .symbol:         _ZN12_GLOBAL__N_120softmax_warp_forwardIN3c104HalfES2_fLi11ELb0ELb0ELi32EEEvPT0_PKT_iiiPKbib.kd
    .uniform_work_group_size: 1
    .uses_dynamic_stack: false
    .vgpr_count:     77
    .vgpr_spill_count: 0
    .wavefront_size: 32
    .workgroup_processor_mode: 1
  - .args:
      - .address_space:  global
        .offset:         0
        .size:           8
        .value_kind:     global_buffer
      - .address_space:  global
        .offset:         8
        .size:           8
        .value_kind:     global_buffer
      - .offset:         16
        .size:           8
        .value_kind:     by_value
      - .offset:         24
        .size:           4
        .value_kind:     hidden_block_count_x
      - .offset:         28
        .size:           4
        .value_kind:     hidden_block_count_y
      - .offset:         32
        .size:           4
        .value_kind:     hidden_block_count_z
      - .offset:         36
        .size:           2
        .value_kind:     hidden_group_size_x
      - .offset:         38
        .size:           2
        .value_kind:     hidden_group_size_y
      - .offset:         40
        .size:           2
        .value_kind:     hidden_group_size_z
      - .offset:         42
        .size:           2
        .value_kind:     hidden_remainder_x
      - .offset:         44
        .size:           2
        .value_kind:     hidden_remainder_y
      - .offset:         46
        .size:           2
        .value_kind:     hidden_remainder_z
      - .offset:         64
        .size:           8
        .value_kind:     hidden_global_offset_x
      - .offset:         72
        .size:           8
        .value_kind:     hidden_global_offset_y
      - .offset:         80
        .size:           8
        .value_kind:     hidden_global_offset_z
      - .offset:         88
        .size:           2
        .value_kind:     hidden_grid_dims
      - .offset:         144
        .size:           4
        .value_kind:     hidden_dynamic_lds_size
    .group_segment_fixed_size: 0
    .kernarg_segment_align: 8
    .kernarg_segment_size: 280
    .language:       OpenCL C
    .language_version:
      - 2
      - 0
    .max_flat_workgroup_size: 1024
    .name:           _ZN2at6native12_GLOBAL__N_123cunn_SoftMaxForwardGmemILi8EN3c104HalfEfS4_NS1_29SoftMaxForwardWithMulEpilogueElEEvPT2_PKT0_T4_
    .private_segment_fixed_size: 0
    .sgpr_count:     21
    .sgpr_spill_count: 0
    .symbol:         _ZN2at6native12_GLOBAL__N_123cunn_SoftMaxForwardGmemILi8EN3c104HalfEfS4_NS1_29SoftMaxForwardWithMulEpilogueElEEvPT2_PKT0_T4_.kd
    .uniform_work_group_size: 1
    .uses_dynamic_stack: false
    .vgpr_count:     24
    .vgpr_spill_count: 0
    .wavefront_size: 32
    .workgroup_processor_mode: 1
  - .args:
      - .address_space:  global
        .offset:         0
        .size:           8
        .value_kind:     global_buffer
      - .address_space:  global
        .offset:         8
        .size:           8
        .value_kind:     global_buffer
      - .offset:         16
        .size:           4
        .value_kind:     by_value
      - .offset:         24
        .size:           4
        .value_kind:     hidden_block_count_x
      - .offset:         28
        .size:           4
        .value_kind:     hidden_block_count_y
      - .offset:         32
        .size:           4
        .value_kind:     hidden_block_count_z
      - .offset:         36
        .size:           2
        .value_kind:     hidden_group_size_x
      - .offset:         38
        .size:           2
        .value_kind:     hidden_group_size_y
      - .offset:         40
        .size:           2
        .value_kind:     hidden_group_size_z
      - .offset:         42
        .size:           2
        .value_kind:     hidden_remainder_x
      - .offset:         44
        .size:           2
        .value_kind:     hidden_remainder_y
      - .offset:         46
        .size:           2
        .value_kind:     hidden_remainder_z
      - .offset:         64
        .size:           8
        .value_kind:     hidden_global_offset_x
      - .offset:         72
        .size:           8
        .value_kind:     hidden_global_offset_y
      - .offset:         80
        .size:           8
        .value_kind:     hidden_global_offset_z
      - .offset:         88
        .size:           2
        .value_kind:     hidden_grid_dims
      - .offset:         144
        .size:           4
        .value_kind:     hidden_dynamic_lds_size
    .group_segment_fixed_size: 0
    .kernarg_segment_align: 8
    .kernarg_segment_size: 280
    .language:       OpenCL C
    .language_version:
      - 2
      - 0
    .max_flat_workgroup_size: 1024
    .name:           _ZN2at6native12_GLOBAL__N_123cunn_SoftMaxForwardFastILi8EN3c104HalfEfS4_NS1_29SoftMaxForwardWithMulEpilogueEEEvPT2_PKT0_i
    .private_segment_fixed_size: 0
    .sgpr_count:     22
    .sgpr_spill_count: 0
    .symbol:         _ZN2at6native12_GLOBAL__N_123cunn_SoftMaxForwardFastILi8EN3c104HalfEfS4_NS1_29SoftMaxForwardWithMulEpilogueEEEvPT2_PKT0_i.kd
    .uniform_work_group_size: 1
    .uses_dynamic_stack: false
    .vgpr_count:     20
    .vgpr_spill_count: 0
    .wavefront_size: 32
    .workgroup_processor_mode: 1
  - .args:
      - .address_space:  global
        .offset:         0
        .size:           8
        .value_kind:     global_buffer
      - .address_space:  global
        .offset:         8
        .size:           8
        .value_kind:     global_buffer
      - .offset:         16
        .size:           4
        .value_kind:     by_value
      - .offset:         20
        .size:           4
        .value_kind:     by_value
      - .offset:         24
        .size:           4
        .value_kind:     by_value
      - .address_space:  global
        .offset:         32
        .size:           8
        .value_kind:     global_buffer
      - .offset:         40
        .size:           4
        .value_kind:     by_value
      - .offset:         44
        .size:           1
        .value_kind:     by_value
      - .offset:         48
        .size:           4
        .value_kind:     hidden_block_count_x
      - .offset:         52
        .size:           4
        .value_kind:     hidden_block_count_y
      - .offset:         56
        .size:           4
        .value_kind:     hidden_block_count_z
      - .offset:         60
        .size:           2
        .value_kind:     hidden_group_size_x
      - .offset:         62
        .size:           2
        .value_kind:     hidden_group_size_y
      - .offset:         64
        .size:           2
        .value_kind:     hidden_group_size_z
      - .offset:         66
        .size:           2
        .value_kind:     hidden_remainder_x
      - .offset:         68
        .size:           2
        .value_kind:     hidden_remainder_y
      - .offset:         70
        .size:           2
        .value_kind:     hidden_remainder_z
      - .offset:         88
        .size:           8
        .value_kind:     hidden_global_offset_x
      - .offset:         96
        .size:           8
        .value_kind:     hidden_global_offset_y
      - .offset:         104
        .size:           8
        .value_kind:     hidden_global_offset_z
      - .offset:         112
        .size:           2
        .value_kind:     hidden_grid_dims
    .group_segment_fixed_size: 0
    .kernarg_segment_align: 8
    .kernarg_segment_size: 304
    .language:       OpenCL C
    .language_version:
      - 2
      - 0
    .max_flat_workgroup_size: 1024
    .name:           _ZN12_GLOBAL__N_120softmax_warp_forwardIN3c104HalfEffLi0ELb0ELb0ELi64EEEvPT0_PKT_iiiPKbib
    .private_segment_fixed_size: 0
    .sgpr_count:     18
    .sgpr_spill_count: 0
    .symbol:         _ZN12_GLOBAL__N_120softmax_warp_forwardIN3c104HalfEffLi0ELb0ELb0ELi64EEEvPT0_PKT_iiiPKbib.kd
    .uniform_work_group_size: 1
    .uses_dynamic_stack: false
    .vgpr_count:     9
    .vgpr_spill_count: 0
    .wavefront_size: 32
    .workgroup_processor_mode: 1
  - .args:
      - .address_space:  global
        .offset:         0
        .size:           8
        .value_kind:     global_buffer
      - .address_space:  global
        .offset:         8
        .size:           8
        .value_kind:     global_buffer
      - .offset:         16
        .size:           4
        .value_kind:     by_value
      - .offset:         20
        .size:           4
        .value_kind:     by_value
      - .offset:         24
        .size:           4
        .value_kind:     by_value
      - .address_space:  global
        .offset:         32
        .size:           8
        .value_kind:     global_buffer
      - .offset:         40
        .size:           4
        .value_kind:     by_value
      - .offset:         44
        .size:           1
        .value_kind:     by_value
      - .offset:         48
        .size:           4
        .value_kind:     hidden_block_count_x
      - .offset:         52
        .size:           4
        .value_kind:     hidden_block_count_y
      - .offset:         56
        .size:           4
        .value_kind:     hidden_block_count_z
      - .offset:         60
        .size:           2
        .value_kind:     hidden_group_size_x
      - .offset:         62
        .size:           2
        .value_kind:     hidden_group_size_y
      - .offset:         64
        .size:           2
        .value_kind:     hidden_group_size_z
      - .offset:         66
        .size:           2
        .value_kind:     hidden_remainder_x
      - .offset:         68
        .size:           2
        .value_kind:     hidden_remainder_y
      - .offset:         70
        .size:           2
        .value_kind:     hidden_remainder_z
      - .offset:         88
        .size:           8
        .value_kind:     hidden_global_offset_x
      - .offset:         96
        .size:           8
        .value_kind:     hidden_global_offset_y
      - .offset:         104
        .size:           8
        .value_kind:     hidden_global_offset_z
      - .offset:         112
        .size:           2
        .value_kind:     hidden_grid_dims
    .group_segment_fixed_size: 0
    .kernarg_segment_align: 8
    .kernarg_segment_size: 304
    .language:       OpenCL C
    .language_version:
      - 2
      - 0
    .max_flat_workgroup_size: 1024
    .name:           _ZN12_GLOBAL__N_120softmax_warp_forwardIN3c104HalfEffLi0ELb0ELb0ELi32EEEvPT0_PKT_iiiPKbib
    .private_segment_fixed_size: 0
    .sgpr_count:     18
    .sgpr_spill_count: 0
    .symbol:         _ZN12_GLOBAL__N_120softmax_warp_forwardIN3c104HalfEffLi0ELb0ELb0ELi32EEEvPT0_PKT_iiiPKbib.kd
    .uniform_work_group_size: 1
    .uses_dynamic_stack: false
    .vgpr_count:     9
    .vgpr_spill_count: 0
    .wavefront_size: 32
    .workgroup_processor_mode: 1
  - .args:
      - .address_space:  global
        .offset:         0
        .size:           8
        .value_kind:     global_buffer
      - .address_space:  global
        .offset:         8
        .size:           8
        .value_kind:     global_buffer
      - .offset:         16
        .size:           4
        .value_kind:     by_value
      - .offset:         20
        .size:           4
        .value_kind:     by_value
      - .offset:         24
        .size:           4
        .value_kind:     by_value
      - .address_space:  global
        .offset:         32
        .size:           8
        .value_kind:     global_buffer
      - .offset:         40
        .size:           4
        .value_kind:     by_value
      - .offset:         44
        .size:           1
        .value_kind:     by_value
      - .offset:         48
        .size:           4
        .value_kind:     hidden_block_count_x
      - .offset:         52
        .size:           4
        .value_kind:     hidden_block_count_y
      - .offset:         56
        .size:           4
        .value_kind:     hidden_block_count_z
      - .offset:         60
        .size:           2
        .value_kind:     hidden_group_size_x
      - .offset:         62
        .size:           2
        .value_kind:     hidden_group_size_y
      - .offset:         64
        .size:           2
        .value_kind:     hidden_group_size_z
      - .offset:         66
        .size:           2
        .value_kind:     hidden_remainder_x
      - .offset:         68
        .size:           2
        .value_kind:     hidden_remainder_y
      - .offset:         70
        .size:           2
        .value_kind:     hidden_remainder_z
      - .offset:         88
        .size:           8
        .value_kind:     hidden_global_offset_x
      - .offset:         96
        .size:           8
        .value_kind:     hidden_global_offset_y
      - .offset:         104
        .size:           8
        .value_kind:     hidden_global_offset_z
      - .offset:         112
        .size:           2
        .value_kind:     hidden_grid_dims
    .group_segment_fixed_size: 0
    .kernarg_segment_align: 8
    .kernarg_segment_size: 304
    .language:       OpenCL C
    .language_version:
      - 2
      - 0
    .max_flat_workgroup_size: 1024
    .name:           _ZN12_GLOBAL__N_120softmax_warp_forwardIN3c104HalfEffLi1ELb0ELb0ELi64EEEvPT0_PKT_iiiPKbib
    .private_segment_fixed_size: 0
    .sgpr_count:     18
    .sgpr_spill_count: 0
    .symbol:         _ZN12_GLOBAL__N_120softmax_warp_forwardIN3c104HalfEffLi1ELb0ELb0ELi64EEEvPT0_PKT_iiiPKbib.kd
    .uniform_work_group_size: 1
    .uses_dynamic_stack: false
    .vgpr_count:     12
    .vgpr_spill_count: 0
    .wavefront_size: 32
    .workgroup_processor_mode: 1
  - .args:
      - .address_space:  global
        .offset:         0
        .size:           8
        .value_kind:     global_buffer
      - .address_space:  global
        .offset:         8
        .size:           8
        .value_kind:     global_buffer
      - .offset:         16
        .size:           4
        .value_kind:     by_value
      - .offset:         20
        .size:           4
        .value_kind:     by_value
      - .offset:         24
        .size:           4
        .value_kind:     by_value
      - .address_space:  global
        .offset:         32
        .size:           8
        .value_kind:     global_buffer
      - .offset:         40
        .size:           4
        .value_kind:     by_value
      - .offset:         44
        .size:           1
        .value_kind:     by_value
      - .offset:         48
        .size:           4
        .value_kind:     hidden_block_count_x
      - .offset:         52
        .size:           4
        .value_kind:     hidden_block_count_y
      - .offset:         56
        .size:           4
        .value_kind:     hidden_block_count_z
      - .offset:         60
        .size:           2
        .value_kind:     hidden_group_size_x
      - .offset:         62
        .size:           2
        .value_kind:     hidden_group_size_y
      - .offset:         64
        .size:           2
        .value_kind:     hidden_group_size_z
      - .offset:         66
        .size:           2
        .value_kind:     hidden_remainder_x
      - .offset:         68
        .size:           2
        .value_kind:     hidden_remainder_y
      - .offset:         70
        .size:           2
        .value_kind:     hidden_remainder_z
      - .offset:         88
        .size:           8
        .value_kind:     hidden_global_offset_x
      - .offset:         96
        .size:           8
        .value_kind:     hidden_global_offset_y
      - .offset:         104
        .size:           8
        .value_kind:     hidden_global_offset_z
      - .offset:         112
        .size:           2
        .value_kind:     hidden_grid_dims
    .group_segment_fixed_size: 0
    .kernarg_segment_align: 8
    .kernarg_segment_size: 304
    .language:       OpenCL C
    .language_version:
      - 2
      - 0
    .max_flat_workgroup_size: 1024
    .name:           _ZN12_GLOBAL__N_120softmax_warp_forwardIN3c104HalfEffLi1ELb0ELb0ELi32EEEvPT0_PKT_iiiPKbib
    .private_segment_fixed_size: 0
    .sgpr_count:     18
    .sgpr_spill_count: 0
    .symbol:         _ZN12_GLOBAL__N_120softmax_warp_forwardIN3c104HalfEffLi1ELb0ELb0ELi32EEEvPT0_PKT_iiiPKbib.kd
    .uniform_work_group_size: 1
    .uses_dynamic_stack: false
    .vgpr_count:     12
    .vgpr_spill_count: 0
    .wavefront_size: 32
    .workgroup_processor_mode: 1
  - .args:
      - .address_space:  global
        .offset:         0
        .size:           8
        .value_kind:     global_buffer
      - .address_space:  global
        .offset:         8
        .size:           8
        .value_kind:     global_buffer
      - .offset:         16
        .size:           4
        .value_kind:     by_value
      - .offset:         20
        .size:           4
        .value_kind:     by_value
      - .offset:         24
        .size:           4
        .value_kind:     by_value
      - .address_space:  global
        .offset:         32
        .size:           8
        .value_kind:     global_buffer
      - .offset:         40
        .size:           4
        .value_kind:     by_value
      - .offset:         44
        .size:           1
        .value_kind:     by_value
      - .offset:         48
        .size:           4
        .value_kind:     hidden_block_count_x
      - .offset:         52
        .size:           4
        .value_kind:     hidden_block_count_y
      - .offset:         56
        .size:           4
        .value_kind:     hidden_block_count_z
      - .offset:         60
        .size:           2
        .value_kind:     hidden_group_size_x
      - .offset:         62
        .size:           2
        .value_kind:     hidden_group_size_y
      - .offset:         64
        .size:           2
        .value_kind:     hidden_group_size_z
      - .offset:         66
        .size:           2
        .value_kind:     hidden_remainder_x
      - .offset:         68
        .size:           2
        .value_kind:     hidden_remainder_y
      - .offset:         70
        .size:           2
        .value_kind:     hidden_remainder_z
      - .offset:         88
        .size:           8
        .value_kind:     hidden_global_offset_x
      - .offset:         96
        .size:           8
        .value_kind:     hidden_global_offset_y
      - .offset:         104
        .size:           8
        .value_kind:     hidden_global_offset_z
      - .offset:         112
        .size:           2
        .value_kind:     hidden_grid_dims
    .group_segment_fixed_size: 0
    .kernarg_segment_align: 8
    .kernarg_segment_size: 304
    .language:       OpenCL C
    .language_version:
      - 2
      - 0
    .max_flat_workgroup_size: 1024
    .name:           _ZN12_GLOBAL__N_120softmax_warp_forwardIN3c104HalfEffLi2ELb0ELb0ELi64EEEvPT0_PKT_iiiPKbib
    .private_segment_fixed_size: 0
    .sgpr_count:     18
    .sgpr_spill_count: 0
    .symbol:         _ZN12_GLOBAL__N_120softmax_warp_forwardIN3c104HalfEffLi2ELb0ELb0ELi64EEEvPT0_PKT_iiiPKbib.kd
    .uniform_work_group_size: 1
    .uses_dynamic_stack: false
    .vgpr_count:     13
    .vgpr_spill_count: 0
    .wavefront_size: 32
    .workgroup_processor_mode: 1
  - .args:
      - .address_space:  global
        .offset:         0
        .size:           8
        .value_kind:     global_buffer
      - .address_space:  global
        .offset:         8
        .size:           8
        .value_kind:     global_buffer
      - .offset:         16
        .size:           4
        .value_kind:     by_value
      - .offset:         20
        .size:           4
        .value_kind:     by_value
      - .offset:         24
        .size:           4
        .value_kind:     by_value
      - .address_space:  global
        .offset:         32
        .size:           8
        .value_kind:     global_buffer
      - .offset:         40
        .size:           4
        .value_kind:     by_value
      - .offset:         44
        .size:           1
        .value_kind:     by_value
      - .offset:         48
        .size:           4
        .value_kind:     hidden_block_count_x
      - .offset:         52
        .size:           4
        .value_kind:     hidden_block_count_y
      - .offset:         56
        .size:           4
        .value_kind:     hidden_block_count_z
      - .offset:         60
        .size:           2
        .value_kind:     hidden_group_size_x
      - .offset:         62
        .size:           2
        .value_kind:     hidden_group_size_y
      - .offset:         64
        .size:           2
        .value_kind:     hidden_group_size_z
      - .offset:         66
        .size:           2
        .value_kind:     hidden_remainder_x
      - .offset:         68
        .size:           2
        .value_kind:     hidden_remainder_y
      - .offset:         70
        .size:           2
        .value_kind:     hidden_remainder_z
      - .offset:         88
        .size:           8
        .value_kind:     hidden_global_offset_x
      - .offset:         96
        .size:           8
        .value_kind:     hidden_global_offset_y
      - .offset:         104
        .size:           8
        .value_kind:     hidden_global_offset_z
      - .offset:         112
        .size:           2
        .value_kind:     hidden_grid_dims
    .group_segment_fixed_size: 0
    .kernarg_segment_align: 8
    .kernarg_segment_size: 304
    .language:       OpenCL C
    .language_version:
      - 2
      - 0
    .max_flat_workgroup_size: 1024
    .name:           _ZN12_GLOBAL__N_120softmax_warp_forwardIN3c104HalfEffLi2ELb0ELb0ELi32EEEvPT0_PKT_iiiPKbib
    .private_segment_fixed_size: 0
    .sgpr_count:     18
    .sgpr_spill_count: 0
    .symbol:         _ZN12_GLOBAL__N_120softmax_warp_forwardIN3c104HalfEffLi2ELb0ELb0ELi32EEEvPT0_PKT_iiiPKbib.kd
    .uniform_work_group_size: 1
    .uses_dynamic_stack: false
    .vgpr_count:     13
    .vgpr_spill_count: 0
    .wavefront_size: 32
    .workgroup_processor_mode: 1
  - .args:
      - .address_space:  global
        .offset:         0
        .size:           8
        .value_kind:     global_buffer
      - .address_space:  global
        .offset:         8
        .size:           8
        .value_kind:     global_buffer
      - .offset:         16
        .size:           4
        .value_kind:     by_value
      - .offset:         20
        .size:           4
        .value_kind:     by_value
      - .offset:         24
        .size:           4
        .value_kind:     by_value
      - .address_space:  global
        .offset:         32
        .size:           8
        .value_kind:     global_buffer
      - .offset:         40
        .size:           4
        .value_kind:     by_value
      - .offset:         44
        .size:           1
        .value_kind:     by_value
      - .offset:         48
        .size:           4
        .value_kind:     hidden_block_count_x
      - .offset:         52
        .size:           4
        .value_kind:     hidden_block_count_y
      - .offset:         56
        .size:           4
        .value_kind:     hidden_block_count_z
      - .offset:         60
        .size:           2
        .value_kind:     hidden_group_size_x
      - .offset:         62
        .size:           2
        .value_kind:     hidden_group_size_y
      - .offset:         64
        .size:           2
        .value_kind:     hidden_group_size_z
      - .offset:         66
        .size:           2
        .value_kind:     hidden_remainder_x
      - .offset:         68
        .size:           2
        .value_kind:     hidden_remainder_y
      - .offset:         70
        .size:           2
        .value_kind:     hidden_remainder_z
      - .offset:         88
        .size:           8
        .value_kind:     hidden_global_offset_x
      - .offset:         96
        .size:           8
        .value_kind:     hidden_global_offset_y
      - .offset:         104
        .size:           8
        .value_kind:     hidden_global_offset_z
      - .offset:         112
        .size:           2
        .value_kind:     hidden_grid_dims
    .group_segment_fixed_size: 0
    .kernarg_segment_align: 8
    .kernarg_segment_size: 304
    .language:       OpenCL C
    .language_version:
      - 2
      - 0
    .max_flat_workgroup_size: 1024
    .name:           _ZN12_GLOBAL__N_120softmax_warp_forwardIN3c104HalfEffLi3ELb0ELb0ELi64EEEvPT0_PKT_iiiPKbib
    .private_segment_fixed_size: 0
    .sgpr_count:     18
    .sgpr_spill_count: 0
    .symbol:         _ZN12_GLOBAL__N_120softmax_warp_forwardIN3c104HalfEffLi3ELb0ELb0ELi64EEEvPT0_PKT_iiiPKbib.kd
    .uniform_work_group_size: 1
    .uses_dynamic_stack: false
    .vgpr_count:     14
    .vgpr_spill_count: 0
    .wavefront_size: 32
    .workgroup_processor_mode: 1
  - .args:
      - .address_space:  global
        .offset:         0
        .size:           8
        .value_kind:     global_buffer
      - .address_space:  global
        .offset:         8
        .size:           8
        .value_kind:     global_buffer
      - .offset:         16
        .size:           4
        .value_kind:     by_value
      - .offset:         20
        .size:           4
        .value_kind:     by_value
      - .offset:         24
        .size:           4
        .value_kind:     by_value
      - .address_space:  global
        .offset:         32
        .size:           8
        .value_kind:     global_buffer
      - .offset:         40
        .size:           4
        .value_kind:     by_value
      - .offset:         44
        .size:           1
        .value_kind:     by_value
      - .offset:         48
        .size:           4
        .value_kind:     hidden_block_count_x
      - .offset:         52
        .size:           4
        .value_kind:     hidden_block_count_y
      - .offset:         56
        .size:           4
        .value_kind:     hidden_block_count_z
      - .offset:         60
        .size:           2
        .value_kind:     hidden_group_size_x
      - .offset:         62
        .size:           2
        .value_kind:     hidden_group_size_y
      - .offset:         64
        .size:           2
        .value_kind:     hidden_group_size_z
      - .offset:         66
        .size:           2
        .value_kind:     hidden_remainder_x
      - .offset:         68
        .size:           2
        .value_kind:     hidden_remainder_y
      - .offset:         70
        .size:           2
        .value_kind:     hidden_remainder_z
      - .offset:         88
        .size:           8
        .value_kind:     hidden_global_offset_x
      - .offset:         96
        .size:           8
        .value_kind:     hidden_global_offset_y
      - .offset:         104
        .size:           8
        .value_kind:     hidden_global_offset_z
      - .offset:         112
        .size:           2
        .value_kind:     hidden_grid_dims
    .group_segment_fixed_size: 0
    .kernarg_segment_align: 8
    .kernarg_segment_size: 304
    .language:       OpenCL C
    .language_version:
      - 2
      - 0
    .max_flat_workgroup_size: 1024
    .name:           _ZN12_GLOBAL__N_120softmax_warp_forwardIN3c104HalfEffLi3ELb0ELb0ELi32EEEvPT0_PKT_iiiPKbib
    .private_segment_fixed_size: 0
    .sgpr_count:     18
    .sgpr_spill_count: 0
    .symbol:         _ZN12_GLOBAL__N_120softmax_warp_forwardIN3c104HalfEffLi3ELb0ELb0ELi32EEEvPT0_PKT_iiiPKbib.kd
    .uniform_work_group_size: 1
    .uses_dynamic_stack: false
    .vgpr_count:     14
    .vgpr_spill_count: 0
    .wavefront_size: 32
    .workgroup_processor_mode: 1
  - .args:
      - .address_space:  global
        .offset:         0
        .size:           8
        .value_kind:     global_buffer
      - .address_space:  global
        .offset:         8
        .size:           8
        .value_kind:     global_buffer
      - .offset:         16
        .size:           4
        .value_kind:     by_value
      - .offset:         20
        .size:           4
        .value_kind:     by_value
      - .offset:         24
        .size:           4
        .value_kind:     by_value
      - .address_space:  global
        .offset:         32
        .size:           8
        .value_kind:     global_buffer
      - .offset:         40
        .size:           4
        .value_kind:     by_value
      - .offset:         44
        .size:           1
        .value_kind:     by_value
      - .offset:         48
        .size:           4
        .value_kind:     hidden_block_count_x
      - .offset:         52
        .size:           4
        .value_kind:     hidden_block_count_y
      - .offset:         56
        .size:           4
        .value_kind:     hidden_block_count_z
      - .offset:         60
        .size:           2
        .value_kind:     hidden_group_size_x
      - .offset:         62
        .size:           2
        .value_kind:     hidden_group_size_y
      - .offset:         64
        .size:           2
        .value_kind:     hidden_group_size_z
      - .offset:         66
        .size:           2
        .value_kind:     hidden_remainder_x
      - .offset:         68
        .size:           2
        .value_kind:     hidden_remainder_y
      - .offset:         70
        .size:           2
        .value_kind:     hidden_remainder_z
      - .offset:         88
        .size:           8
        .value_kind:     hidden_global_offset_x
      - .offset:         96
        .size:           8
        .value_kind:     hidden_global_offset_y
      - .offset:         104
        .size:           8
        .value_kind:     hidden_global_offset_z
      - .offset:         112
        .size:           2
        .value_kind:     hidden_grid_dims
    .group_segment_fixed_size: 0
    .kernarg_segment_align: 8
    .kernarg_segment_size: 304
    .language:       OpenCL C
    .language_version:
      - 2
      - 0
    .max_flat_workgroup_size: 1024
    .name:           _ZN12_GLOBAL__N_120softmax_warp_forwardIN3c104HalfEffLi4ELb0ELb0ELi64EEEvPT0_PKT_iiiPKbib
    .private_segment_fixed_size: 0
    .sgpr_count:     18
    .sgpr_spill_count: 0
    .symbol:         _ZN12_GLOBAL__N_120softmax_warp_forwardIN3c104HalfEffLi4ELb0ELb0ELi64EEEvPT0_PKT_iiiPKbib.kd
    .uniform_work_group_size: 1
    .uses_dynamic_stack: false
    .vgpr_count:     15
    .vgpr_spill_count: 0
    .wavefront_size: 32
    .workgroup_processor_mode: 1
  - .args:
      - .address_space:  global
        .offset:         0
        .size:           8
        .value_kind:     global_buffer
      - .address_space:  global
        .offset:         8
        .size:           8
        .value_kind:     global_buffer
      - .offset:         16
        .size:           4
        .value_kind:     by_value
      - .offset:         20
        .size:           4
        .value_kind:     by_value
      - .offset:         24
        .size:           4
        .value_kind:     by_value
      - .address_space:  global
        .offset:         32
        .size:           8
        .value_kind:     global_buffer
      - .offset:         40
        .size:           4
        .value_kind:     by_value
      - .offset:         44
        .size:           1
        .value_kind:     by_value
      - .offset:         48
        .size:           4
        .value_kind:     hidden_block_count_x
      - .offset:         52
        .size:           4
        .value_kind:     hidden_block_count_y
      - .offset:         56
        .size:           4
        .value_kind:     hidden_block_count_z
      - .offset:         60
        .size:           2
        .value_kind:     hidden_group_size_x
      - .offset:         62
        .size:           2
        .value_kind:     hidden_group_size_y
      - .offset:         64
        .size:           2
        .value_kind:     hidden_group_size_z
      - .offset:         66
        .size:           2
        .value_kind:     hidden_remainder_x
      - .offset:         68
        .size:           2
        .value_kind:     hidden_remainder_y
      - .offset:         70
        .size:           2
        .value_kind:     hidden_remainder_z
      - .offset:         88
        .size:           8
        .value_kind:     hidden_global_offset_x
      - .offset:         96
        .size:           8
        .value_kind:     hidden_global_offset_y
      - .offset:         104
        .size:           8
        .value_kind:     hidden_global_offset_z
      - .offset:         112
        .size:           2
        .value_kind:     hidden_grid_dims
    .group_segment_fixed_size: 0
    .kernarg_segment_align: 8
    .kernarg_segment_size: 304
    .language:       OpenCL C
    .language_version:
      - 2
      - 0
    .max_flat_workgroup_size: 1024
    .name:           _ZN12_GLOBAL__N_120softmax_warp_forwardIN3c104HalfEffLi4ELb0ELb0ELi32EEEvPT0_PKT_iiiPKbib
    .private_segment_fixed_size: 0
    .sgpr_count:     18
    .sgpr_spill_count: 0
    .symbol:         _ZN12_GLOBAL__N_120softmax_warp_forwardIN3c104HalfEffLi4ELb0ELb0ELi32EEEvPT0_PKT_iiiPKbib.kd
    .uniform_work_group_size: 1
    .uses_dynamic_stack: false
    .vgpr_count:     15
    .vgpr_spill_count: 0
    .wavefront_size: 32
    .workgroup_processor_mode: 1
  - .args:
      - .address_space:  global
        .offset:         0
        .size:           8
        .value_kind:     global_buffer
      - .address_space:  global
        .offset:         8
        .size:           8
        .value_kind:     global_buffer
      - .offset:         16
        .size:           4
        .value_kind:     by_value
      - .offset:         20
        .size:           4
        .value_kind:     by_value
      - .offset:         24
        .size:           4
        .value_kind:     by_value
      - .address_space:  global
        .offset:         32
        .size:           8
        .value_kind:     global_buffer
      - .offset:         40
        .size:           4
        .value_kind:     by_value
      - .offset:         44
        .size:           1
        .value_kind:     by_value
      - .offset:         48
        .size:           4
        .value_kind:     hidden_block_count_x
      - .offset:         52
        .size:           4
        .value_kind:     hidden_block_count_y
      - .offset:         56
        .size:           4
        .value_kind:     hidden_block_count_z
      - .offset:         60
        .size:           2
        .value_kind:     hidden_group_size_x
      - .offset:         62
        .size:           2
        .value_kind:     hidden_group_size_y
      - .offset:         64
        .size:           2
        .value_kind:     hidden_group_size_z
      - .offset:         66
        .size:           2
        .value_kind:     hidden_remainder_x
      - .offset:         68
        .size:           2
        .value_kind:     hidden_remainder_y
      - .offset:         70
        .size:           2
        .value_kind:     hidden_remainder_z
      - .offset:         88
        .size:           8
        .value_kind:     hidden_global_offset_x
      - .offset:         96
        .size:           8
        .value_kind:     hidden_global_offset_y
      - .offset:         104
        .size:           8
        .value_kind:     hidden_global_offset_z
      - .offset:         112
        .size:           2
        .value_kind:     hidden_grid_dims
    .group_segment_fixed_size: 0
    .kernarg_segment_align: 8
    .kernarg_segment_size: 304
    .language:       OpenCL C
    .language_version:
      - 2
      - 0
    .max_flat_workgroup_size: 1024
    .name:           _ZN12_GLOBAL__N_120softmax_warp_forwardIN3c104HalfEffLi5ELb0ELb0ELi64EEEvPT0_PKT_iiiPKbib
    .private_segment_fixed_size: 0
    .sgpr_count:     18
    .sgpr_spill_count: 0
    .symbol:         _ZN12_GLOBAL__N_120softmax_warp_forwardIN3c104HalfEffLi5ELb0ELb0ELi64EEEvPT0_PKT_iiiPKbib.kd
    .uniform_work_group_size: 1
    .uses_dynamic_stack: false
    .vgpr_count:     16
    .vgpr_spill_count: 0
    .wavefront_size: 32
    .workgroup_processor_mode: 1
  - .args:
      - .address_space:  global
        .offset:         0
        .size:           8
        .value_kind:     global_buffer
      - .address_space:  global
        .offset:         8
        .size:           8
        .value_kind:     global_buffer
      - .offset:         16
        .size:           4
        .value_kind:     by_value
      - .offset:         20
        .size:           4
        .value_kind:     by_value
      - .offset:         24
        .size:           4
        .value_kind:     by_value
      - .address_space:  global
        .offset:         32
        .size:           8
        .value_kind:     global_buffer
      - .offset:         40
        .size:           4
        .value_kind:     by_value
      - .offset:         44
        .size:           1
        .value_kind:     by_value
      - .offset:         48
        .size:           4
        .value_kind:     hidden_block_count_x
      - .offset:         52
        .size:           4
        .value_kind:     hidden_block_count_y
      - .offset:         56
        .size:           4
        .value_kind:     hidden_block_count_z
      - .offset:         60
        .size:           2
        .value_kind:     hidden_group_size_x
      - .offset:         62
        .size:           2
        .value_kind:     hidden_group_size_y
      - .offset:         64
        .size:           2
        .value_kind:     hidden_group_size_z
      - .offset:         66
        .size:           2
        .value_kind:     hidden_remainder_x
      - .offset:         68
        .size:           2
        .value_kind:     hidden_remainder_y
      - .offset:         70
        .size:           2
        .value_kind:     hidden_remainder_z
      - .offset:         88
        .size:           8
        .value_kind:     hidden_global_offset_x
      - .offset:         96
        .size:           8
        .value_kind:     hidden_global_offset_y
      - .offset:         104
        .size:           8
        .value_kind:     hidden_global_offset_z
      - .offset:         112
        .size:           2
        .value_kind:     hidden_grid_dims
    .group_segment_fixed_size: 0
    .kernarg_segment_align: 8
    .kernarg_segment_size: 304
    .language:       OpenCL C
    .language_version:
      - 2
      - 0
    .max_flat_workgroup_size: 1024
    .name:           _ZN12_GLOBAL__N_120softmax_warp_forwardIN3c104HalfEffLi5ELb0ELb0ELi32EEEvPT0_PKT_iiiPKbib
    .private_segment_fixed_size: 0
    .sgpr_count:     18
    .sgpr_spill_count: 0
    .symbol:         _ZN12_GLOBAL__N_120softmax_warp_forwardIN3c104HalfEffLi5ELb0ELb0ELi32EEEvPT0_PKT_iiiPKbib.kd
    .uniform_work_group_size: 1
    .uses_dynamic_stack: false
    .vgpr_count:     16
    .vgpr_spill_count: 0
    .wavefront_size: 32
    .workgroup_processor_mode: 1
  - .args:
      - .address_space:  global
        .offset:         0
        .size:           8
        .value_kind:     global_buffer
      - .address_space:  global
        .offset:         8
        .size:           8
        .value_kind:     global_buffer
      - .offset:         16
        .size:           4
        .value_kind:     by_value
      - .offset:         20
        .size:           4
        .value_kind:     by_value
      - .offset:         24
        .size:           4
        .value_kind:     by_value
      - .address_space:  global
        .offset:         32
        .size:           8
        .value_kind:     global_buffer
      - .offset:         40
        .size:           4
        .value_kind:     by_value
      - .offset:         44
        .size:           1
        .value_kind:     by_value
      - .offset:         48
        .size:           4
        .value_kind:     hidden_block_count_x
      - .offset:         52
        .size:           4
        .value_kind:     hidden_block_count_y
      - .offset:         56
        .size:           4
        .value_kind:     hidden_block_count_z
      - .offset:         60
        .size:           2
        .value_kind:     hidden_group_size_x
      - .offset:         62
        .size:           2
        .value_kind:     hidden_group_size_y
      - .offset:         64
        .size:           2
        .value_kind:     hidden_group_size_z
      - .offset:         66
        .size:           2
        .value_kind:     hidden_remainder_x
      - .offset:         68
        .size:           2
        .value_kind:     hidden_remainder_y
      - .offset:         70
        .size:           2
        .value_kind:     hidden_remainder_z
      - .offset:         88
        .size:           8
        .value_kind:     hidden_global_offset_x
      - .offset:         96
        .size:           8
        .value_kind:     hidden_global_offset_y
      - .offset:         104
        .size:           8
        .value_kind:     hidden_global_offset_z
      - .offset:         112
        .size:           2
        .value_kind:     hidden_grid_dims
    .group_segment_fixed_size: 0
    .kernarg_segment_align: 8
    .kernarg_segment_size: 304
    .language:       OpenCL C
    .language_version:
      - 2
      - 0
    .max_flat_workgroup_size: 1024
    .name:           _ZN12_GLOBAL__N_120softmax_warp_forwardIN3c104HalfEffLi6ELb0ELb0ELi64EEEvPT0_PKT_iiiPKbib
    .private_segment_fixed_size: 0
    .sgpr_count:     18
    .sgpr_spill_count: 0
    .symbol:         _ZN12_GLOBAL__N_120softmax_warp_forwardIN3c104HalfEffLi6ELb0ELb0ELi64EEEvPT0_PKT_iiiPKbib.kd
    .uniform_work_group_size: 1
    .uses_dynamic_stack: false
    .vgpr_count:     17
    .vgpr_spill_count: 0
    .wavefront_size: 32
    .workgroup_processor_mode: 1
  - .args:
      - .address_space:  global
        .offset:         0
        .size:           8
        .value_kind:     global_buffer
      - .address_space:  global
        .offset:         8
        .size:           8
        .value_kind:     global_buffer
      - .offset:         16
        .size:           4
        .value_kind:     by_value
      - .offset:         20
        .size:           4
        .value_kind:     by_value
      - .offset:         24
        .size:           4
        .value_kind:     by_value
      - .address_space:  global
        .offset:         32
        .size:           8
        .value_kind:     global_buffer
      - .offset:         40
        .size:           4
        .value_kind:     by_value
      - .offset:         44
        .size:           1
        .value_kind:     by_value
      - .offset:         48
        .size:           4
        .value_kind:     hidden_block_count_x
      - .offset:         52
        .size:           4
        .value_kind:     hidden_block_count_y
      - .offset:         56
        .size:           4
        .value_kind:     hidden_block_count_z
      - .offset:         60
        .size:           2
        .value_kind:     hidden_group_size_x
      - .offset:         62
        .size:           2
        .value_kind:     hidden_group_size_y
      - .offset:         64
        .size:           2
        .value_kind:     hidden_group_size_z
      - .offset:         66
        .size:           2
        .value_kind:     hidden_remainder_x
      - .offset:         68
        .size:           2
        .value_kind:     hidden_remainder_y
      - .offset:         70
        .size:           2
        .value_kind:     hidden_remainder_z
      - .offset:         88
        .size:           8
        .value_kind:     hidden_global_offset_x
      - .offset:         96
        .size:           8
        .value_kind:     hidden_global_offset_y
      - .offset:         104
        .size:           8
        .value_kind:     hidden_global_offset_z
      - .offset:         112
        .size:           2
        .value_kind:     hidden_grid_dims
    .group_segment_fixed_size: 0
    .kernarg_segment_align: 8
    .kernarg_segment_size: 304
    .language:       OpenCL C
    .language_version:
      - 2
      - 0
    .max_flat_workgroup_size: 1024
    .name:           _ZN12_GLOBAL__N_120softmax_warp_forwardIN3c104HalfEffLi6ELb0ELb0ELi32EEEvPT0_PKT_iiiPKbib
    .private_segment_fixed_size: 0
    .sgpr_count:     18
    .sgpr_spill_count: 0
    .symbol:         _ZN12_GLOBAL__N_120softmax_warp_forwardIN3c104HalfEffLi6ELb0ELb0ELi32EEEvPT0_PKT_iiiPKbib.kd
    .uniform_work_group_size: 1
    .uses_dynamic_stack: false
    .vgpr_count:     24
    .vgpr_spill_count: 0
    .wavefront_size: 32
    .workgroup_processor_mode: 1
  - .args:
      - .address_space:  global
        .offset:         0
        .size:           8
        .value_kind:     global_buffer
      - .address_space:  global
        .offset:         8
        .size:           8
        .value_kind:     global_buffer
      - .offset:         16
        .size:           4
        .value_kind:     by_value
      - .offset:         20
        .size:           4
        .value_kind:     by_value
      - .offset:         24
        .size:           4
        .value_kind:     by_value
      - .address_space:  global
        .offset:         32
        .size:           8
        .value_kind:     global_buffer
      - .offset:         40
        .size:           4
        .value_kind:     by_value
      - .offset:         44
        .size:           1
        .value_kind:     by_value
      - .offset:         48
        .size:           4
        .value_kind:     hidden_block_count_x
      - .offset:         52
        .size:           4
        .value_kind:     hidden_block_count_y
      - .offset:         56
        .size:           4
        .value_kind:     hidden_block_count_z
      - .offset:         60
        .size:           2
        .value_kind:     hidden_group_size_x
      - .offset:         62
        .size:           2
        .value_kind:     hidden_group_size_y
      - .offset:         64
        .size:           2
        .value_kind:     hidden_group_size_z
      - .offset:         66
        .size:           2
        .value_kind:     hidden_remainder_x
      - .offset:         68
        .size:           2
        .value_kind:     hidden_remainder_y
      - .offset:         70
        .size:           2
        .value_kind:     hidden_remainder_z
      - .offset:         88
        .size:           8
        .value_kind:     hidden_global_offset_x
      - .offset:         96
        .size:           8
        .value_kind:     hidden_global_offset_y
      - .offset:         104
        .size:           8
        .value_kind:     hidden_global_offset_z
      - .offset:         112
        .size:           2
        .value_kind:     hidden_grid_dims
    .group_segment_fixed_size: 0
    .kernarg_segment_align: 8
    .kernarg_segment_size: 304
    .language:       OpenCL C
    .language_version:
      - 2
      - 0
    .max_flat_workgroup_size: 1024
    .name:           _ZN12_GLOBAL__N_120softmax_warp_forwardIN3c104HalfEffLi7ELb0ELb0ELi64EEEvPT0_PKT_iiiPKbib
    .private_segment_fixed_size: 0
    .sgpr_count:     18
    .sgpr_spill_count: 0
    .symbol:         _ZN12_GLOBAL__N_120softmax_warp_forwardIN3c104HalfEffLi7ELb0ELb0ELi64EEEvPT0_PKT_iiiPKbib.kd
    .uniform_work_group_size: 1
    .uses_dynamic_stack: false
    .vgpr_count:     25
    .vgpr_spill_count: 0
    .wavefront_size: 32
    .workgroup_processor_mode: 1
  - .args:
      - .address_space:  global
        .offset:         0
        .size:           8
        .value_kind:     global_buffer
      - .address_space:  global
        .offset:         8
        .size:           8
        .value_kind:     global_buffer
      - .offset:         16
        .size:           4
        .value_kind:     by_value
      - .offset:         20
        .size:           4
        .value_kind:     by_value
      - .offset:         24
        .size:           4
        .value_kind:     by_value
      - .address_space:  global
        .offset:         32
        .size:           8
        .value_kind:     global_buffer
      - .offset:         40
        .size:           4
        .value_kind:     by_value
      - .offset:         44
        .size:           1
        .value_kind:     by_value
      - .offset:         48
        .size:           4
        .value_kind:     hidden_block_count_x
      - .offset:         52
        .size:           4
        .value_kind:     hidden_block_count_y
      - .offset:         56
        .size:           4
        .value_kind:     hidden_block_count_z
      - .offset:         60
        .size:           2
        .value_kind:     hidden_group_size_x
      - .offset:         62
        .size:           2
        .value_kind:     hidden_group_size_y
      - .offset:         64
        .size:           2
        .value_kind:     hidden_group_size_z
      - .offset:         66
        .size:           2
        .value_kind:     hidden_remainder_x
      - .offset:         68
        .size:           2
        .value_kind:     hidden_remainder_y
      - .offset:         70
        .size:           2
        .value_kind:     hidden_remainder_z
      - .offset:         88
        .size:           8
        .value_kind:     hidden_global_offset_x
      - .offset:         96
        .size:           8
        .value_kind:     hidden_global_offset_y
      - .offset:         104
        .size:           8
        .value_kind:     hidden_global_offset_z
      - .offset:         112
        .size:           2
        .value_kind:     hidden_grid_dims
    .group_segment_fixed_size: 0
    .kernarg_segment_align: 8
    .kernarg_segment_size: 304
    .language:       OpenCL C
    .language_version:
      - 2
      - 0
    .max_flat_workgroup_size: 1024
    .name:           _ZN12_GLOBAL__N_120softmax_warp_forwardIN3c104HalfEffLi7ELb0ELb0ELi32EEEvPT0_PKT_iiiPKbib
    .private_segment_fixed_size: 0
    .sgpr_count:     26
    .sgpr_spill_count: 0
    .symbol:         _ZN12_GLOBAL__N_120softmax_warp_forwardIN3c104HalfEffLi7ELb0ELb0ELi32EEEvPT0_PKT_iiiPKbib.kd
    .uniform_work_group_size: 1
    .uses_dynamic_stack: false
    .vgpr_count:     40
    .vgpr_spill_count: 0
    .wavefront_size: 32
    .workgroup_processor_mode: 1
  - .args:
      - .address_space:  global
        .offset:         0
        .size:           8
        .value_kind:     global_buffer
      - .address_space:  global
        .offset:         8
        .size:           8
        .value_kind:     global_buffer
      - .offset:         16
        .size:           4
        .value_kind:     by_value
      - .offset:         20
        .size:           4
        .value_kind:     by_value
      - .offset:         24
        .size:           4
        .value_kind:     by_value
      - .address_space:  global
        .offset:         32
        .size:           8
        .value_kind:     global_buffer
      - .offset:         40
        .size:           4
        .value_kind:     by_value
      - .offset:         44
        .size:           1
        .value_kind:     by_value
      - .offset:         48
        .size:           4
        .value_kind:     hidden_block_count_x
      - .offset:         52
        .size:           4
        .value_kind:     hidden_block_count_y
      - .offset:         56
        .size:           4
        .value_kind:     hidden_block_count_z
      - .offset:         60
        .size:           2
        .value_kind:     hidden_group_size_x
      - .offset:         62
        .size:           2
        .value_kind:     hidden_group_size_y
      - .offset:         64
        .size:           2
        .value_kind:     hidden_group_size_z
      - .offset:         66
        .size:           2
        .value_kind:     hidden_remainder_x
      - .offset:         68
        .size:           2
        .value_kind:     hidden_remainder_y
      - .offset:         70
        .size:           2
        .value_kind:     hidden_remainder_z
      - .offset:         88
        .size:           8
        .value_kind:     hidden_global_offset_x
      - .offset:         96
        .size:           8
        .value_kind:     hidden_global_offset_y
      - .offset:         104
        .size:           8
        .value_kind:     hidden_global_offset_z
      - .offset:         112
        .size:           2
        .value_kind:     hidden_grid_dims
    .group_segment_fixed_size: 0
    .kernarg_segment_align: 8
    .kernarg_segment_size: 304
    .language:       OpenCL C
    .language_version:
      - 2
      - 0
    .max_flat_workgroup_size: 1024
    .name:           _ZN12_GLOBAL__N_120softmax_warp_forwardIN3c104HalfEffLi8ELb0ELb0ELi64EEEvPT0_PKT_iiiPKbib
    .private_segment_fixed_size: 0
    .sgpr_count:     18
    .sgpr_spill_count: 0
    .symbol:         _ZN12_GLOBAL__N_120softmax_warp_forwardIN3c104HalfEffLi8ELb0ELb0ELi64EEEvPT0_PKT_iiiPKbib.kd
    .uniform_work_group_size: 1
    .uses_dynamic_stack: false
    .vgpr_count:     24
    .vgpr_spill_count: 0
    .wavefront_size: 32
    .workgroup_processor_mode: 1
  - .args:
      - .address_space:  global
        .offset:         0
        .size:           8
        .value_kind:     global_buffer
      - .address_space:  global
        .offset:         8
        .size:           8
        .value_kind:     global_buffer
      - .offset:         16
        .size:           4
        .value_kind:     by_value
      - .offset:         20
        .size:           4
        .value_kind:     by_value
      - .offset:         24
        .size:           4
        .value_kind:     by_value
      - .address_space:  global
        .offset:         32
        .size:           8
        .value_kind:     global_buffer
      - .offset:         40
        .size:           4
        .value_kind:     by_value
      - .offset:         44
        .size:           1
        .value_kind:     by_value
      - .offset:         48
        .size:           4
        .value_kind:     hidden_block_count_x
      - .offset:         52
        .size:           4
        .value_kind:     hidden_block_count_y
      - .offset:         56
        .size:           4
        .value_kind:     hidden_block_count_z
      - .offset:         60
        .size:           2
        .value_kind:     hidden_group_size_x
      - .offset:         62
        .size:           2
        .value_kind:     hidden_group_size_y
      - .offset:         64
        .size:           2
        .value_kind:     hidden_group_size_z
      - .offset:         66
        .size:           2
        .value_kind:     hidden_remainder_x
      - .offset:         68
        .size:           2
        .value_kind:     hidden_remainder_y
      - .offset:         70
        .size:           2
        .value_kind:     hidden_remainder_z
      - .offset:         88
        .size:           8
        .value_kind:     hidden_global_offset_x
      - .offset:         96
        .size:           8
        .value_kind:     hidden_global_offset_y
      - .offset:         104
        .size:           8
        .value_kind:     hidden_global_offset_z
      - .offset:         112
        .size:           2
        .value_kind:     hidden_grid_dims
    .group_segment_fixed_size: 0
    .kernarg_segment_align: 8
    .kernarg_segment_size: 304
    .language:       OpenCL C
    .language_version:
      - 2
      - 0
    .max_flat_workgroup_size: 1024
    .name:           _ZN12_GLOBAL__N_120softmax_warp_forwardIN3c104HalfEffLi8ELb0ELb0ELi32EEEvPT0_PKT_iiiPKbib
    .private_segment_fixed_size: 0
    .sgpr_count:     26
    .sgpr_spill_count: 0
    .symbol:         _ZN12_GLOBAL__N_120softmax_warp_forwardIN3c104HalfEffLi8ELb0ELb0ELi32EEEvPT0_PKT_iiiPKbib.kd
    .uniform_work_group_size: 1
    .uses_dynamic_stack: false
    .vgpr_count:     40
    .vgpr_spill_count: 0
    .wavefront_size: 32
    .workgroup_processor_mode: 1
  - .args:
      - .address_space:  global
        .offset:         0
        .size:           8
        .value_kind:     global_buffer
      - .address_space:  global
        .offset:         8
        .size:           8
        .value_kind:     global_buffer
      - .offset:         16
        .size:           4
        .value_kind:     by_value
      - .offset:         20
        .size:           4
        .value_kind:     by_value
      - .offset:         24
        .size:           4
        .value_kind:     by_value
      - .address_space:  global
        .offset:         32
        .size:           8
        .value_kind:     global_buffer
      - .offset:         40
        .size:           4
        .value_kind:     by_value
      - .offset:         44
        .size:           1
        .value_kind:     by_value
      - .offset:         48
        .size:           4
        .value_kind:     hidden_block_count_x
      - .offset:         52
        .size:           4
        .value_kind:     hidden_block_count_y
      - .offset:         56
        .size:           4
        .value_kind:     hidden_block_count_z
      - .offset:         60
        .size:           2
        .value_kind:     hidden_group_size_x
      - .offset:         62
        .size:           2
        .value_kind:     hidden_group_size_y
      - .offset:         64
        .size:           2
        .value_kind:     hidden_group_size_z
      - .offset:         66
        .size:           2
        .value_kind:     hidden_remainder_x
      - .offset:         68
        .size:           2
        .value_kind:     hidden_remainder_y
      - .offset:         70
        .size:           2
        .value_kind:     hidden_remainder_z
      - .offset:         88
        .size:           8
        .value_kind:     hidden_global_offset_x
      - .offset:         96
        .size:           8
        .value_kind:     hidden_global_offset_y
      - .offset:         104
        .size:           8
        .value_kind:     hidden_global_offset_z
      - .offset:         112
        .size:           2
        .value_kind:     hidden_grid_dims
    .group_segment_fixed_size: 0
    .kernarg_segment_align: 8
    .kernarg_segment_size: 304
    .language:       OpenCL C
    .language_version:
      - 2
      - 0
    .max_flat_workgroup_size: 1024
    .name:           _ZN12_GLOBAL__N_120softmax_warp_forwardIN3c104HalfEffLi9ELb0ELb0ELi64EEEvPT0_PKT_iiiPKbib
    .private_segment_fixed_size: 0
    .sgpr_count:     26
    .sgpr_spill_count: 0
    .symbol:         _ZN12_GLOBAL__N_120softmax_warp_forwardIN3c104HalfEffLi9ELb0ELb0ELi64EEEvPT0_PKT_iiiPKbib.kd
    .uniform_work_group_size: 1
    .uses_dynamic_stack: false
    .vgpr_count:     41
    .vgpr_spill_count: 0
    .wavefront_size: 32
    .workgroup_processor_mode: 1
  - .args:
      - .address_space:  global
        .offset:         0
        .size:           8
        .value_kind:     global_buffer
      - .address_space:  global
        .offset:         8
        .size:           8
        .value_kind:     global_buffer
      - .offset:         16
        .size:           4
        .value_kind:     by_value
      - .offset:         20
        .size:           4
        .value_kind:     by_value
      - .offset:         24
        .size:           4
        .value_kind:     by_value
      - .address_space:  global
        .offset:         32
        .size:           8
        .value_kind:     global_buffer
      - .offset:         40
        .size:           4
        .value_kind:     by_value
      - .offset:         44
        .size:           1
        .value_kind:     by_value
      - .offset:         48
        .size:           4
        .value_kind:     hidden_block_count_x
      - .offset:         52
        .size:           4
        .value_kind:     hidden_block_count_y
      - .offset:         56
        .size:           4
        .value_kind:     hidden_block_count_z
      - .offset:         60
        .size:           2
        .value_kind:     hidden_group_size_x
      - .offset:         62
        .size:           2
        .value_kind:     hidden_group_size_y
      - .offset:         64
        .size:           2
        .value_kind:     hidden_group_size_z
      - .offset:         66
        .size:           2
        .value_kind:     hidden_remainder_x
      - .offset:         68
        .size:           2
        .value_kind:     hidden_remainder_y
      - .offset:         70
        .size:           2
        .value_kind:     hidden_remainder_z
      - .offset:         88
        .size:           8
        .value_kind:     hidden_global_offset_x
      - .offset:         96
        .size:           8
        .value_kind:     hidden_global_offset_y
      - .offset:         104
        .size:           8
        .value_kind:     hidden_global_offset_z
      - .offset:         112
        .size:           2
        .value_kind:     hidden_grid_dims
    .group_segment_fixed_size: 0
    .kernarg_segment_align: 8
    .kernarg_segment_size: 304
    .language:       OpenCL C
    .language_version:
      - 2
      - 0
    .max_flat_workgroup_size: 1024
    .name:           _ZN12_GLOBAL__N_120softmax_warp_forwardIN3c104HalfEffLi9ELb0ELb0ELi32EEEvPT0_PKT_iiiPKbib
    .private_segment_fixed_size: 0
    .sgpr_count:     26
    .sgpr_spill_count: 0
    .symbol:         _ZN12_GLOBAL__N_120softmax_warp_forwardIN3c104HalfEffLi9ELb0ELb0ELi32EEEvPT0_PKT_iiiPKbib.kd
    .uniform_work_group_size: 1
    .uses_dynamic_stack: false
    .vgpr_count:     72
    .vgpr_spill_count: 0
    .wavefront_size: 32
    .workgroup_processor_mode: 1
  - .args:
      - .address_space:  global
        .offset:         0
        .size:           8
        .value_kind:     global_buffer
      - .address_space:  global
        .offset:         8
        .size:           8
        .value_kind:     global_buffer
      - .offset:         16
        .size:           4
        .value_kind:     by_value
      - .offset:         20
        .size:           4
        .value_kind:     by_value
      - .offset:         24
        .size:           4
        .value_kind:     by_value
      - .address_space:  global
        .offset:         32
        .size:           8
        .value_kind:     global_buffer
      - .offset:         40
        .size:           4
        .value_kind:     by_value
      - .offset:         44
        .size:           1
        .value_kind:     by_value
      - .offset:         48
        .size:           4
        .value_kind:     hidden_block_count_x
      - .offset:         52
        .size:           4
        .value_kind:     hidden_block_count_y
      - .offset:         56
        .size:           4
        .value_kind:     hidden_block_count_z
      - .offset:         60
        .size:           2
        .value_kind:     hidden_group_size_x
      - .offset:         62
        .size:           2
        .value_kind:     hidden_group_size_y
      - .offset:         64
        .size:           2
        .value_kind:     hidden_group_size_z
      - .offset:         66
        .size:           2
        .value_kind:     hidden_remainder_x
      - .offset:         68
        .size:           2
        .value_kind:     hidden_remainder_y
      - .offset:         70
        .size:           2
        .value_kind:     hidden_remainder_z
      - .offset:         88
        .size:           8
        .value_kind:     hidden_global_offset_x
      - .offset:         96
        .size:           8
        .value_kind:     hidden_global_offset_y
      - .offset:         104
        .size:           8
        .value_kind:     hidden_global_offset_z
      - .offset:         112
        .size:           2
        .value_kind:     hidden_grid_dims
    .group_segment_fixed_size: 0
    .kernarg_segment_align: 8
    .kernarg_segment_size: 304
    .language:       OpenCL C
    .language_version:
      - 2
      - 0
    .max_flat_workgroup_size: 1024
    .name:           _ZN12_GLOBAL__N_120softmax_warp_forwardIN3c104HalfEffLi10ELb0ELb0ELi64EEEvPT0_PKT_iiiPKbib
    .private_segment_fixed_size: 0
    .sgpr_count:     26
    .sgpr_spill_count: 0
    .symbol:         _ZN12_GLOBAL__N_120softmax_warp_forwardIN3c104HalfEffLi10ELb0ELb0ELi64EEEvPT0_PKT_iiiPKbib.kd
    .uniform_work_group_size: 1
    .uses_dynamic_stack: false
    .vgpr_count:     73
    .vgpr_spill_count: 0
    .wavefront_size: 32
    .workgroup_processor_mode: 1
  - .args:
      - .address_space:  global
        .offset:         0
        .size:           8
        .value_kind:     global_buffer
      - .address_space:  global
        .offset:         8
        .size:           8
        .value_kind:     global_buffer
      - .offset:         16
        .size:           4
        .value_kind:     by_value
      - .offset:         20
        .size:           4
        .value_kind:     by_value
      - .offset:         24
        .size:           4
        .value_kind:     by_value
      - .address_space:  global
        .offset:         32
        .size:           8
        .value_kind:     global_buffer
      - .offset:         40
        .size:           4
        .value_kind:     by_value
      - .offset:         44
        .size:           1
        .value_kind:     by_value
      - .offset:         48
        .size:           4
        .value_kind:     hidden_block_count_x
      - .offset:         52
        .size:           4
        .value_kind:     hidden_block_count_y
      - .offset:         56
        .size:           4
        .value_kind:     hidden_block_count_z
      - .offset:         60
        .size:           2
        .value_kind:     hidden_group_size_x
      - .offset:         62
        .size:           2
        .value_kind:     hidden_group_size_y
      - .offset:         64
        .size:           2
        .value_kind:     hidden_group_size_z
      - .offset:         66
        .size:           2
        .value_kind:     hidden_remainder_x
      - .offset:         68
        .size:           2
        .value_kind:     hidden_remainder_y
      - .offset:         70
        .size:           2
        .value_kind:     hidden_remainder_z
      - .offset:         88
        .size:           8
        .value_kind:     hidden_global_offset_x
      - .offset:         96
        .size:           8
        .value_kind:     hidden_global_offset_y
      - .offset:         104
        .size:           8
        .value_kind:     hidden_global_offset_z
      - .offset:         112
        .size:           2
        .value_kind:     hidden_grid_dims
    .group_segment_fixed_size: 0
    .kernarg_segment_align: 8
    .kernarg_segment_size: 304
    .language:       OpenCL C
    .language_version:
      - 2
      - 0
    .max_flat_workgroup_size: 1024
    .name:           _ZN12_GLOBAL__N_120softmax_warp_forwardIN3c104HalfEffLi10ELb0ELb0ELi32EEEvPT0_PKT_iiiPKbib
    .private_segment_fixed_size: 0
    .sgpr_count:     46
    .sgpr_spill_count: 0
    .symbol:         _ZN12_GLOBAL__N_120softmax_warp_forwardIN3c104HalfEffLi10ELb0ELb0ELi32EEEvPT0_PKT_iiiPKbib.kd
    .uniform_work_group_size: 1
    .uses_dynamic_stack: false
    .vgpr_count:     94
    .vgpr_spill_count: 0
    .wavefront_size: 32
    .workgroup_processor_mode: 1
  - .args:
      - .address_space:  global
        .offset:         0
        .size:           8
        .value_kind:     global_buffer
      - .address_space:  global
        .offset:         8
        .size:           8
        .value_kind:     global_buffer
      - .offset:         16
        .size:           4
        .value_kind:     by_value
      - .offset:         20
        .size:           4
        .value_kind:     by_value
      - .offset:         24
        .size:           4
        .value_kind:     by_value
      - .address_space:  global
        .offset:         32
        .size:           8
        .value_kind:     global_buffer
      - .offset:         40
        .size:           4
        .value_kind:     by_value
      - .offset:         44
        .size:           1
        .value_kind:     by_value
      - .offset:         48
        .size:           4
        .value_kind:     hidden_block_count_x
      - .offset:         52
        .size:           4
        .value_kind:     hidden_block_count_y
      - .offset:         56
        .size:           4
        .value_kind:     hidden_block_count_z
      - .offset:         60
        .size:           2
        .value_kind:     hidden_group_size_x
      - .offset:         62
        .size:           2
        .value_kind:     hidden_group_size_y
      - .offset:         64
        .size:           2
        .value_kind:     hidden_group_size_z
      - .offset:         66
        .size:           2
        .value_kind:     hidden_remainder_x
      - .offset:         68
        .size:           2
        .value_kind:     hidden_remainder_y
      - .offset:         70
        .size:           2
        .value_kind:     hidden_remainder_z
      - .offset:         88
        .size:           8
        .value_kind:     hidden_global_offset_x
      - .offset:         96
        .size:           8
        .value_kind:     hidden_global_offset_y
      - .offset:         104
        .size:           8
        .value_kind:     hidden_global_offset_z
      - .offset:         112
        .size:           2
        .value_kind:     hidden_grid_dims
    .group_segment_fixed_size: 0
    .kernarg_segment_align: 8
    .kernarg_segment_size: 304
    .language:       OpenCL C
    .language_version:
      - 2
      - 0
    .max_flat_workgroup_size: 1024
    .name:           _ZN12_GLOBAL__N_120softmax_warp_forwardIN3c104HalfEffLi11ELb0ELb0ELi64EEEvPT0_PKT_iiiPKbib
    .private_segment_fixed_size: 0
    .sgpr_count:     46
    .sgpr_spill_count: 0
    .symbol:         _ZN12_GLOBAL__N_120softmax_warp_forwardIN3c104HalfEffLi11ELb0ELb0ELi64EEEvPT0_PKT_iiiPKbib.kd
    .uniform_work_group_size: 1
    .uses_dynamic_stack: false
    .vgpr_count:     94
    .vgpr_spill_count: 0
    .wavefront_size: 32
    .workgroup_processor_mode: 1
  - .args:
      - .address_space:  global
        .offset:         0
        .size:           8
        .value_kind:     global_buffer
      - .address_space:  global
        .offset:         8
        .size:           8
        .value_kind:     global_buffer
      - .offset:         16
        .size:           4
        .value_kind:     by_value
      - .offset:         20
        .size:           4
        .value_kind:     by_value
      - .offset:         24
        .size:           4
        .value_kind:     by_value
      - .address_space:  global
        .offset:         32
        .size:           8
        .value_kind:     global_buffer
      - .offset:         40
        .size:           4
        .value_kind:     by_value
      - .offset:         44
        .size:           1
        .value_kind:     by_value
      - .offset:         48
        .size:           4
        .value_kind:     hidden_block_count_x
      - .offset:         52
        .size:           4
        .value_kind:     hidden_block_count_y
      - .offset:         56
        .size:           4
        .value_kind:     hidden_block_count_z
      - .offset:         60
        .size:           2
        .value_kind:     hidden_group_size_x
      - .offset:         62
        .size:           2
        .value_kind:     hidden_group_size_y
      - .offset:         64
        .size:           2
        .value_kind:     hidden_group_size_z
      - .offset:         66
        .size:           2
        .value_kind:     hidden_remainder_x
      - .offset:         68
        .size:           2
        .value_kind:     hidden_remainder_y
      - .offset:         70
        .size:           2
        .value_kind:     hidden_remainder_z
      - .offset:         88
        .size:           8
        .value_kind:     hidden_global_offset_x
      - .offset:         96
        .size:           8
        .value_kind:     hidden_global_offset_y
      - .offset:         104
        .size:           8
        .value_kind:     hidden_global_offset_z
      - .offset:         112
        .size:           2
        .value_kind:     hidden_grid_dims
    .group_segment_fixed_size: 0
    .kernarg_segment_align: 8
    .kernarg_segment_size: 304
    .language:       OpenCL C
    .language_version:
      - 2
      - 0
    .max_flat_workgroup_size: 1024
    .name:           _ZN12_GLOBAL__N_120softmax_warp_forwardIN3c104HalfEffLi11ELb0ELb0ELi32EEEvPT0_PKT_iiiPKbib
    .private_segment_fixed_size: 0
    .sgpr_count:     78
    .sgpr_spill_count: 0
    .symbol:         _ZN12_GLOBAL__N_120softmax_warp_forwardIN3c104HalfEffLi11ELb0ELb0ELi32EEEvPT0_PKT_iiiPKbib.kd
    .uniform_work_group_size: 1
    .uses_dynamic_stack: false
    .vgpr_count:     77
    .vgpr_spill_count: 0
    .wavefront_size: 32
    .workgroup_processor_mode: 1
  - .args:
      - .address_space:  global
        .offset:         0
        .size:           8
        .value_kind:     global_buffer
      - .address_space:  global
        .offset:         8
        .size:           8
        .value_kind:     global_buffer
      - .offset:         16
        .size:           8
        .value_kind:     by_value
      - .offset:         24
        .size:           4
        .value_kind:     hidden_block_count_x
      - .offset:         28
        .size:           4
        .value_kind:     hidden_block_count_y
      - .offset:         32
        .size:           4
        .value_kind:     hidden_block_count_z
      - .offset:         36
        .size:           2
        .value_kind:     hidden_group_size_x
      - .offset:         38
        .size:           2
        .value_kind:     hidden_group_size_y
      - .offset:         40
        .size:           2
        .value_kind:     hidden_group_size_z
      - .offset:         42
        .size:           2
        .value_kind:     hidden_remainder_x
      - .offset:         44
        .size:           2
        .value_kind:     hidden_remainder_y
      - .offset:         46
        .size:           2
        .value_kind:     hidden_remainder_z
      - .offset:         64
        .size:           8
        .value_kind:     hidden_global_offset_x
      - .offset:         72
        .size:           8
        .value_kind:     hidden_global_offset_y
      - .offset:         80
        .size:           8
        .value_kind:     hidden_global_offset_z
      - .offset:         88
        .size:           2
        .value_kind:     hidden_grid_dims
      - .offset:         144
        .size:           4
        .value_kind:     hidden_dynamic_lds_size
    .group_segment_fixed_size: 0
    .kernarg_segment_align: 8
    .kernarg_segment_size: 280
    .language:       OpenCL C
    .language_version:
      - 2
      - 0
    .max_flat_workgroup_size: 1024
    .name:           _ZN2at6native12_GLOBAL__N_123cunn_SoftMaxForwardGmemILi8EN3c104HalfEffNS1_29SoftMaxForwardWithMulEpilogueElEEvPT2_PKT0_T4_
    .private_segment_fixed_size: 0
    .sgpr_count:     22
    .sgpr_spill_count: 0
    .symbol:         _ZN2at6native12_GLOBAL__N_123cunn_SoftMaxForwardGmemILi8EN3c104HalfEffNS1_29SoftMaxForwardWithMulEpilogueElEEvPT2_PKT0_T4_.kd
    .uniform_work_group_size: 1
    .uses_dynamic_stack: false
    .vgpr_count:     24
    .vgpr_spill_count: 0
    .wavefront_size: 32
    .workgroup_processor_mode: 1
  - .args:
      - .address_space:  global
        .offset:         0
        .size:           8
        .value_kind:     global_buffer
      - .address_space:  global
        .offset:         8
        .size:           8
        .value_kind:     global_buffer
      - .offset:         16
        .size:           4
        .value_kind:     by_value
      - .offset:         24
        .size:           4
        .value_kind:     hidden_block_count_x
      - .offset:         28
        .size:           4
        .value_kind:     hidden_block_count_y
      - .offset:         32
        .size:           4
        .value_kind:     hidden_block_count_z
      - .offset:         36
        .size:           2
        .value_kind:     hidden_group_size_x
      - .offset:         38
        .size:           2
        .value_kind:     hidden_group_size_y
      - .offset:         40
        .size:           2
        .value_kind:     hidden_group_size_z
      - .offset:         42
        .size:           2
        .value_kind:     hidden_remainder_x
      - .offset:         44
        .size:           2
        .value_kind:     hidden_remainder_y
      - .offset:         46
        .size:           2
        .value_kind:     hidden_remainder_z
      - .offset:         64
        .size:           8
        .value_kind:     hidden_global_offset_x
      - .offset:         72
        .size:           8
        .value_kind:     hidden_global_offset_y
      - .offset:         80
        .size:           8
        .value_kind:     hidden_global_offset_z
      - .offset:         88
        .size:           2
        .value_kind:     hidden_grid_dims
      - .offset:         144
        .size:           4
        .value_kind:     hidden_dynamic_lds_size
    .group_segment_fixed_size: 0
    .kernarg_segment_align: 8
    .kernarg_segment_size: 280
    .language:       OpenCL C
    .language_version:
      - 2
      - 0
    .max_flat_workgroup_size: 1024
    .name:           _ZN2at6native12_GLOBAL__N_123cunn_SoftMaxForwardFastILi8EN3c104HalfEffNS1_29SoftMaxForwardWithMulEpilogueEEEvPT2_PKT0_i
    .private_segment_fixed_size: 0
    .sgpr_count:     22
    .sgpr_spill_count: 0
    .symbol:         _ZN2at6native12_GLOBAL__N_123cunn_SoftMaxForwardFastILi8EN3c104HalfEffNS1_29SoftMaxForwardWithMulEpilogueEEEvPT2_PKT0_i.kd
    .uniform_work_group_size: 1
    .uses_dynamic_stack: false
    .vgpr_count:     20
    .vgpr_spill_count: 0
    .wavefront_size: 32
    .workgroup_processor_mode: 1
  - .args:
      - .address_space:  global
        .offset:         0
        .size:           8
        .value_kind:     global_buffer
      - .address_space:  global
        .offset:         8
        .size:           8
        .value_kind:     global_buffer
      - .offset:         16
        .size:           4
        .value_kind:     by_value
      - .offset:         20
        .size:           4
        .value_kind:     by_value
      - .offset:         24
        .size:           4
        .value_kind:     by_value
      - .address_space:  global
        .offset:         32
        .size:           8
        .value_kind:     global_buffer
      - .offset:         40
        .size:           4
        .value_kind:     by_value
      - .offset:         44
        .size:           1
        .value_kind:     by_value
      - .offset:         48
        .size:           4
        .value_kind:     hidden_block_count_x
      - .offset:         52
        .size:           4
        .value_kind:     hidden_block_count_y
      - .offset:         56
        .size:           4
        .value_kind:     hidden_block_count_z
      - .offset:         60
        .size:           2
        .value_kind:     hidden_group_size_x
      - .offset:         62
        .size:           2
        .value_kind:     hidden_group_size_y
      - .offset:         64
        .size:           2
        .value_kind:     hidden_group_size_z
      - .offset:         66
        .size:           2
        .value_kind:     hidden_remainder_x
      - .offset:         68
        .size:           2
        .value_kind:     hidden_remainder_y
      - .offset:         70
        .size:           2
        .value_kind:     hidden_remainder_z
      - .offset:         88
        .size:           8
        .value_kind:     hidden_global_offset_x
      - .offset:         96
        .size:           8
        .value_kind:     hidden_global_offset_y
      - .offset:         104
        .size:           8
        .value_kind:     hidden_global_offset_z
      - .offset:         112
        .size:           2
        .value_kind:     hidden_grid_dims
    .group_segment_fixed_size: 0
    .kernarg_segment_align: 8
    .kernarg_segment_size: 304
    .language:       OpenCL C
    .language_version:
      - 2
      - 0
    .max_flat_workgroup_size: 1024
    .name:           _ZN12_GLOBAL__N_120softmax_warp_forwardIN3c108BFloat16ES2_fLi0ELb0ELb0ELi64EEEvPT0_PKT_iiiPKbib
    .private_segment_fixed_size: 0
    .sgpr_count:     18
    .sgpr_spill_count: 0
    .symbol:         _ZN12_GLOBAL__N_120softmax_warp_forwardIN3c108BFloat16ES2_fLi0ELb0ELb0ELi64EEEvPT0_PKT_iiiPKbib.kd
    .uniform_work_group_size: 1
    .uses_dynamic_stack: false
    .vgpr_count:     9
    .vgpr_spill_count: 0
    .wavefront_size: 32
    .workgroup_processor_mode: 1
  - .args:
      - .address_space:  global
        .offset:         0
        .size:           8
        .value_kind:     global_buffer
      - .address_space:  global
        .offset:         8
        .size:           8
        .value_kind:     global_buffer
      - .offset:         16
        .size:           4
        .value_kind:     by_value
      - .offset:         20
        .size:           4
        .value_kind:     by_value
      - .offset:         24
        .size:           4
        .value_kind:     by_value
      - .address_space:  global
        .offset:         32
        .size:           8
        .value_kind:     global_buffer
      - .offset:         40
        .size:           4
        .value_kind:     by_value
      - .offset:         44
        .size:           1
        .value_kind:     by_value
      - .offset:         48
        .size:           4
        .value_kind:     hidden_block_count_x
      - .offset:         52
        .size:           4
        .value_kind:     hidden_block_count_y
      - .offset:         56
        .size:           4
        .value_kind:     hidden_block_count_z
      - .offset:         60
        .size:           2
        .value_kind:     hidden_group_size_x
      - .offset:         62
        .size:           2
        .value_kind:     hidden_group_size_y
      - .offset:         64
        .size:           2
        .value_kind:     hidden_group_size_z
      - .offset:         66
        .size:           2
        .value_kind:     hidden_remainder_x
      - .offset:         68
        .size:           2
        .value_kind:     hidden_remainder_y
      - .offset:         70
        .size:           2
        .value_kind:     hidden_remainder_z
      - .offset:         88
        .size:           8
        .value_kind:     hidden_global_offset_x
      - .offset:         96
        .size:           8
        .value_kind:     hidden_global_offset_y
      - .offset:         104
        .size:           8
        .value_kind:     hidden_global_offset_z
      - .offset:         112
        .size:           2
        .value_kind:     hidden_grid_dims
    .group_segment_fixed_size: 0
    .kernarg_segment_align: 8
    .kernarg_segment_size: 304
    .language:       OpenCL C
    .language_version:
      - 2
      - 0
    .max_flat_workgroup_size: 1024
    .name:           _ZN12_GLOBAL__N_120softmax_warp_forwardIN3c108BFloat16ES2_fLi0ELb0ELb0ELi32EEEvPT0_PKT_iiiPKbib
    .private_segment_fixed_size: 0
    .sgpr_count:     18
    .sgpr_spill_count: 0
    .symbol:         _ZN12_GLOBAL__N_120softmax_warp_forwardIN3c108BFloat16ES2_fLi0ELb0ELb0ELi32EEEvPT0_PKT_iiiPKbib.kd
    .uniform_work_group_size: 1
    .uses_dynamic_stack: false
    .vgpr_count:     9
    .vgpr_spill_count: 0
    .wavefront_size: 32
    .workgroup_processor_mode: 1
  - .args:
      - .address_space:  global
        .offset:         0
        .size:           8
        .value_kind:     global_buffer
      - .address_space:  global
        .offset:         8
        .size:           8
        .value_kind:     global_buffer
      - .offset:         16
        .size:           4
        .value_kind:     by_value
      - .offset:         20
        .size:           4
        .value_kind:     by_value
      - .offset:         24
        .size:           4
        .value_kind:     by_value
      - .address_space:  global
        .offset:         32
        .size:           8
        .value_kind:     global_buffer
      - .offset:         40
        .size:           4
        .value_kind:     by_value
      - .offset:         44
        .size:           1
        .value_kind:     by_value
      - .offset:         48
        .size:           4
        .value_kind:     hidden_block_count_x
      - .offset:         52
        .size:           4
        .value_kind:     hidden_block_count_y
      - .offset:         56
        .size:           4
        .value_kind:     hidden_block_count_z
      - .offset:         60
        .size:           2
        .value_kind:     hidden_group_size_x
      - .offset:         62
        .size:           2
        .value_kind:     hidden_group_size_y
      - .offset:         64
        .size:           2
        .value_kind:     hidden_group_size_z
      - .offset:         66
        .size:           2
        .value_kind:     hidden_remainder_x
      - .offset:         68
        .size:           2
        .value_kind:     hidden_remainder_y
      - .offset:         70
        .size:           2
        .value_kind:     hidden_remainder_z
      - .offset:         88
        .size:           8
        .value_kind:     hidden_global_offset_x
      - .offset:         96
        .size:           8
        .value_kind:     hidden_global_offset_y
      - .offset:         104
        .size:           8
        .value_kind:     hidden_global_offset_z
      - .offset:         112
        .size:           2
        .value_kind:     hidden_grid_dims
    .group_segment_fixed_size: 0
    .kernarg_segment_align: 8
    .kernarg_segment_size: 304
    .language:       OpenCL C
    .language_version:
      - 2
      - 0
    .max_flat_workgroup_size: 1024
    .name:           _ZN12_GLOBAL__N_120softmax_warp_forwardIN3c108BFloat16ES2_fLi1ELb0ELb0ELi64EEEvPT0_PKT_iiiPKbib
    .private_segment_fixed_size: 0
    .sgpr_count:     18
    .sgpr_spill_count: 0
    .symbol:         _ZN12_GLOBAL__N_120softmax_warp_forwardIN3c108BFloat16ES2_fLi1ELb0ELb0ELi64EEEvPT0_PKT_iiiPKbib.kd
    .uniform_work_group_size: 1
    .uses_dynamic_stack: false
    .vgpr_count:     12
    .vgpr_spill_count: 0
    .wavefront_size: 32
    .workgroup_processor_mode: 1
  - .args:
      - .address_space:  global
        .offset:         0
        .size:           8
        .value_kind:     global_buffer
      - .address_space:  global
        .offset:         8
        .size:           8
        .value_kind:     global_buffer
      - .offset:         16
        .size:           4
        .value_kind:     by_value
      - .offset:         20
        .size:           4
        .value_kind:     by_value
      - .offset:         24
        .size:           4
        .value_kind:     by_value
      - .address_space:  global
        .offset:         32
        .size:           8
        .value_kind:     global_buffer
      - .offset:         40
        .size:           4
        .value_kind:     by_value
      - .offset:         44
        .size:           1
        .value_kind:     by_value
      - .offset:         48
        .size:           4
        .value_kind:     hidden_block_count_x
      - .offset:         52
        .size:           4
        .value_kind:     hidden_block_count_y
      - .offset:         56
        .size:           4
        .value_kind:     hidden_block_count_z
      - .offset:         60
        .size:           2
        .value_kind:     hidden_group_size_x
      - .offset:         62
        .size:           2
        .value_kind:     hidden_group_size_y
      - .offset:         64
        .size:           2
        .value_kind:     hidden_group_size_z
      - .offset:         66
        .size:           2
        .value_kind:     hidden_remainder_x
      - .offset:         68
        .size:           2
        .value_kind:     hidden_remainder_y
      - .offset:         70
        .size:           2
        .value_kind:     hidden_remainder_z
      - .offset:         88
        .size:           8
        .value_kind:     hidden_global_offset_x
      - .offset:         96
        .size:           8
        .value_kind:     hidden_global_offset_y
      - .offset:         104
        .size:           8
        .value_kind:     hidden_global_offset_z
      - .offset:         112
        .size:           2
        .value_kind:     hidden_grid_dims
    .group_segment_fixed_size: 0
    .kernarg_segment_align: 8
    .kernarg_segment_size: 304
    .language:       OpenCL C
    .language_version:
      - 2
      - 0
    .max_flat_workgroup_size: 1024
    .name:           _ZN12_GLOBAL__N_120softmax_warp_forwardIN3c108BFloat16ES2_fLi1ELb0ELb0ELi32EEEvPT0_PKT_iiiPKbib
    .private_segment_fixed_size: 0
    .sgpr_count:     18
    .sgpr_spill_count: 0
    .symbol:         _ZN12_GLOBAL__N_120softmax_warp_forwardIN3c108BFloat16ES2_fLi1ELb0ELb0ELi32EEEvPT0_PKT_iiiPKbib.kd
    .uniform_work_group_size: 1
    .uses_dynamic_stack: false
    .vgpr_count:     12
    .vgpr_spill_count: 0
    .wavefront_size: 32
    .workgroup_processor_mode: 1
  - .args:
      - .address_space:  global
        .offset:         0
        .size:           8
        .value_kind:     global_buffer
      - .address_space:  global
        .offset:         8
        .size:           8
        .value_kind:     global_buffer
      - .offset:         16
        .size:           4
        .value_kind:     by_value
      - .offset:         20
        .size:           4
        .value_kind:     by_value
      - .offset:         24
        .size:           4
        .value_kind:     by_value
      - .address_space:  global
        .offset:         32
        .size:           8
        .value_kind:     global_buffer
      - .offset:         40
        .size:           4
        .value_kind:     by_value
      - .offset:         44
        .size:           1
        .value_kind:     by_value
      - .offset:         48
        .size:           4
        .value_kind:     hidden_block_count_x
      - .offset:         52
        .size:           4
        .value_kind:     hidden_block_count_y
      - .offset:         56
        .size:           4
        .value_kind:     hidden_block_count_z
      - .offset:         60
        .size:           2
        .value_kind:     hidden_group_size_x
      - .offset:         62
        .size:           2
        .value_kind:     hidden_group_size_y
      - .offset:         64
        .size:           2
        .value_kind:     hidden_group_size_z
      - .offset:         66
        .size:           2
        .value_kind:     hidden_remainder_x
      - .offset:         68
        .size:           2
        .value_kind:     hidden_remainder_y
      - .offset:         70
        .size:           2
        .value_kind:     hidden_remainder_z
      - .offset:         88
        .size:           8
        .value_kind:     hidden_global_offset_x
      - .offset:         96
        .size:           8
        .value_kind:     hidden_global_offset_y
      - .offset:         104
        .size:           8
        .value_kind:     hidden_global_offset_z
      - .offset:         112
        .size:           2
        .value_kind:     hidden_grid_dims
    .group_segment_fixed_size: 0
    .kernarg_segment_align: 8
    .kernarg_segment_size: 304
    .language:       OpenCL C
    .language_version:
      - 2
      - 0
    .max_flat_workgroup_size: 1024
    .name:           _ZN12_GLOBAL__N_120softmax_warp_forwardIN3c108BFloat16ES2_fLi2ELb0ELb0ELi64EEEvPT0_PKT_iiiPKbib
    .private_segment_fixed_size: 0
    .sgpr_count:     18
    .sgpr_spill_count: 0
    .symbol:         _ZN12_GLOBAL__N_120softmax_warp_forwardIN3c108BFloat16ES2_fLi2ELb0ELb0ELi64EEEvPT0_PKT_iiiPKbib.kd
    .uniform_work_group_size: 1
    .uses_dynamic_stack: false
    .vgpr_count:     13
    .vgpr_spill_count: 0
    .wavefront_size: 32
    .workgroup_processor_mode: 1
  - .args:
      - .address_space:  global
        .offset:         0
        .size:           8
        .value_kind:     global_buffer
      - .address_space:  global
        .offset:         8
        .size:           8
        .value_kind:     global_buffer
      - .offset:         16
        .size:           4
        .value_kind:     by_value
      - .offset:         20
        .size:           4
        .value_kind:     by_value
      - .offset:         24
        .size:           4
        .value_kind:     by_value
      - .address_space:  global
        .offset:         32
        .size:           8
        .value_kind:     global_buffer
      - .offset:         40
        .size:           4
        .value_kind:     by_value
      - .offset:         44
        .size:           1
        .value_kind:     by_value
      - .offset:         48
        .size:           4
        .value_kind:     hidden_block_count_x
      - .offset:         52
        .size:           4
        .value_kind:     hidden_block_count_y
      - .offset:         56
        .size:           4
        .value_kind:     hidden_block_count_z
      - .offset:         60
        .size:           2
        .value_kind:     hidden_group_size_x
      - .offset:         62
        .size:           2
        .value_kind:     hidden_group_size_y
      - .offset:         64
        .size:           2
        .value_kind:     hidden_group_size_z
      - .offset:         66
        .size:           2
        .value_kind:     hidden_remainder_x
      - .offset:         68
        .size:           2
        .value_kind:     hidden_remainder_y
      - .offset:         70
        .size:           2
        .value_kind:     hidden_remainder_z
      - .offset:         88
        .size:           8
        .value_kind:     hidden_global_offset_x
      - .offset:         96
        .size:           8
        .value_kind:     hidden_global_offset_y
      - .offset:         104
        .size:           8
        .value_kind:     hidden_global_offset_z
      - .offset:         112
        .size:           2
        .value_kind:     hidden_grid_dims
    .group_segment_fixed_size: 0
    .kernarg_segment_align: 8
    .kernarg_segment_size: 304
    .language:       OpenCL C
    .language_version:
      - 2
      - 0
    .max_flat_workgroup_size: 1024
    .name:           _ZN12_GLOBAL__N_120softmax_warp_forwardIN3c108BFloat16ES2_fLi2ELb0ELb0ELi32EEEvPT0_PKT_iiiPKbib
    .private_segment_fixed_size: 0
    .sgpr_count:     18
    .sgpr_spill_count: 0
    .symbol:         _ZN12_GLOBAL__N_120softmax_warp_forwardIN3c108BFloat16ES2_fLi2ELb0ELb0ELi32EEEvPT0_PKT_iiiPKbib.kd
    .uniform_work_group_size: 1
    .uses_dynamic_stack: false
    .vgpr_count:     13
    .vgpr_spill_count: 0
    .wavefront_size: 32
    .workgroup_processor_mode: 1
  - .args:
      - .address_space:  global
        .offset:         0
        .size:           8
        .value_kind:     global_buffer
      - .address_space:  global
        .offset:         8
        .size:           8
        .value_kind:     global_buffer
      - .offset:         16
        .size:           4
        .value_kind:     by_value
      - .offset:         20
        .size:           4
        .value_kind:     by_value
      - .offset:         24
        .size:           4
        .value_kind:     by_value
      - .address_space:  global
        .offset:         32
        .size:           8
        .value_kind:     global_buffer
      - .offset:         40
        .size:           4
        .value_kind:     by_value
      - .offset:         44
        .size:           1
        .value_kind:     by_value
      - .offset:         48
        .size:           4
        .value_kind:     hidden_block_count_x
      - .offset:         52
        .size:           4
        .value_kind:     hidden_block_count_y
      - .offset:         56
        .size:           4
        .value_kind:     hidden_block_count_z
      - .offset:         60
        .size:           2
        .value_kind:     hidden_group_size_x
      - .offset:         62
        .size:           2
        .value_kind:     hidden_group_size_y
      - .offset:         64
        .size:           2
        .value_kind:     hidden_group_size_z
      - .offset:         66
        .size:           2
        .value_kind:     hidden_remainder_x
      - .offset:         68
        .size:           2
        .value_kind:     hidden_remainder_y
      - .offset:         70
        .size:           2
        .value_kind:     hidden_remainder_z
      - .offset:         88
        .size:           8
        .value_kind:     hidden_global_offset_x
      - .offset:         96
        .size:           8
        .value_kind:     hidden_global_offset_y
      - .offset:         104
        .size:           8
        .value_kind:     hidden_global_offset_z
      - .offset:         112
        .size:           2
        .value_kind:     hidden_grid_dims
    .group_segment_fixed_size: 0
    .kernarg_segment_align: 8
    .kernarg_segment_size: 304
    .language:       OpenCL C
    .language_version:
      - 2
      - 0
    .max_flat_workgroup_size: 1024
    .name:           _ZN12_GLOBAL__N_120softmax_warp_forwardIN3c108BFloat16ES2_fLi3ELb0ELb0ELi64EEEvPT0_PKT_iiiPKbib
    .private_segment_fixed_size: 0
    .sgpr_count:     18
    .sgpr_spill_count: 0
    .symbol:         _ZN12_GLOBAL__N_120softmax_warp_forwardIN3c108BFloat16ES2_fLi3ELb0ELb0ELi64EEEvPT0_PKT_iiiPKbib.kd
    .uniform_work_group_size: 1
    .uses_dynamic_stack: false
    .vgpr_count:     14
    .vgpr_spill_count: 0
    .wavefront_size: 32
    .workgroup_processor_mode: 1
  - .args:
      - .address_space:  global
        .offset:         0
        .size:           8
        .value_kind:     global_buffer
      - .address_space:  global
        .offset:         8
        .size:           8
        .value_kind:     global_buffer
      - .offset:         16
        .size:           4
        .value_kind:     by_value
      - .offset:         20
        .size:           4
        .value_kind:     by_value
      - .offset:         24
        .size:           4
        .value_kind:     by_value
      - .address_space:  global
        .offset:         32
        .size:           8
        .value_kind:     global_buffer
      - .offset:         40
        .size:           4
        .value_kind:     by_value
      - .offset:         44
        .size:           1
        .value_kind:     by_value
      - .offset:         48
        .size:           4
        .value_kind:     hidden_block_count_x
      - .offset:         52
        .size:           4
        .value_kind:     hidden_block_count_y
      - .offset:         56
        .size:           4
        .value_kind:     hidden_block_count_z
      - .offset:         60
        .size:           2
        .value_kind:     hidden_group_size_x
      - .offset:         62
        .size:           2
        .value_kind:     hidden_group_size_y
      - .offset:         64
        .size:           2
        .value_kind:     hidden_group_size_z
      - .offset:         66
        .size:           2
        .value_kind:     hidden_remainder_x
      - .offset:         68
        .size:           2
        .value_kind:     hidden_remainder_y
      - .offset:         70
        .size:           2
        .value_kind:     hidden_remainder_z
      - .offset:         88
        .size:           8
        .value_kind:     hidden_global_offset_x
      - .offset:         96
        .size:           8
        .value_kind:     hidden_global_offset_y
      - .offset:         104
        .size:           8
        .value_kind:     hidden_global_offset_z
      - .offset:         112
        .size:           2
        .value_kind:     hidden_grid_dims
    .group_segment_fixed_size: 0
    .kernarg_segment_align: 8
    .kernarg_segment_size: 304
    .language:       OpenCL C
    .language_version:
      - 2
      - 0
    .max_flat_workgroup_size: 1024
    .name:           _ZN12_GLOBAL__N_120softmax_warp_forwardIN3c108BFloat16ES2_fLi3ELb0ELb0ELi32EEEvPT0_PKT_iiiPKbib
    .private_segment_fixed_size: 0
    .sgpr_count:     18
    .sgpr_spill_count: 0
    .symbol:         _ZN12_GLOBAL__N_120softmax_warp_forwardIN3c108BFloat16ES2_fLi3ELb0ELb0ELi32EEEvPT0_PKT_iiiPKbib.kd
    .uniform_work_group_size: 1
    .uses_dynamic_stack: false
    .vgpr_count:     14
    .vgpr_spill_count: 0
    .wavefront_size: 32
    .workgroup_processor_mode: 1
  - .args:
      - .address_space:  global
        .offset:         0
        .size:           8
        .value_kind:     global_buffer
      - .address_space:  global
        .offset:         8
        .size:           8
        .value_kind:     global_buffer
      - .offset:         16
        .size:           4
        .value_kind:     by_value
      - .offset:         20
        .size:           4
        .value_kind:     by_value
      - .offset:         24
        .size:           4
        .value_kind:     by_value
      - .address_space:  global
        .offset:         32
        .size:           8
        .value_kind:     global_buffer
      - .offset:         40
        .size:           4
        .value_kind:     by_value
      - .offset:         44
        .size:           1
        .value_kind:     by_value
      - .offset:         48
        .size:           4
        .value_kind:     hidden_block_count_x
      - .offset:         52
        .size:           4
        .value_kind:     hidden_block_count_y
      - .offset:         56
        .size:           4
        .value_kind:     hidden_block_count_z
      - .offset:         60
        .size:           2
        .value_kind:     hidden_group_size_x
      - .offset:         62
        .size:           2
        .value_kind:     hidden_group_size_y
      - .offset:         64
        .size:           2
        .value_kind:     hidden_group_size_z
      - .offset:         66
        .size:           2
        .value_kind:     hidden_remainder_x
      - .offset:         68
        .size:           2
        .value_kind:     hidden_remainder_y
      - .offset:         70
        .size:           2
        .value_kind:     hidden_remainder_z
      - .offset:         88
        .size:           8
        .value_kind:     hidden_global_offset_x
      - .offset:         96
        .size:           8
        .value_kind:     hidden_global_offset_y
      - .offset:         104
        .size:           8
        .value_kind:     hidden_global_offset_z
      - .offset:         112
        .size:           2
        .value_kind:     hidden_grid_dims
    .group_segment_fixed_size: 0
    .kernarg_segment_align: 8
    .kernarg_segment_size: 304
    .language:       OpenCL C
    .language_version:
      - 2
      - 0
    .max_flat_workgroup_size: 1024
    .name:           _ZN12_GLOBAL__N_120softmax_warp_forwardIN3c108BFloat16ES2_fLi4ELb0ELb0ELi64EEEvPT0_PKT_iiiPKbib
    .private_segment_fixed_size: 0
    .sgpr_count:     18
    .sgpr_spill_count: 0
    .symbol:         _ZN12_GLOBAL__N_120softmax_warp_forwardIN3c108BFloat16ES2_fLi4ELb0ELb0ELi64EEEvPT0_PKT_iiiPKbib.kd
    .uniform_work_group_size: 1
    .uses_dynamic_stack: false
    .vgpr_count:     15
    .vgpr_spill_count: 0
    .wavefront_size: 32
    .workgroup_processor_mode: 1
  - .args:
      - .address_space:  global
        .offset:         0
        .size:           8
        .value_kind:     global_buffer
      - .address_space:  global
        .offset:         8
        .size:           8
        .value_kind:     global_buffer
      - .offset:         16
        .size:           4
        .value_kind:     by_value
      - .offset:         20
        .size:           4
        .value_kind:     by_value
      - .offset:         24
        .size:           4
        .value_kind:     by_value
      - .address_space:  global
        .offset:         32
        .size:           8
        .value_kind:     global_buffer
      - .offset:         40
        .size:           4
        .value_kind:     by_value
      - .offset:         44
        .size:           1
        .value_kind:     by_value
      - .offset:         48
        .size:           4
        .value_kind:     hidden_block_count_x
      - .offset:         52
        .size:           4
        .value_kind:     hidden_block_count_y
      - .offset:         56
        .size:           4
        .value_kind:     hidden_block_count_z
      - .offset:         60
        .size:           2
        .value_kind:     hidden_group_size_x
      - .offset:         62
        .size:           2
        .value_kind:     hidden_group_size_y
      - .offset:         64
        .size:           2
        .value_kind:     hidden_group_size_z
      - .offset:         66
        .size:           2
        .value_kind:     hidden_remainder_x
      - .offset:         68
        .size:           2
        .value_kind:     hidden_remainder_y
      - .offset:         70
        .size:           2
        .value_kind:     hidden_remainder_z
      - .offset:         88
        .size:           8
        .value_kind:     hidden_global_offset_x
      - .offset:         96
        .size:           8
        .value_kind:     hidden_global_offset_y
      - .offset:         104
        .size:           8
        .value_kind:     hidden_global_offset_z
      - .offset:         112
        .size:           2
        .value_kind:     hidden_grid_dims
    .group_segment_fixed_size: 0
    .kernarg_segment_align: 8
    .kernarg_segment_size: 304
    .language:       OpenCL C
    .language_version:
      - 2
      - 0
    .max_flat_workgroup_size: 1024
    .name:           _ZN12_GLOBAL__N_120softmax_warp_forwardIN3c108BFloat16ES2_fLi4ELb0ELb0ELi32EEEvPT0_PKT_iiiPKbib
    .private_segment_fixed_size: 0
    .sgpr_count:     18
    .sgpr_spill_count: 0
    .symbol:         _ZN12_GLOBAL__N_120softmax_warp_forwardIN3c108BFloat16ES2_fLi4ELb0ELb0ELi32EEEvPT0_PKT_iiiPKbib.kd
    .uniform_work_group_size: 1
    .uses_dynamic_stack: false
    .vgpr_count:     15
    .vgpr_spill_count: 0
    .wavefront_size: 32
    .workgroup_processor_mode: 1
  - .args:
      - .address_space:  global
        .offset:         0
        .size:           8
        .value_kind:     global_buffer
      - .address_space:  global
        .offset:         8
        .size:           8
        .value_kind:     global_buffer
      - .offset:         16
        .size:           4
        .value_kind:     by_value
      - .offset:         20
        .size:           4
        .value_kind:     by_value
      - .offset:         24
        .size:           4
        .value_kind:     by_value
      - .address_space:  global
        .offset:         32
        .size:           8
        .value_kind:     global_buffer
      - .offset:         40
        .size:           4
        .value_kind:     by_value
      - .offset:         44
        .size:           1
        .value_kind:     by_value
      - .offset:         48
        .size:           4
        .value_kind:     hidden_block_count_x
      - .offset:         52
        .size:           4
        .value_kind:     hidden_block_count_y
      - .offset:         56
        .size:           4
        .value_kind:     hidden_block_count_z
      - .offset:         60
        .size:           2
        .value_kind:     hidden_group_size_x
      - .offset:         62
        .size:           2
        .value_kind:     hidden_group_size_y
      - .offset:         64
        .size:           2
        .value_kind:     hidden_group_size_z
      - .offset:         66
        .size:           2
        .value_kind:     hidden_remainder_x
      - .offset:         68
        .size:           2
        .value_kind:     hidden_remainder_y
      - .offset:         70
        .size:           2
        .value_kind:     hidden_remainder_z
      - .offset:         88
        .size:           8
        .value_kind:     hidden_global_offset_x
      - .offset:         96
        .size:           8
        .value_kind:     hidden_global_offset_y
      - .offset:         104
        .size:           8
        .value_kind:     hidden_global_offset_z
      - .offset:         112
        .size:           2
        .value_kind:     hidden_grid_dims
    .group_segment_fixed_size: 0
    .kernarg_segment_align: 8
    .kernarg_segment_size: 304
    .language:       OpenCL C
    .language_version:
      - 2
      - 0
    .max_flat_workgroup_size: 1024
    .name:           _ZN12_GLOBAL__N_120softmax_warp_forwardIN3c108BFloat16ES2_fLi5ELb0ELb0ELi64EEEvPT0_PKT_iiiPKbib
    .private_segment_fixed_size: 0
    .sgpr_count:     18
    .sgpr_spill_count: 0
    .symbol:         _ZN12_GLOBAL__N_120softmax_warp_forwardIN3c108BFloat16ES2_fLi5ELb0ELb0ELi64EEEvPT0_PKT_iiiPKbib.kd
    .uniform_work_group_size: 1
    .uses_dynamic_stack: false
    .vgpr_count:     16
    .vgpr_spill_count: 0
    .wavefront_size: 32
    .workgroup_processor_mode: 1
  - .args:
      - .address_space:  global
        .offset:         0
        .size:           8
        .value_kind:     global_buffer
      - .address_space:  global
        .offset:         8
        .size:           8
        .value_kind:     global_buffer
      - .offset:         16
        .size:           4
        .value_kind:     by_value
      - .offset:         20
        .size:           4
        .value_kind:     by_value
      - .offset:         24
        .size:           4
        .value_kind:     by_value
      - .address_space:  global
        .offset:         32
        .size:           8
        .value_kind:     global_buffer
      - .offset:         40
        .size:           4
        .value_kind:     by_value
      - .offset:         44
        .size:           1
        .value_kind:     by_value
      - .offset:         48
        .size:           4
        .value_kind:     hidden_block_count_x
      - .offset:         52
        .size:           4
        .value_kind:     hidden_block_count_y
      - .offset:         56
        .size:           4
        .value_kind:     hidden_block_count_z
      - .offset:         60
        .size:           2
        .value_kind:     hidden_group_size_x
      - .offset:         62
        .size:           2
        .value_kind:     hidden_group_size_y
      - .offset:         64
        .size:           2
        .value_kind:     hidden_group_size_z
      - .offset:         66
        .size:           2
        .value_kind:     hidden_remainder_x
      - .offset:         68
        .size:           2
        .value_kind:     hidden_remainder_y
      - .offset:         70
        .size:           2
        .value_kind:     hidden_remainder_z
      - .offset:         88
        .size:           8
        .value_kind:     hidden_global_offset_x
      - .offset:         96
        .size:           8
        .value_kind:     hidden_global_offset_y
      - .offset:         104
        .size:           8
        .value_kind:     hidden_global_offset_z
      - .offset:         112
        .size:           2
        .value_kind:     hidden_grid_dims
    .group_segment_fixed_size: 0
    .kernarg_segment_align: 8
    .kernarg_segment_size: 304
    .language:       OpenCL C
    .language_version:
      - 2
      - 0
    .max_flat_workgroup_size: 1024
    .name:           _ZN12_GLOBAL__N_120softmax_warp_forwardIN3c108BFloat16ES2_fLi5ELb0ELb0ELi32EEEvPT0_PKT_iiiPKbib
    .private_segment_fixed_size: 0
    .sgpr_count:     18
    .sgpr_spill_count: 0
    .symbol:         _ZN12_GLOBAL__N_120softmax_warp_forwardIN3c108BFloat16ES2_fLi5ELb0ELb0ELi32EEEvPT0_PKT_iiiPKbib.kd
    .uniform_work_group_size: 1
    .uses_dynamic_stack: false
    .vgpr_count:     16
    .vgpr_spill_count: 0
    .wavefront_size: 32
    .workgroup_processor_mode: 1
  - .args:
      - .address_space:  global
        .offset:         0
        .size:           8
        .value_kind:     global_buffer
      - .address_space:  global
        .offset:         8
        .size:           8
        .value_kind:     global_buffer
      - .offset:         16
        .size:           4
        .value_kind:     by_value
      - .offset:         20
        .size:           4
        .value_kind:     by_value
      - .offset:         24
        .size:           4
        .value_kind:     by_value
      - .address_space:  global
        .offset:         32
        .size:           8
        .value_kind:     global_buffer
      - .offset:         40
        .size:           4
        .value_kind:     by_value
      - .offset:         44
        .size:           1
        .value_kind:     by_value
      - .offset:         48
        .size:           4
        .value_kind:     hidden_block_count_x
      - .offset:         52
        .size:           4
        .value_kind:     hidden_block_count_y
      - .offset:         56
        .size:           4
        .value_kind:     hidden_block_count_z
      - .offset:         60
        .size:           2
        .value_kind:     hidden_group_size_x
      - .offset:         62
        .size:           2
        .value_kind:     hidden_group_size_y
      - .offset:         64
        .size:           2
        .value_kind:     hidden_group_size_z
      - .offset:         66
        .size:           2
        .value_kind:     hidden_remainder_x
      - .offset:         68
        .size:           2
        .value_kind:     hidden_remainder_y
      - .offset:         70
        .size:           2
        .value_kind:     hidden_remainder_z
      - .offset:         88
        .size:           8
        .value_kind:     hidden_global_offset_x
      - .offset:         96
        .size:           8
        .value_kind:     hidden_global_offset_y
      - .offset:         104
        .size:           8
        .value_kind:     hidden_global_offset_z
      - .offset:         112
        .size:           2
        .value_kind:     hidden_grid_dims
    .group_segment_fixed_size: 0
    .kernarg_segment_align: 8
    .kernarg_segment_size: 304
    .language:       OpenCL C
    .language_version:
      - 2
      - 0
    .max_flat_workgroup_size: 1024
    .name:           _ZN12_GLOBAL__N_120softmax_warp_forwardIN3c108BFloat16ES2_fLi6ELb0ELb0ELi64EEEvPT0_PKT_iiiPKbib
    .private_segment_fixed_size: 0
    .sgpr_count:     18
    .sgpr_spill_count: 0
    .symbol:         _ZN12_GLOBAL__N_120softmax_warp_forwardIN3c108BFloat16ES2_fLi6ELb0ELb0ELi64EEEvPT0_PKT_iiiPKbib.kd
    .uniform_work_group_size: 1
    .uses_dynamic_stack: false
    .vgpr_count:     17
    .vgpr_spill_count: 0
    .wavefront_size: 32
    .workgroup_processor_mode: 1
  - .args:
      - .address_space:  global
        .offset:         0
        .size:           8
        .value_kind:     global_buffer
      - .address_space:  global
        .offset:         8
        .size:           8
        .value_kind:     global_buffer
      - .offset:         16
        .size:           4
        .value_kind:     by_value
      - .offset:         20
        .size:           4
        .value_kind:     by_value
      - .offset:         24
        .size:           4
        .value_kind:     by_value
      - .address_space:  global
        .offset:         32
        .size:           8
        .value_kind:     global_buffer
      - .offset:         40
        .size:           4
        .value_kind:     by_value
      - .offset:         44
        .size:           1
        .value_kind:     by_value
      - .offset:         48
        .size:           4
        .value_kind:     hidden_block_count_x
      - .offset:         52
        .size:           4
        .value_kind:     hidden_block_count_y
      - .offset:         56
        .size:           4
        .value_kind:     hidden_block_count_z
      - .offset:         60
        .size:           2
        .value_kind:     hidden_group_size_x
      - .offset:         62
        .size:           2
        .value_kind:     hidden_group_size_y
      - .offset:         64
        .size:           2
        .value_kind:     hidden_group_size_z
      - .offset:         66
        .size:           2
        .value_kind:     hidden_remainder_x
      - .offset:         68
        .size:           2
        .value_kind:     hidden_remainder_y
      - .offset:         70
        .size:           2
        .value_kind:     hidden_remainder_z
      - .offset:         88
        .size:           8
        .value_kind:     hidden_global_offset_x
      - .offset:         96
        .size:           8
        .value_kind:     hidden_global_offset_y
      - .offset:         104
        .size:           8
        .value_kind:     hidden_global_offset_z
      - .offset:         112
        .size:           2
        .value_kind:     hidden_grid_dims
    .group_segment_fixed_size: 0
    .kernarg_segment_align: 8
    .kernarg_segment_size: 304
    .language:       OpenCL C
    .language_version:
      - 2
      - 0
    .max_flat_workgroup_size: 1024
    .name:           _ZN12_GLOBAL__N_120softmax_warp_forwardIN3c108BFloat16ES2_fLi6ELb0ELb0ELi32EEEvPT0_PKT_iiiPKbib
    .private_segment_fixed_size: 0
    .sgpr_count:     18
    .sgpr_spill_count: 0
    .symbol:         _ZN12_GLOBAL__N_120softmax_warp_forwardIN3c108BFloat16ES2_fLi6ELb0ELb0ELi32EEEvPT0_PKT_iiiPKbib.kd
    .uniform_work_group_size: 1
    .uses_dynamic_stack: false
    .vgpr_count:     24
    .vgpr_spill_count: 0
    .wavefront_size: 32
    .workgroup_processor_mode: 1
  - .args:
      - .address_space:  global
        .offset:         0
        .size:           8
        .value_kind:     global_buffer
      - .address_space:  global
        .offset:         8
        .size:           8
        .value_kind:     global_buffer
      - .offset:         16
        .size:           4
        .value_kind:     by_value
      - .offset:         20
        .size:           4
        .value_kind:     by_value
      - .offset:         24
        .size:           4
        .value_kind:     by_value
      - .address_space:  global
        .offset:         32
        .size:           8
        .value_kind:     global_buffer
      - .offset:         40
        .size:           4
        .value_kind:     by_value
      - .offset:         44
        .size:           1
        .value_kind:     by_value
      - .offset:         48
        .size:           4
        .value_kind:     hidden_block_count_x
      - .offset:         52
        .size:           4
        .value_kind:     hidden_block_count_y
      - .offset:         56
        .size:           4
        .value_kind:     hidden_block_count_z
      - .offset:         60
        .size:           2
        .value_kind:     hidden_group_size_x
      - .offset:         62
        .size:           2
        .value_kind:     hidden_group_size_y
      - .offset:         64
        .size:           2
        .value_kind:     hidden_group_size_z
      - .offset:         66
        .size:           2
        .value_kind:     hidden_remainder_x
      - .offset:         68
        .size:           2
        .value_kind:     hidden_remainder_y
      - .offset:         70
        .size:           2
        .value_kind:     hidden_remainder_z
      - .offset:         88
        .size:           8
        .value_kind:     hidden_global_offset_x
      - .offset:         96
        .size:           8
        .value_kind:     hidden_global_offset_y
      - .offset:         104
        .size:           8
        .value_kind:     hidden_global_offset_z
      - .offset:         112
        .size:           2
        .value_kind:     hidden_grid_dims
    .group_segment_fixed_size: 0
    .kernarg_segment_align: 8
    .kernarg_segment_size: 304
    .language:       OpenCL C
    .language_version:
      - 2
      - 0
    .max_flat_workgroup_size: 1024
    .name:           _ZN12_GLOBAL__N_120softmax_warp_forwardIN3c108BFloat16ES2_fLi7ELb0ELb0ELi64EEEvPT0_PKT_iiiPKbib
    .private_segment_fixed_size: 0
    .sgpr_count:     18
    .sgpr_spill_count: 0
    .symbol:         _ZN12_GLOBAL__N_120softmax_warp_forwardIN3c108BFloat16ES2_fLi7ELb0ELb0ELi64EEEvPT0_PKT_iiiPKbib.kd
    .uniform_work_group_size: 1
    .uses_dynamic_stack: false
    .vgpr_count:     25
    .vgpr_spill_count: 0
    .wavefront_size: 32
    .workgroup_processor_mode: 1
  - .args:
      - .address_space:  global
        .offset:         0
        .size:           8
        .value_kind:     global_buffer
      - .address_space:  global
        .offset:         8
        .size:           8
        .value_kind:     global_buffer
      - .offset:         16
        .size:           4
        .value_kind:     by_value
      - .offset:         20
        .size:           4
        .value_kind:     by_value
      - .offset:         24
        .size:           4
        .value_kind:     by_value
      - .address_space:  global
        .offset:         32
        .size:           8
        .value_kind:     global_buffer
      - .offset:         40
        .size:           4
        .value_kind:     by_value
      - .offset:         44
        .size:           1
        .value_kind:     by_value
      - .offset:         48
        .size:           4
        .value_kind:     hidden_block_count_x
      - .offset:         52
        .size:           4
        .value_kind:     hidden_block_count_y
      - .offset:         56
        .size:           4
        .value_kind:     hidden_block_count_z
      - .offset:         60
        .size:           2
        .value_kind:     hidden_group_size_x
      - .offset:         62
        .size:           2
        .value_kind:     hidden_group_size_y
      - .offset:         64
        .size:           2
        .value_kind:     hidden_group_size_z
      - .offset:         66
        .size:           2
        .value_kind:     hidden_remainder_x
      - .offset:         68
        .size:           2
        .value_kind:     hidden_remainder_y
      - .offset:         70
        .size:           2
        .value_kind:     hidden_remainder_z
      - .offset:         88
        .size:           8
        .value_kind:     hidden_global_offset_x
      - .offset:         96
        .size:           8
        .value_kind:     hidden_global_offset_y
      - .offset:         104
        .size:           8
        .value_kind:     hidden_global_offset_z
      - .offset:         112
        .size:           2
        .value_kind:     hidden_grid_dims
    .group_segment_fixed_size: 0
    .kernarg_segment_align: 8
    .kernarg_segment_size: 304
    .language:       OpenCL C
    .language_version:
      - 2
      - 0
    .max_flat_workgroup_size: 1024
    .name:           _ZN12_GLOBAL__N_120softmax_warp_forwardIN3c108BFloat16ES2_fLi7ELb0ELb0ELi32EEEvPT0_PKT_iiiPKbib
    .private_segment_fixed_size: 0
    .sgpr_count:     26
    .sgpr_spill_count: 0
    .symbol:         _ZN12_GLOBAL__N_120softmax_warp_forwardIN3c108BFloat16ES2_fLi7ELb0ELb0ELi32EEEvPT0_PKT_iiiPKbib.kd
    .uniform_work_group_size: 1
    .uses_dynamic_stack: false
    .vgpr_count:     40
    .vgpr_spill_count: 0
    .wavefront_size: 32
    .workgroup_processor_mode: 1
  - .args:
      - .address_space:  global
        .offset:         0
        .size:           8
        .value_kind:     global_buffer
      - .address_space:  global
        .offset:         8
        .size:           8
        .value_kind:     global_buffer
      - .offset:         16
        .size:           4
        .value_kind:     by_value
      - .offset:         20
        .size:           4
        .value_kind:     by_value
      - .offset:         24
        .size:           4
        .value_kind:     by_value
      - .address_space:  global
        .offset:         32
        .size:           8
        .value_kind:     global_buffer
      - .offset:         40
        .size:           4
        .value_kind:     by_value
      - .offset:         44
        .size:           1
        .value_kind:     by_value
      - .offset:         48
        .size:           4
        .value_kind:     hidden_block_count_x
      - .offset:         52
        .size:           4
        .value_kind:     hidden_block_count_y
      - .offset:         56
        .size:           4
        .value_kind:     hidden_block_count_z
      - .offset:         60
        .size:           2
        .value_kind:     hidden_group_size_x
      - .offset:         62
        .size:           2
        .value_kind:     hidden_group_size_y
      - .offset:         64
        .size:           2
        .value_kind:     hidden_group_size_z
      - .offset:         66
        .size:           2
        .value_kind:     hidden_remainder_x
      - .offset:         68
        .size:           2
        .value_kind:     hidden_remainder_y
      - .offset:         70
        .size:           2
        .value_kind:     hidden_remainder_z
      - .offset:         88
        .size:           8
        .value_kind:     hidden_global_offset_x
      - .offset:         96
        .size:           8
        .value_kind:     hidden_global_offset_y
      - .offset:         104
        .size:           8
        .value_kind:     hidden_global_offset_z
      - .offset:         112
        .size:           2
        .value_kind:     hidden_grid_dims
    .group_segment_fixed_size: 0
    .kernarg_segment_align: 8
    .kernarg_segment_size: 304
    .language:       OpenCL C
    .language_version:
      - 2
      - 0
    .max_flat_workgroup_size: 1024
    .name:           _ZN12_GLOBAL__N_120softmax_warp_forwardIN3c108BFloat16ES2_fLi8ELb0ELb0ELi64EEEvPT0_PKT_iiiPKbib
    .private_segment_fixed_size: 0
    .sgpr_count:     18
    .sgpr_spill_count: 0
    .symbol:         _ZN12_GLOBAL__N_120softmax_warp_forwardIN3c108BFloat16ES2_fLi8ELb0ELb0ELi64EEEvPT0_PKT_iiiPKbib.kd
    .uniform_work_group_size: 1
    .uses_dynamic_stack: false
    .vgpr_count:     24
    .vgpr_spill_count: 0
    .wavefront_size: 32
    .workgroup_processor_mode: 1
  - .args:
      - .address_space:  global
        .offset:         0
        .size:           8
        .value_kind:     global_buffer
      - .address_space:  global
        .offset:         8
        .size:           8
        .value_kind:     global_buffer
      - .offset:         16
        .size:           4
        .value_kind:     by_value
      - .offset:         20
        .size:           4
        .value_kind:     by_value
      - .offset:         24
        .size:           4
        .value_kind:     by_value
      - .address_space:  global
        .offset:         32
        .size:           8
        .value_kind:     global_buffer
      - .offset:         40
        .size:           4
        .value_kind:     by_value
      - .offset:         44
        .size:           1
        .value_kind:     by_value
      - .offset:         48
        .size:           4
        .value_kind:     hidden_block_count_x
      - .offset:         52
        .size:           4
        .value_kind:     hidden_block_count_y
      - .offset:         56
        .size:           4
        .value_kind:     hidden_block_count_z
      - .offset:         60
        .size:           2
        .value_kind:     hidden_group_size_x
      - .offset:         62
        .size:           2
        .value_kind:     hidden_group_size_y
      - .offset:         64
        .size:           2
        .value_kind:     hidden_group_size_z
      - .offset:         66
        .size:           2
        .value_kind:     hidden_remainder_x
      - .offset:         68
        .size:           2
        .value_kind:     hidden_remainder_y
      - .offset:         70
        .size:           2
        .value_kind:     hidden_remainder_z
      - .offset:         88
        .size:           8
        .value_kind:     hidden_global_offset_x
      - .offset:         96
        .size:           8
        .value_kind:     hidden_global_offset_y
      - .offset:         104
        .size:           8
        .value_kind:     hidden_global_offset_z
      - .offset:         112
        .size:           2
        .value_kind:     hidden_grid_dims
    .group_segment_fixed_size: 0
    .kernarg_segment_align: 8
    .kernarg_segment_size: 304
    .language:       OpenCL C
    .language_version:
      - 2
      - 0
    .max_flat_workgroup_size: 1024
    .name:           _ZN12_GLOBAL__N_120softmax_warp_forwardIN3c108BFloat16ES2_fLi8ELb0ELb0ELi32EEEvPT0_PKT_iiiPKbib
    .private_segment_fixed_size: 0
    .sgpr_count:     26
    .sgpr_spill_count: 0
    .symbol:         _ZN12_GLOBAL__N_120softmax_warp_forwardIN3c108BFloat16ES2_fLi8ELb0ELb0ELi32EEEvPT0_PKT_iiiPKbib.kd
    .uniform_work_group_size: 1
    .uses_dynamic_stack: false
    .vgpr_count:     40
    .vgpr_spill_count: 0
    .wavefront_size: 32
    .workgroup_processor_mode: 1
  - .args:
      - .address_space:  global
        .offset:         0
        .size:           8
        .value_kind:     global_buffer
      - .address_space:  global
        .offset:         8
        .size:           8
        .value_kind:     global_buffer
      - .offset:         16
        .size:           4
        .value_kind:     by_value
      - .offset:         20
        .size:           4
        .value_kind:     by_value
      - .offset:         24
        .size:           4
        .value_kind:     by_value
      - .address_space:  global
        .offset:         32
        .size:           8
        .value_kind:     global_buffer
      - .offset:         40
        .size:           4
        .value_kind:     by_value
      - .offset:         44
        .size:           1
        .value_kind:     by_value
      - .offset:         48
        .size:           4
        .value_kind:     hidden_block_count_x
      - .offset:         52
        .size:           4
        .value_kind:     hidden_block_count_y
      - .offset:         56
        .size:           4
        .value_kind:     hidden_block_count_z
      - .offset:         60
        .size:           2
        .value_kind:     hidden_group_size_x
      - .offset:         62
        .size:           2
        .value_kind:     hidden_group_size_y
      - .offset:         64
        .size:           2
        .value_kind:     hidden_group_size_z
      - .offset:         66
        .size:           2
        .value_kind:     hidden_remainder_x
      - .offset:         68
        .size:           2
        .value_kind:     hidden_remainder_y
      - .offset:         70
        .size:           2
        .value_kind:     hidden_remainder_z
      - .offset:         88
        .size:           8
        .value_kind:     hidden_global_offset_x
      - .offset:         96
        .size:           8
        .value_kind:     hidden_global_offset_y
      - .offset:         104
        .size:           8
        .value_kind:     hidden_global_offset_z
      - .offset:         112
        .size:           2
        .value_kind:     hidden_grid_dims
    .group_segment_fixed_size: 0
    .kernarg_segment_align: 8
    .kernarg_segment_size: 304
    .language:       OpenCL C
    .language_version:
      - 2
      - 0
    .max_flat_workgroup_size: 1024
    .name:           _ZN12_GLOBAL__N_120softmax_warp_forwardIN3c108BFloat16ES2_fLi9ELb0ELb0ELi64EEEvPT0_PKT_iiiPKbib
    .private_segment_fixed_size: 0
    .sgpr_count:     26
    .sgpr_spill_count: 0
    .symbol:         _ZN12_GLOBAL__N_120softmax_warp_forwardIN3c108BFloat16ES2_fLi9ELb0ELb0ELi64EEEvPT0_PKT_iiiPKbib.kd
    .uniform_work_group_size: 1
    .uses_dynamic_stack: false
    .vgpr_count:     41
    .vgpr_spill_count: 0
    .wavefront_size: 32
    .workgroup_processor_mode: 1
  - .args:
      - .address_space:  global
        .offset:         0
        .size:           8
        .value_kind:     global_buffer
      - .address_space:  global
        .offset:         8
        .size:           8
        .value_kind:     global_buffer
      - .offset:         16
        .size:           4
        .value_kind:     by_value
      - .offset:         20
        .size:           4
        .value_kind:     by_value
      - .offset:         24
        .size:           4
        .value_kind:     by_value
      - .address_space:  global
        .offset:         32
        .size:           8
        .value_kind:     global_buffer
      - .offset:         40
        .size:           4
        .value_kind:     by_value
      - .offset:         44
        .size:           1
        .value_kind:     by_value
      - .offset:         48
        .size:           4
        .value_kind:     hidden_block_count_x
      - .offset:         52
        .size:           4
        .value_kind:     hidden_block_count_y
      - .offset:         56
        .size:           4
        .value_kind:     hidden_block_count_z
      - .offset:         60
        .size:           2
        .value_kind:     hidden_group_size_x
      - .offset:         62
        .size:           2
        .value_kind:     hidden_group_size_y
      - .offset:         64
        .size:           2
        .value_kind:     hidden_group_size_z
      - .offset:         66
        .size:           2
        .value_kind:     hidden_remainder_x
      - .offset:         68
        .size:           2
        .value_kind:     hidden_remainder_y
      - .offset:         70
        .size:           2
        .value_kind:     hidden_remainder_z
      - .offset:         88
        .size:           8
        .value_kind:     hidden_global_offset_x
      - .offset:         96
        .size:           8
        .value_kind:     hidden_global_offset_y
      - .offset:         104
        .size:           8
        .value_kind:     hidden_global_offset_z
      - .offset:         112
        .size:           2
        .value_kind:     hidden_grid_dims
    .group_segment_fixed_size: 0
    .kernarg_segment_align: 8
    .kernarg_segment_size: 304
    .language:       OpenCL C
    .language_version:
      - 2
      - 0
    .max_flat_workgroup_size: 1024
    .name:           _ZN12_GLOBAL__N_120softmax_warp_forwardIN3c108BFloat16ES2_fLi9ELb0ELb0ELi32EEEvPT0_PKT_iiiPKbib
    .private_segment_fixed_size: 0
    .sgpr_count:     26
    .sgpr_spill_count: 0
    .symbol:         _ZN12_GLOBAL__N_120softmax_warp_forwardIN3c108BFloat16ES2_fLi9ELb0ELb0ELi32EEEvPT0_PKT_iiiPKbib.kd
    .uniform_work_group_size: 1
    .uses_dynamic_stack: false
    .vgpr_count:     72
    .vgpr_spill_count: 0
    .wavefront_size: 32
    .workgroup_processor_mode: 1
  - .args:
      - .address_space:  global
        .offset:         0
        .size:           8
        .value_kind:     global_buffer
      - .address_space:  global
        .offset:         8
        .size:           8
        .value_kind:     global_buffer
      - .offset:         16
        .size:           4
        .value_kind:     by_value
      - .offset:         20
        .size:           4
        .value_kind:     by_value
      - .offset:         24
        .size:           4
        .value_kind:     by_value
      - .address_space:  global
        .offset:         32
        .size:           8
        .value_kind:     global_buffer
      - .offset:         40
        .size:           4
        .value_kind:     by_value
      - .offset:         44
        .size:           1
        .value_kind:     by_value
      - .offset:         48
        .size:           4
        .value_kind:     hidden_block_count_x
      - .offset:         52
        .size:           4
        .value_kind:     hidden_block_count_y
      - .offset:         56
        .size:           4
        .value_kind:     hidden_block_count_z
      - .offset:         60
        .size:           2
        .value_kind:     hidden_group_size_x
      - .offset:         62
        .size:           2
        .value_kind:     hidden_group_size_y
      - .offset:         64
        .size:           2
        .value_kind:     hidden_group_size_z
      - .offset:         66
        .size:           2
        .value_kind:     hidden_remainder_x
      - .offset:         68
        .size:           2
        .value_kind:     hidden_remainder_y
      - .offset:         70
        .size:           2
        .value_kind:     hidden_remainder_z
      - .offset:         88
        .size:           8
        .value_kind:     hidden_global_offset_x
      - .offset:         96
        .size:           8
        .value_kind:     hidden_global_offset_y
      - .offset:         104
        .size:           8
        .value_kind:     hidden_global_offset_z
      - .offset:         112
        .size:           2
        .value_kind:     hidden_grid_dims
    .group_segment_fixed_size: 0
    .kernarg_segment_align: 8
    .kernarg_segment_size: 304
    .language:       OpenCL C
    .language_version:
      - 2
      - 0
    .max_flat_workgroup_size: 1024
    .name:           _ZN12_GLOBAL__N_120softmax_warp_forwardIN3c108BFloat16ES2_fLi10ELb0ELb0ELi64EEEvPT0_PKT_iiiPKbib
    .private_segment_fixed_size: 0
    .sgpr_count:     26
    .sgpr_spill_count: 0
    .symbol:         _ZN12_GLOBAL__N_120softmax_warp_forwardIN3c108BFloat16ES2_fLi10ELb0ELb0ELi64EEEvPT0_PKT_iiiPKbib.kd
    .uniform_work_group_size: 1
    .uses_dynamic_stack: false
    .vgpr_count:     73
    .vgpr_spill_count: 0
    .wavefront_size: 32
    .workgroup_processor_mode: 1
  - .args:
      - .address_space:  global
        .offset:         0
        .size:           8
        .value_kind:     global_buffer
      - .address_space:  global
        .offset:         8
        .size:           8
        .value_kind:     global_buffer
      - .offset:         16
        .size:           4
        .value_kind:     by_value
      - .offset:         20
        .size:           4
        .value_kind:     by_value
      - .offset:         24
        .size:           4
        .value_kind:     by_value
      - .address_space:  global
        .offset:         32
        .size:           8
        .value_kind:     global_buffer
      - .offset:         40
        .size:           4
        .value_kind:     by_value
      - .offset:         44
        .size:           1
        .value_kind:     by_value
      - .offset:         48
        .size:           4
        .value_kind:     hidden_block_count_x
      - .offset:         52
        .size:           4
        .value_kind:     hidden_block_count_y
      - .offset:         56
        .size:           4
        .value_kind:     hidden_block_count_z
      - .offset:         60
        .size:           2
        .value_kind:     hidden_group_size_x
      - .offset:         62
        .size:           2
        .value_kind:     hidden_group_size_y
      - .offset:         64
        .size:           2
        .value_kind:     hidden_group_size_z
      - .offset:         66
        .size:           2
        .value_kind:     hidden_remainder_x
      - .offset:         68
        .size:           2
        .value_kind:     hidden_remainder_y
      - .offset:         70
        .size:           2
        .value_kind:     hidden_remainder_z
      - .offset:         88
        .size:           8
        .value_kind:     hidden_global_offset_x
      - .offset:         96
        .size:           8
        .value_kind:     hidden_global_offset_y
      - .offset:         104
        .size:           8
        .value_kind:     hidden_global_offset_z
      - .offset:         112
        .size:           2
        .value_kind:     hidden_grid_dims
    .group_segment_fixed_size: 0
    .kernarg_segment_align: 8
    .kernarg_segment_size: 304
    .language:       OpenCL C
    .language_version:
      - 2
      - 0
    .max_flat_workgroup_size: 1024
    .name:           _ZN12_GLOBAL__N_120softmax_warp_forwardIN3c108BFloat16ES2_fLi10ELb0ELb0ELi32EEEvPT0_PKT_iiiPKbib
    .private_segment_fixed_size: 0
    .sgpr_count:     46
    .sgpr_spill_count: 0
    .symbol:         _ZN12_GLOBAL__N_120softmax_warp_forwardIN3c108BFloat16ES2_fLi10ELb0ELb0ELi32EEEvPT0_PKT_iiiPKbib.kd
    .uniform_work_group_size: 1
    .uses_dynamic_stack: false
    .vgpr_count:     94
    .vgpr_spill_count: 0
    .wavefront_size: 32
    .workgroup_processor_mode: 1
  - .args:
      - .address_space:  global
        .offset:         0
        .size:           8
        .value_kind:     global_buffer
      - .address_space:  global
        .offset:         8
        .size:           8
        .value_kind:     global_buffer
      - .offset:         16
        .size:           4
        .value_kind:     by_value
      - .offset:         20
        .size:           4
        .value_kind:     by_value
      - .offset:         24
        .size:           4
        .value_kind:     by_value
      - .address_space:  global
        .offset:         32
        .size:           8
        .value_kind:     global_buffer
      - .offset:         40
        .size:           4
        .value_kind:     by_value
      - .offset:         44
        .size:           1
        .value_kind:     by_value
      - .offset:         48
        .size:           4
        .value_kind:     hidden_block_count_x
      - .offset:         52
        .size:           4
        .value_kind:     hidden_block_count_y
      - .offset:         56
        .size:           4
        .value_kind:     hidden_block_count_z
      - .offset:         60
        .size:           2
        .value_kind:     hidden_group_size_x
      - .offset:         62
        .size:           2
        .value_kind:     hidden_group_size_y
      - .offset:         64
        .size:           2
        .value_kind:     hidden_group_size_z
      - .offset:         66
        .size:           2
        .value_kind:     hidden_remainder_x
      - .offset:         68
        .size:           2
        .value_kind:     hidden_remainder_y
      - .offset:         70
        .size:           2
        .value_kind:     hidden_remainder_z
      - .offset:         88
        .size:           8
        .value_kind:     hidden_global_offset_x
      - .offset:         96
        .size:           8
        .value_kind:     hidden_global_offset_y
      - .offset:         104
        .size:           8
        .value_kind:     hidden_global_offset_z
      - .offset:         112
        .size:           2
        .value_kind:     hidden_grid_dims
    .group_segment_fixed_size: 0
    .kernarg_segment_align: 8
    .kernarg_segment_size: 304
    .language:       OpenCL C
    .language_version:
      - 2
      - 0
    .max_flat_workgroup_size: 1024
    .name:           _ZN12_GLOBAL__N_120softmax_warp_forwardIN3c108BFloat16ES2_fLi11ELb0ELb0ELi64EEEvPT0_PKT_iiiPKbib
    .private_segment_fixed_size: 0
    .sgpr_count:     46
    .sgpr_spill_count: 0
    .symbol:         _ZN12_GLOBAL__N_120softmax_warp_forwardIN3c108BFloat16ES2_fLi11ELb0ELb0ELi64EEEvPT0_PKT_iiiPKbib.kd
    .uniform_work_group_size: 1
    .uses_dynamic_stack: false
    .vgpr_count:     94
    .vgpr_spill_count: 0
    .wavefront_size: 32
    .workgroup_processor_mode: 1
  - .args:
      - .address_space:  global
        .offset:         0
        .size:           8
        .value_kind:     global_buffer
      - .address_space:  global
        .offset:         8
        .size:           8
        .value_kind:     global_buffer
      - .offset:         16
        .size:           4
        .value_kind:     by_value
      - .offset:         20
        .size:           4
        .value_kind:     by_value
      - .offset:         24
        .size:           4
        .value_kind:     by_value
      - .address_space:  global
        .offset:         32
        .size:           8
        .value_kind:     global_buffer
      - .offset:         40
        .size:           4
        .value_kind:     by_value
      - .offset:         44
        .size:           1
        .value_kind:     by_value
      - .offset:         48
        .size:           4
        .value_kind:     hidden_block_count_x
      - .offset:         52
        .size:           4
        .value_kind:     hidden_block_count_y
      - .offset:         56
        .size:           4
        .value_kind:     hidden_block_count_z
      - .offset:         60
        .size:           2
        .value_kind:     hidden_group_size_x
      - .offset:         62
        .size:           2
        .value_kind:     hidden_group_size_y
      - .offset:         64
        .size:           2
        .value_kind:     hidden_group_size_z
      - .offset:         66
        .size:           2
        .value_kind:     hidden_remainder_x
      - .offset:         68
        .size:           2
        .value_kind:     hidden_remainder_y
      - .offset:         70
        .size:           2
        .value_kind:     hidden_remainder_z
      - .offset:         88
        .size:           8
        .value_kind:     hidden_global_offset_x
      - .offset:         96
        .size:           8
        .value_kind:     hidden_global_offset_y
      - .offset:         104
        .size:           8
        .value_kind:     hidden_global_offset_z
      - .offset:         112
        .size:           2
        .value_kind:     hidden_grid_dims
    .group_segment_fixed_size: 0
    .kernarg_segment_align: 8
    .kernarg_segment_size: 304
    .language:       OpenCL C
    .language_version:
      - 2
      - 0
    .max_flat_workgroup_size: 1024
    .name:           _ZN12_GLOBAL__N_120softmax_warp_forwardIN3c108BFloat16ES2_fLi11ELb0ELb0ELi32EEEvPT0_PKT_iiiPKbib
    .private_segment_fixed_size: 0
    .sgpr_count:     78
    .sgpr_spill_count: 0
    .symbol:         _ZN12_GLOBAL__N_120softmax_warp_forwardIN3c108BFloat16ES2_fLi11ELb0ELb0ELi32EEEvPT0_PKT_iiiPKbib.kd
    .uniform_work_group_size: 1
    .uses_dynamic_stack: false
    .vgpr_count:     77
    .vgpr_spill_count: 0
    .wavefront_size: 32
    .workgroup_processor_mode: 1
  - .args:
      - .address_space:  global
        .offset:         0
        .size:           8
        .value_kind:     global_buffer
      - .address_space:  global
        .offset:         8
        .size:           8
        .value_kind:     global_buffer
      - .offset:         16
        .size:           8
        .value_kind:     by_value
      - .offset:         24
        .size:           4
        .value_kind:     hidden_block_count_x
      - .offset:         28
        .size:           4
        .value_kind:     hidden_block_count_y
      - .offset:         32
        .size:           4
        .value_kind:     hidden_block_count_z
      - .offset:         36
        .size:           2
        .value_kind:     hidden_group_size_x
      - .offset:         38
        .size:           2
        .value_kind:     hidden_group_size_y
      - .offset:         40
        .size:           2
        .value_kind:     hidden_group_size_z
      - .offset:         42
        .size:           2
        .value_kind:     hidden_remainder_x
      - .offset:         44
        .size:           2
        .value_kind:     hidden_remainder_y
      - .offset:         46
        .size:           2
        .value_kind:     hidden_remainder_z
      - .offset:         64
        .size:           8
        .value_kind:     hidden_global_offset_x
      - .offset:         72
        .size:           8
        .value_kind:     hidden_global_offset_y
      - .offset:         80
        .size:           8
        .value_kind:     hidden_global_offset_z
      - .offset:         88
        .size:           2
        .value_kind:     hidden_grid_dims
      - .offset:         144
        .size:           4
        .value_kind:     hidden_dynamic_lds_size
    .group_segment_fixed_size: 0
    .kernarg_segment_align: 8
    .kernarg_segment_size: 280
    .language:       OpenCL C
    .language_version:
      - 2
      - 0
    .max_flat_workgroup_size: 1024
    .name:           _ZN2at6native12_GLOBAL__N_123cunn_SoftMaxForwardGmemILi8EN3c108BFloat16EfS4_NS1_29SoftMaxForwardWithMulEpilogueElEEvPT2_PKT0_T4_
    .private_segment_fixed_size: 0
    .sgpr_count:     21
    .sgpr_spill_count: 0
    .symbol:         _ZN2at6native12_GLOBAL__N_123cunn_SoftMaxForwardGmemILi8EN3c108BFloat16EfS4_NS1_29SoftMaxForwardWithMulEpilogueElEEvPT2_PKT0_T4_.kd
    .uniform_work_group_size: 1
    .uses_dynamic_stack: false
    .vgpr_count:     25
    .vgpr_spill_count: 0
    .wavefront_size: 32
    .workgroup_processor_mode: 1
  - .args:
      - .address_space:  global
        .offset:         0
        .size:           8
        .value_kind:     global_buffer
      - .address_space:  global
        .offset:         8
        .size:           8
        .value_kind:     global_buffer
      - .offset:         16
        .size:           4
        .value_kind:     by_value
      - .offset:         24
        .size:           4
        .value_kind:     hidden_block_count_x
      - .offset:         28
        .size:           4
        .value_kind:     hidden_block_count_y
      - .offset:         32
        .size:           4
        .value_kind:     hidden_block_count_z
      - .offset:         36
        .size:           2
        .value_kind:     hidden_group_size_x
      - .offset:         38
        .size:           2
        .value_kind:     hidden_group_size_y
      - .offset:         40
        .size:           2
        .value_kind:     hidden_group_size_z
      - .offset:         42
        .size:           2
        .value_kind:     hidden_remainder_x
      - .offset:         44
        .size:           2
        .value_kind:     hidden_remainder_y
      - .offset:         46
        .size:           2
        .value_kind:     hidden_remainder_z
      - .offset:         64
        .size:           8
        .value_kind:     hidden_global_offset_x
      - .offset:         72
        .size:           8
        .value_kind:     hidden_global_offset_y
      - .offset:         80
        .size:           8
        .value_kind:     hidden_global_offset_z
      - .offset:         88
        .size:           2
        .value_kind:     hidden_grid_dims
      - .offset:         144
        .size:           4
        .value_kind:     hidden_dynamic_lds_size
    .group_segment_fixed_size: 0
    .kernarg_segment_align: 8
    .kernarg_segment_size: 280
    .language:       OpenCL C
    .language_version:
      - 2
      - 0
    .max_flat_workgroup_size: 1024
    .name:           _ZN2at6native12_GLOBAL__N_123cunn_SoftMaxForwardFastILi8EN3c108BFloat16EfS4_NS1_29SoftMaxForwardWithMulEpilogueEEEvPT2_PKT0_i
    .private_segment_fixed_size: 0
    .sgpr_count:     22
    .sgpr_spill_count: 0
    .symbol:         _ZN2at6native12_GLOBAL__N_123cunn_SoftMaxForwardFastILi8EN3c108BFloat16EfS4_NS1_29SoftMaxForwardWithMulEpilogueEEEvPT2_PKT0_i.kd
    .uniform_work_group_size: 1
    .uses_dynamic_stack: false
    .vgpr_count:     19
    .vgpr_spill_count: 0
    .wavefront_size: 32
    .workgroup_processor_mode: 1
  - .args:
      - .address_space:  global
        .offset:         0
        .size:           8
        .value_kind:     global_buffer
      - .address_space:  global
        .offset:         8
        .size:           8
        .value_kind:     global_buffer
      - .offset:         16
        .size:           4
        .value_kind:     by_value
      - .offset:         20
        .size:           4
        .value_kind:     by_value
      - .offset:         24
        .size:           4
        .value_kind:     by_value
      - .address_space:  global
        .offset:         32
        .size:           8
        .value_kind:     global_buffer
      - .offset:         40
        .size:           4
        .value_kind:     by_value
      - .offset:         44
        .size:           1
        .value_kind:     by_value
      - .offset:         48
        .size:           4
        .value_kind:     hidden_block_count_x
      - .offset:         52
        .size:           4
        .value_kind:     hidden_block_count_y
      - .offset:         56
        .size:           4
        .value_kind:     hidden_block_count_z
      - .offset:         60
        .size:           2
        .value_kind:     hidden_group_size_x
      - .offset:         62
        .size:           2
        .value_kind:     hidden_group_size_y
      - .offset:         64
        .size:           2
        .value_kind:     hidden_group_size_z
      - .offset:         66
        .size:           2
        .value_kind:     hidden_remainder_x
      - .offset:         68
        .size:           2
        .value_kind:     hidden_remainder_y
      - .offset:         70
        .size:           2
        .value_kind:     hidden_remainder_z
      - .offset:         88
        .size:           8
        .value_kind:     hidden_global_offset_x
      - .offset:         96
        .size:           8
        .value_kind:     hidden_global_offset_y
      - .offset:         104
        .size:           8
        .value_kind:     hidden_global_offset_z
      - .offset:         112
        .size:           2
        .value_kind:     hidden_grid_dims
    .group_segment_fixed_size: 0
    .kernarg_segment_align: 8
    .kernarg_segment_size: 304
    .language:       OpenCL C
    .language_version:
      - 2
      - 0
    .max_flat_workgroup_size: 1024
    .name:           _ZN12_GLOBAL__N_120softmax_warp_forwardIN3c108BFloat16EffLi0ELb0ELb0ELi64EEEvPT0_PKT_iiiPKbib
    .private_segment_fixed_size: 0
    .sgpr_count:     18
    .sgpr_spill_count: 0
    .symbol:         _ZN12_GLOBAL__N_120softmax_warp_forwardIN3c108BFloat16EffLi0ELb0ELb0ELi64EEEvPT0_PKT_iiiPKbib.kd
    .uniform_work_group_size: 1
    .uses_dynamic_stack: false
    .vgpr_count:     9
    .vgpr_spill_count: 0
    .wavefront_size: 32
    .workgroup_processor_mode: 1
  - .args:
      - .address_space:  global
        .offset:         0
        .size:           8
        .value_kind:     global_buffer
      - .address_space:  global
        .offset:         8
        .size:           8
        .value_kind:     global_buffer
      - .offset:         16
        .size:           4
        .value_kind:     by_value
      - .offset:         20
        .size:           4
        .value_kind:     by_value
      - .offset:         24
        .size:           4
        .value_kind:     by_value
      - .address_space:  global
        .offset:         32
        .size:           8
        .value_kind:     global_buffer
      - .offset:         40
        .size:           4
        .value_kind:     by_value
      - .offset:         44
        .size:           1
        .value_kind:     by_value
      - .offset:         48
        .size:           4
        .value_kind:     hidden_block_count_x
      - .offset:         52
        .size:           4
        .value_kind:     hidden_block_count_y
      - .offset:         56
        .size:           4
        .value_kind:     hidden_block_count_z
      - .offset:         60
        .size:           2
        .value_kind:     hidden_group_size_x
      - .offset:         62
        .size:           2
        .value_kind:     hidden_group_size_y
      - .offset:         64
        .size:           2
        .value_kind:     hidden_group_size_z
      - .offset:         66
        .size:           2
        .value_kind:     hidden_remainder_x
      - .offset:         68
        .size:           2
        .value_kind:     hidden_remainder_y
      - .offset:         70
        .size:           2
        .value_kind:     hidden_remainder_z
      - .offset:         88
        .size:           8
        .value_kind:     hidden_global_offset_x
      - .offset:         96
        .size:           8
        .value_kind:     hidden_global_offset_y
      - .offset:         104
        .size:           8
        .value_kind:     hidden_global_offset_z
      - .offset:         112
        .size:           2
        .value_kind:     hidden_grid_dims
    .group_segment_fixed_size: 0
    .kernarg_segment_align: 8
    .kernarg_segment_size: 304
    .language:       OpenCL C
    .language_version:
      - 2
      - 0
    .max_flat_workgroup_size: 1024
    .name:           _ZN12_GLOBAL__N_120softmax_warp_forwardIN3c108BFloat16EffLi0ELb0ELb0ELi32EEEvPT0_PKT_iiiPKbib
    .private_segment_fixed_size: 0
    .sgpr_count:     18
    .sgpr_spill_count: 0
    .symbol:         _ZN12_GLOBAL__N_120softmax_warp_forwardIN3c108BFloat16EffLi0ELb0ELb0ELi32EEEvPT0_PKT_iiiPKbib.kd
    .uniform_work_group_size: 1
    .uses_dynamic_stack: false
    .vgpr_count:     9
    .vgpr_spill_count: 0
    .wavefront_size: 32
    .workgroup_processor_mode: 1
  - .args:
      - .address_space:  global
        .offset:         0
        .size:           8
        .value_kind:     global_buffer
      - .address_space:  global
        .offset:         8
        .size:           8
        .value_kind:     global_buffer
      - .offset:         16
        .size:           4
        .value_kind:     by_value
      - .offset:         20
        .size:           4
        .value_kind:     by_value
      - .offset:         24
        .size:           4
        .value_kind:     by_value
      - .address_space:  global
        .offset:         32
        .size:           8
        .value_kind:     global_buffer
      - .offset:         40
        .size:           4
        .value_kind:     by_value
      - .offset:         44
        .size:           1
        .value_kind:     by_value
      - .offset:         48
        .size:           4
        .value_kind:     hidden_block_count_x
      - .offset:         52
        .size:           4
        .value_kind:     hidden_block_count_y
      - .offset:         56
        .size:           4
        .value_kind:     hidden_block_count_z
      - .offset:         60
        .size:           2
        .value_kind:     hidden_group_size_x
      - .offset:         62
        .size:           2
        .value_kind:     hidden_group_size_y
      - .offset:         64
        .size:           2
        .value_kind:     hidden_group_size_z
      - .offset:         66
        .size:           2
        .value_kind:     hidden_remainder_x
      - .offset:         68
        .size:           2
        .value_kind:     hidden_remainder_y
      - .offset:         70
        .size:           2
        .value_kind:     hidden_remainder_z
      - .offset:         88
        .size:           8
        .value_kind:     hidden_global_offset_x
      - .offset:         96
        .size:           8
        .value_kind:     hidden_global_offset_y
      - .offset:         104
        .size:           8
        .value_kind:     hidden_global_offset_z
      - .offset:         112
        .size:           2
        .value_kind:     hidden_grid_dims
    .group_segment_fixed_size: 0
    .kernarg_segment_align: 8
    .kernarg_segment_size: 304
    .language:       OpenCL C
    .language_version:
      - 2
      - 0
    .max_flat_workgroup_size: 1024
    .name:           _ZN12_GLOBAL__N_120softmax_warp_forwardIN3c108BFloat16EffLi1ELb0ELb0ELi64EEEvPT0_PKT_iiiPKbib
    .private_segment_fixed_size: 0
    .sgpr_count:     18
    .sgpr_spill_count: 0
    .symbol:         _ZN12_GLOBAL__N_120softmax_warp_forwardIN3c108BFloat16EffLi1ELb0ELb0ELi64EEEvPT0_PKT_iiiPKbib.kd
    .uniform_work_group_size: 1
    .uses_dynamic_stack: false
    .vgpr_count:     12
    .vgpr_spill_count: 0
    .wavefront_size: 32
    .workgroup_processor_mode: 1
  - .args:
      - .address_space:  global
        .offset:         0
        .size:           8
        .value_kind:     global_buffer
      - .address_space:  global
        .offset:         8
        .size:           8
        .value_kind:     global_buffer
      - .offset:         16
        .size:           4
        .value_kind:     by_value
      - .offset:         20
        .size:           4
        .value_kind:     by_value
      - .offset:         24
        .size:           4
        .value_kind:     by_value
      - .address_space:  global
        .offset:         32
        .size:           8
        .value_kind:     global_buffer
      - .offset:         40
        .size:           4
        .value_kind:     by_value
      - .offset:         44
        .size:           1
        .value_kind:     by_value
      - .offset:         48
        .size:           4
        .value_kind:     hidden_block_count_x
      - .offset:         52
        .size:           4
        .value_kind:     hidden_block_count_y
      - .offset:         56
        .size:           4
        .value_kind:     hidden_block_count_z
      - .offset:         60
        .size:           2
        .value_kind:     hidden_group_size_x
      - .offset:         62
        .size:           2
        .value_kind:     hidden_group_size_y
      - .offset:         64
        .size:           2
        .value_kind:     hidden_group_size_z
      - .offset:         66
        .size:           2
        .value_kind:     hidden_remainder_x
      - .offset:         68
        .size:           2
        .value_kind:     hidden_remainder_y
      - .offset:         70
        .size:           2
        .value_kind:     hidden_remainder_z
      - .offset:         88
        .size:           8
        .value_kind:     hidden_global_offset_x
      - .offset:         96
        .size:           8
        .value_kind:     hidden_global_offset_y
      - .offset:         104
        .size:           8
        .value_kind:     hidden_global_offset_z
      - .offset:         112
        .size:           2
        .value_kind:     hidden_grid_dims
    .group_segment_fixed_size: 0
    .kernarg_segment_align: 8
    .kernarg_segment_size: 304
    .language:       OpenCL C
    .language_version:
      - 2
      - 0
    .max_flat_workgroup_size: 1024
    .name:           _ZN12_GLOBAL__N_120softmax_warp_forwardIN3c108BFloat16EffLi1ELb0ELb0ELi32EEEvPT0_PKT_iiiPKbib
    .private_segment_fixed_size: 0
    .sgpr_count:     18
    .sgpr_spill_count: 0
    .symbol:         _ZN12_GLOBAL__N_120softmax_warp_forwardIN3c108BFloat16EffLi1ELb0ELb0ELi32EEEvPT0_PKT_iiiPKbib.kd
    .uniform_work_group_size: 1
    .uses_dynamic_stack: false
    .vgpr_count:     12
    .vgpr_spill_count: 0
    .wavefront_size: 32
    .workgroup_processor_mode: 1
  - .args:
      - .address_space:  global
        .offset:         0
        .size:           8
        .value_kind:     global_buffer
      - .address_space:  global
        .offset:         8
        .size:           8
        .value_kind:     global_buffer
      - .offset:         16
        .size:           4
        .value_kind:     by_value
      - .offset:         20
        .size:           4
        .value_kind:     by_value
      - .offset:         24
        .size:           4
        .value_kind:     by_value
      - .address_space:  global
        .offset:         32
        .size:           8
        .value_kind:     global_buffer
      - .offset:         40
        .size:           4
        .value_kind:     by_value
      - .offset:         44
        .size:           1
        .value_kind:     by_value
      - .offset:         48
        .size:           4
        .value_kind:     hidden_block_count_x
      - .offset:         52
        .size:           4
        .value_kind:     hidden_block_count_y
      - .offset:         56
        .size:           4
        .value_kind:     hidden_block_count_z
      - .offset:         60
        .size:           2
        .value_kind:     hidden_group_size_x
      - .offset:         62
        .size:           2
        .value_kind:     hidden_group_size_y
      - .offset:         64
        .size:           2
        .value_kind:     hidden_group_size_z
      - .offset:         66
        .size:           2
        .value_kind:     hidden_remainder_x
      - .offset:         68
        .size:           2
        .value_kind:     hidden_remainder_y
      - .offset:         70
        .size:           2
        .value_kind:     hidden_remainder_z
      - .offset:         88
        .size:           8
        .value_kind:     hidden_global_offset_x
      - .offset:         96
        .size:           8
        .value_kind:     hidden_global_offset_y
      - .offset:         104
        .size:           8
        .value_kind:     hidden_global_offset_z
      - .offset:         112
        .size:           2
        .value_kind:     hidden_grid_dims
    .group_segment_fixed_size: 0
    .kernarg_segment_align: 8
    .kernarg_segment_size: 304
    .language:       OpenCL C
    .language_version:
      - 2
      - 0
    .max_flat_workgroup_size: 1024
    .name:           _ZN12_GLOBAL__N_120softmax_warp_forwardIN3c108BFloat16EffLi2ELb0ELb0ELi64EEEvPT0_PKT_iiiPKbib
    .private_segment_fixed_size: 0
    .sgpr_count:     18
    .sgpr_spill_count: 0
    .symbol:         _ZN12_GLOBAL__N_120softmax_warp_forwardIN3c108BFloat16EffLi2ELb0ELb0ELi64EEEvPT0_PKT_iiiPKbib.kd
    .uniform_work_group_size: 1
    .uses_dynamic_stack: false
    .vgpr_count:     13
    .vgpr_spill_count: 0
    .wavefront_size: 32
    .workgroup_processor_mode: 1
  - .args:
      - .address_space:  global
        .offset:         0
        .size:           8
        .value_kind:     global_buffer
      - .address_space:  global
        .offset:         8
        .size:           8
        .value_kind:     global_buffer
      - .offset:         16
        .size:           4
        .value_kind:     by_value
      - .offset:         20
        .size:           4
        .value_kind:     by_value
      - .offset:         24
        .size:           4
        .value_kind:     by_value
      - .address_space:  global
        .offset:         32
        .size:           8
        .value_kind:     global_buffer
      - .offset:         40
        .size:           4
        .value_kind:     by_value
      - .offset:         44
        .size:           1
        .value_kind:     by_value
      - .offset:         48
        .size:           4
        .value_kind:     hidden_block_count_x
      - .offset:         52
        .size:           4
        .value_kind:     hidden_block_count_y
      - .offset:         56
        .size:           4
        .value_kind:     hidden_block_count_z
      - .offset:         60
        .size:           2
        .value_kind:     hidden_group_size_x
      - .offset:         62
        .size:           2
        .value_kind:     hidden_group_size_y
      - .offset:         64
        .size:           2
        .value_kind:     hidden_group_size_z
      - .offset:         66
        .size:           2
        .value_kind:     hidden_remainder_x
      - .offset:         68
        .size:           2
        .value_kind:     hidden_remainder_y
      - .offset:         70
        .size:           2
        .value_kind:     hidden_remainder_z
      - .offset:         88
        .size:           8
        .value_kind:     hidden_global_offset_x
      - .offset:         96
        .size:           8
        .value_kind:     hidden_global_offset_y
      - .offset:         104
        .size:           8
        .value_kind:     hidden_global_offset_z
      - .offset:         112
        .size:           2
        .value_kind:     hidden_grid_dims
    .group_segment_fixed_size: 0
    .kernarg_segment_align: 8
    .kernarg_segment_size: 304
    .language:       OpenCL C
    .language_version:
      - 2
      - 0
    .max_flat_workgroup_size: 1024
    .name:           _ZN12_GLOBAL__N_120softmax_warp_forwardIN3c108BFloat16EffLi2ELb0ELb0ELi32EEEvPT0_PKT_iiiPKbib
    .private_segment_fixed_size: 0
    .sgpr_count:     18
    .sgpr_spill_count: 0
    .symbol:         _ZN12_GLOBAL__N_120softmax_warp_forwardIN3c108BFloat16EffLi2ELb0ELb0ELi32EEEvPT0_PKT_iiiPKbib.kd
    .uniform_work_group_size: 1
    .uses_dynamic_stack: false
    .vgpr_count:     13
    .vgpr_spill_count: 0
    .wavefront_size: 32
    .workgroup_processor_mode: 1
  - .args:
      - .address_space:  global
        .offset:         0
        .size:           8
        .value_kind:     global_buffer
      - .address_space:  global
        .offset:         8
        .size:           8
        .value_kind:     global_buffer
      - .offset:         16
        .size:           4
        .value_kind:     by_value
      - .offset:         20
        .size:           4
        .value_kind:     by_value
      - .offset:         24
        .size:           4
        .value_kind:     by_value
      - .address_space:  global
        .offset:         32
        .size:           8
        .value_kind:     global_buffer
      - .offset:         40
        .size:           4
        .value_kind:     by_value
      - .offset:         44
        .size:           1
        .value_kind:     by_value
      - .offset:         48
        .size:           4
        .value_kind:     hidden_block_count_x
      - .offset:         52
        .size:           4
        .value_kind:     hidden_block_count_y
      - .offset:         56
        .size:           4
        .value_kind:     hidden_block_count_z
      - .offset:         60
        .size:           2
        .value_kind:     hidden_group_size_x
      - .offset:         62
        .size:           2
        .value_kind:     hidden_group_size_y
      - .offset:         64
        .size:           2
        .value_kind:     hidden_group_size_z
      - .offset:         66
        .size:           2
        .value_kind:     hidden_remainder_x
      - .offset:         68
        .size:           2
        .value_kind:     hidden_remainder_y
      - .offset:         70
        .size:           2
        .value_kind:     hidden_remainder_z
      - .offset:         88
        .size:           8
        .value_kind:     hidden_global_offset_x
      - .offset:         96
        .size:           8
        .value_kind:     hidden_global_offset_y
      - .offset:         104
        .size:           8
        .value_kind:     hidden_global_offset_z
      - .offset:         112
        .size:           2
        .value_kind:     hidden_grid_dims
    .group_segment_fixed_size: 0
    .kernarg_segment_align: 8
    .kernarg_segment_size: 304
    .language:       OpenCL C
    .language_version:
      - 2
      - 0
    .max_flat_workgroup_size: 1024
    .name:           _ZN12_GLOBAL__N_120softmax_warp_forwardIN3c108BFloat16EffLi3ELb0ELb0ELi64EEEvPT0_PKT_iiiPKbib
    .private_segment_fixed_size: 0
    .sgpr_count:     18
    .sgpr_spill_count: 0
    .symbol:         _ZN12_GLOBAL__N_120softmax_warp_forwardIN3c108BFloat16EffLi3ELb0ELb0ELi64EEEvPT0_PKT_iiiPKbib.kd
    .uniform_work_group_size: 1
    .uses_dynamic_stack: false
    .vgpr_count:     14
    .vgpr_spill_count: 0
    .wavefront_size: 32
    .workgroup_processor_mode: 1
  - .args:
      - .address_space:  global
        .offset:         0
        .size:           8
        .value_kind:     global_buffer
      - .address_space:  global
        .offset:         8
        .size:           8
        .value_kind:     global_buffer
      - .offset:         16
        .size:           4
        .value_kind:     by_value
      - .offset:         20
        .size:           4
        .value_kind:     by_value
      - .offset:         24
        .size:           4
        .value_kind:     by_value
      - .address_space:  global
        .offset:         32
        .size:           8
        .value_kind:     global_buffer
      - .offset:         40
        .size:           4
        .value_kind:     by_value
      - .offset:         44
        .size:           1
        .value_kind:     by_value
      - .offset:         48
        .size:           4
        .value_kind:     hidden_block_count_x
      - .offset:         52
        .size:           4
        .value_kind:     hidden_block_count_y
      - .offset:         56
        .size:           4
        .value_kind:     hidden_block_count_z
      - .offset:         60
        .size:           2
        .value_kind:     hidden_group_size_x
      - .offset:         62
        .size:           2
        .value_kind:     hidden_group_size_y
      - .offset:         64
        .size:           2
        .value_kind:     hidden_group_size_z
      - .offset:         66
        .size:           2
        .value_kind:     hidden_remainder_x
      - .offset:         68
        .size:           2
        .value_kind:     hidden_remainder_y
      - .offset:         70
        .size:           2
        .value_kind:     hidden_remainder_z
      - .offset:         88
        .size:           8
        .value_kind:     hidden_global_offset_x
      - .offset:         96
        .size:           8
        .value_kind:     hidden_global_offset_y
      - .offset:         104
        .size:           8
        .value_kind:     hidden_global_offset_z
      - .offset:         112
        .size:           2
        .value_kind:     hidden_grid_dims
    .group_segment_fixed_size: 0
    .kernarg_segment_align: 8
    .kernarg_segment_size: 304
    .language:       OpenCL C
    .language_version:
      - 2
      - 0
    .max_flat_workgroup_size: 1024
    .name:           _ZN12_GLOBAL__N_120softmax_warp_forwardIN3c108BFloat16EffLi3ELb0ELb0ELi32EEEvPT0_PKT_iiiPKbib
    .private_segment_fixed_size: 0
    .sgpr_count:     18
    .sgpr_spill_count: 0
    .symbol:         _ZN12_GLOBAL__N_120softmax_warp_forwardIN3c108BFloat16EffLi3ELb0ELb0ELi32EEEvPT0_PKT_iiiPKbib.kd
    .uniform_work_group_size: 1
    .uses_dynamic_stack: false
    .vgpr_count:     14
    .vgpr_spill_count: 0
    .wavefront_size: 32
    .workgroup_processor_mode: 1
  - .args:
      - .address_space:  global
        .offset:         0
        .size:           8
        .value_kind:     global_buffer
      - .address_space:  global
        .offset:         8
        .size:           8
        .value_kind:     global_buffer
      - .offset:         16
        .size:           4
        .value_kind:     by_value
      - .offset:         20
        .size:           4
        .value_kind:     by_value
      - .offset:         24
        .size:           4
        .value_kind:     by_value
      - .address_space:  global
        .offset:         32
        .size:           8
        .value_kind:     global_buffer
      - .offset:         40
        .size:           4
        .value_kind:     by_value
      - .offset:         44
        .size:           1
        .value_kind:     by_value
      - .offset:         48
        .size:           4
        .value_kind:     hidden_block_count_x
      - .offset:         52
        .size:           4
        .value_kind:     hidden_block_count_y
      - .offset:         56
        .size:           4
        .value_kind:     hidden_block_count_z
      - .offset:         60
        .size:           2
        .value_kind:     hidden_group_size_x
      - .offset:         62
        .size:           2
        .value_kind:     hidden_group_size_y
      - .offset:         64
        .size:           2
        .value_kind:     hidden_group_size_z
      - .offset:         66
        .size:           2
        .value_kind:     hidden_remainder_x
      - .offset:         68
        .size:           2
        .value_kind:     hidden_remainder_y
      - .offset:         70
        .size:           2
        .value_kind:     hidden_remainder_z
      - .offset:         88
        .size:           8
        .value_kind:     hidden_global_offset_x
      - .offset:         96
        .size:           8
        .value_kind:     hidden_global_offset_y
      - .offset:         104
        .size:           8
        .value_kind:     hidden_global_offset_z
      - .offset:         112
        .size:           2
        .value_kind:     hidden_grid_dims
    .group_segment_fixed_size: 0
    .kernarg_segment_align: 8
    .kernarg_segment_size: 304
    .language:       OpenCL C
    .language_version:
      - 2
      - 0
    .max_flat_workgroup_size: 1024
    .name:           _ZN12_GLOBAL__N_120softmax_warp_forwardIN3c108BFloat16EffLi4ELb0ELb0ELi64EEEvPT0_PKT_iiiPKbib
    .private_segment_fixed_size: 0
    .sgpr_count:     18
    .sgpr_spill_count: 0
    .symbol:         _ZN12_GLOBAL__N_120softmax_warp_forwardIN3c108BFloat16EffLi4ELb0ELb0ELi64EEEvPT0_PKT_iiiPKbib.kd
    .uniform_work_group_size: 1
    .uses_dynamic_stack: false
    .vgpr_count:     15
    .vgpr_spill_count: 0
    .wavefront_size: 32
    .workgroup_processor_mode: 1
  - .args:
      - .address_space:  global
        .offset:         0
        .size:           8
        .value_kind:     global_buffer
      - .address_space:  global
        .offset:         8
        .size:           8
        .value_kind:     global_buffer
      - .offset:         16
        .size:           4
        .value_kind:     by_value
      - .offset:         20
        .size:           4
        .value_kind:     by_value
      - .offset:         24
        .size:           4
        .value_kind:     by_value
      - .address_space:  global
        .offset:         32
        .size:           8
        .value_kind:     global_buffer
      - .offset:         40
        .size:           4
        .value_kind:     by_value
      - .offset:         44
        .size:           1
        .value_kind:     by_value
      - .offset:         48
        .size:           4
        .value_kind:     hidden_block_count_x
      - .offset:         52
        .size:           4
        .value_kind:     hidden_block_count_y
      - .offset:         56
        .size:           4
        .value_kind:     hidden_block_count_z
      - .offset:         60
        .size:           2
        .value_kind:     hidden_group_size_x
      - .offset:         62
        .size:           2
        .value_kind:     hidden_group_size_y
      - .offset:         64
        .size:           2
        .value_kind:     hidden_group_size_z
      - .offset:         66
        .size:           2
        .value_kind:     hidden_remainder_x
      - .offset:         68
        .size:           2
        .value_kind:     hidden_remainder_y
      - .offset:         70
        .size:           2
        .value_kind:     hidden_remainder_z
      - .offset:         88
        .size:           8
        .value_kind:     hidden_global_offset_x
      - .offset:         96
        .size:           8
        .value_kind:     hidden_global_offset_y
      - .offset:         104
        .size:           8
        .value_kind:     hidden_global_offset_z
      - .offset:         112
        .size:           2
        .value_kind:     hidden_grid_dims
    .group_segment_fixed_size: 0
    .kernarg_segment_align: 8
    .kernarg_segment_size: 304
    .language:       OpenCL C
    .language_version:
      - 2
      - 0
    .max_flat_workgroup_size: 1024
    .name:           _ZN12_GLOBAL__N_120softmax_warp_forwardIN3c108BFloat16EffLi4ELb0ELb0ELi32EEEvPT0_PKT_iiiPKbib
    .private_segment_fixed_size: 0
    .sgpr_count:     18
    .sgpr_spill_count: 0
    .symbol:         _ZN12_GLOBAL__N_120softmax_warp_forwardIN3c108BFloat16EffLi4ELb0ELb0ELi32EEEvPT0_PKT_iiiPKbib.kd
    .uniform_work_group_size: 1
    .uses_dynamic_stack: false
    .vgpr_count:     15
    .vgpr_spill_count: 0
    .wavefront_size: 32
    .workgroup_processor_mode: 1
  - .args:
      - .address_space:  global
        .offset:         0
        .size:           8
        .value_kind:     global_buffer
      - .address_space:  global
        .offset:         8
        .size:           8
        .value_kind:     global_buffer
      - .offset:         16
        .size:           4
        .value_kind:     by_value
      - .offset:         20
        .size:           4
        .value_kind:     by_value
      - .offset:         24
        .size:           4
        .value_kind:     by_value
      - .address_space:  global
        .offset:         32
        .size:           8
        .value_kind:     global_buffer
      - .offset:         40
        .size:           4
        .value_kind:     by_value
      - .offset:         44
        .size:           1
        .value_kind:     by_value
      - .offset:         48
        .size:           4
        .value_kind:     hidden_block_count_x
      - .offset:         52
        .size:           4
        .value_kind:     hidden_block_count_y
      - .offset:         56
        .size:           4
        .value_kind:     hidden_block_count_z
      - .offset:         60
        .size:           2
        .value_kind:     hidden_group_size_x
      - .offset:         62
        .size:           2
        .value_kind:     hidden_group_size_y
      - .offset:         64
        .size:           2
        .value_kind:     hidden_group_size_z
      - .offset:         66
        .size:           2
        .value_kind:     hidden_remainder_x
      - .offset:         68
        .size:           2
        .value_kind:     hidden_remainder_y
      - .offset:         70
        .size:           2
        .value_kind:     hidden_remainder_z
      - .offset:         88
        .size:           8
        .value_kind:     hidden_global_offset_x
      - .offset:         96
        .size:           8
        .value_kind:     hidden_global_offset_y
      - .offset:         104
        .size:           8
        .value_kind:     hidden_global_offset_z
      - .offset:         112
        .size:           2
        .value_kind:     hidden_grid_dims
    .group_segment_fixed_size: 0
    .kernarg_segment_align: 8
    .kernarg_segment_size: 304
    .language:       OpenCL C
    .language_version:
      - 2
      - 0
    .max_flat_workgroup_size: 1024
    .name:           _ZN12_GLOBAL__N_120softmax_warp_forwardIN3c108BFloat16EffLi5ELb0ELb0ELi64EEEvPT0_PKT_iiiPKbib
    .private_segment_fixed_size: 0
    .sgpr_count:     18
    .sgpr_spill_count: 0
    .symbol:         _ZN12_GLOBAL__N_120softmax_warp_forwardIN3c108BFloat16EffLi5ELb0ELb0ELi64EEEvPT0_PKT_iiiPKbib.kd
    .uniform_work_group_size: 1
    .uses_dynamic_stack: false
    .vgpr_count:     16
    .vgpr_spill_count: 0
    .wavefront_size: 32
    .workgroup_processor_mode: 1
  - .args:
      - .address_space:  global
        .offset:         0
        .size:           8
        .value_kind:     global_buffer
      - .address_space:  global
        .offset:         8
        .size:           8
        .value_kind:     global_buffer
      - .offset:         16
        .size:           4
        .value_kind:     by_value
      - .offset:         20
        .size:           4
        .value_kind:     by_value
      - .offset:         24
        .size:           4
        .value_kind:     by_value
      - .address_space:  global
        .offset:         32
        .size:           8
        .value_kind:     global_buffer
      - .offset:         40
        .size:           4
        .value_kind:     by_value
      - .offset:         44
        .size:           1
        .value_kind:     by_value
      - .offset:         48
        .size:           4
        .value_kind:     hidden_block_count_x
      - .offset:         52
        .size:           4
        .value_kind:     hidden_block_count_y
      - .offset:         56
        .size:           4
        .value_kind:     hidden_block_count_z
      - .offset:         60
        .size:           2
        .value_kind:     hidden_group_size_x
      - .offset:         62
        .size:           2
        .value_kind:     hidden_group_size_y
      - .offset:         64
        .size:           2
        .value_kind:     hidden_group_size_z
      - .offset:         66
        .size:           2
        .value_kind:     hidden_remainder_x
      - .offset:         68
        .size:           2
        .value_kind:     hidden_remainder_y
      - .offset:         70
        .size:           2
        .value_kind:     hidden_remainder_z
      - .offset:         88
        .size:           8
        .value_kind:     hidden_global_offset_x
      - .offset:         96
        .size:           8
        .value_kind:     hidden_global_offset_y
      - .offset:         104
        .size:           8
        .value_kind:     hidden_global_offset_z
      - .offset:         112
        .size:           2
        .value_kind:     hidden_grid_dims
    .group_segment_fixed_size: 0
    .kernarg_segment_align: 8
    .kernarg_segment_size: 304
    .language:       OpenCL C
    .language_version:
      - 2
      - 0
    .max_flat_workgroup_size: 1024
    .name:           _ZN12_GLOBAL__N_120softmax_warp_forwardIN3c108BFloat16EffLi5ELb0ELb0ELi32EEEvPT0_PKT_iiiPKbib
    .private_segment_fixed_size: 0
    .sgpr_count:     18
    .sgpr_spill_count: 0
    .symbol:         _ZN12_GLOBAL__N_120softmax_warp_forwardIN3c108BFloat16EffLi5ELb0ELb0ELi32EEEvPT0_PKT_iiiPKbib.kd
    .uniform_work_group_size: 1
    .uses_dynamic_stack: false
    .vgpr_count:     16
    .vgpr_spill_count: 0
    .wavefront_size: 32
    .workgroup_processor_mode: 1
  - .args:
      - .address_space:  global
        .offset:         0
        .size:           8
        .value_kind:     global_buffer
      - .address_space:  global
        .offset:         8
        .size:           8
        .value_kind:     global_buffer
      - .offset:         16
        .size:           4
        .value_kind:     by_value
      - .offset:         20
        .size:           4
        .value_kind:     by_value
      - .offset:         24
        .size:           4
        .value_kind:     by_value
      - .address_space:  global
        .offset:         32
        .size:           8
        .value_kind:     global_buffer
      - .offset:         40
        .size:           4
        .value_kind:     by_value
      - .offset:         44
        .size:           1
        .value_kind:     by_value
      - .offset:         48
        .size:           4
        .value_kind:     hidden_block_count_x
      - .offset:         52
        .size:           4
        .value_kind:     hidden_block_count_y
      - .offset:         56
        .size:           4
        .value_kind:     hidden_block_count_z
      - .offset:         60
        .size:           2
        .value_kind:     hidden_group_size_x
      - .offset:         62
        .size:           2
        .value_kind:     hidden_group_size_y
      - .offset:         64
        .size:           2
        .value_kind:     hidden_group_size_z
      - .offset:         66
        .size:           2
        .value_kind:     hidden_remainder_x
      - .offset:         68
        .size:           2
        .value_kind:     hidden_remainder_y
      - .offset:         70
        .size:           2
        .value_kind:     hidden_remainder_z
      - .offset:         88
        .size:           8
        .value_kind:     hidden_global_offset_x
      - .offset:         96
        .size:           8
        .value_kind:     hidden_global_offset_y
      - .offset:         104
        .size:           8
        .value_kind:     hidden_global_offset_z
      - .offset:         112
        .size:           2
        .value_kind:     hidden_grid_dims
    .group_segment_fixed_size: 0
    .kernarg_segment_align: 8
    .kernarg_segment_size: 304
    .language:       OpenCL C
    .language_version:
      - 2
      - 0
    .max_flat_workgroup_size: 1024
    .name:           _ZN12_GLOBAL__N_120softmax_warp_forwardIN3c108BFloat16EffLi6ELb0ELb0ELi64EEEvPT0_PKT_iiiPKbib
    .private_segment_fixed_size: 0
    .sgpr_count:     18
    .sgpr_spill_count: 0
    .symbol:         _ZN12_GLOBAL__N_120softmax_warp_forwardIN3c108BFloat16EffLi6ELb0ELb0ELi64EEEvPT0_PKT_iiiPKbib.kd
    .uniform_work_group_size: 1
    .uses_dynamic_stack: false
    .vgpr_count:     17
    .vgpr_spill_count: 0
    .wavefront_size: 32
    .workgroup_processor_mode: 1
  - .args:
      - .address_space:  global
        .offset:         0
        .size:           8
        .value_kind:     global_buffer
      - .address_space:  global
        .offset:         8
        .size:           8
        .value_kind:     global_buffer
      - .offset:         16
        .size:           4
        .value_kind:     by_value
      - .offset:         20
        .size:           4
        .value_kind:     by_value
      - .offset:         24
        .size:           4
        .value_kind:     by_value
      - .address_space:  global
        .offset:         32
        .size:           8
        .value_kind:     global_buffer
      - .offset:         40
        .size:           4
        .value_kind:     by_value
      - .offset:         44
        .size:           1
        .value_kind:     by_value
      - .offset:         48
        .size:           4
        .value_kind:     hidden_block_count_x
      - .offset:         52
        .size:           4
        .value_kind:     hidden_block_count_y
      - .offset:         56
        .size:           4
        .value_kind:     hidden_block_count_z
      - .offset:         60
        .size:           2
        .value_kind:     hidden_group_size_x
      - .offset:         62
        .size:           2
        .value_kind:     hidden_group_size_y
      - .offset:         64
        .size:           2
        .value_kind:     hidden_group_size_z
      - .offset:         66
        .size:           2
        .value_kind:     hidden_remainder_x
      - .offset:         68
        .size:           2
        .value_kind:     hidden_remainder_y
      - .offset:         70
        .size:           2
        .value_kind:     hidden_remainder_z
      - .offset:         88
        .size:           8
        .value_kind:     hidden_global_offset_x
      - .offset:         96
        .size:           8
        .value_kind:     hidden_global_offset_y
      - .offset:         104
        .size:           8
        .value_kind:     hidden_global_offset_z
      - .offset:         112
        .size:           2
        .value_kind:     hidden_grid_dims
    .group_segment_fixed_size: 0
    .kernarg_segment_align: 8
    .kernarg_segment_size: 304
    .language:       OpenCL C
    .language_version:
      - 2
      - 0
    .max_flat_workgroup_size: 1024
    .name:           _ZN12_GLOBAL__N_120softmax_warp_forwardIN3c108BFloat16EffLi6ELb0ELb0ELi32EEEvPT0_PKT_iiiPKbib
    .private_segment_fixed_size: 0
    .sgpr_count:     18
    .sgpr_spill_count: 0
    .symbol:         _ZN12_GLOBAL__N_120softmax_warp_forwardIN3c108BFloat16EffLi6ELb0ELb0ELi32EEEvPT0_PKT_iiiPKbib.kd
    .uniform_work_group_size: 1
    .uses_dynamic_stack: false
    .vgpr_count:     24
    .vgpr_spill_count: 0
    .wavefront_size: 32
    .workgroup_processor_mode: 1
  - .args:
      - .address_space:  global
        .offset:         0
        .size:           8
        .value_kind:     global_buffer
      - .address_space:  global
        .offset:         8
        .size:           8
        .value_kind:     global_buffer
      - .offset:         16
        .size:           4
        .value_kind:     by_value
      - .offset:         20
        .size:           4
        .value_kind:     by_value
      - .offset:         24
        .size:           4
        .value_kind:     by_value
      - .address_space:  global
        .offset:         32
        .size:           8
        .value_kind:     global_buffer
      - .offset:         40
        .size:           4
        .value_kind:     by_value
      - .offset:         44
        .size:           1
        .value_kind:     by_value
      - .offset:         48
        .size:           4
        .value_kind:     hidden_block_count_x
      - .offset:         52
        .size:           4
        .value_kind:     hidden_block_count_y
      - .offset:         56
        .size:           4
        .value_kind:     hidden_block_count_z
      - .offset:         60
        .size:           2
        .value_kind:     hidden_group_size_x
      - .offset:         62
        .size:           2
        .value_kind:     hidden_group_size_y
      - .offset:         64
        .size:           2
        .value_kind:     hidden_group_size_z
      - .offset:         66
        .size:           2
        .value_kind:     hidden_remainder_x
      - .offset:         68
        .size:           2
        .value_kind:     hidden_remainder_y
      - .offset:         70
        .size:           2
        .value_kind:     hidden_remainder_z
      - .offset:         88
        .size:           8
        .value_kind:     hidden_global_offset_x
      - .offset:         96
        .size:           8
        .value_kind:     hidden_global_offset_y
      - .offset:         104
        .size:           8
        .value_kind:     hidden_global_offset_z
      - .offset:         112
        .size:           2
        .value_kind:     hidden_grid_dims
    .group_segment_fixed_size: 0
    .kernarg_segment_align: 8
    .kernarg_segment_size: 304
    .language:       OpenCL C
    .language_version:
      - 2
      - 0
    .max_flat_workgroup_size: 1024
    .name:           _ZN12_GLOBAL__N_120softmax_warp_forwardIN3c108BFloat16EffLi7ELb0ELb0ELi64EEEvPT0_PKT_iiiPKbib
    .private_segment_fixed_size: 0
    .sgpr_count:     18
    .sgpr_spill_count: 0
    .symbol:         _ZN12_GLOBAL__N_120softmax_warp_forwardIN3c108BFloat16EffLi7ELb0ELb0ELi64EEEvPT0_PKT_iiiPKbib.kd
    .uniform_work_group_size: 1
    .uses_dynamic_stack: false
    .vgpr_count:     25
    .vgpr_spill_count: 0
    .wavefront_size: 32
    .workgroup_processor_mode: 1
  - .args:
      - .address_space:  global
        .offset:         0
        .size:           8
        .value_kind:     global_buffer
      - .address_space:  global
        .offset:         8
        .size:           8
        .value_kind:     global_buffer
      - .offset:         16
        .size:           4
        .value_kind:     by_value
      - .offset:         20
        .size:           4
        .value_kind:     by_value
      - .offset:         24
        .size:           4
        .value_kind:     by_value
      - .address_space:  global
        .offset:         32
        .size:           8
        .value_kind:     global_buffer
      - .offset:         40
        .size:           4
        .value_kind:     by_value
      - .offset:         44
        .size:           1
        .value_kind:     by_value
      - .offset:         48
        .size:           4
        .value_kind:     hidden_block_count_x
      - .offset:         52
        .size:           4
        .value_kind:     hidden_block_count_y
      - .offset:         56
        .size:           4
        .value_kind:     hidden_block_count_z
      - .offset:         60
        .size:           2
        .value_kind:     hidden_group_size_x
      - .offset:         62
        .size:           2
        .value_kind:     hidden_group_size_y
      - .offset:         64
        .size:           2
        .value_kind:     hidden_group_size_z
      - .offset:         66
        .size:           2
        .value_kind:     hidden_remainder_x
      - .offset:         68
        .size:           2
        .value_kind:     hidden_remainder_y
      - .offset:         70
        .size:           2
        .value_kind:     hidden_remainder_z
      - .offset:         88
        .size:           8
        .value_kind:     hidden_global_offset_x
      - .offset:         96
        .size:           8
        .value_kind:     hidden_global_offset_y
      - .offset:         104
        .size:           8
        .value_kind:     hidden_global_offset_z
      - .offset:         112
        .size:           2
        .value_kind:     hidden_grid_dims
    .group_segment_fixed_size: 0
    .kernarg_segment_align: 8
    .kernarg_segment_size: 304
    .language:       OpenCL C
    .language_version:
      - 2
      - 0
    .max_flat_workgroup_size: 1024
    .name:           _ZN12_GLOBAL__N_120softmax_warp_forwardIN3c108BFloat16EffLi7ELb0ELb0ELi32EEEvPT0_PKT_iiiPKbib
    .private_segment_fixed_size: 0
    .sgpr_count:     26
    .sgpr_spill_count: 0
    .symbol:         _ZN12_GLOBAL__N_120softmax_warp_forwardIN3c108BFloat16EffLi7ELb0ELb0ELi32EEEvPT0_PKT_iiiPKbib.kd
    .uniform_work_group_size: 1
    .uses_dynamic_stack: false
    .vgpr_count:     40
    .vgpr_spill_count: 0
    .wavefront_size: 32
    .workgroup_processor_mode: 1
  - .args:
      - .address_space:  global
        .offset:         0
        .size:           8
        .value_kind:     global_buffer
      - .address_space:  global
        .offset:         8
        .size:           8
        .value_kind:     global_buffer
      - .offset:         16
        .size:           4
        .value_kind:     by_value
      - .offset:         20
        .size:           4
        .value_kind:     by_value
      - .offset:         24
        .size:           4
        .value_kind:     by_value
      - .address_space:  global
        .offset:         32
        .size:           8
        .value_kind:     global_buffer
      - .offset:         40
        .size:           4
        .value_kind:     by_value
      - .offset:         44
        .size:           1
        .value_kind:     by_value
      - .offset:         48
        .size:           4
        .value_kind:     hidden_block_count_x
      - .offset:         52
        .size:           4
        .value_kind:     hidden_block_count_y
      - .offset:         56
        .size:           4
        .value_kind:     hidden_block_count_z
      - .offset:         60
        .size:           2
        .value_kind:     hidden_group_size_x
      - .offset:         62
        .size:           2
        .value_kind:     hidden_group_size_y
      - .offset:         64
        .size:           2
        .value_kind:     hidden_group_size_z
      - .offset:         66
        .size:           2
        .value_kind:     hidden_remainder_x
      - .offset:         68
        .size:           2
        .value_kind:     hidden_remainder_y
      - .offset:         70
        .size:           2
        .value_kind:     hidden_remainder_z
      - .offset:         88
        .size:           8
        .value_kind:     hidden_global_offset_x
      - .offset:         96
        .size:           8
        .value_kind:     hidden_global_offset_y
      - .offset:         104
        .size:           8
        .value_kind:     hidden_global_offset_z
      - .offset:         112
        .size:           2
        .value_kind:     hidden_grid_dims
    .group_segment_fixed_size: 0
    .kernarg_segment_align: 8
    .kernarg_segment_size: 304
    .language:       OpenCL C
    .language_version:
      - 2
      - 0
    .max_flat_workgroup_size: 1024
    .name:           _ZN12_GLOBAL__N_120softmax_warp_forwardIN3c108BFloat16EffLi8ELb0ELb0ELi64EEEvPT0_PKT_iiiPKbib
    .private_segment_fixed_size: 0
    .sgpr_count:     18
    .sgpr_spill_count: 0
    .symbol:         _ZN12_GLOBAL__N_120softmax_warp_forwardIN3c108BFloat16EffLi8ELb0ELb0ELi64EEEvPT0_PKT_iiiPKbib.kd
    .uniform_work_group_size: 1
    .uses_dynamic_stack: false
    .vgpr_count:     24
    .vgpr_spill_count: 0
    .wavefront_size: 32
    .workgroup_processor_mode: 1
  - .args:
      - .address_space:  global
        .offset:         0
        .size:           8
        .value_kind:     global_buffer
      - .address_space:  global
        .offset:         8
        .size:           8
        .value_kind:     global_buffer
      - .offset:         16
        .size:           4
        .value_kind:     by_value
      - .offset:         20
        .size:           4
        .value_kind:     by_value
      - .offset:         24
        .size:           4
        .value_kind:     by_value
      - .address_space:  global
        .offset:         32
        .size:           8
        .value_kind:     global_buffer
      - .offset:         40
        .size:           4
        .value_kind:     by_value
      - .offset:         44
        .size:           1
        .value_kind:     by_value
      - .offset:         48
        .size:           4
        .value_kind:     hidden_block_count_x
      - .offset:         52
        .size:           4
        .value_kind:     hidden_block_count_y
      - .offset:         56
        .size:           4
        .value_kind:     hidden_block_count_z
      - .offset:         60
        .size:           2
        .value_kind:     hidden_group_size_x
      - .offset:         62
        .size:           2
        .value_kind:     hidden_group_size_y
      - .offset:         64
        .size:           2
        .value_kind:     hidden_group_size_z
      - .offset:         66
        .size:           2
        .value_kind:     hidden_remainder_x
      - .offset:         68
        .size:           2
        .value_kind:     hidden_remainder_y
      - .offset:         70
        .size:           2
        .value_kind:     hidden_remainder_z
      - .offset:         88
        .size:           8
        .value_kind:     hidden_global_offset_x
      - .offset:         96
        .size:           8
        .value_kind:     hidden_global_offset_y
      - .offset:         104
        .size:           8
        .value_kind:     hidden_global_offset_z
      - .offset:         112
        .size:           2
        .value_kind:     hidden_grid_dims
    .group_segment_fixed_size: 0
    .kernarg_segment_align: 8
    .kernarg_segment_size: 304
    .language:       OpenCL C
    .language_version:
      - 2
      - 0
    .max_flat_workgroup_size: 1024
    .name:           _ZN12_GLOBAL__N_120softmax_warp_forwardIN3c108BFloat16EffLi8ELb0ELb0ELi32EEEvPT0_PKT_iiiPKbib
    .private_segment_fixed_size: 0
    .sgpr_count:     26
    .sgpr_spill_count: 0
    .symbol:         _ZN12_GLOBAL__N_120softmax_warp_forwardIN3c108BFloat16EffLi8ELb0ELb0ELi32EEEvPT0_PKT_iiiPKbib.kd
    .uniform_work_group_size: 1
    .uses_dynamic_stack: false
    .vgpr_count:     40
    .vgpr_spill_count: 0
    .wavefront_size: 32
    .workgroup_processor_mode: 1
  - .args:
      - .address_space:  global
        .offset:         0
        .size:           8
        .value_kind:     global_buffer
      - .address_space:  global
        .offset:         8
        .size:           8
        .value_kind:     global_buffer
      - .offset:         16
        .size:           4
        .value_kind:     by_value
      - .offset:         20
        .size:           4
        .value_kind:     by_value
      - .offset:         24
        .size:           4
        .value_kind:     by_value
      - .address_space:  global
        .offset:         32
        .size:           8
        .value_kind:     global_buffer
      - .offset:         40
        .size:           4
        .value_kind:     by_value
      - .offset:         44
        .size:           1
        .value_kind:     by_value
      - .offset:         48
        .size:           4
        .value_kind:     hidden_block_count_x
      - .offset:         52
        .size:           4
        .value_kind:     hidden_block_count_y
      - .offset:         56
        .size:           4
        .value_kind:     hidden_block_count_z
      - .offset:         60
        .size:           2
        .value_kind:     hidden_group_size_x
      - .offset:         62
        .size:           2
        .value_kind:     hidden_group_size_y
      - .offset:         64
        .size:           2
        .value_kind:     hidden_group_size_z
      - .offset:         66
        .size:           2
        .value_kind:     hidden_remainder_x
      - .offset:         68
        .size:           2
        .value_kind:     hidden_remainder_y
      - .offset:         70
        .size:           2
        .value_kind:     hidden_remainder_z
      - .offset:         88
        .size:           8
        .value_kind:     hidden_global_offset_x
      - .offset:         96
        .size:           8
        .value_kind:     hidden_global_offset_y
      - .offset:         104
        .size:           8
        .value_kind:     hidden_global_offset_z
      - .offset:         112
        .size:           2
        .value_kind:     hidden_grid_dims
    .group_segment_fixed_size: 0
    .kernarg_segment_align: 8
    .kernarg_segment_size: 304
    .language:       OpenCL C
    .language_version:
      - 2
      - 0
    .max_flat_workgroup_size: 1024
    .name:           _ZN12_GLOBAL__N_120softmax_warp_forwardIN3c108BFloat16EffLi9ELb0ELb0ELi64EEEvPT0_PKT_iiiPKbib
    .private_segment_fixed_size: 0
    .sgpr_count:     26
    .sgpr_spill_count: 0
    .symbol:         _ZN12_GLOBAL__N_120softmax_warp_forwardIN3c108BFloat16EffLi9ELb0ELb0ELi64EEEvPT0_PKT_iiiPKbib.kd
    .uniform_work_group_size: 1
    .uses_dynamic_stack: false
    .vgpr_count:     41
    .vgpr_spill_count: 0
    .wavefront_size: 32
    .workgroup_processor_mode: 1
  - .args:
      - .address_space:  global
        .offset:         0
        .size:           8
        .value_kind:     global_buffer
      - .address_space:  global
        .offset:         8
        .size:           8
        .value_kind:     global_buffer
      - .offset:         16
        .size:           4
        .value_kind:     by_value
      - .offset:         20
        .size:           4
        .value_kind:     by_value
      - .offset:         24
        .size:           4
        .value_kind:     by_value
      - .address_space:  global
        .offset:         32
        .size:           8
        .value_kind:     global_buffer
      - .offset:         40
        .size:           4
        .value_kind:     by_value
      - .offset:         44
        .size:           1
        .value_kind:     by_value
      - .offset:         48
        .size:           4
        .value_kind:     hidden_block_count_x
      - .offset:         52
        .size:           4
        .value_kind:     hidden_block_count_y
      - .offset:         56
        .size:           4
        .value_kind:     hidden_block_count_z
      - .offset:         60
        .size:           2
        .value_kind:     hidden_group_size_x
      - .offset:         62
        .size:           2
        .value_kind:     hidden_group_size_y
      - .offset:         64
        .size:           2
        .value_kind:     hidden_group_size_z
      - .offset:         66
        .size:           2
        .value_kind:     hidden_remainder_x
      - .offset:         68
        .size:           2
        .value_kind:     hidden_remainder_y
      - .offset:         70
        .size:           2
        .value_kind:     hidden_remainder_z
      - .offset:         88
        .size:           8
        .value_kind:     hidden_global_offset_x
      - .offset:         96
        .size:           8
        .value_kind:     hidden_global_offset_y
      - .offset:         104
        .size:           8
        .value_kind:     hidden_global_offset_z
      - .offset:         112
        .size:           2
        .value_kind:     hidden_grid_dims
    .group_segment_fixed_size: 0
    .kernarg_segment_align: 8
    .kernarg_segment_size: 304
    .language:       OpenCL C
    .language_version:
      - 2
      - 0
    .max_flat_workgroup_size: 1024
    .name:           _ZN12_GLOBAL__N_120softmax_warp_forwardIN3c108BFloat16EffLi9ELb0ELb0ELi32EEEvPT0_PKT_iiiPKbib
    .private_segment_fixed_size: 0
    .sgpr_count:     26
    .sgpr_spill_count: 0
    .symbol:         _ZN12_GLOBAL__N_120softmax_warp_forwardIN3c108BFloat16EffLi9ELb0ELb0ELi32EEEvPT0_PKT_iiiPKbib.kd
    .uniform_work_group_size: 1
    .uses_dynamic_stack: false
    .vgpr_count:     72
    .vgpr_spill_count: 0
    .wavefront_size: 32
    .workgroup_processor_mode: 1
  - .args:
      - .address_space:  global
        .offset:         0
        .size:           8
        .value_kind:     global_buffer
      - .address_space:  global
        .offset:         8
        .size:           8
        .value_kind:     global_buffer
      - .offset:         16
        .size:           4
        .value_kind:     by_value
      - .offset:         20
        .size:           4
        .value_kind:     by_value
      - .offset:         24
        .size:           4
        .value_kind:     by_value
      - .address_space:  global
        .offset:         32
        .size:           8
        .value_kind:     global_buffer
      - .offset:         40
        .size:           4
        .value_kind:     by_value
      - .offset:         44
        .size:           1
        .value_kind:     by_value
      - .offset:         48
        .size:           4
        .value_kind:     hidden_block_count_x
      - .offset:         52
        .size:           4
        .value_kind:     hidden_block_count_y
      - .offset:         56
        .size:           4
        .value_kind:     hidden_block_count_z
      - .offset:         60
        .size:           2
        .value_kind:     hidden_group_size_x
      - .offset:         62
        .size:           2
        .value_kind:     hidden_group_size_y
      - .offset:         64
        .size:           2
        .value_kind:     hidden_group_size_z
      - .offset:         66
        .size:           2
        .value_kind:     hidden_remainder_x
      - .offset:         68
        .size:           2
        .value_kind:     hidden_remainder_y
      - .offset:         70
        .size:           2
        .value_kind:     hidden_remainder_z
      - .offset:         88
        .size:           8
        .value_kind:     hidden_global_offset_x
      - .offset:         96
        .size:           8
        .value_kind:     hidden_global_offset_y
      - .offset:         104
        .size:           8
        .value_kind:     hidden_global_offset_z
      - .offset:         112
        .size:           2
        .value_kind:     hidden_grid_dims
    .group_segment_fixed_size: 0
    .kernarg_segment_align: 8
    .kernarg_segment_size: 304
    .language:       OpenCL C
    .language_version:
      - 2
      - 0
    .max_flat_workgroup_size: 1024
    .name:           _ZN12_GLOBAL__N_120softmax_warp_forwardIN3c108BFloat16EffLi10ELb0ELb0ELi64EEEvPT0_PKT_iiiPKbib
    .private_segment_fixed_size: 0
    .sgpr_count:     26
    .sgpr_spill_count: 0
    .symbol:         _ZN12_GLOBAL__N_120softmax_warp_forwardIN3c108BFloat16EffLi10ELb0ELb0ELi64EEEvPT0_PKT_iiiPKbib.kd
    .uniform_work_group_size: 1
    .uses_dynamic_stack: false
    .vgpr_count:     73
    .vgpr_spill_count: 0
    .wavefront_size: 32
    .workgroup_processor_mode: 1
  - .args:
      - .address_space:  global
        .offset:         0
        .size:           8
        .value_kind:     global_buffer
      - .address_space:  global
        .offset:         8
        .size:           8
        .value_kind:     global_buffer
      - .offset:         16
        .size:           4
        .value_kind:     by_value
      - .offset:         20
        .size:           4
        .value_kind:     by_value
      - .offset:         24
        .size:           4
        .value_kind:     by_value
      - .address_space:  global
        .offset:         32
        .size:           8
        .value_kind:     global_buffer
      - .offset:         40
        .size:           4
        .value_kind:     by_value
      - .offset:         44
        .size:           1
        .value_kind:     by_value
      - .offset:         48
        .size:           4
        .value_kind:     hidden_block_count_x
      - .offset:         52
        .size:           4
        .value_kind:     hidden_block_count_y
      - .offset:         56
        .size:           4
        .value_kind:     hidden_block_count_z
      - .offset:         60
        .size:           2
        .value_kind:     hidden_group_size_x
      - .offset:         62
        .size:           2
        .value_kind:     hidden_group_size_y
      - .offset:         64
        .size:           2
        .value_kind:     hidden_group_size_z
      - .offset:         66
        .size:           2
        .value_kind:     hidden_remainder_x
      - .offset:         68
        .size:           2
        .value_kind:     hidden_remainder_y
      - .offset:         70
        .size:           2
        .value_kind:     hidden_remainder_z
      - .offset:         88
        .size:           8
        .value_kind:     hidden_global_offset_x
      - .offset:         96
        .size:           8
        .value_kind:     hidden_global_offset_y
      - .offset:         104
        .size:           8
        .value_kind:     hidden_global_offset_z
      - .offset:         112
        .size:           2
        .value_kind:     hidden_grid_dims
    .group_segment_fixed_size: 0
    .kernarg_segment_align: 8
    .kernarg_segment_size: 304
    .language:       OpenCL C
    .language_version:
      - 2
      - 0
    .max_flat_workgroup_size: 1024
    .name:           _ZN12_GLOBAL__N_120softmax_warp_forwardIN3c108BFloat16EffLi10ELb0ELb0ELi32EEEvPT0_PKT_iiiPKbib
    .private_segment_fixed_size: 0
    .sgpr_count:     46
    .sgpr_spill_count: 0
    .symbol:         _ZN12_GLOBAL__N_120softmax_warp_forwardIN3c108BFloat16EffLi10ELb0ELb0ELi32EEEvPT0_PKT_iiiPKbib.kd
    .uniform_work_group_size: 1
    .uses_dynamic_stack: false
    .vgpr_count:     94
    .vgpr_spill_count: 0
    .wavefront_size: 32
    .workgroup_processor_mode: 1
  - .args:
      - .address_space:  global
        .offset:         0
        .size:           8
        .value_kind:     global_buffer
      - .address_space:  global
        .offset:         8
        .size:           8
        .value_kind:     global_buffer
      - .offset:         16
        .size:           4
        .value_kind:     by_value
      - .offset:         20
        .size:           4
        .value_kind:     by_value
      - .offset:         24
        .size:           4
        .value_kind:     by_value
      - .address_space:  global
        .offset:         32
        .size:           8
        .value_kind:     global_buffer
      - .offset:         40
        .size:           4
        .value_kind:     by_value
      - .offset:         44
        .size:           1
        .value_kind:     by_value
      - .offset:         48
        .size:           4
        .value_kind:     hidden_block_count_x
      - .offset:         52
        .size:           4
        .value_kind:     hidden_block_count_y
      - .offset:         56
        .size:           4
        .value_kind:     hidden_block_count_z
      - .offset:         60
        .size:           2
        .value_kind:     hidden_group_size_x
      - .offset:         62
        .size:           2
        .value_kind:     hidden_group_size_y
      - .offset:         64
        .size:           2
        .value_kind:     hidden_group_size_z
      - .offset:         66
        .size:           2
        .value_kind:     hidden_remainder_x
      - .offset:         68
        .size:           2
        .value_kind:     hidden_remainder_y
      - .offset:         70
        .size:           2
        .value_kind:     hidden_remainder_z
      - .offset:         88
        .size:           8
        .value_kind:     hidden_global_offset_x
      - .offset:         96
        .size:           8
        .value_kind:     hidden_global_offset_y
      - .offset:         104
        .size:           8
        .value_kind:     hidden_global_offset_z
      - .offset:         112
        .size:           2
        .value_kind:     hidden_grid_dims
    .group_segment_fixed_size: 0
    .kernarg_segment_align: 8
    .kernarg_segment_size: 304
    .language:       OpenCL C
    .language_version:
      - 2
      - 0
    .max_flat_workgroup_size: 1024
    .name:           _ZN12_GLOBAL__N_120softmax_warp_forwardIN3c108BFloat16EffLi11ELb0ELb0ELi64EEEvPT0_PKT_iiiPKbib
    .private_segment_fixed_size: 0
    .sgpr_count:     46
    .sgpr_spill_count: 0
    .symbol:         _ZN12_GLOBAL__N_120softmax_warp_forwardIN3c108BFloat16EffLi11ELb0ELb0ELi64EEEvPT0_PKT_iiiPKbib.kd
    .uniform_work_group_size: 1
    .uses_dynamic_stack: false
    .vgpr_count:     94
    .vgpr_spill_count: 0
    .wavefront_size: 32
    .workgroup_processor_mode: 1
  - .args:
      - .address_space:  global
        .offset:         0
        .size:           8
        .value_kind:     global_buffer
      - .address_space:  global
        .offset:         8
        .size:           8
        .value_kind:     global_buffer
      - .offset:         16
        .size:           4
        .value_kind:     by_value
      - .offset:         20
        .size:           4
        .value_kind:     by_value
      - .offset:         24
        .size:           4
        .value_kind:     by_value
      - .address_space:  global
        .offset:         32
        .size:           8
        .value_kind:     global_buffer
      - .offset:         40
        .size:           4
        .value_kind:     by_value
      - .offset:         44
        .size:           1
        .value_kind:     by_value
      - .offset:         48
        .size:           4
        .value_kind:     hidden_block_count_x
      - .offset:         52
        .size:           4
        .value_kind:     hidden_block_count_y
      - .offset:         56
        .size:           4
        .value_kind:     hidden_block_count_z
      - .offset:         60
        .size:           2
        .value_kind:     hidden_group_size_x
      - .offset:         62
        .size:           2
        .value_kind:     hidden_group_size_y
      - .offset:         64
        .size:           2
        .value_kind:     hidden_group_size_z
      - .offset:         66
        .size:           2
        .value_kind:     hidden_remainder_x
      - .offset:         68
        .size:           2
        .value_kind:     hidden_remainder_y
      - .offset:         70
        .size:           2
        .value_kind:     hidden_remainder_z
      - .offset:         88
        .size:           8
        .value_kind:     hidden_global_offset_x
      - .offset:         96
        .size:           8
        .value_kind:     hidden_global_offset_y
      - .offset:         104
        .size:           8
        .value_kind:     hidden_global_offset_z
      - .offset:         112
        .size:           2
        .value_kind:     hidden_grid_dims
    .group_segment_fixed_size: 0
    .kernarg_segment_align: 8
    .kernarg_segment_size: 304
    .language:       OpenCL C
    .language_version:
      - 2
      - 0
    .max_flat_workgroup_size: 1024
    .name:           _ZN12_GLOBAL__N_120softmax_warp_forwardIN3c108BFloat16EffLi11ELb0ELb0ELi32EEEvPT0_PKT_iiiPKbib
    .private_segment_fixed_size: 0
    .sgpr_count:     78
    .sgpr_spill_count: 0
    .symbol:         _ZN12_GLOBAL__N_120softmax_warp_forwardIN3c108BFloat16EffLi11ELb0ELb0ELi32EEEvPT0_PKT_iiiPKbib.kd
    .uniform_work_group_size: 1
    .uses_dynamic_stack: false
    .vgpr_count:     77
    .vgpr_spill_count: 0
    .wavefront_size: 32
    .workgroup_processor_mode: 1
  - .args:
      - .address_space:  global
        .offset:         0
        .size:           8
        .value_kind:     global_buffer
      - .address_space:  global
        .offset:         8
        .size:           8
        .value_kind:     global_buffer
      - .offset:         16
        .size:           8
        .value_kind:     by_value
      - .offset:         24
        .size:           4
        .value_kind:     hidden_block_count_x
      - .offset:         28
        .size:           4
        .value_kind:     hidden_block_count_y
      - .offset:         32
        .size:           4
        .value_kind:     hidden_block_count_z
      - .offset:         36
        .size:           2
        .value_kind:     hidden_group_size_x
      - .offset:         38
        .size:           2
        .value_kind:     hidden_group_size_y
      - .offset:         40
        .size:           2
        .value_kind:     hidden_group_size_z
      - .offset:         42
        .size:           2
        .value_kind:     hidden_remainder_x
      - .offset:         44
        .size:           2
        .value_kind:     hidden_remainder_y
      - .offset:         46
        .size:           2
        .value_kind:     hidden_remainder_z
      - .offset:         64
        .size:           8
        .value_kind:     hidden_global_offset_x
      - .offset:         72
        .size:           8
        .value_kind:     hidden_global_offset_y
      - .offset:         80
        .size:           8
        .value_kind:     hidden_global_offset_z
      - .offset:         88
        .size:           2
        .value_kind:     hidden_grid_dims
      - .offset:         144
        .size:           4
        .value_kind:     hidden_dynamic_lds_size
    .group_segment_fixed_size: 0
    .kernarg_segment_align: 8
    .kernarg_segment_size: 280
    .language:       OpenCL C
    .language_version:
      - 2
      - 0
    .max_flat_workgroup_size: 1024
    .name:           _ZN2at6native12_GLOBAL__N_123cunn_SoftMaxForwardGmemILi8EN3c108BFloat16EffNS1_29SoftMaxForwardWithMulEpilogueElEEvPT2_PKT0_T4_
    .private_segment_fixed_size: 0
    .sgpr_count:     22
    .sgpr_spill_count: 0
    .symbol:         _ZN2at6native12_GLOBAL__N_123cunn_SoftMaxForwardGmemILi8EN3c108BFloat16EffNS1_29SoftMaxForwardWithMulEpilogueElEEvPT2_PKT0_T4_.kd
    .uniform_work_group_size: 1
    .uses_dynamic_stack: false
    .vgpr_count:     24
    .vgpr_spill_count: 0
    .wavefront_size: 32
    .workgroup_processor_mode: 1
  - .args:
      - .address_space:  global
        .offset:         0
        .size:           8
        .value_kind:     global_buffer
      - .address_space:  global
        .offset:         8
        .size:           8
        .value_kind:     global_buffer
      - .offset:         16
        .size:           4
        .value_kind:     by_value
      - .offset:         24
        .size:           4
        .value_kind:     hidden_block_count_x
      - .offset:         28
        .size:           4
        .value_kind:     hidden_block_count_y
      - .offset:         32
        .size:           4
        .value_kind:     hidden_block_count_z
      - .offset:         36
        .size:           2
        .value_kind:     hidden_group_size_x
      - .offset:         38
        .size:           2
        .value_kind:     hidden_group_size_y
      - .offset:         40
        .size:           2
        .value_kind:     hidden_group_size_z
      - .offset:         42
        .size:           2
        .value_kind:     hidden_remainder_x
      - .offset:         44
        .size:           2
        .value_kind:     hidden_remainder_y
      - .offset:         46
        .size:           2
        .value_kind:     hidden_remainder_z
      - .offset:         64
        .size:           8
        .value_kind:     hidden_global_offset_x
      - .offset:         72
        .size:           8
        .value_kind:     hidden_global_offset_y
      - .offset:         80
        .size:           8
        .value_kind:     hidden_global_offset_z
      - .offset:         88
        .size:           2
        .value_kind:     hidden_grid_dims
      - .offset:         144
        .size:           4
        .value_kind:     hidden_dynamic_lds_size
    .group_segment_fixed_size: 0
    .kernarg_segment_align: 8
    .kernarg_segment_size: 280
    .language:       OpenCL C
    .language_version:
      - 2
      - 0
    .max_flat_workgroup_size: 1024
    .name:           _ZN2at6native12_GLOBAL__N_123cunn_SoftMaxForwardFastILi8EN3c108BFloat16EffNS1_29SoftMaxForwardWithMulEpilogueEEEvPT2_PKT0_i
    .private_segment_fixed_size: 0
    .sgpr_count:     22
    .sgpr_spill_count: 0
    .symbol:         _ZN2at6native12_GLOBAL__N_123cunn_SoftMaxForwardFastILi8EN3c108BFloat16EffNS1_29SoftMaxForwardWithMulEpilogueEEEvPT2_PKT0_i.kd
    .uniform_work_group_size: 1
    .uses_dynamic_stack: false
    .vgpr_count:     19
    .vgpr_spill_count: 0
    .wavefront_size: 32
    .workgroup_processor_mode: 1
  - .args:
      - .address_space:  global
        .offset:         0
        .size:           8
        .value_kind:     global_buffer
      - .address_space:  global
        .offset:         8
        .size:           8
        .value_kind:     global_buffer
      - .offset:         16
        .size:           4
        .value_kind:     by_value
      - .offset:         20
        .size:           4
        .value_kind:     by_value
      - .offset:         24
        .size:           4
        .value_kind:     by_value
      - .offset:         32
        .size:           4
        .value_kind:     hidden_block_count_x
      - .offset:         36
        .size:           4
        .value_kind:     hidden_block_count_y
      - .offset:         40
        .size:           4
        .value_kind:     hidden_block_count_z
      - .offset:         44
        .size:           2
        .value_kind:     hidden_group_size_x
      - .offset:         46
        .size:           2
        .value_kind:     hidden_group_size_y
      - .offset:         48
        .size:           2
        .value_kind:     hidden_group_size_z
      - .offset:         50
        .size:           2
        .value_kind:     hidden_remainder_x
      - .offset:         52
        .size:           2
        .value_kind:     hidden_remainder_y
      - .offset:         54
        .size:           2
        .value_kind:     hidden_remainder_z
      - .offset:         72
        .size:           8
        .value_kind:     hidden_global_offset_x
      - .offset:         80
        .size:           8
        .value_kind:     hidden_global_offset_y
      - .offset:         88
        .size:           8
        .value_kind:     hidden_global_offset_z
      - .offset:         96
        .size:           2
        .value_kind:     hidden_grid_dims
      - .offset:         152
        .size:           4
        .value_kind:     hidden_dynamic_lds_size
    .group_segment_fixed_size: 0
    .kernarg_segment_align: 8
    .kernarg_segment_size: 288
    .language:       OpenCL C
    .language_version:
      - 2
      - 0
    .max_flat_workgroup_size: 1024
    .name:           _ZN2at6native12_GLOBAL__N_126cunn_SpatialSoftMaxForwardIdddiNS1_22SoftMaxForwardEpilogueEEEvPT1_PKT_T2_S9_S9_
    .private_segment_fixed_size: 0
    .sgpr_count:     54
    .sgpr_spill_count: 0
    .symbol:         _ZN2at6native12_GLOBAL__N_126cunn_SpatialSoftMaxForwardIdddiNS1_22SoftMaxForwardEpilogueEEEvPT1_PKT_T2_S9_S9_.kd
    .uniform_work_group_size: 1
    .uses_dynamic_stack: false
    .vgpr_count:     27
    .vgpr_spill_count: 0
    .wavefront_size: 32
    .workgroup_processor_mode: 1
  - .args:
      - .address_space:  global
        .offset:         0
        .size:           8
        .value_kind:     global_buffer
      - .address_space:  global
        .offset:         8
        .size:           8
        .value_kind:     global_buffer
      - .offset:         16
        .size:           8
        .value_kind:     by_value
      - .offset:         24
        .size:           8
        .value_kind:     by_value
      - .offset:         32
        .size:           8
        .value_kind:     by_value
      - .offset:         40
        .size:           4
        .value_kind:     hidden_block_count_x
      - .offset:         44
        .size:           4
        .value_kind:     hidden_block_count_y
      - .offset:         48
        .size:           4
        .value_kind:     hidden_block_count_z
      - .offset:         52
        .size:           2
        .value_kind:     hidden_group_size_x
      - .offset:         54
        .size:           2
        .value_kind:     hidden_group_size_y
      - .offset:         56
        .size:           2
        .value_kind:     hidden_group_size_z
      - .offset:         58
        .size:           2
        .value_kind:     hidden_remainder_x
      - .offset:         60
        .size:           2
        .value_kind:     hidden_remainder_y
      - .offset:         62
        .size:           2
        .value_kind:     hidden_remainder_z
      - .offset:         80
        .size:           8
        .value_kind:     hidden_global_offset_x
      - .offset:         88
        .size:           8
        .value_kind:     hidden_global_offset_y
      - .offset:         96
        .size:           8
        .value_kind:     hidden_global_offset_z
      - .offset:         104
        .size:           2
        .value_kind:     hidden_grid_dims
      - .offset:         160
        .size:           4
        .value_kind:     hidden_dynamic_lds_size
    .group_segment_fixed_size: 0
    .kernarg_segment_align: 8
    .kernarg_segment_size: 296
    .language:       OpenCL C
    .language_version:
      - 2
      - 0
    .max_flat_workgroup_size: 1024
    .name:           _ZN2at6native12_GLOBAL__N_126cunn_SpatialSoftMaxForwardIdddlNS1_22SoftMaxForwardEpilogueEEEvPT1_PKT_T2_S9_S9_
    .private_segment_fixed_size: 0
    .sgpr_count:     62
    .sgpr_spill_count: 0
    .symbol:         _ZN2at6native12_GLOBAL__N_126cunn_SpatialSoftMaxForwardIdddlNS1_22SoftMaxForwardEpilogueEEEvPT1_PKT_T2_S9_S9_.kd
    .uniform_work_group_size: 1
    .uses_dynamic_stack: false
    .vgpr_count:     38
    .vgpr_spill_count: 0
    .wavefront_size: 32
    .workgroup_processor_mode: 1
  - .args:
      - .address_space:  global
        .offset:         0
        .size:           8
        .value_kind:     global_buffer
      - .address_space:  global
        .offset:         8
        .size:           8
        .value_kind:     global_buffer
      - .offset:         16
        .size:           4
        .value_kind:     by_value
      - .offset:         20
        .size:           4
        .value_kind:     by_value
      - .offset:         24
        .size:           4
        .value_kind:     by_value
      - .offset:         32
        .size:           4
        .value_kind:     hidden_block_count_x
      - .offset:         36
        .size:           4
        .value_kind:     hidden_block_count_y
      - .offset:         40
        .size:           4
        .value_kind:     hidden_block_count_z
      - .offset:         44
        .size:           2
        .value_kind:     hidden_group_size_x
      - .offset:         46
        .size:           2
        .value_kind:     hidden_group_size_y
      - .offset:         48
        .size:           2
        .value_kind:     hidden_group_size_z
      - .offset:         50
        .size:           2
        .value_kind:     hidden_remainder_x
      - .offset:         52
        .size:           2
        .value_kind:     hidden_remainder_y
      - .offset:         54
        .size:           2
        .value_kind:     hidden_remainder_z
      - .offset:         72
        .size:           8
        .value_kind:     hidden_global_offset_x
      - .offset:         80
        .size:           8
        .value_kind:     hidden_global_offset_y
      - .offset:         88
        .size:           8
        .value_kind:     hidden_global_offset_z
      - .offset:         96
        .size:           2
        .value_kind:     hidden_grid_dims
      - .offset:         152
        .size:           4
        .value_kind:     hidden_dynamic_lds_size
    .group_segment_fixed_size: 0
    .kernarg_segment_align: 8
    .kernarg_segment_size: 288
    .language:       OpenCL C
    .language_version:
      - 2
      - 0
    .max_flat_workgroup_size: 1024
    .name:           _ZN2at6native12_GLOBAL__N_126cunn_SpatialSoftMaxForwardIfffiNS1_22SoftMaxForwardEpilogueEEEvPT1_PKT_T2_S9_S9_
    .private_segment_fixed_size: 0
    .sgpr_count:     25
    .sgpr_spill_count: 0
    .symbol:         _ZN2at6native12_GLOBAL__N_126cunn_SpatialSoftMaxForwardIfffiNS1_22SoftMaxForwardEpilogueEEEvPT1_PKT_T2_S9_S9_.kd
    .uniform_work_group_size: 1
    .uses_dynamic_stack: false
    .vgpr_count:     20
    .vgpr_spill_count: 0
    .wavefront_size: 32
    .workgroup_processor_mode: 1
  - .args:
      - .address_space:  global
        .offset:         0
        .size:           8
        .value_kind:     global_buffer
      - .address_space:  global
        .offset:         8
        .size:           8
        .value_kind:     global_buffer
      - .offset:         16
        .size:           8
        .value_kind:     by_value
      - .offset:         24
        .size:           8
        .value_kind:     by_value
      - .offset:         32
        .size:           8
        .value_kind:     by_value
      - .offset:         40
        .size:           4
        .value_kind:     hidden_block_count_x
      - .offset:         44
        .size:           4
        .value_kind:     hidden_block_count_y
      - .offset:         48
        .size:           4
        .value_kind:     hidden_block_count_z
      - .offset:         52
        .size:           2
        .value_kind:     hidden_group_size_x
      - .offset:         54
        .size:           2
        .value_kind:     hidden_group_size_y
      - .offset:         56
        .size:           2
        .value_kind:     hidden_group_size_z
      - .offset:         58
        .size:           2
        .value_kind:     hidden_remainder_x
      - .offset:         60
        .size:           2
        .value_kind:     hidden_remainder_y
      - .offset:         62
        .size:           2
        .value_kind:     hidden_remainder_z
      - .offset:         80
        .size:           8
        .value_kind:     hidden_global_offset_x
      - .offset:         88
        .size:           8
        .value_kind:     hidden_global_offset_y
      - .offset:         96
        .size:           8
        .value_kind:     hidden_global_offset_z
      - .offset:         104
        .size:           2
        .value_kind:     hidden_grid_dims
      - .offset:         160
        .size:           4
        .value_kind:     hidden_dynamic_lds_size
    .group_segment_fixed_size: 0
    .kernarg_segment_align: 8
    .kernarg_segment_size: 296
    .language:       OpenCL C
    .language_version:
      - 2
      - 0
    .max_flat_workgroup_size: 1024
    .name:           _ZN2at6native12_GLOBAL__N_126cunn_SpatialSoftMaxForwardIffflNS1_22SoftMaxForwardEpilogueEEEvPT1_PKT_T2_S9_S9_
    .private_segment_fixed_size: 0
    .sgpr_count:     33
    .sgpr_spill_count: 0
    .symbol:         _ZN2at6native12_GLOBAL__N_126cunn_SpatialSoftMaxForwardIffflNS1_22SoftMaxForwardEpilogueEEEvPT1_PKT_T2_S9_S9_.kd
    .uniform_work_group_size: 1
    .uses_dynamic_stack: false
    .vgpr_count:     31
    .vgpr_spill_count: 0
    .wavefront_size: 32
    .workgroup_processor_mode: 1
  - .args:
      - .address_space:  global
        .offset:         0
        .size:           8
        .value_kind:     global_buffer
      - .address_space:  global
        .offset:         8
        .size:           8
        .value_kind:     global_buffer
      - .offset:         16
        .size:           4
        .value_kind:     by_value
      - .offset:         20
        .size:           4
        .value_kind:     by_value
      - .offset:         24
        .size:           4
        .value_kind:     by_value
      - .offset:         32
        .size:           4
        .value_kind:     hidden_block_count_x
      - .offset:         36
        .size:           4
        .value_kind:     hidden_block_count_y
      - .offset:         40
        .size:           4
        .value_kind:     hidden_block_count_z
      - .offset:         44
        .size:           2
        .value_kind:     hidden_group_size_x
      - .offset:         46
        .size:           2
        .value_kind:     hidden_group_size_y
      - .offset:         48
        .size:           2
        .value_kind:     hidden_group_size_z
      - .offset:         50
        .size:           2
        .value_kind:     hidden_remainder_x
      - .offset:         52
        .size:           2
        .value_kind:     hidden_remainder_y
      - .offset:         54
        .size:           2
        .value_kind:     hidden_remainder_z
      - .offset:         72
        .size:           8
        .value_kind:     hidden_global_offset_x
      - .offset:         80
        .size:           8
        .value_kind:     hidden_global_offset_y
      - .offset:         88
        .size:           8
        .value_kind:     hidden_global_offset_z
      - .offset:         96
        .size:           2
        .value_kind:     hidden_grid_dims
      - .offset:         152
        .size:           4
        .value_kind:     hidden_dynamic_lds_size
    .group_segment_fixed_size: 0
    .kernarg_segment_align: 8
    .kernarg_segment_size: 288
    .language:       OpenCL C
    .language_version:
      - 2
      - 0
    .max_flat_workgroup_size: 1024
    .name:           _ZN2at6native12_GLOBAL__N_126cunn_SpatialSoftMaxForwardIN3c104HalfEfS4_iNS1_22SoftMaxForwardEpilogueEEEvPT1_PKT_T2_SB_SB_
    .private_segment_fixed_size: 0
    .sgpr_count:     25
    .sgpr_spill_count: 0
    .symbol:         _ZN2at6native12_GLOBAL__N_126cunn_SpatialSoftMaxForwardIN3c104HalfEfS4_iNS1_22SoftMaxForwardEpilogueEEEvPT1_PKT_T2_SB_SB_.kd
    .uniform_work_group_size: 1
    .uses_dynamic_stack: false
    .vgpr_count:     20
    .vgpr_spill_count: 0
    .wavefront_size: 32
    .workgroup_processor_mode: 1
  - .args:
      - .address_space:  global
        .offset:         0
        .size:           8
        .value_kind:     global_buffer
      - .address_space:  global
        .offset:         8
        .size:           8
        .value_kind:     global_buffer
      - .offset:         16
        .size:           4
        .value_kind:     by_value
      - .offset:         20
        .size:           4
        .value_kind:     by_value
      - .offset:         24
        .size:           4
        .value_kind:     by_value
      - .offset:         32
        .size:           4
        .value_kind:     hidden_block_count_x
      - .offset:         36
        .size:           4
        .value_kind:     hidden_block_count_y
      - .offset:         40
        .size:           4
        .value_kind:     hidden_block_count_z
      - .offset:         44
        .size:           2
        .value_kind:     hidden_group_size_x
      - .offset:         46
        .size:           2
        .value_kind:     hidden_group_size_y
      - .offset:         48
        .size:           2
        .value_kind:     hidden_group_size_z
      - .offset:         50
        .size:           2
        .value_kind:     hidden_remainder_x
      - .offset:         52
        .size:           2
        .value_kind:     hidden_remainder_y
      - .offset:         54
        .size:           2
        .value_kind:     hidden_remainder_z
      - .offset:         72
        .size:           8
        .value_kind:     hidden_global_offset_x
      - .offset:         80
        .size:           8
        .value_kind:     hidden_global_offset_y
      - .offset:         88
        .size:           8
        .value_kind:     hidden_global_offset_z
      - .offset:         96
        .size:           2
        .value_kind:     hidden_grid_dims
      - .offset:         152
        .size:           4
        .value_kind:     hidden_dynamic_lds_size
    .group_segment_fixed_size: 0
    .kernarg_segment_align: 8
    .kernarg_segment_size: 288
    .language:       OpenCL C
    .language_version:
      - 2
      - 0
    .max_flat_workgroup_size: 1024
    .name:           _ZN2at6native12_GLOBAL__N_126cunn_SpatialSoftMaxForwardIN3c104HalfEffiNS1_22SoftMaxForwardEpilogueEEEvPT1_PKT_T2_SB_SB_
    .private_segment_fixed_size: 0
    .sgpr_count:     25
    .sgpr_spill_count: 0
    .symbol:         _ZN2at6native12_GLOBAL__N_126cunn_SpatialSoftMaxForwardIN3c104HalfEffiNS1_22SoftMaxForwardEpilogueEEEvPT1_PKT_T2_SB_SB_.kd
    .uniform_work_group_size: 1
    .uses_dynamic_stack: false
    .vgpr_count:     19
    .vgpr_spill_count: 0
    .wavefront_size: 32
    .workgroup_processor_mode: 1
  - .args:
      - .address_space:  global
        .offset:         0
        .size:           8
        .value_kind:     global_buffer
      - .address_space:  global
        .offset:         8
        .size:           8
        .value_kind:     global_buffer
      - .offset:         16
        .size:           8
        .value_kind:     by_value
      - .offset:         24
        .size:           8
        .value_kind:     by_value
      - .offset:         32
        .size:           8
        .value_kind:     by_value
      - .offset:         40
        .size:           4
        .value_kind:     hidden_block_count_x
      - .offset:         44
        .size:           4
        .value_kind:     hidden_block_count_y
      - .offset:         48
        .size:           4
        .value_kind:     hidden_block_count_z
      - .offset:         52
        .size:           2
        .value_kind:     hidden_group_size_x
      - .offset:         54
        .size:           2
        .value_kind:     hidden_group_size_y
      - .offset:         56
        .size:           2
        .value_kind:     hidden_group_size_z
      - .offset:         58
        .size:           2
        .value_kind:     hidden_remainder_x
      - .offset:         60
        .size:           2
        .value_kind:     hidden_remainder_y
      - .offset:         62
        .size:           2
        .value_kind:     hidden_remainder_z
      - .offset:         80
        .size:           8
        .value_kind:     hidden_global_offset_x
      - .offset:         88
        .size:           8
        .value_kind:     hidden_global_offset_y
      - .offset:         96
        .size:           8
        .value_kind:     hidden_global_offset_z
      - .offset:         104
        .size:           2
        .value_kind:     hidden_grid_dims
      - .offset:         160
        .size:           4
        .value_kind:     hidden_dynamic_lds_size
    .group_segment_fixed_size: 0
    .kernarg_segment_align: 8
    .kernarg_segment_size: 296
    .language:       OpenCL C
    .language_version:
      - 2
      - 0
    .max_flat_workgroup_size: 1024
    .name:           _ZN2at6native12_GLOBAL__N_126cunn_SpatialSoftMaxForwardIN3c104HalfEfS4_lNS1_22SoftMaxForwardEpilogueEEEvPT1_PKT_T2_SB_SB_
    .private_segment_fixed_size: 0
    .sgpr_count:     33
    .sgpr_spill_count: 0
    .symbol:         _ZN2at6native12_GLOBAL__N_126cunn_SpatialSoftMaxForwardIN3c104HalfEfS4_lNS1_22SoftMaxForwardEpilogueEEEvPT1_PKT_T2_SB_SB_.kd
    .uniform_work_group_size: 1
    .uses_dynamic_stack: false
    .vgpr_count:     31
    .vgpr_spill_count: 0
    .wavefront_size: 32
    .workgroup_processor_mode: 1
  - .args:
      - .address_space:  global
        .offset:         0
        .size:           8
        .value_kind:     global_buffer
      - .address_space:  global
        .offset:         8
        .size:           8
        .value_kind:     global_buffer
      - .offset:         16
        .size:           8
        .value_kind:     by_value
      - .offset:         24
        .size:           8
        .value_kind:     by_value
      - .offset:         32
        .size:           8
        .value_kind:     by_value
      - .offset:         40
        .size:           4
        .value_kind:     hidden_block_count_x
      - .offset:         44
        .size:           4
        .value_kind:     hidden_block_count_y
      - .offset:         48
        .size:           4
        .value_kind:     hidden_block_count_z
      - .offset:         52
        .size:           2
        .value_kind:     hidden_group_size_x
      - .offset:         54
        .size:           2
        .value_kind:     hidden_group_size_y
      - .offset:         56
        .size:           2
        .value_kind:     hidden_group_size_z
      - .offset:         58
        .size:           2
        .value_kind:     hidden_remainder_x
      - .offset:         60
        .size:           2
        .value_kind:     hidden_remainder_y
      - .offset:         62
        .size:           2
        .value_kind:     hidden_remainder_z
      - .offset:         80
        .size:           8
        .value_kind:     hidden_global_offset_x
      - .offset:         88
        .size:           8
        .value_kind:     hidden_global_offset_y
      - .offset:         96
        .size:           8
        .value_kind:     hidden_global_offset_z
      - .offset:         104
        .size:           2
        .value_kind:     hidden_grid_dims
      - .offset:         160
        .size:           4
        .value_kind:     hidden_dynamic_lds_size
    .group_segment_fixed_size: 0
    .kernarg_segment_align: 8
    .kernarg_segment_size: 296
    .language:       OpenCL C
    .language_version:
      - 2
      - 0
    .max_flat_workgroup_size: 1024
    .name:           _ZN2at6native12_GLOBAL__N_126cunn_SpatialSoftMaxForwardIN3c104HalfEfflNS1_22SoftMaxForwardEpilogueEEEvPT1_PKT_T2_SB_SB_
    .private_segment_fixed_size: 0
    .sgpr_count:     40
    .sgpr_spill_count: 0
    .symbol:         _ZN2at6native12_GLOBAL__N_126cunn_SpatialSoftMaxForwardIN3c104HalfEfflNS1_22SoftMaxForwardEpilogueEEEvPT1_PKT_T2_SB_SB_.kd
    .uniform_work_group_size: 1
    .uses_dynamic_stack: false
    .vgpr_count:     35
    .vgpr_spill_count: 0
    .wavefront_size: 32
    .workgroup_processor_mode: 1
  - .args:
      - .address_space:  global
        .offset:         0
        .size:           8
        .value_kind:     global_buffer
      - .address_space:  global
        .offset:         8
        .size:           8
        .value_kind:     global_buffer
      - .offset:         16
        .size:           4
        .value_kind:     by_value
      - .offset:         20
        .size:           4
        .value_kind:     by_value
      - .offset:         24
        .size:           4
        .value_kind:     by_value
      - .offset:         32
        .size:           4
        .value_kind:     hidden_block_count_x
      - .offset:         36
        .size:           4
        .value_kind:     hidden_block_count_y
      - .offset:         40
        .size:           4
        .value_kind:     hidden_block_count_z
      - .offset:         44
        .size:           2
        .value_kind:     hidden_group_size_x
      - .offset:         46
        .size:           2
        .value_kind:     hidden_group_size_y
      - .offset:         48
        .size:           2
        .value_kind:     hidden_group_size_z
      - .offset:         50
        .size:           2
        .value_kind:     hidden_remainder_x
      - .offset:         52
        .size:           2
        .value_kind:     hidden_remainder_y
      - .offset:         54
        .size:           2
        .value_kind:     hidden_remainder_z
      - .offset:         72
        .size:           8
        .value_kind:     hidden_global_offset_x
      - .offset:         80
        .size:           8
        .value_kind:     hidden_global_offset_y
      - .offset:         88
        .size:           8
        .value_kind:     hidden_global_offset_z
      - .offset:         96
        .size:           2
        .value_kind:     hidden_grid_dims
      - .offset:         152
        .size:           4
        .value_kind:     hidden_dynamic_lds_size
    .group_segment_fixed_size: 0
    .kernarg_segment_align: 8
    .kernarg_segment_size: 288
    .language:       OpenCL C
    .language_version:
      - 2
      - 0
    .max_flat_workgroup_size: 1024
    .name:           _ZN2at6native12_GLOBAL__N_126cunn_SpatialSoftMaxForwardIN3c108BFloat16EfS4_iNS1_22SoftMaxForwardEpilogueEEEvPT1_PKT_T2_SB_SB_
    .private_segment_fixed_size: 0
    .sgpr_count:     25
    .sgpr_spill_count: 0
    .symbol:         _ZN2at6native12_GLOBAL__N_126cunn_SpatialSoftMaxForwardIN3c108BFloat16EfS4_iNS1_22SoftMaxForwardEpilogueEEEvPT1_PKT_T2_SB_SB_.kd
    .uniform_work_group_size: 1
    .uses_dynamic_stack: false
    .vgpr_count:     20
    .vgpr_spill_count: 0
    .wavefront_size: 32
    .workgroup_processor_mode: 1
  - .args:
      - .address_space:  global
        .offset:         0
        .size:           8
        .value_kind:     global_buffer
      - .address_space:  global
        .offset:         8
        .size:           8
        .value_kind:     global_buffer
      - .offset:         16
        .size:           4
        .value_kind:     by_value
      - .offset:         20
        .size:           4
        .value_kind:     by_value
      - .offset:         24
        .size:           4
        .value_kind:     by_value
      - .offset:         32
        .size:           4
        .value_kind:     hidden_block_count_x
      - .offset:         36
        .size:           4
        .value_kind:     hidden_block_count_y
      - .offset:         40
        .size:           4
        .value_kind:     hidden_block_count_z
      - .offset:         44
        .size:           2
        .value_kind:     hidden_group_size_x
      - .offset:         46
        .size:           2
        .value_kind:     hidden_group_size_y
      - .offset:         48
        .size:           2
        .value_kind:     hidden_group_size_z
      - .offset:         50
        .size:           2
        .value_kind:     hidden_remainder_x
      - .offset:         52
        .size:           2
        .value_kind:     hidden_remainder_y
      - .offset:         54
        .size:           2
        .value_kind:     hidden_remainder_z
      - .offset:         72
        .size:           8
        .value_kind:     hidden_global_offset_x
      - .offset:         80
        .size:           8
        .value_kind:     hidden_global_offset_y
      - .offset:         88
        .size:           8
        .value_kind:     hidden_global_offset_z
      - .offset:         96
        .size:           2
        .value_kind:     hidden_grid_dims
      - .offset:         152
        .size:           4
        .value_kind:     hidden_dynamic_lds_size
    .group_segment_fixed_size: 0
    .kernarg_segment_align: 8
    .kernarg_segment_size: 288
    .language:       OpenCL C
    .language_version:
      - 2
      - 0
    .max_flat_workgroup_size: 1024
    .name:           _ZN2at6native12_GLOBAL__N_126cunn_SpatialSoftMaxForwardIN3c108BFloat16EffiNS1_22SoftMaxForwardEpilogueEEEvPT1_PKT_T2_SB_SB_
    .private_segment_fixed_size: 0
    .sgpr_count:     25
    .sgpr_spill_count: 0
    .symbol:         _ZN2at6native12_GLOBAL__N_126cunn_SpatialSoftMaxForwardIN3c108BFloat16EffiNS1_22SoftMaxForwardEpilogueEEEvPT1_PKT_T2_SB_SB_.kd
    .uniform_work_group_size: 1
    .uses_dynamic_stack: false
    .vgpr_count:     19
    .vgpr_spill_count: 0
    .wavefront_size: 32
    .workgroup_processor_mode: 1
  - .args:
      - .address_space:  global
        .offset:         0
        .size:           8
        .value_kind:     global_buffer
      - .address_space:  global
        .offset:         8
        .size:           8
        .value_kind:     global_buffer
      - .offset:         16
        .size:           8
        .value_kind:     by_value
      - .offset:         24
        .size:           8
        .value_kind:     by_value
      - .offset:         32
        .size:           8
        .value_kind:     by_value
      - .offset:         40
        .size:           4
        .value_kind:     hidden_block_count_x
      - .offset:         44
        .size:           4
        .value_kind:     hidden_block_count_y
      - .offset:         48
        .size:           4
        .value_kind:     hidden_block_count_z
      - .offset:         52
        .size:           2
        .value_kind:     hidden_group_size_x
      - .offset:         54
        .size:           2
        .value_kind:     hidden_group_size_y
      - .offset:         56
        .size:           2
        .value_kind:     hidden_group_size_z
      - .offset:         58
        .size:           2
        .value_kind:     hidden_remainder_x
      - .offset:         60
        .size:           2
        .value_kind:     hidden_remainder_y
      - .offset:         62
        .size:           2
        .value_kind:     hidden_remainder_z
      - .offset:         80
        .size:           8
        .value_kind:     hidden_global_offset_x
      - .offset:         88
        .size:           8
        .value_kind:     hidden_global_offset_y
      - .offset:         96
        .size:           8
        .value_kind:     hidden_global_offset_z
      - .offset:         104
        .size:           2
        .value_kind:     hidden_grid_dims
      - .offset:         160
        .size:           4
        .value_kind:     hidden_dynamic_lds_size
    .group_segment_fixed_size: 0
    .kernarg_segment_align: 8
    .kernarg_segment_size: 296
    .language:       OpenCL C
    .language_version:
      - 2
      - 0
    .max_flat_workgroup_size: 1024
    .name:           _ZN2at6native12_GLOBAL__N_126cunn_SpatialSoftMaxForwardIN3c108BFloat16EfS4_lNS1_22SoftMaxForwardEpilogueEEEvPT1_PKT_T2_SB_SB_
    .private_segment_fixed_size: 0
    .sgpr_count:     33
    .sgpr_spill_count: 0
    .symbol:         _ZN2at6native12_GLOBAL__N_126cunn_SpatialSoftMaxForwardIN3c108BFloat16EfS4_lNS1_22SoftMaxForwardEpilogueEEEvPT1_PKT_T2_SB_SB_.kd
    .uniform_work_group_size: 1
    .uses_dynamic_stack: false
    .vgpr_count:     31
    .vgpr_spill_count: 0
    .wavefront_size: 32
    .workgroup_processor_mode: 1
  - .args:
      - .address_space:  global
        .offset:         0
        .size:           8
        .value_kind:     global_buffer
      - .address_space:  global
        .offset:         8
        .size:           8
        .value_kind:     global_buffer
      - .offset:         16
        .size:           8
        .value_kind:     by_value
      - .offset:         24
        .size:           8
        .value_kind:     by_value
      - .offset:         32
        .size:           8
        .value_kind:     by_value
      - .offset:         40
        .size:           4
        .value_kind:     hidden_block_count_x
      - .offset:         44
        .size:           4
        .value_kind:     hidden_block_count_y
      - .offset:         48
        .size:           4
        .value_kind:     hidden_block_count_z
      - .offset:         52
        .size:           2
        .value_kind:     hidden_group_size_x
      - .offset:         54
        .size:           2
        .value_kind:     hidden_group_size_y
      - .offset:         56
        .size:           2
        .value_kind:     hidden_group_size_z
      - .offset:         58
        .size:           2
        .value_kind:     hidden_remainder_x
      - .offset:         60
        .size:           2
        .value_kind:     hidden_remainder_y
      - .offset:         62
        .size:           2
        .value_kind:     hidden_remainder_z
      - .offset:         80
        .size:           8
        .value_kind:     hidden_global_offset_x
      - .offset:         88
        .size:           8
        .value_kind:     hidden_global_offset_y
      - .offset:         96
        .size:           8
        .value_kind:     hidden_global_offset_z
      - .offset:         104
        .size:           2
        .value_kind:     hidden_grid_dims
      - .offset:         160
        .size:           4
        .value_kind:     hidden_dynamic_lds_size
    .group_segment_fixed_size: 0
    .kernarg_segment_align: 8
    .kernarg_segment_size: 296
    .language:       OpenCL C
    .language_version:
      - 2
      - 0
    .max_flat_workgroup_size: 1024
    .name:           _ZN2at6native12_GLOBAL__N_126cunn_SpatialSoftMaxForwardIN3c108BFloat16EfflNS1_22SoftMaxForwardEpilogueEEEvPT1_PKT_T2_SB_SB_
    .private_segment_fixed_size: 0
    .sgpr_count:     40
    .sgpr_spill_count: 0
    .symbol:         _ZN2at6native12_GLOBAL__N_126cunn_SpatialSoftMaxForwardIN3c108BFloat16EfflNS1_22SoftMaxForwardEpilogueEEEvPT1_PKT_T2_SB_SB_.kd
    .uniform_work_group_size: 1
    .uses_dynamic_stack: false
    .vgpr_count:     35
    .vgpr_spill_count: 0
    .wavefront_size: 32
    .workgroup_processor_mode: 1
  - .args:
      - .address_space:  global
        .offset:         0
        .size:           8
        .value_kind:     global_buffer
      - .address_space:  global
        .offset:         8
        .size:           8
        .value_kind:     global_buffer
      - .address_space:  global
        .offset:         16
        .size:           8
        .value_kind:     global_buffer
      - .offset:         24
        .size:           4
        .value_kind:     by_value
      - .offset:         28
        .size:           4
        .value_kind:     by_value
      - .offset:         32
        .size:           4
        .value_kind:     by_value
      - .address_space:  global
        .offset:         40
        .size:           8
        .value_kind:     global_buffer
      - .offset:         48
        .size:           4
        .value_kind:     hidden_block_count_x
      - .offset:         52
        .size:           4
        .value_kind:     hidden_block_count_y
      - .offset:         56
        .size:           4
        .value_kind:     hidden_block_count_z
      - .offset:         60
        .size:           2
        .value_kind:     hidden_group_size_x
      - .offset:         62
        .size:           2
        .value_kind:     hidden_group_size_y
      - .offset:         64
        .size:           2
        .value_kind:     hidden_group_size_z
      - .offset:         66
        .size:           2
        .value_kind:     hidden_remainder_x
      - .offset:         68
        .size:           2
        .value_kind:     hidden_remainder_y
      - .offset:         70
        .size:           2
        .value_kind:     hidden_remainder_z
      - .offset:         88
        .size:           8
        .value_kind:     hidden_global_offset_x
      - .offset:         96
        .size:           8
        .value_kind:     hidden_global_offset_y
      - .offset:         104
        .size:           8
        .value_kind:     hidden_global_offset_z
      - .offset:         112
        .size:           2
        .value_kind:     hidden_grid_dims
    .group_segment_fixed_size: 0
    .kernarg_segment_align: 8
    .kernarg_segment_size: 304
    .language:       OpenCL C
    .language_version:
      - 2
      - 0
    .max_flat_workgroup_size: 1024
    .name:           _ZN12_GLOBAL__N_121softmax_warp_backwardIdddLi0ELb0ELb0ELi64EEEvPT0_PKT_S5_iiiPKb
    .private_segment_fixed_size: 0
    .sgpr_count:     18
    .sgpr_spill_count: 0
    .symbol:         _ZN12_GLOBAL__N_121softmax_warp_backwardIdddLi0ELb0ELb0ELi64EEEvPT0_PKT_S5_iiiPKb.kd
    .uniform_work_group_size: 1
    .uses_dynamic_stack: false
    .vgpr_count:     15
    .vgpr_spill_count: 0
    .wavefront_size: 32
    .workgroup_processor_mode: 1
  - .args:
      - .address_space:  global
        .offset:         0
        .size:           8
        .value_kind:     global_buffer
      - .address_space:  global
        .offset:         8
        .size:           8
        .value_kind:     global_buffer
      - .address_space:  global
        .offset:         16
        .size:           8
        .value_kind:     global_buffer
      - .offset:         24
        .size:           4
        .value_kind:     by_value
      - .offset:         28
        .size:           4
        .value_kind:     by_value
      - .offset:         32
        .size:           4
        .value_kind:     by_value
      - .address_space:  global
        .offset:         40
        .size:           8
        .value_kind:     global_buffer
      - .offset:         48
        .size:           4
        .value_kind:     hidden_block_count_x
      - .offset:         52
        .size:           4
        .value_kind:     hidden_block_count_y
      - .offset:         56
        .size:           4
        .value_kind:     hidden_block_count_z
      - .offset:         60
        .size:           2
        .value_kind:     hidden_group_size_x
      - .offset:         62
        .size:           2
        .value_kind:     hidden_group_size_y
      - .offset:         64
        .size:           2
        .value_kind:     hidden_group_size_z
      - .offset:         66
        .size:           2
        .value_kind:     hidden_remainder_x
      - .offset:         68
        .size:           2
        .value_kind:     hidden_remainder_y
      - .offset:         70
        .size:           2
        .value_kind:     hidden_remainder_z
      - .offset:         88
        .size:           8
        .value_kind:     hidden_global_offset_x
      - .offset:         96
        .size:           8
        .value_kind:     hidden_global_offset_y
      - .offset:         104
        .size:           8
        .value_kind:     hidden_global_offset_z
      - .offset:         112
        .size:           2
        .value_kind:     hidden_grid_dims
    .group_segment_fixed_size: 0
    .kernarg_segment_align: 8
    .kernarg_segment_size: 304
    .language:       OpenCL C
    .language_version:
      - 2
      - 0
    .max_flat_workgroup_size: 1024
    .name:           _ZN12_GLOBAL__N_121softmax_warp_backwardIdddLi0ELb0ELb0ELi32EEEvPT0_PKT_S5_iiiPKb
    .private_segment_fixed_size: 0
    .sgpr_count:     18
    .sgpr_spill_count: 0
    .symbol:         _ZN12_GLOBAL__N_121softmax_warp_backwardIdddLi0ELb0ELb0ELi32EEEvPT0_PKT_S5_iiiPKb.kd
    .uniform_work_group_size: 1
    .uses_dynamic_stack: false
    .vgpr_count:     15
    .vgpr_spill_count: 0
    .wavefront_size: 32
    .workgroup_processor_mode: 1
  - .args:
      - .address_space:  global
        .offset:         0
        .size:           8
        .value_kind:     global_buffer
      - .address_space:  global
        .offset:         8
        .size:           8
        .value_kind:     global_buffer
      - .address_space:  global
        .offset:         16
        .size:           8
        .value_kind:     global_buffer
      - .offset:         24
        .size:           4
        .value_kind:     by_value
      - .offset:         28
        .size:           4
        .value_kind:     by_value
      - .offset:         32
        .size:           4
        .value_kind:     by_value
      - .address_space:  global
        .offset:         40
        .size:           8
        .value_kind:     global_buffer
      - .offset:         48
        .size:           4
        .value_kind:     hidden_block_count_x
      - .offset:         52
        .size:           4
        .value_kind:     hidden_block_count_y
      - .offset:         56
        .size:           4
        .value_kind:     hidden_block_count_z
      - .offset:         60
        .size:           2
        .value_kind:     hidden_group_size_x
      - .offset:         62
        .size:           2
        .value_kind:     hidden_group_size_y
      - .offset:         64
        .size:           2
        .value_kind:     hidden_group_size_z
      - .offset:         66
        .size:           2
        .value_kind:     hidden_remainder_x
      - .offset:         68
        .size:           2
        .value_kind:     hidden_remainder_y
      - .offset:         70
        .size:           2
        .value_kind:     hidden_remainder_z
      - .offset:         88
        .size:           8
        .value_kind:     hidden_global_offset_x
      - .offset:         96
        .size:           8
        .value_kind:     hidden_global_offset_y
      - .offset:         104
        .size:           8
        .value_kind:     hidden_global_offset_z
      - .offset:         112
        .size:           2
        .value_kind:     hidden_grid_dims
    .group_segment_fixed_size: 0
    .kernarg_segment_align: 8
    .kernarg_segment_size: 304
    .language:       OpenCL C
    .language_version:
      - 2
      - 0
    .max_flat_workgroup_size: 1024
    .name:           _ZN12_GLOBAL__N_121softmax_warp_backwardIdddLi1ELb0ELb0ELi64EEEvPT0_PKT_S5_iiiPKb
    .private_segment_fixed_size: 0
    .sgpr_count:     18
    .sgpr_spill_count: 0
    .symbol:         _ZN12_GLOBAL__N_121softmax_warp_backwardIdddLi1ELb0ELb0ELi64EEEvPT0_PKT_S5_iiiPKb.kd
    .uniform_work_group_size: 1
    .uses_dynamic_stack: false
    .vgpr_count:     19
    .vgpr_spill_count: 0
    .wavefront_size: 32
    .workgroup_processor_mode: 1
  - .args:
      - .address_space:  global
        .offset:         0
        .size:           8
        .value_kind:     global_buffer
      - .address_space:  global
        .offset:         8
        .size:           8
        .value_kind:     global_buffer
      - .address_space:  global
        .offset:         16
        .size:           8
        .value_kind:     global_buffer
      - .offset:         24
        .size:           4
        .value_kind:     by_value
      - .offset:         28
        .size:           4
        .value_kind:     by_value
      - .offset:         32
        .size:           4
        .value_kind:     by_value
      - .address_space:  global
        .offset:         40
        .size:           8
        .value_kind:     global_buffer
      - .offset:         48
        .size:           4
        .value_kind:     hidden_block_count_x
      - .offset:         52
        .size:           4
        .value_kind:     hidden_block_count_y
      - .offset:         56
        .size:           4
        .value_kind:     hidden_block_count_z
      - .offset:         60
        .size:           2
        .value_kind:     hidden_group_size_x
      - .offset:         62
        .size:           2
        .value_kind:     hidden_group_size_y
      - .offset:         64
        .size:           2
        .value_kind:     hidden_group_size_z
      - .offset:         66
        .size:           2
        .value_kind:     hidden_remainder_x
      - .offset:         68
        .size:           2
        .value_kind:     hidden_remainder_y
      - .offset:         70
        .size:           2
        .value_kind:     hidden_remainder_z
      - .offset:         88
        .size:           8
        .value_kind:     hidden_global_offset_x
      - .offset:         96
        .size:           8
        .value_kind:     hidden_global_offset_y
      - .offset:         104
        .size:           8
        .value_kind:     hidden_global_offset_z
      - .offset:         112
        .size:           2
        .value_kind:     hidden_grid_dims
    .group_segment_fixed_size: 0
    .kernarg_segment_align: 8
    .kernarg_segment_size: 304
    .language:       OpenCL C
    .language_version:
      - 2
      - 0
    .max_flat_workgroup_size: 1024
    .name:           _ZN12_GLOBAL__N_121softmax_warp_backwardIdddLi1ELb0ELb0ELi32EEEvPT0_PKT_S5_iiiPKb
    .private_segment_fixed_size: 0
    .sgpr_count:     18
    .sgpr_spill_count: 0
    .symbol:         _ZN12_GLOBAL__N_121softmax_warp_backwardIdddLi1ELb0ELb0ELi32EEEvPT0_PKT_S5_iiiPKb.kd
    .uniform_work_group_size: 1
    .uses_dynamic_stack: false
    .vgpr_count:     19
    .vgpr_spill_count: 0
    .wavefront_size: 32
    .workgroup_processor_mode: 1
  - .args:
      - .address_space:  global
        .offset:         0
        .size:           8
        .value_kind:     global_buffer
      - .address_space:  global
        .offset:         8
        .size:           8
        .value_kind:     global_buffer
      - .address_space:  global
        .offset:         16
        .size:           8
        .value_kind:     global_buffer
      - .offset:         24
        .size:           4
        .value_kind:     by_value
      - .offset:         28
        .size:           4
        .value_kind:     by_value
      - .offset:         32
        .size:           4
        .value_kind:     by_value
      - .address_space:  global
        .offset:         40
        .size:           8
        .value_kind:     global_buffer
      - .offset:         48
        .size:           4
        .value_kind:     hidden_block_count_x
      - .offset:         52
        .size:           4
        .value_kind:     hidden_block_count_y
      - .offset:         56
        .size:           4
        .value_kind:     hidden_block_count_z
      - .offset:         60
        .size:           2
        .value_kind:     hidden_group_size_x
      - .offset:         62
        .size:           2
        .value_kind:     hidden_group_size_y
      - .offset:         64
        .size:           2
        .value_kind:     hidden_group_size_z
      - .offset:         66
        .size:           2
        .value_kind:     hidden_remainder_x
      - .offset:         68
        .size:           2
        .value_kind:     hidden_remainder_y
      - .offset:         70
        .size:           2
        .value_kind:     hidden_remainder_z
      - .offset:         88
        .size:           8
        .value_kind:     hidden_global_offset_x
      - .offset:         96
        .size:           8
        .value_kind:     hidden_global_offset_y
      - .offset:         104
        .size:           8
        .value_kind:     hidden_global_offset_z
      - .offset:         112
        .size:           2
        .value_kind:     hidden_grid_dims
    .group_segment_fixed_size: 0
    .kernarg_segment_align: 8
    .kernarg_segment_size: 304
    .language:       OpenCL C
    .language_version:
      - 2
      - 0
    .max_flat_workgroup_size: 1024
    .name:           _ZN12_GLOBAL__N_121softmax_warp_backwardIdddLi2ELb0ELb0ELi64EEEvPT0_PKT_S5_iiiPKb
    .private_segment_fixed_size: 0
    .sgpr_count:     18
    .sgpr_spill_count: 0
    .symbol:         _ZN12_GLOBAL__N_121softmax_warp_backwardIdddLi2ELb0ELb0ELi64EEEvPT0_PKT_S5_iiiPKb.kd
    .uniform_work_group_size: 1
    .uses_dynamic_stack: false
    .vgpr_count:     21
    .vgpr_spill_count: 0
    .wavefront_size: 32
    .workgroup_processor_mode: 1
  - .args:
      - .address_space:  global
        .offset:         0
        .size:           8
        .value_kind:     global_buffer
      - .address_space:  global
        .offset:         8
        .size:           8
        .value_kind:     global_buffer
      - .address_space:  global
        .offset:         16
        .size:           8
        .value_kind:     global_buffer
      - .offset:         24
        .size:           4
        .value_kind:     by_value
      - .offset:         28
        .size:           4
        .value_kind:     by_value
      - .offset:         32
        .size:           4
        .value_kind:     by_value
      - .address_space:  global
        .offset:         40
        .size:           8
        .value_kind:     global_buffer
      - .offset:         48
        .size:           4
        .value_kind:     hidden_block_count_x
      - .offset:         52
        .size:           4
        .value_kind:     hidden_block_count_y
      - .offset:         56
        .size:           4
        .value_kind:     hidden_block_count_z
      - .offset:         60
        .size:           2
        .value_kind:     hidden_group_size_x
      - .offset:         62
        .size:           2
        .value_kind:     hidden_group_size_y
      - .offset:         64
        .size:           2
        .value_kind:     hidden_group_size_z
      - .offset:         66
        .size:           2
        .value_kind:     hidden_remainder_x
      - .offset:         68
        .size:           2
        .value_kind:     hidden_remainder_y
      - .offset:         70
        .size:           2
        .value_kind:     hidden_remainder_z
      - .offset:         88
        .size:           8
        .value_kind:     hidden_global_offset_x
      - .offset:         96
        .size:           8
        .value_kind:     hidden_global_offset_y
      - .offset:         104
        .size:           8
        .value_kind:     hidden_global_offset_z
      - .offset:         112
        .size:           2
        .value_kind:     hidden_grid_dims
    .group_segment_fixed_size: 0
    .kernarg_segment_align: 8
    .kernarg_segment_size: 304
    .language:       OpenCL C
    .language_version:
      - 2
      - 0
    .max_flat_workgroup_size: 1024
    .name:           _ZN12_GLOBAL__N_121softmax_warp_backwardIdddLi2ELb0ELb0ELi32EEEvPT0_PKT_S5_iiiPKb
    .private_segment_fixed_size: 0
    .sgpr_count:     18
    .sgpr_spill_count: 0
    .symbol:         _ZN12_GLOBAL__N_121softmax_warp_backwardIdddLi2ELb0ELb0ELi32EEEvPT0_PKT_S5_iiiPKb.kd
    .uniform_work_group_size: 1
    .uses_dynamic_stack: false
    .vgpr_count:     21
    .vgpr_spill_count: 0
    .wavefront_size: 32
    .workgroup_processor_mode: 1
  - .args:
      - .address_space:  global
        .offset:         0
        .size:           8
        .value_kind:     global_buffer
      - .address_space:  global
        .offset:         8
        .size:           8
        .value_kind:     global_buffer
      - .address_space:  global
        .offset:         16
        .size:           8
        .value_kind:     global_buffer
      - .offset:         24
        .size:           4
        .value_kind:     by_value
      - .offset:         28
        .size:           4
        .value_kind:     by_value
      - .offset:         32
        .size:           4
        .value_kind:     by_value
      - .address_space:  global
        .offset:         40
        .size:           8
        .value_kind:     global_buffer
      - .offset:         48
        .size:           4
        .value_kind:     hidden_block_count_x
      - .offset:         52
        .size:           4
        .value_kind:     hidden_block_count_y
      - .offset:         56
        .size:           4
        .value_kind:     hidden_block_count_z
      - .offset:         60
        .size:           2
        .value_kind:     hidden_group_size_x
      - .offset:         62
        .size:           2
        .value_kind:     hidden_group_size_y
      - .offset:         64
        .size:           2
        .value_kind:     hidden_group_size_z
      - .offset:         66
        .size:           2
        .value_kind:     hidden_remainder_x
      - .offset:         68
        .size:           2
        .value_kind:     hidden_remainder_y
      - .offset:         70
        .size:           2
        .value_kind:     hidden_remainder_z
      - .offset:         88
        .size:           8
        .value_kind:     hidden_global_offset_x
      - .offset:         96
        .size:           8
        .value_kind:     hidden_global_offset_y
      - .offset:         104
        .size:           8
        .value_kind:     hidden_global_offset_z
      - .offset:         112
        .size:           2
        .value_kind:     hidden_grid_dims
    .group_segment_fixed_size: 0
    .kernarg_segment_align: 8
    .kernarg_segment_size: 304
    .language:       OpenCL C
    .language_version:
      - 2
      - 0
    .max_flat_workgroup_size: 1024
    .name:           _ZN12_GLOBAL__N_121softmax_warp_backwardIdddLi3ELb0ELb0ELi64EEEvPT0_PKT_S5_iiiPKb
    .private_segment_fixed_size: 0
    .sgpr_count:     18
    .sgpr_spill_count: 0
    .symbol:         _ZN12_GLOBAL__N_121softmax_warp_backwardIdddLi3ELb0ELb0ELi64EEEvPT0_PKT_S5_iiiPKb.kd
    .uniform_work_group_size: 1
    .uses_dynamic_stack: false
    .vgpr_count:     21
    .vgpr_spill_count: 0
    .wavefront_size: 32
    .workgroup_processor_mode: 1
  - .args:
      - .address_space:  global
        .offset:         0
        .size:           8
        .value_kind:     global_buffer
      - .address_space:  global
        .offset:         8
        .size:           8
        .value_kind:     global_buffer
      - .address_space:  global
        .offset:         16
        .size:           8
        .value_kind:     global_buffer
      - .offset:         24
        .size:           4
        .value_kind:     by_value
      - .offset:         28
        .size:           4
        .value_kind:     by_value
      - .offset:         32
        .size:           4
        .value_kind:     by_value
      - .address_space:  global
        .offset:         40
        .size:           8
        .value_kind:     global_buffer
      - .offset:         48
        .size:           4
        .value_kind:     hidden_block_count_x
      - .offset:         52
        .size:           4
        .value_kind:     hidden_block_count_y
      - .offset:         56
        .size:           4
        .value_kind:     hidden_block_count_z
      - .offset:         60
        .size:           2
        .value_kind:     hidden_group_size_x
      - .offset:         62
        .size:           2
        .value_kind:     hidden_group_size_y
      - .offset:         64
        .size:           2
        .value_kind:     hidden_group_size_z
      - .offset:         66
        .size:           2
        .value_kind:     hidden_remainder_x
      - .offset:         68
        .size:           2
        .value_kind:     hidden_remainder_y
      - .offset:         70
        .size:           2
        .value_kind:     hidden_remainder_z
      - .offset:         88
        .size:           8
        .value_kind:     hidden_global_offset_x
      - .offset:         96
        .size:           8
        .value_kind:     hidden_global_offset_y
      - .offset:         104
        .size:           8
        .value_kind:     hidden_global_offset_z
      - .offset:         112
        .size:           2
        .value_kind:     hidden_grid_dims
    .group_segment_fixed_size: 0
    .kernarg_segment_align: 8
    .kernarg_segment_size: 304
    .language:       OpenCL C
    .language_version:
      - 2
      - 0
    .max_flat_workgroup_size: 1024
    .name:           _ZN12_GLOBAL__N_121softmax_warp_backwardIdddLi3ELb0ELb0ELi32EEEvPT0_PKT_S5_iiiPKb
    .private_segment_fixed_size: 0
    .sgpr_count:     18
    .sgpr_spill_count: 0
    .symbol:         _ZN12_GLOBAL__N_121softmax_warp_backwardIdddLi3ELb0ELb0ELi32EEEvPT0_PKT_S5_iiiPKb.kd
    .uniform_work_group_size: 1
    .uses_dynamic_stack: false
    .vgpr_count:     21
    .vgpr_spill_count: 0
    .wavefront_size: 32
    .workgroup_processor_mode: 1
  - .args:
      - .address_space:  global
        .offset:         0
        .size:           8
        .value_kind:     global_buffer
      - .address_space:  global
        .offset:         8
        .size:           8
        .value_kind:     global_buffer
      - .address_space:  global
        .offset:         16
        .size:           8
        .value_kind:     global_buffer
      - .offset:         24
        .size:           4
        .value_kind:     by_value
      - .offset:         28
        .size:           4
        .value_kind:     by_value
      - .offset:         32
        .size:           4
        .value_kind:     by_value
      - .address_space:  global
        .offset:         40
        .size:           8
        .value_kind:     global_buffer
      - .offset:         48
        .size:           4
        .value_kind:     hidden_block_count_x
      - .offset:         52
        .size:           4
        .value_kind:     hidden_block_count_y
      - .offset:         56
        .size:           4
        .value_kind:     hidden_block_count_z
      - .offset:         60
        .size:           2
        .value_kind:     hidden_group_size_x
      - .offset:         62
        .size:           2
        .value_kind:     hidden_group_size_y
      - .offset:         64
        .size:           2
        .value_kind:     hidden_group_size_z
      - .offset:         66
        .size:           2
        .value_kind:     hidden_remainder_x
      - .offset:         68
        .size:           2
        .value_kind:     hidden_remainder_y
      - .offset:         70
        .size:           2
        .value_kind:     hidden_remainder_z
      - .offset:         88
        .size:           8
        .value_kind:     hidden_global_offset_x
      - .offset:         96
        .size:           8
        .value_kind:     hidden_global_offset_y
      - .offset:         104
        .size:           8
        .value_kind:     hidden_global_offset_z
      - .offset:         112
        .size:           2
        .value_kind:     hidden_grid_dims
    .group_segment_fixed_size: 0
    .kernarg_segment_align: 8
    .kernarg_segment_size: 304
    .language:       OpenCL C
    .language_version:
      - 2
      - 0
    .max_flat_workgroup_size: 1024
    .name:           _ZN12_GLOBAL__N_121softmax_warp_backwardIdddLi4ELb0ELb0ELi64EEEvPT0_PKT_S5_iiiPKb
    .private_segment_fixed_size: 0
    .sgpr_count:     18
    .sgpr_spill_count: 0
    .symbol:         _ZN12_GLOBAL__N_121softmax_warp_backwardIdddLi4ELb0ELb0ELi64EEEvPT0_PKT_S5_iiiPKb.kd
    .uniform_work_group_size: 1
    .uses_dynamic_stack: false
    .vgpr_count:     21
    .vgpr_spill_count: 0
    .wavefront_size: 32
    .workgroup_processor_mode: 1
  - .args:
      - .address_space:  global
        .offset:         0
        .size:           8
        .value_kind:     global_buffer
      - .address_space:  global
        .offset:         8
        .size:           8
        .value_kind:     global_buffer
      - .address_space:  global
        .offset:         16
        .size:           8
        .value_kind:     global_buffer
      - .offset:         24
        .size:           4
        .value_kind:     by_value
      - .offset:         28
        .size:           4
        .value_kind:     by_value
      - .offset:         32
        .size:           4
        .value_kind:     by_value
      - .address_space:  global
        .offset:         40
        .size:           8
        .value_kind:     global_buffer
      - .offset:         48
        .size:           4
        .value_kind:     hidden_block_count_x
      - .offset:         52
        .size:           4
        .value_kind:     hidden_block_count_y
      - .offset:         56
        .size:           4
        .value_kind:     hidden_block_count_z
      - .offset:         60
        .size:           2
        .value_kind:     hidden_group_size_x
      - .offset:         62
        .size:           2
        .value_kind:     hidden_group_size_y
      - .offset:         64
        .size:           2
        .value_kind:     hidden_group_size_z
      - .offset:         66
        .size:           2
        .value_kind:     hidden_remainder_x
      - .offset:         68
        .size:           2
        .value_kind:     hidden_remainder_y
      - .offset:         70
        .size:           2
        .value_kind:     hidden_remainder_z
      - .offset:         88
        .size:           8
        .value_kind:     hidden_global_offset_x
      - .offset:         96
        .size:           8
        .value_kind:     hidden_global_offset_y
      - .offset:         104
        .size:           8
        .value_kind:     hidden_global_offset_z
      - .offset:         112
        .size:           2
        .value_kind:     hidden_grid_dims
    .group_segment_fixed_size: 0
    .kernarg_segment_align: 8
    .kernarg_segment_size: 304
    .language:       OpenCL C
    .language_version:
      - 2
      - 0
    .max_flat_workgroup_size: 1024
    .name:           _ZN12_GLOBAL__N_121softmax_warp_backwardIdddLi4ELb0ELb0ELi32EEEvPT0_PKT_S5_iiiPKb
    .private_segment_fixed_size: 0
    .sgpr_count:     18
    .sgpr_spill_count: 0
    .symbol:         _ZN12_GLOBAL__N_121softmax_warp_backwardIdddLi4ELb0ELb0ELi32EEEvPT0_PKT_S5_iiiPKb.kd
    .uniform_work_group_size: 1
    .uses_dynamic_stack: false
    .vgpr_count:     21
    .vgpr_spill_count: 0
    .wavefront_size: 32
    .workgroup_processor_mode: 1
  - .args:
      - .address_space:  global
        .offset:         0
        .size:           8
        .value_kind:     global_buffer
      - .address_space:  global
        .offset:         8
        .size:           8
        .value_kind:     global_buffer
      - .address_space:  global
        .offset:         16
        .size:           8
        .value_kind:     global_buffer
      - .offset:         24
        .size:           4
        .value_kind:     by_value
      - .offset:         28
        .size:           4
        .value_kind:     by_value
      - .offset:         32
        .size:           4
        .value_kind:     by_value
      - .address_space:  global
        .offset:         40
        .size:           8
        .value_kind:     global_buffer
      - .offset:         48
        .size:           4
        .value_kind:     hidden_block_count_x
      - .offset:         52
        .size:           4
        .value_kind:     hidden_block_count_y
      - .offset:         56
        .size:           4
        .value_kind:     hidden_block_count_z
      - .offset:         60
        .size:           2
        .value_kind:     hidden_group_size_x
      - .offset:         62
        .size:           2
        .value_kind:     hidden_group_size_y
      - .offset:         64
        .size:           2
        .value_kind:     hidden_group_size_z
      - .offset:         66
        .size:           2
        .value_kind:     hidden_remainder_x
      - .offset:         68
        .size:           2
        .value_kind:     hidden_remainder_y
      - .offset:         70
        .size:           2
        .value_kind:     hidden_remainder_z
      - .offset:         88
        .size:           8
        .value_kind:     hidden_global_offset_x
      - .offset:         96
        .size:           8
        .value_kind:     hidden_global_offset_y
      - .offset:         104
        .size:           8
        .value_kind:     hidden_global_offset_z
      - .offset:         112
        .size:           2
        .value_kind:     hidden_grid_dims
    .group_segment_fixed_size: 0
    .kernarg_segment_align: 8
    .kernarg_segment_size: 304
    .language:       OpenCL C
    .language_version:
      - 2
      - 0
    .max_flat_workgroup_size: 1024
    .name:           _ZN12_GLOBAL__N_121softmax_warp_backwardIdddLi5ELb0ELb0ELi64EEEvPT0_PKT_S5_iiiPKb
    .private_segment_fixed_size: 0
    .sgpr_count:     18
    .sgpr_spill_count: 0
    .symbol:         _ZN12_GLOBAL__N_121softmax_warp_backwardIdddLi5ELb0ELb0ELi64EEEvPT0_PKT_S5_iiiPKb.kd
    .uniform_work_group_size: 1
    .uses_dynamic_stack: false
    .vgpr_count:     20
    .vgpr_spill_count: 0
    .wavefront_size: 32
    .workgroup_processor_mode: 1
  - .args:
      - .address_space:  global
        .offset:         0
        .size:           8
        .value_kind:     global_buffer
      - .address_space:  global
        .offset:         8
        .size:           8
        .value_kind:     global_buffer
      - .address_space:  global
        .offset:         16
        .size:           8
        .value_kind:     global_buffer
      - .offset:         24
        .size:           4
        .value_kind:     by_value
      - .offset:         28
        .size:           4
        .value_kind:     by_value
      - .offset:         32
        .size:           4
        .value_kind:     by_value
      - .address_space:  global
        .offset:         40
        .size:           8
        .value_kind:     global_buffer
      - .offset:         48
        .size:           4
        .value_kind:     hidden_block_count_x
      - .offset:         52
        .size:           4
        .value_kind:     hidden_block_count_y
      - .offset:         56
        .size:           4
        .value_kind:     hidden_block_count_z
      - .offset:         60
        .size:           2
        .value_kind:     hidden_group_size_x
      - .offset:         62
        .size:           2
        .value_kind:     hidden_group_size_y
      - .offset:         64
        .size:           2
        .value_kind:     hidden_group_size_z
      - .offset:         66
        .size:           2
        .value_kind:     hidden_remainder_x
      - .offset:         68
        .size:           2
        .value_kind:     hidden_remainder_y
      - .offset:         70
        .size:           2
        .value_kind:     hidden_remainder_z
      - .offset:         88
        .size:           8
        .value_kind:     hidden_global_offset_x
      - .offset:         96
        .size:           8
        .value_kind:     hidden_global_offset_y
      - .offset:         104
        .size:           8
        .value_kind:     hidden_global_offset_z
      - .offset:         112
        .size:           2
        .value_kind:     hidden_grid_dims
    .group_segment_fixed_size: 0
    .kernarg_segment_align: 8
    .kernarg_segment_size: 304
    .language:       OpenCL C
    .language_version:
      - 2
      - 0
    .max_flat_workgroup_size: 1024
    .name:           _ZN12_GLOBAL__N_121softmax_warp_backwardIdddLi5ELb0ELb0ELi32EEEvPT0_PKT_S5_iiiPKb
    .private_segment_fixed_size: 0
    .sgpr_count:     18
    .sgpr_spill_count: 0
    .symbol:         _ZN12_GLOBAL__N_121softmax_warp_backwardIdddLi5ELb0ELb0ELi32EEEvPT0_PKT_S5_iiiPKb.kd
    .uniform_work_group_size: 1
    .uses_dynamic_stack: false
    .vgpr_count:     20
    .vgpr_spill_count: 0
    .wavefront_size: 32
    .workgroup_processor_mode: 1
  - .args:
      - .address_space:  global
        .offset:         0
        .size:           8
        .value_kind:     global_buffer
      - .address_space:  global
        .offset:         8
        .size:           8
        .value_kind:     global_buffer
      - .address_space:  global
        .offset:         16
        .size:           8
        .value_kind:     global_buffer
      - .offset:         24
        .size:           4
        .value_kind:     by_value
      - .offset:         28
        .size:           4
        .value_kind:     by_value
      - .offset:         32
        .size:           4
        .value_kind:     by_value
      - .address_space:  global
        .offset:         40
        .size:           8
        .value_kind:     global_buffer
      - .offset:         48
        .size:           4
        .value_kind:     hidden_block_count_x
      - .offset:         52
        .size:           4
        .value_kind:     hidden_block_count_y
      - .offset:         56
        .size:           4
        .value_kind:     hidden_block_count_z
      - .offset:         60
        .size:           2
        .value_kind:     hidden_group_size_x
      - .offset:         62
        .size:           2
        .value_kind:     hidden_group_size_y
      - .offset:         64
        .size:           2
        .value_kind:     hidden_group_size_z
      - .offset:         66
        .size:           2
        .value_kind:     hidden_remainder_x
      - .offset:         68
        .size:           2
        .value_kind:     hidden_remainder_y
      - .offset:         70
        .size:           2
        .value_kind:     hidden_remainder_z
      - .offset:         88
        .size:           8
        .value_kind:     hidden_global_offset_x
      - .offset:         96
        .size:           8
        .value_kind:     hidden_global_offset_y
      - .offset:         104
        .size:           8
        .value_kind:     hidden_global_offset_z
      - .offset:         112
        .size:           2
        .value_kind:     hidden_grid_dims
    .group_segment_fixed_size: 0
    .kernarg_segment_align: 8
    .kernarg_segment_size: 304
    .language:       OpenCL C
    .language_version:
      - 2
      - 0
    .max_flat_workgroup_size: 1024
    .name:           _ZN12_GLOBAL__N_121softmax_warp_backwardIdddLi6ELb0ELb0ELi64EEEvPT0_PKT_S5_iiiPKb
    .private_segment_fixed_size: 0
    .sgpr_count:     18
    .sgpr_spill_count: 0
    .symbol:         _ZN12_GLOBAL__N_121softmax_warp_backwardIdddLi6ELb0ELb0ELi64EEEvPT0_PKT_S5_iiiPKb.kd
    .uniform_work_group_size: 1
    .uses_dynamic_stack: false
    .vgpr_count:     20
    .vgpr_spill_count: 0
    .wavefront_size: 32
    .workgroup_processor_mode: 1
  - .args:
      - .address_space:  global
        .offset:         0
        .size:           8
        .value_kind:     global_buffer
      - .address_space:  global
        .offset:         8
        .size:           8
        .value_kind:     global_buffer
      - .address_space:  global
        .offset:         16
        .size:           8
        .value_kind:     global_buffer
      - .offset:         24
        .size:           4
        .value_kind:     by_value
      - .offset:         28
        .size:           4
        .value_kind:     by_value
      - .offset:         32
        .size:           4
        .value_kind:     by_value
      - .address_space:  global
        .offset:         40
        .size:           8
        .value_kind:     global_buffer
      - .offset:         48
        .size:           4
        .value_kind:     hidden_block_count_x
      - .offset:         52
        .size:           4
        .value_kind:     hidden_block_count_y
      - .offset:         56
        .size:           4
        .value_kind:     hidden_block_count_z
      - .offset:         60
        .size:           2
        .value_kind:     hidden_group_size_x
      - .offset:         62
        .size:           2
        .value_kind:     hidden_group_size_y
      - .offset:         64
        .size:           2
        .value_kind:     hidden_group_size_z
      - .offset:         66
        .size:           2
        .value_kind:     hidden_remainder_x
      - .offset:         68
        .size:           2
        .value_kind:     hidden_remainder_y
      - .offset:         70
        .size:           2
        .value_kind:     hidden_remainder_z
      - .offset:         88
        .size:           8
        .value_kind:     hidden_global_offset_x
      - .offset:         96
        .size:           8
        .value_kind:     hidden_global_offset_y
      - .offset:         104
        .size:           8
        .value_kind:     hidden_global_offset_z
      - .offset:         112
        .size:           2
        .value_kind:     hidden_grid_dims
    .group_segment_fixed_size: 0
    .kernarg_segment_align: 8
    .kernarg_segment_size: 304
    .language:       OpenCL C
    .language_version:
      - 2
      - 0
    .max_flat_workgroup_size: 1024
    .name:           _ZN12_GLOBAL__N_121softmax_warp_backwardIdddLi6ELb0ELb0ELi32EEEvPT0_PKT_S5_iiiPKb
    .private_segment_fixed_size: 0
    .sgpr_count:     18
    .sgpr_spill_count: 0
    .symbol:         _ZN12_GLOBAL__N_121softmax_warp_backwardIdddLi6ELb0ELb0ELi32EEEvPT0_PKT_S5_iiiPKb.kd
    .uniform_work_group_size: 1
    .uses_dynamic_stack: false
    .vgpr_count:     28
    .vgpr_spill_count: 0
    .wavefront_size: 32
    .workgroup_processor_mode: 1
  - .args:
      - .address_space:  global
        .offset:         0
        .size:           8
        .value_kind:     global_buffer
      - .address_space:  global
        .offset:         8
        .size:           8
        .value_kind:     global_buffer
      - .address_space:  global
        .offset:         16
        .size:           8
        .value_kind:     global_buffer
      - .offset:         24
        .size:           4
        .value_kind:     by_value
      - .offset:         28
        .size:           4
        .value_kind:     by_value
      - .offset:         32
        .size:           4
        .value_kind:     by_value
      - .address_space:  global
        .offset:         40
        .size:           8
        .value_kind:     global_buffer
      - .offset:         48
        .size:           4
        .value_kind:     hidden_block_count_x
      - .offset:         52
        .size:           4
        .value_kind:     hidden_block_count_y
      - .offset:         56
        .size:           4
        .value_kind:     hidden_block_count_z
      - .offset:         60
        .size:           2
        .value_kind:     hidden_group_size_x
      - .offset:         62
        .size:           2
        .value_kind:     hidden_group_size_y
      - .offset:         64
        .size:           2
        .value_kind:     hidden_group_size_z
      - .offset:         66
        .size:           2
        .value_kind:     hidden_remainder_x
      - .offset:         68
        .size:           2
        .value_kind:     hidden_remainder_y
      - .offset:         70
        .size:           2
        .value_kind:     hidden_remainder_z
      - .offset:         88
        .size:           8
        .value_kind:     hidden_global_offset_x
      - .offset:         96
        .size:           8
        .value_kind:     hidden_global_offset_y
      - .offset:         104
        .size:           8
        .value_kind:     hidden_global_offset_z
      - .offset:         112
        .size:           2
        .value_kind:     hidden_grid_dims
    .group_segment_fixed_size: 0
    .kernarg_segment_align: 8
    .kernarg_segment_size: 304
    .language:       OpenCL C
    .language_version:
      - 2
      - 0
    .max_flat_workgroup_size: 1024
    .name:           _ZN12_GLOBAL__N_121softmax_warp_backwardIdddLi7ELb0ELb0ELi64EEEvPT0_PKT_S5_iiiPKb
    .private_segment_fixed_size: 0
    .sgpr_count:     18
    .sgpr_spill_count: 0
    .symbol:         _ZN12_GLOBAL__N_121softmax_warp_backwardIdddLi7ELb0ELb0ELi64EEEvPT0_PKT_S5_iiiPKb.kd
    .uniform_work_group_size: 1
    .uses_dynamic_stack: false
    .vgpr_count:     28
    .vgpr_spill_count: 0
    .wavefront_size: 32
    .workgroup_processor_mode: 1
  - .args:
      - .address_space:  global
        .offset:         0
        .size:           8
        .value_kind:     global_buffer
      - .address_space:  global
        .offset:         8
        .size:           8
        .value_kind:     global_buffer
      - .address_space:  global
        .offset:         16
        .size:           8
        .value_kind:     global_buffer
      - .offset:         24
        .size:           4
        .value_kind:     by_value
      - .offset:         28
        .size:           4
        .value_kind:     by_value
      - .offset:         32
        .size:           4
        .value_kind:     by_value
      - .address_space:  global
        .offset:         40
        .size:           8
        .value_kind:     global_buffer
      - .offset:         48
        .size:           4
        .value_kind:     hidden_block_count_x
      - .offset:         52
        .size:           4
        .value_kind:     hidden_block_count_y
      - .offset:         56
        .size:           4
        .value_kind:     hidden_block_count_z
      - .offset:         60
        .size:           2
        .value_kind:     hidden_group_size_x
      - .offset:         62
        .size:           2
        .value_kind:     hidden_group_size_y
      - .offset:         64
        .size:           2
        .value_kind:     hidden_group_size_z
      - .offset:         66
        .size:           2
        .value_kind:     hidden_remainder_x
      - .offset:         68
        .size:           2
        .value_kind:     hidden_remainder_y
      - .offset:         70
        .size:           2
        .value_kind:     hidden_remainder_z
      - .offset:         88
        .size:           8
        .value_kind:     hidden_global_offset_x
      - .offset:         96
        .size:           8
        .value_kind:     hidden_global_offset_y
      - .offset:         104
        .size:           8
        .value_kind:     hidden_global_offset_z
      - .offset:         112
        .size:           2
        .value_kind:     hidden_grid_dims
    .group_segment_fixed_size: 0
    .kernarg_segment_align: 8
    .kernarg_segment_size: 304
    .language:       OpenCL C
    .language_version:
      - 2
      - 0
    .max_flat_workgroup_size: 1024
    .name:           _ZN12_GLOBAL__N_121softmax_warp_backwardIdddLi7ELb0ELb0ELi32EEEvPT0_PKT_S5_iiiPKb
    .private_segment_fixed_size: 0
    .sgpr_count:     18
    .sgpr_spill_count: 0
    .symbol:         _ZN12_GLOBAL__N_121softmax_warp_backwardIdddLi7ELb0ELb0ELi32EEEvPT0_PKT_S5_iiiPKb.kd
    .uniform_work_group_size: 1
    .uses_dynamic_stack: false
    .vgpr_count:     44
    .vgpr_spill_count: 0
    .wavefront_size: 32
    .workgroup_processor_mode: 1
  - .args:
      - .address_space:  global
        .offset:         0
        .size:           8
        .value_kind:     global_buffer
      - .address_space:  global
        .offset:         8
        .size:           8
        .value_kind:     global_buffer
      - .address_space:  global
        .offset:         16
        .size:           8
        .value_kind:     global_buffer
      - .offset:         24
        .size:           4
        .value_kind:     by_value
      - .offset:         28
        .size:           4
        .value_kind:     by_value
      - .offset:         32
        .size:           4
        .value_kind:     by_value
      - .address_space:  global
        .offset:         40
        .size:           8
        .value_kind:     global_buffer
      - .offset:         48
        .size:           4
        .value_kind:     hidden_block_count_x
      - .offset:         52
        .size:           4
        .value_kind:     hidden_block_count_y
      - .offset:         56
        .size:           4
        .value_kind:     hidden_block_count_z
      - .offset:         60
        .size:           2
        .value_kind:     hidden_group_size_x
      - .offset:         62
        .size:           2
        .value_kind:     hidden_group_size_y
      - .offset:         64
        .size:           2
        .value_kind:     hidden_group_size_z
      - .offset:         66
        .size:           2
        .value_kind:     hidden_remainder_x
      - .offset:         68
        .size:           2
        .value_kind:     hidden_remainder_y
      - .offset:         70
        .size:           2
        .value_kind:     hidden_remainder_z
      - .offset:         88
        .size:           8
        .value_kind:     hidden_global_offset_x
      - .offset:         96
        .size:           8
        .value_kind:     hidden_global_offset_y
      - .offset:         104
        .size:           8
        .value_kind:     hidden_global_offset_z
      - .offset:         112
        .size:           2
        .value_kind:     hidden_grid_dims
    .group_segment_fixed_size: 0
    .kernarg_segment_align: 8
    .kernarg_segment_size: 304
    .language:       OpenCL C
    .language_version:
      - 2
      - 0
    .max_flat_workgroup_size: 1024
    .name:           _ZN12_GLOBAL__N_121softmax_warp_backwardIdddLi8ELb0ELb0ELi64EEEvPT0_PKT_S5_iiiPKb
    .private_segment_fixed_size: 0
    .sgpr_count:     18
    .sgpr_spill_count: 0
    .symbol:         _ZN12_GLOBAL__N_121softmax_warp_backwardIdddLi8ELb0ELb0ELi64EEEvPT0_PKT_S5_iiiPKb.kd
    .uniform_work_group_size: 1
    .uses_dynamic_stack: false
    .vgpr_count:     24
    .vgpr_spill_count: 0
    .wavefront_size: 32
    .workgroup_processor_mode: 1
  - .args:
      - .address_space:  global
        .offset:         0
        .size:           8
        .value_kind:     global_buffer
      - .address_space:  global
        .offset:         8
        .size:           8
        .value_kind:     global_buffer
      - .address_space:  global
        .offset:         16
        .size:           8
        .value_kind:     global_buffer
      - .offset:         24
        .size:           4
        .value_kind:     by_value
      - .offset:         28
        .size:           4
        .value_kind:     by_value
      - .offset:         32
        .size:           4
        .value_kind:     by_value
      - .address_space:  global
        .offset:         40
        .size:           8
        .value_kind:     global_buffer
      - .offset:         48
        .size:           4
        .value_kind:     hidden_block_count_x
      - .offset:         52
        .size:           4
        .value_kind:     hidden_block_count_y
      - .offset:         56
        .size:           4
        .value_kind:     hidden_block_count_z
      - .offset:         60
        .size:           2
        .value_kind:     hidden_group_size_x
      - .offset:         62
        .size:           2
        .value_kind:     hidden_group_size_y
      - .offset:         64
        .size:           2
        .value_kind:     hidden_group_size_z
      - .offset:         66
        .size:           2
        .value_kind:     hidden_remainder_x
      - .offset:         68
        .size:           2
        .value_kind:     hidden_remainder_y
      - .offset:         70
        .size:           2
        .value_kind:     hidden_remainder_z
      - .offset:         88
        .size:           8
        .value_kind:     hidden_global_offset_x
      - .offset:         96
        .size:           8
        .value_kind:     hidden_global_offset_y
      - .offset:         104
        .size:           8
        .value_kind:     hidden_global_offset_z
      - .offset:         112
        .size:           2
        .value_kind:     hidden_grid_dims
    .group_segment_fixed_size: 0
    .kernarg_segment_align: 8
    .kernarg_segment_size: 304
    .language:       OpenCL C
    .language_version:
      - 2
      - 0
    .max_flat_workgroup_size: 1024
    .name:           _ZN12_GLOBAL__N_121softmax_warp_backwardIdddLi8ELb0ELb0ELi32EEEvPT0_PKT_S5_iiiPKb
    .private_segment_fixed_size: 0
    .sgpr_count:     18
    .sgpr_spill_count: 0
    .symbol:         _ZN12_GLOBAL__N_121softmax_warp_backwardIdddLi8ELb0ELb0ELi32EEEvPT0_PKT_S5_iiiPKb.kd
    .uniform_work_group_size: 1
    .uses_dynamic_stack: false
    .vgpr_count:     40
    .vgpr_spill_count: 0
    .wavefront_size: 32
    .workgroup_processor_mode: 1
  - .args:
      - .address_space:  global
        .offset:         0
        .size:           8
        .value_kind:     global_buffer
      - .address_space:  global
        .offset:         8
        .size:           8
        .value_kind:     global_buffer
      - .address_space:  global
        .offset:         16
        .size:           8
        .value_kind:     global_buffer
      - .offset:         24
        .size:           4
        .value_kind:     by_value
      - .offset:         28
        .size:           4
        .value_kind:     by_value
      - .offset:         32
        .size:           4
        .value_kind:     by_value
      - .address_space:  global
        .offset:         40
        .size:           8
        .value_kind:     global_buffer
      - .offset:         48
        .size:           4
        .value_kind:     hidden_block_count_x
      - .offset:         52
        .size:           4
        .value_kind:     hidden_block_count_y
      - .offset:         56
        .size:           4
        .value_kind:     hidden_block_count_z
      - .offset:         60
        .size:           2
        .value_kind:     hidden_group_size_x
      - .offset:         62
        .size:           2
        .value_kind:     hidden_group_size_y
      - .offset:         64
        .size:           2
        .value_kind:     hidden_group_size_z
      - .offset:         66
        .size:           2
        .value_kind:     hidden_remainder_x
      - .offset:         68
        .size:           2
        .value_kind:     hidden_remainder_y
      - .offset:         70
        .size:           2
        .value_kind:     hidden_remainder_z
      - .offset:         88
        .size:           8
        .value_kind:     hidden_global_offset_x
      - .offset:         96
        .size:           8
        .value_kind:     hidden_global_offset_y
      - .offset:         104
        .size:           8
        .value_kind:     hidden_global_offset_z
      - .offset:         112
        .size:           2
        .value_kind:     hidden_grid_dims
    .group_segment_fixed_size: 0
    .kernarg_segment_align: 8
    .kernarg_segment_size: 304
    .language:       OpenCL C
    .language_version:
      - 2
      - 0
    .max_flat_workgroup_size: 1024
    .name:           _ZN12_GLOBAL__N_121softmax_warp_backwardIdddLi9ELb0ELb0ELi64EEEvPT0_PKT_S5_iiiPKb
    .private_segment_fixed_size: 0
    .sgpr_count:     18
    .sgpr_spill_count: 0
    .symbol:         _ZN12_GLOBAL__N_121softmax_warp_backwardIdddLi9ELb0ELb0ELi64EEEvPT0_PKT_S5_iiiPKb.kd
    .uniform_work_group_size: 1
    .uses_dynamic_stack: false
    .vgpr_count:     40
    .vgpr_spill_count: 0
    .wavefront_size: 32
    .workgroup_processor_mode: 1
  - .args:
      - .address_space:  global
        .offset:         0
        .size:           8
        .value_kind:     global_buffer
      - .address_space:  global
        .offset:         8
        .size:           8
        .value_kind:     global_buffer
      - .address_space:  global
        .offset:         16
        .size:           8
        .value_kind:     global_buffer
      - .offset:         24
        .size:           4
        .value_kind:     by_value
      - .offset:         28
        .size:           4
        .value_kind:     by_value
      - .offset:         32
        .size:           4
        .value_kind:     by_value
      - .address_space:  global
        .offset:         40
        .size:           8
        .value_kind:     global_buffer
      - .offset:         48
        .size:           4
        .value_kind:     hidden_block_count_x
      - .offset:         52
        .size:           4
        .value_kind:     hidden_block_count_y
      - .offset:         56
        .size:           4
        .value_kind:     hidden_block_count_z
      - .offset:         60
        .size:           2
        .value_kind:     hidden_group_size_x
      - .offset:         62
        .size:           2
        .value_kind:     hidden_group_size_y
      - .offset:         64
        .size:           2
        .value_kind:     hidden_group_size_z
      - .offset:         66
        .size:           2
        .value_kind:     hidden_remainder_x
      - .offset:         68
        .size:           2
        .value_kind:     hidden_remainder_y
      - .offset:         70
        .size:           2
        .value_kind:     hidden_remainder_z
      - .offset:         88
        .size:           8
        .value_kind:     hidden_global_offset_x
      - .offset:         96
        .size:           8
        .value_kind:     hidden_global_offset_y
      - .offset:         104
        .size:           8
        .value_kind:     hidden_global_offset_z
      - .offset:         112
        .size:           2
        .value_kind:     hidden_grid_dims
    .group_segment_fixed_size: 0
    .kernarg_segment_align: 8
    .kernarg_segment_size: 304
    .language:       OpenCL C
    .language_version:
      - 2
      - 0
    .max_flat_workgroup_size: 1024
    .name:           _ZN12_GLOBAL__N_121softmax_warp_backwardIdddLi9ELb0ELb0ELi32EEEvPT0_PKT_S5_iiiPKb
    .private_segment_fixed_size: 0
    .sgpr_count:     26
    .sgpr_spill_count: 0
    .symbol:         _ZN12_GLOBAL__N_121softmax_warp_backwardIdddLi9ELb0ELb0ELi32EEEvPT0_PKT_S5_iiiPKb.kd
    .uniform_work_group_size: 1
    .uses_dynamic_stack: false
    .vgpr_count:     72
    .vgpr_spill_count: 0
    .wavefront_size: 32
    .workgroup_processor_mode: 1
  - .args:
      - .address_space:  global
        .offset:         0
        .size:           8
        .value_kind:     global_buffer
      - .address_space:  global
        .offset:         8
        .size:           8
        .value_kind:     global_buffer
      - .address_space:  global
        .offset:         16
        .size:           8
        .value_kind:     global_buffer
      - .offset:         24
        .size:           4
        .value_kind:     by_value
      - .offset:         28
        .size:           4
        .value_kind:     by_value
      - .offset:         32
        .size:           4
        .value_kind:     by_value
      - .address_space:  global
        .offset:         40
        .size:           8
        .value_kind:     global_buffer
      - .offset:         48
        .size:           4
        .value_kind:     hidden_block_count_x
      - .offset:         52
        .size:           4
        .value_kind:     hidden_block_count_y
      - .offset:         56
        .size:           4
        .value_kind:     hidden_block_count_z
      - .offset:         60
        .size:           2
        .value_kind:     hidden_group_size_x
      - .offset:         62
        .size:           2
        .value_kind:     hidden_group_size_y
      - .offset:         64
        .size:           2
        .value_kind:     hidden_group_size_z
      - .offset:         66
        .size:           2
        .value_kind:     hidden_remainder_x
      - .offset:         68
        .size:           2
        .value_kind:     hidden_remainder_y
      - .offset:         70
        .size:           2
        .value_kind:     hidden_remainder_z
      - .offset:         88
        .size:           8
        .value_kind:     hidden_global_offset_x
      - .offset:         96
        .size:           8
        .value_kind:     hidden_global_offset_y
      - .offset:         104
        .size:           8
        .value_kind:     hidden_global_offset_z
      - .offset:         112
        .size:           2
        .value_kind:     hidden_grid_dims
    .group_segment_fixed_size: 0
    .kernarg_segment_align: 8
    .kernarg_segment_size: 304
    .language:       OpenCL C
    .language_version:
      - 2
      - 0
    .max_flat_workgroup_size: 1024
    .name:           _ZN12_GLOBAL__N_121softmax_warp_backwardIdddLi10ELb0ELb0ELi64EEEvPT0_PKT_S5_iiiPKb
    .private_segment_fixed_size: 0
    .sgpr_count:     26
    .sgpr_spill_count: 0
    .symbol:         _ZN12_GLOBAL__N_121softmax_warp_backwardIdddLi10ELb0ELb0ELi64EEEvPT0_PKT_S5_iiiPKb.kd
    .uniform_work_group_size: 1
    .uses_dynamic_stack: false
    .vgpr_count:     72
    .vgpr_spill_count: 0
    .wavefront_size: 32
    .workgroup_processor_mode: 1
  - .args:
      - .address_space:  global
        .offset:         0
        .size:           8
        .value_kind:     global_buffer
      - .address_space:  global
        .offset:         8
        .size:           8
        .value_kind:     global_buffer
      - .address_space:  global
        .offset:         16
        .size:           8
        .value_kind:     global_buffer
      - .offset:         24
        .size:           4
        .value_kind:     by_value
      - .offset:         28
        .size:           4
        .value_kind:     by_value
      - .offset:         32
        .size:           4
        .value_kind:     by_value
      - .address_space:  global
        .offset:         40
        .size:           8
        .value_kind:     global_buffer
      - .offset:         48
        .size:           4
        .value_kind:     hidden_block_count_x
      - .offset:         52
        .size:           4
        .value_kind:     hidden_block_count_y
      - .offset:         56
        .size:           4
        .value_kind:     hidden_block_count_z
      - .offset:         60
        .size:           2
        .value_kind:     hidden_group_size_x
      - .offset:         62
        .size:           2
        .value_kind:     hidden_group_size_y
      - .offset:         64
        .size:           2
        .value_kind:     hidden_group_size_z
      - .offset:         66
        .size:           2
        .value_kind:     hidden_remainder_x
      - .offset:         68
        .size:           2
        .value_kind:     hidden_remainder_y
      - .offset:         70
        .size:           2
        .value_kind:     hidden_remainder_z
      - .offset:         88
        .size:           8
        .value_kind:     hidden_global_offset_x
      - .offset:         96
        .size:           8
        .value_kind:     hidden_global_offset_y
      - .offset:         104
        .size:           8
        .value_kind:     hidden_global_offset_z
      - .offset:         112
        .size:           2
        .value_kind:     hidden_grid_dims
    .group_segment_fixed_size: 0
    .kernarg_segment_align: 8
    .kernarg_segment_size: 304
    .language:       OpenCL C
    .language_version:
      - 2
      - 0
    .max_flat_workgroup_size: 1024
    .name:           _ZN12_GLOBAL__N_121softmax_warp_backwardIdddLi10ELb0ELb0ELi32EEEvPT0_PKT_S5_iiiPKb
    .private_segment_fixed_size: 0
    .sgpr_count:     46
    .sgpr_spill_count: 0
    .symbol:         _ZN12_GLOBAL__N_121softmax_warp_backwardIdddLi10ELb0ELb0ELi32EEEvPT0_PKT_S5_iiiPKb.kd
    .uniform_work_group_size: 1
    .uses_dynamic_stack: false
    .vgpr_count:     136
    .vgpr_spill_count: 0
    .wavefront_size: 32
    .workgroup_processor_mode: 1
  - .args:
      - .address_space:  global
        .offset:         0
        .size:           8
        .value_kind:     global_buffer
      - .address_space:  global
        .offset:         8
        .size:           8
        .value_kind:     global_buffer
      - .address_space:  global
        .offset:         16
        .size:           8
        .value_kind:     global_buffer
      - .offset:         24
        .size:           8
        .value_kind:     by_value
      - .offset:         32
        .size:           4
        .value_kind:     hidden_block_count_x
      - .offset:         36
        .size:           4
        .value_kind:     hidden_block_count_y
      - .offset:         40
        .size:           4
        .value_kind:     hidden_block_count_z
      - .offset:         44
        .size:           2
        .value_kind:     hidden_group_size_x
      - .offset:         46
        .size:           2
        .value_kind:     hidden_group_size_y
      - .offset:         48
        .size:           2
        .value_kind:     hidden_group_size_z
      - .offset:         50
        .size:           2
        .value_kind:     hidden_remainder_x
      - .offset:         52
        .size:           2
        .value_kind:     hidden_remainder_y
      - .offset:         54
        .size:           2
        .value_kind:     hidden_remainder_z
      - .offset:         72
        .size:           8
        .value_kind:     hidden_global_offset_x
      - .offset:         80
        .size:           8
        .value_kind:     hidden_global_offset_y
      - .offset:         88
        .size:           8
        .value_kind:     hidden_global_offset_z
      - .offset:         96
        .size:           2
        .value_kind:     hidden_grid_dims
      - .offset:         152
        .size:           4
        .value_kind:     hidden_dynamic_lds_size
    .group_segment_fixed_size: 0
    .kernarg_segment_align: 8
    .kernarg_segment_size: 288
    .language:       OpenCL C
    .language_version:
      - 2
      - 0
    .max_flat_workgroup_size: 1024
    .name:           _ZN2at6native12_GLOBAL__N_124cunn_SoftMaxBackwardSmemILi2EdddNS1_23SoftMaxBackwardEpilogueEEEvPT0_PKT2_S8_l
    .private_segment_fixed_size: 0
    .sgpr_count:     20
    .sgpr_spill_count: 0
    .symbol:         _ZN2at6native12_GLOBAL__N_124cunn_SoftMaxBackwardSmemILi2EdddNS1_23SoftMaxBackwardEpilogueEEEvPT0_PKT2_S8_l.kd
    .uniform_work_group_size: 1
    .uses_dynamic_stack: false
    .vgpr_count:     18
    .vgpr_spill_count: 0
    .wavefront_size: 32
    .workgroup_processor_mode: 1
  - .args:
      - .address_space:  global
        .offset:         0
        .size:           8
        .value_kind:     global_buffer
      - .address_space:  global
        .offset:         8
        .size:           8
        .value_kind:     global_buffer
      - .address_space:  global
        .offset:         16
        .size:           8
        .value_kind:     global_buffer
      - .offset:         24
        .size:           8
        .value_kind:     by_value
      - .offset:         32
        .size:           4
        .value_kind:     hidden_block_count_x
      - .offset:         36
        .size:           4
        .value_kind:     hidden_block_count_y
      - .offset:         40
        .size:           4
        .value_kind:     hidden_block_count_z
      - .offset:         44
        .size:           2
        .value_kind:     hidden_group_size_x
      - .offset:         46
        .size:           2
        .value_kind:     hidden_group_size_y
      - .offset:         48
        .size:           2
        .value_kind:     hidden_group_size_z
      - .offset:         50
        .size:           2
        .value_kind:     hidden_remainder_x
      - .offset:         52
        .size:           2
        .value_kind:     hidden_remainder_y
      - .offset:         54
        .size:           2
        .value_kind:     hidden_remainder_z
      - .offset:         72
        .size:           8
        .value_kind:     hidden_global_offset_x
      - .offset:         80
        .size:           8
        .value_kind:     hidden_global_offset_y
      - .offset:         88
        .size:           8
        .value_kind:     hidden_global_offset_z
      - .offset:         96
        .size:           2
        .value_kind:     hidden_grid_dims
      - .offset:         152
        .size:           4
        .value_kind:     hidden_dynamic_lds_size
    .group_segment_fixed_size: 0
    .kernarg_segment_align: 8
    .kernarg_segment_size: 288
    .language:       OpenCL C
    .language_version:
      - 2
      - 0
    .max_flat_workgroup_size: 1024
    .name:           _ZN2at6native12_GLOBAL__N_120cunn_SoftMaxBackwardILi2EdddNS1_23SoftMaxBackwardEpilogueEEEvPT0_PKT2_S8_l
    .private_segment_fixed_size: 0
    .sgpr_count:     47
    .sgpr_spill_count: 0
    .symbol:         _ZN2at6native12_GLOBAL__N_120cunn_SoftMaxBackwardILi2EdddNS1_23SoftMaxBackwardEpilogueEEEvPT0_PKT2_S8_l.kd
    .uniform_work_group_size: 1
    .uses_dynamic_stack: false
    .vgpr_count:     20
    .vgpr_spill_count: 0
    .wavefront_size: 32
    .workgroup_processor_mode: 1
  - .args:
      - .address_space:  global
        .offset:         0
        .size:           8
        .value_kind:     global_buffer
      - .address_space:  global
        .offset:         8
        .size:           8
        .value_kind:     global_buffer
      - .address_space:  global
        .offset:         16
        .size:           8
        .value_kind:     global_buffer
      - .offset:         24
        .size:           4
        .value_kind:     by_value
      - .offset:         28
        .size:           4
        .value_kind:     by_value
      - .offset:         32
        .size:           4
        .value_kind:     by_value
      - .address_space:  global
        .offset:         40
        .size:           8
        .value_kind:     global_buffer
      - .offset:         48
        .size:           4
        .value_kind:     hidden_block_count_x
      - .offset:         52
        .size:           4
        .value_kind:     hidden_block_count_y
      - .offset:         56
        .size:           4
        .value_kind:     hidden_block_count_z
      - .offset:         60
        .size:           2
        .value_kind:     hidden_group_size_x
      - .offset:         62
        .size:           2
        .value_kind:     hidden_group_size_y
      - .offset:         64
        .size:           2
        .value_kind:     hidden_group_size_z
      - .offset:         66
        .size:           2
        .value_kind:     hidden_remainder_x
      - .offset:         68
        .size:           2
        .value_kind:     hidden_remainder_y
      - .offset:         70
        .size:           2
        .value_kind:     hidden_remainder_z
      - .offset:         88
        .size:           8
        .value_kind:     hidden_global_offset_x
      - .offset:         96
        .size:           8
        .value_kind:     hidden_global_offset_y
      - .offset:         104
        .size:           8
        .value_kind:     hidden_global_offset_z
      - .offset:         112
        .size:           2
        .value_kind:     hidden_grid_dims
    .group_segment_fixed_size: 0
    .kernarg_segment_align: 8
    .kernarg_segment_size: 304
    .language:       OpenCL C
    .language_version:
      - 2
      - 0
    .max_flat_workgroup_size: 1024
    .name:           _ZN12_GLOBAL__N_121softmax_warp_backwardIfffLi0ELb0ELb0ELi64EEEvPT0_PKT_S5_iiiPKb
    .private_segment_fixed_size: 0
    .sgpr_count:     18
    .sgpr_spill_count: 0
    .symbol:         _ZN12_GLOBAL__N_121softmax_warp_backwardIfffLi0ELb0ELb0ELi64EEEvPT0_PKT_S5_iiiPKb.kd
    .uniform_work_group_size: 1
    .uses_dynamic_stack: false
    .vgpr_count:     11
    .vgpr_spill_count: 0
    .wavefront_size: 32
    .workgroup_processor_mode: 1
  - .args:
      - .address_space:  global
        .offset:         0
        .size:           8
        .value_kind:     global_buffer
      - .address_space:  global
        .offset:         8
        .size:           8
        .value_kind:     global_buffer
      - .address_space:  global
        .offset:         16
        .size:           8
        .value_kind:     global_buffer
      - .offset:         24
        .size:           4
        .value_kind:     by_value
      - .offset:         28
        .size:           4
        .value_kind:     by_value
      - .offset:         32
        .size:           4
        .value_kind:     by_value
      - .address_space:  global
        .offset:         40
        .size:           8
        .value_kind:     global_buffer
      - .offset:         48
        .size:           4
        .value_kind:     hidden_block_count_x
      - .offset:         52
        .size:           4
        .value_kind:     hidden_block_count_y
      - .offset:         56
        .size:           4
        .value_kind:     hidden_block_count_z
      - .offset:         60
        .size:           2
        .value_kind:     hidden_group_size_x
      - .offset:         62
        .size:           2
        .value_kind:     hidden_group_size_y
      - .offset:         64
        .size:           2
        .value_kind:     hidden_group_size_z
      - .offset:         66
        .size:           2
        .value_kind:     hidden_remainder_x
      - .offset:         68
        .size:           2
        .value_kind:     hidden_remainder_y
      - .offset:         70
        .size:           2
        .value_kind:     hidden_remainder_z
      - .offset:         88
        .size:           8
        .value_kind:     hidden_global_offset_x
      - .offset:         96
        .size:           8
        .value_kind:     hidden_global_offset_y
      - .offset:         104
        .size:           8
        .value_kind:     hidden_global_offset_z
      - .offset:         112
        .size:           2
        .value_kind:     hidden_grid_dims
    .group_segment_fixed_size: 0
    .kernarg_segment_align: 8
    .kernarg_segment_size: 304
    .language:       OpenCL C
    .language_version:
      - 2
      - 0
    .max_flat_workgroup_size: 1024
    .name:           _ZN12_GLOBAL__N_121softmax_warp_backwardIfffLi0ELb0ELb0ELi32EEEvPT0_PKT_S5_iiiPKb
    .private_segment_fixed_size: 0
    .sgpr_count:     18
    .sgpr_spill_count: 0
    .symbol:         _ZN12_GLOBAL__N_121softmax_warp_backwardIfffLi0ELb0ELb0ELi32EEEvPT0_PKT_S5_iiiPKb.kd
    .uniform_work_group_size: 1
    .uses_dynamic_stack: false
    .vgpr_count:     11
    .vgpr_spill_count: 0
    .wavefront_size: 32
    .workgroup_processor_mode: 1
  - .args:
      - .address_space:  global
        .offset:         0
        .size:           8
        .value_kind:     global_buffer
      - .address_space:  global
        .offset:         8
        .size:           8
        .value_kind:     global_buffer
      - .address_space:  global
        .offset:         16
        .size:           8
        .value_kind:     global_buffer
      - .offset:         24
        .size:           4
        .value_kind:     by_value
      - .offset:         28
        .size:           4
        .value_kind:     by_value
      - .offset:         32
        .size:           4
        .value_kind:     by_value
      - .address_space:  global
        .offset:         40
        .size:           8
        .value_kind:     global_buffer
      - .offset:         48
        .size:           4
        .value_kind:     hidden_block_count_x
      - .offset:         52
        .size:           4
        .value_kind:     hidden_block_count_y
      - .offset:         56
        .size:           4
        .value_kind:     hidden_block_count_z
      - .offset:         60
        .size:           2
        .value_kind:     hidden_group_size_x
      - .offset:         62
        .size:           2
        .value_kind:     hidden_group_size_y
      - .offset:         64
        .size:           2
        .value_kind:     hidden_group_size_z
      - .offset:         66
        .size:           2
        .value_kind:     hidden_remainder_x
      - .offset:         68
        .size:           2
        .value_kind:     hidden_remainder_y
      - .offset:         70
        .size:           2
        .value_kind:     hidden_remainder_z
      - .offset:         88
        .size:           8
        .value_kind:     hidden_global_offset_x
      - .offset:         96
        .size:           8
        .value_kind:     hidden_global_offset_y
      - .offset:         104
        .size:           8
        .value_kind:     hidden_global_offset_z
      - .offset:         112
        .size:           2
        .value_kind:     hidden_grid_dims
    .group_segment_fixed_size: 0
    .kernarg_segment_align: 8
    .kernarg_segment_size: 304
    .language:       OpenCL C
    .language_version:
      - 2
      - 0
    .max_flat_workgroup_size: 1024
    .name:           _ZN12_GLOBAL__N_121softmax_warp_backwardIfffLi1ELb0ELb0ELi64EEEvPT0_PKT_S5_iiiPKb
    .private_segment_fixed_size: 0
    .sgpr_count:     18
    .sgpr_spill_count: 0
    .symbol:         _ZN12_GLOBAL__N_121softmax_warp_backwardIfffLi1ELb0ELb0ELi64EEEvPT0_PKT_S5_iiiPKb.kd
    .uniform_work_group_size: 1
    .uses_dynamic_stack: false
    .vgpr_count:     11
    .vgpr_spill_count: 0
    .wavefront_size: 32
    .workgroup_processor_mode: 1
  - .args:
      - .address_space:  global
        .offset:         0
        .size:           8
        .value_kind:     global_buffer
      - .address_space:  global
        .offset:         8
        .size:           8
        .value_kind:     global_buffer
      - .address_space:  global
        .offset:         16
        .size:           8
        .value_kind:     global_buffer
      - .offset:         24
        .size:           4
        .value_kind:     by_value
      - .offset:         28
        .size:           4
        .value_kind:     by_value
      - .offset:         32
        .size:           4
        .value_kind:     by_value
      - .address_space:  global
        .offset:         40
        .size:           8
        .value_kind:     global_buffer
      - .offset:         48
        .size:           4
        .value_kind:     hidden_block_count_x
      - .offset:         52
        .size:           4
        .value_kind:     hidden_block_count_y
      - .offset:         56
        .size:           4
        .value_kind:     hidden_block_count_z
      - .offset:         60
        .size:           2
        .value_kind:     hidden_group_size_x
      - .offset:         62
        .size:           2
        .value_kind:     hidden_group_size_y
      - .offset:         64
        .size:           2
        .value_kind:     hidden_group_size_z
      - .offset:         66
        .size:           2
        .value_kind:     hidden_remainder_x
      - .offset:         68
        .size:           2
        .value_kind:     hidden_remainder_y
      - .offset:         70
        .size:           2
        .value_kind:     hidden_remainder_z
      - .offset:         88
        .size:           8
        .value_kind:     hidden_global_offset_x
      - .offset:         96
        .size:           8
        .value_kind:     hidden_global_offset_y
      - .offset:         104
        .size:           8
        .value_kind:     hidden_global_offset_z
      - .offset:         112
        .size:           2
        .value_kind:     hidden_grid_dims
    .group_segment_fixed_size: 0
    .kernarg_segment_align: 8
    .kernarg_segment_size: 304
    .language:       OpenCL C
    .language_version:
      - 2
      - 0
    .max_flat_workgroup_size: 1024
    .name:           _ZN12_GLOBAL__N_121softmax_warp_backwardIfffLi1ELb0ELb0ELi32EEEvPT0_PKT_S5_iiiPKb
    .private_segment_fixed_size: 0
    .sgpr_count:     18
    .sgpr_spill_count: 0
    .symbol:         _ZN12_GLOBAL__N_121softmax_warp_backwardIfffLi1ELb0ELb0ELi32EEEvPT0_PKT_S5_iiiPKb.kd
    .uniform_work_group_size: 1
    .uses_dynamic_stack: false
    .vgpr_count:     11
    .vgpr_spill_count: 0
    .wavefront_size: 32
    .workgroup_processor_mode: 1
  - .args:
      - .address_space:  global
        .offset:         0
        .size:           8
        .value_kind:     global_buffer
      - .address_space:  global
        .offset:         8
        .size:           8
        .value_kind:     global_buffer
      - .address_space:  global
        .offset:         16
        .size:           8
        .value_kind:     global_buffer
      - .offset:         24
        .size:           4
        .value_kind:     by_value
      - .offset:         28
        .size:           4
        .value_kind:     by_value
      - .offset:         32
        .size:           4
        .value_kind:     by_value
      - .address_space:  global
        .offset:         40
        .size:           8
        .value_kind:     global_buffer
      - .offset:         48
        .size:           4
        .value_kind:     hidden_block_count_x
      - .offset:         52
        .size:           4
        .value_kind:     hidden_block_count_y
      - .offset:         56
        .size:           4
        .value_kind:     hidden_block_count_z
      - .offset:         60
        .size:           2
        .value_kind:     hidden_group_size_x
      - .offset:         62
        .size:           2
        .value_kind:     hidden_group_size_y
      - .offset:         64
        .size:           2
        .value_kind:     hidden_group_size_z
      - .offset:         66
        .size:           2
        .value_kind:     hidden_remainder_x
      - .offset:         68
        .size:           2
        .value_kind:     hidden_remainder_y
      - .offset:         70
        .size:           2
        .value_kind:     hidden_remainder_z
      - .offset:         88
        .size:           8
        .value_kind:     hidden_global_offset_x
      - .offset:         96
        .size:           8
        .value_kind:     hidden_global_offset_y
      - .offset:         104
        .size:           8
        .value_kind:     hidden_global_offset_z
      - .offset:         112
        .size:           2
        .value_kind:     hidden_grid_dims
    .group_segment_fixed_size: 0
    .kernarg_segment_align: 8
    .kernarg_segment_size: 304
    .language:       OpenCL C
    .language_version:
      - 2
      - 0
    .max_flat_workgroup_size: 1024
    .name:           _ZN12_GLOBAL__N_121softmax_warp_backwardIfffLi2ELb0ELb0ELi64EEEvPT0_PKT_S5_iiiPKb
    .private_segment_fixed_size: 0
    .sgpr_count:     18
    .sgpr_spill_count: 0
    .symbol:         _ZN12_GLOBAL__N_121softmax_warp_backwardIfffLi2ELb0ELb0ELi64EEEvPT0_PKT_S5_iiiPKb.kd
    .uniform_work_group_size: 1
    .uses_dynamic_stack: false
    .vgpr_count:     14
    .vgpr_spill_count: 0
    .wavefront_size: 32
    .workgroup_processor_mode: 1
  - .args:
      - .address_space:  global
        .offset:         0
        .size:           8
        .value_kind:     global_buffer
      - .address_space:  global
        .offset:         8
        .size:           8
        .value_kind:     global_buffer
      - .address_space:  global
        .offset:         16
        .size:           8
        .value_kind:     global_buffer
      - .offset:         24
        .size:           4
        .value_kind:     by_value
      - .offset:         28
        .size:           4
        .value_kind:     by_value
      - .offset:         32
        .size:           4
        .value_kind:     by_value
      - .address_space:  global
        .offset:         40
        .size:           8
        .value_kind:     global_buffer
      - .offset:         48
        .size:           4
        .value_kind:     hidden_block_count_x
      - .offset:         52
        .size:           4
        .value_kind:     hidden_block_count_y
      - .offset:         56
        .size:           4
        .value_kind:     hidden_block_count_z
      - .offset:         60
        .size:           2
        .value_kind:     hidden_group_size_x
      - .offset:         62
        .size:           2
        .value_kind:     hidden_group_size_y
      - .offset:         64
        .size:           2
        .value_kind:     hidden_group_size_z
      - .offset:         66
        .size:           2
        .value_kind:     hidden_remainder_x
      - .offset:         68
        .size:           2
        .value_kind:     hidden_remainder_y
      - .offset:         70
        .size:           2
        .value_kind:     hidden_remainder_z
      - .offset:         88
        .size:           8
        .value_kind:     hidden_global_offset_x
      - .offset:         96
        .size:           8
        .value_kind:     hidden_global_offset_y
      - .offset:         104
        .size:           8
        .value_kind:     hidden_global_offset_z
      - .offset:         112
        .size:           2
        .value_kind:     hidden_grid_dims
    .group_segment_fixed_size: 0
    .kernarg_segment_align: 8
    .kernarg_segment_size: 304
    .language:       OpenCL C
    .language_version:
      - 2
      - 0
    .max_flat_workgroup_size: 1024
    .name:           _ZN12_GLOBAL__N_121softmax_warp_backwardIfffLi2ELb0ELb0ELi32EEEvPT0_PKT_S5_iiiPKb
    .private_segment_fixed_size: 0
    .sgpr_count:     18
    .sgpr_spill_count: 0
    .symbol:         _ZN12_GLOBAL__N_121softmax_warp_backwardIfffLi2ELb0ELb0ELi32EEEvPT0_PKT_S5_iiiPKb.kd
    .uniform_work_group_size: 1
    .uses_dynamic_stack: false
    .vgpr_count:     14
    .vgpr_spill_count: 0
    .wavefront_size: 32
    .workgroup_processor_mode: 1
  - .args:
      - .address_space:  global
        .offset:         0
        .size:           8
        .value_kind:     global_buffer
      - .address_space:  global
        .offset:         8
        .size:           8
        .value_kind:     global_buffer
      - .address_space:  global
        .offset:         16
        .size:           8
        .value_kind:     global_buffer
      - .offset:         24
        .size:           4
        .value_kind:     by_value
      - .offset:         28
        .size:           4
        .value_kind:     by_value
      - .offset:         32
        .size:           4
        .value_kind:     by_value
      - .address_space:  global
        .offset:         40
        .size:           8
        .value_kind:     global_buffer
      - .offset:         48
        .size:           4
        .value_kind:     hidden_block_count_x
      - .offset:         52
        .size:           4
        .value_kind:     hidden_block_count_y
      - .offset:         56
        .size:           4
        .value_kind:     hidden_block_count_z
      - .offset:         60
        .size:           2
        .value_kind:     hidden_group_size_x
      - .offset:         62
        .size:           2
        .value_kind:     hidden_group_size_y
      - .offset:         64
        .size:           2
        .value_kind:     hidden_group_size_z
      - .offset:         66
        .size:           2
        .value_kind:     hidden_remainder_x
      - .offset:         68
        .size:           2
        .value_kind:     hidden_remainder_y
      - .offset:         70
        .size:           2
        .value_kind:     hidden_remainder_z
      - .offset:         88
        .size:           8
        .value_kind:     hidden_global_offset_x
      - .offset:         96
        .size:           8
        .value_kind:     hidden_global_offset_y
      - .offset:         104
        .size:           8
        .value_kind:     hidden_global_offset_z
      - .offset:         112
        .size:           2
        .value_kind:     hidden_grid_dims
    .group_segment_fixed_size: 0
    .kernarg_segment_align: 8
    .kernarg_segment_size: 304
    .language:       OpenCL C
    .language_version:
      - 2
      - 0
    .max_flat_workgroup_size: 1024
    .name:           _ZN12_GLOBAL__N_121softmax_warp_backwardIfffLi3ELb0ELb0ELi64EEEvPT0_PKT_S5_iiiPKb
    .private_segment_fixed_size: 0
    .sgpr_count:     18
    .sgpr_spill_count: 0
    .symbol:         _ZN12_GLOBAL__N_121softmax_warp_backwardIfffLi3ELb0ELb0ELi64EEEvPT0_PKT_S5_iiiPKb.kd
    .uniform_work_group_size: 1
    .uses_dynamic_stack: false
    .vgpr_count:     14
    .vgpr_spill_count: 0
    .wavefront_size: 32
    .workgroup_processor_mode: 1
  - .args:
      - .address_space:  global
        .offset:         0
        .size:           8
        .value_kind:     global_buffer
      - .address_space:  global
        .offset:         8
        .size:           8
        .value_kind:     global_buffer
      - .address_space:  global
        .offset:         16
        .size:           8
        .value_kind:     global_buffer
      - .offset:         24
        .size:           4
        .value_kind:     by_value
      - .offset:         28
        .size:           4
        .value_kind:     by_value
      - .offset:         32
        .size:           4
        .value_kind:     by_value
      - .address_space:  global
        .offset:         40
        .size:           8
        .value_kind:     global_buffer
      - .offset:         48
        .size:           4
        .value_kind:     hidden_block_count_x
      - .offset:         52
        .size:           4
        .value_kind:     hidden_block_count_y
      - .offset:         56
        .size:           4
        .value_kind:     hidden_block_count_z
      - .offset:         60
        .size:           2
        .value_kind:     hidden_group_size_x
      - .offset:         62
        .size:           2
        .value_kind:     hidden_group_size_y
      - .offset:         64
        .size:           2
        .value_kind:     hidden_group_size_z
      - .offset:         66
        .size:           2
        .value_kind:     hidden_remainder_x
      - .offset:         68
        .size:           2
        .value_kind:     hidden_remainder_y
      - .offset:         70
        .size:           2
        .value_kind:     hidden_remainder_z
      - .offset:         88
        .size:           8
        .value_kind:     hidden_global_offset_x
      - .offset:         96
        .size:           8
        .value_kind:     hidden_global_offset_y
      - .offset:         104
        .size:           8
        .value_kind:     hidden_global_offset_z
      - .offset:         112
        .size:           2
        .value_kind:     hidden_grid_dims
    .group_segment_fixed_size: 0
    .kernarg_segment_align: 8
    .kernarg_segment_size: 304
    .language:       OpenCL C
    .language_version:
      - 2
      - 0
    .max_flat_workgroup_size: 1024
    .name:           _ZN12_GLOBAL__N_121softmax_warp_backwardIfffLi3ELb0ELb0ELi32EEEvPT0_PKT_S5_iiiPKb
    .private_segment_fixed_size: 0
    .sgpr_count:     18
    .sgpr_spill_count: 0
    .symbol:         _ZN12_GLOBAL__N_121softmax_warp_backwardIfffLi3ELb0ELb0ELi32EEEvPT0_PKT_S5_iiiPKb.kd
    .uniform_work_group_size: 1
    .uses_dynamic_stack: false
    .vgpr_count:     14
    .vgpr_spill_count: 0
    .wavefront_size: 32
    .workgroup_processor_mode: 1
  - .args:
      - .address_space:  global
        .offset:         0
        .size:           8
        .value_kind:     global_buffer
      - .address_space:  global
        .offset:         8
        .size:           8
        .value_kind:     global_buffer
      - .address_space:  global
        .offset:         16
        .size:           8
        .value_kind:     global_buffer
      - .offset:         24
        .size:           4
        .value_kind:     by_value
      - .offset:         28
        .size:           4
        .value_kind:     by_value
      - .offset:         32
        .size:           4
        .value_kind:     by_value
      - .address_space:  global
        .offset:         40
        .size:           8
        .value_kind:     global_buffer
      - .offset:         48
        .size:           4
        .value_kind:     hidden_block_count_x
      - .offset:         52
        .size:           4
        .value_kind:     hidden_block_count_y
      - .offset:         56
        .size:           4
        .value_kind:     hidden_block_count_z
      - .offset:         60
        .size:           2
        .value_kind:     hidden_group_size_x
      - .offset:         62
        .size:           2
        .value_kind:     hidden_group_size_y
      - .offset:         64
        .size:           2
        .value_kind:     hidden_group_size_z
      - .offset:         66
        .size:           2
        .value_kind:     hidden_remainder_x
      - .offset:         68
        .size:           2
        .value_kind:     hidden_remainder_y
      - .offset:         70
        .size:           2
        .value_kind:     hidden_remainder_z
      - .offset:         88
        .size:           8
        .value_kind:     hidden_global_offset_x
      - .offset:         96
        .size:           8
        .value_kind:     hidden_global_offset_y
      - .offset:         104
        .size:           8
        .value_kind:     hidden_global_offset_z
      - .offset:         112
        .size:           2
        .value_kind:     hidden_grid_dims
    .group_segment_fixed_size: 0
    .kernarg_segment_align: 8
    .kernarg_segment_size: 304
    .language:       OpenCL C
    .language_version:
      - 2
      - 0
    .max_flat_workgroup_size: 1024
    .name:           _ZN12_GLOBAL__N_121softmax_warp_backwardIfffLi4ELb0ELb0ELi64EEEvPT0_PKT_S5_iiiPKb
    .private_segment_fixed_size: 0
    .sgpr_count:     18
    .sgpr_spill_count: 0
    .symbol:         _ZN12_GLOBAL__N_121softmax_warp_backwardIfffLi4ELb0ELb0ELi64EEEvPT0_PKT_S5_iiiPKb.kd
    .uniform_work_group_size: 1
    .uses_dynamic_stack: false
    .vgpr_count:     14
    .vgpr_spill_count: 0
    .wavefront_size: 32
    .workgroup_processor_mode: 1
  - .args:
      - .address_space:  global
        .offset:         0
        .size:           8
        .value_kind:     global_buffer
      - .address_space:  global
        .offset:         8
        .size:           8
        .value_kind:     global_buffer
      - .address_space:  global
        .offset:         16
        .size:           8
        .value_kind:     global_buffer
      - .offset:         24
        .size:           4
        .value_kind:     by_value
      - .offset:         28
        .size:           4
        .value_kind:     by_value
      - .offset:         32
        .size:           4
        .value_kind:     by_value
      - .address_space:  global
        .offset:         40
        .size:           8
        .value_kind:     global_buffer
      - .offset:         48
        .size:           4
        .value_kind:     hidden_block_count_x
      - .offset:         52
        .size:           4
        .value_kind:     hidden_block_count_y
      - .offset:         56
        .size:           4
        .value_kind:     hidden_block_count_z
      - .offset:         60
        .size:           2
        .value_kind:     hidden_group_size_x
      - .offset:         62
        .size:           2
        .value_kind:     hidden_group_size_y
      - .offset:         64
        .size:           2
        .value_kind:     hidden_group_size_z
      - .offset:         66
        .size:           2
        .value_kind:     hidden_remainder_x
      - .offset:         68
        .size:           2
        .value_kind:     hidden_remainder_y
      - .offset:         70
        .size:           2
        .value_kind:     hidden_remainder_z
      - .offset:         88
        .size:           8
        .value_kind:     hidden_global_offset_x
      - .offset:         96
        .size:           8
        .value_kind:     hidden_global_offset_y
      - .offset:         104
        .size:           8
        .value_kind:     hidden_global_offset_z
      - .offset:         112
        .size:           2
        .value_kind:     hidden_grid_dims
    .group_segment_fixed_size: 0
    .kernarg_segment_align: 8
    .kernarg_segment_size: 304
    .language:       OpenCL C
    .language_version:
      - 2
      - 0
    .max_flat_workgroup_size: 1024
    .name:           _ZN12_GLOBAL__N_121softmax_warp_backwardIfffLi4ELb0ELb0ELi32EEEvPT0_PKT_S5_iiiPKb
    .private_segment_fixed_size: 0
    .sgpr_count:     18
    .sgpr_spill_count: 0
    .symbol:         _ZN12_GLOBAL__N_121softmax_warp_backwardIfffLi4ELb0ELb0ELi32EEEvPT0_PKT_S5_iiiPKb.kd
    .uniform_work_group_size: 1
    .uses_dynamic_stack: false
    .vgpr_count:     14
    .vgpr_spill_count: 0
    .wavefront_size: 32
    .workgroup_processor_mode: 1
  - .args:
      - .address_space:  global
        .offset:         0
        .size:           8
        .value_kind:     global_buffer
      - .address_space:  global
        .offset:         8
        .size:           8
        .value_kind:     global_buffer
      - .address_space:  global
        .offset:         16
        .size:           8
        .value_kind:     global_buffer
      - .offset:         24
        .size:           4
        .value_kind:     by_value
      - .offset:         28
        .size:           4
        .value_kind:     by_value
      - .offset:         32
        .size:           4
        .value_kind:     by_value
      - .address_space:  global
        .offset:         40
        .size:           8
        .value_kind:     global_buffer
      - .offset:         48
        .size:           4
        .value_kind:     hidden_block_count_x
      - .offset:         52
        .size:           4
        .value_kind:     hidden_block_count_y
      - .offset:         56
        .size:           4
        .value_kind:     hidden_block_count_z
      - .offset:         60
        .size:           2
        .value_kind:     hidden_group_size_x
      - .offset:         62
        .size:           2
        .value_kind:     hidden_group_size_y
      - .offset:         64
        .size:           2
        .value_kind:     hidden_group_size_z
      - .offset:         66
        .size:           2
        .value_kind:     hidden_remainder_x
      - .offset:         68
        .size:           2
        .value_kind:     hidden_remainder_y
      - .offset:         70
        .size:           2
        .value_kind:     hidden_remainder_z
      - .offset:         88
        .size:           8
        .value_kind:     hidden_global_offset_x
      - .offset:         96
        .size:           8
        .value_kind:     hidden_global_offset_y
      - .offset:         104
        .size:           8
        .value_kind:     hidden_global_offset_z
      - .offset:         112
        .size:           2
        .value_kind:     hidden_grid_dims
    .group_segment_fixed_size: 0
    .kernarg_segment_align: 8
    .kernarg_segment_size: 304
    .language:       OpenCL C
    .language_version:
      - 2
      - 0
    .max_flat_workgroup_size: 1024
    .name:           _ZN12_GLOBAL__N_121softmax_warp_backwardIfffLi5ELb0ELb0ELi64EEEvPT0_PKT_S5_iiiPKb
    .private_segment_fixed_size: 0
    .sgpr_count:     18
    .sgpr_spill_count: 0
    .symbol:         _ZN12_GLOBAL__N_121softmax_warp_backwardIfffLi5ELb0ELb0ELi64EEEvPT0_PKT_S5_iiiPKb.kd
    .uniform_work_group_size: 1
    .uses_dynamic_stack: false
    .vgpr_count:     13
    .vgpr_spill_count: 0
    .wavefront_size: 32
    .workgroup_processor_mode: 1
  - .args:
      - .address_space:  global
        .offset:         0
        .size:           8
        .value_kind:     global_buffer
      - .address_space:  global
        .offset:         8
        .size:           8
        .value_kind:     global_buffer
      - .address_space:  global
        .offset:         16
        .size:           8
        .value_kind:     global_buffer
      - .offset:         24
        .size:           4
        .value_kind:     by_value
      - .offset:         28
        .size:           4
        .value_kind:     by_value
      - .offset:         32
        .size:           4
        .value_kind:     by_value
      - .address_space:  global
        .offset:         40
        .size:           8
        .value_kind:     global_buffer
      - .offset:         48
        .size:           4
        .value_kind:     hidden_block_count_x
      - .offset:         52
        .size:           4
        .value_kind:     hidden_block_count_y
      - .offset:         56
        .size:           4
        .value_kind:     hidden_block_count_z
      - .offset:         60
        .size:           2
        .value_kind:     hidden_group_size_x
      - .offset:         62
        .size:           2
        .value_kind:     hidden_group_size_y
      - .offset:         64
        .size:           2
        .value_kind:     hidden_group_size_z
      - .offset:         66
        .size:           2
        .value_kind:     hidden_remainder_x
      - .offset:         68
        .size:           2
        .value_kind:     hidden_remainder_y
      - .offset:         70
        .size:           2
        .value_kind:     hidden_remainder_z
      - .offset:         88
        .size:           8
        .value_kind:     hidden_global_offset_x
      - .offset:         96
        .size:           8
        .value_kind:     hidden_global_offset_y
      - .offset:         104
        .size:           8
        .value_kind:     hidden_global_offset_z
      - .offset:         112
        .size:           2
        .value_kind:     hidden_grid_dims
    .group_segment_fixed_size: 0
    .kernarg_segment_align: 8
    .kernarg_segment_size: 304
    .language:       OpenCL C
    .language_version:
      - 2
      - 0
    .max_flat_workgroup_size: 1024
    .name:           _ZN12_GLOBAL__N_121softmax_warp_backwardIfffLi5ELb0ELb0ELi32EEEvPT0_PKT_S5_iiiPKb
    .private_segment_fixed_size: 0
    .sgpr_count:     18
    .sgpr_spill_count: 0
    .symbol:         _ZN12_GLOBAL__N_121softmax_warp_backwardIfffLi5ELb0ELb0ELi32EEEvPT0_PKT_S5_iiiPKb.kd
    .uniform_work_group_size: 1
    .uses_dynamic_stack: false
    .vgpr_count:     13
    .vgpr_spill_count: 0
    .wavefront_size: 32
    .workgroup_processor_mode: 1
  - .args:
      - .address_space:  global
        .offset:         0
        .size:           8
        .value_kind:     global_buffer
      - .address_space:  global
        .offset:         8
        .size:           8
        .value_kind:     global_buffer
      - .address_space:  global
        .offset:         16
        .size:           8
        .value_kind:     global_buffer
      - .offset:         24
        .size:           4
        .value_kind:     by_value
      - .offset:         28
        .size:           4
        .value_kind:     by_value
      - .offset:         32
        .size:           4
        .value_kind:     by_value
      - .address_space:  global
        .offset:         40
        .size:           8
        .value_kind:     global_buffer
      - .offset:         48
        .size:           4
        .value_kind:     hidden_block_count_x
      - .offset:         52
        .size:           4
        .value_kind:     hidden_block_count_y
      - .offset:         56
        .size:           4
        .value_kind:     hidden_block_count_z
      - .offset:         60
        .size:           2
        .value_kind:     hidden_group_size_x
      - .offset:         62
        .size:           2
        .value_kind:     hidden_group_size_y
      - .offset:         64
        .size:           2
        .value_kind:     hidden_group_size_z
      - .offset:         66
        .size:           2
        .value_kind:     hidden_remainder_x
      - .offset:         68
        .size:           2
        .value_kind:     hidden_remainder_y
      - .offset:         70
        .size:           2
        .value_kind:     hidden_remainder_z
      - .offset:         88
        .size:           8
        .value_kind:     hidden_global_offset_x
      - .offset:         96
        .size:           8
        .value_kind:     hidden_global_offset_y
      - .offset:         104
        .size:           8
        .value_kind:     hidden_global_offset_z
      - .offset:         112
        .size:           2
        .value_kind:     hidden_grid_dims
    .group_segment_fixed_size: 0
    .kernarg_segment_align: 8
    .kernarg_segment_size: 304
    .language:       OpenCL C
    .language_version:
      - 2
      - 0
    .max_flat_workgroup_size: 1024
    .name:           _ZN12_GLOBAL__N_121softmax_warp_backwardIfffLi6ELb0ELb0ELi64EEEvPT0_PKT_S5_iiiPKb
    .private_segment_fixed_size: 0
    .sgpr_count:     18
    .sgpr_spill_count: 0
    .symbol:         _ZN12_GLOBAL__N_121softmax_warp_backwardIfffLi6ELb0ELb0ELi64EEEvPT0_PKT_S5_iiiPKb.kd
    .uniform_work_group_size: 1
    .uses_dynamic_stack: false
    .vgpr_count:     13
    .vgpr_spill_count: 0
    .wavefront_size: 32
    .workgroup_processor_mode: 1
  - .args:
      - .address_space:  global
        .offset:         0
        .size:           8
        .value_kind:     global_buffer
      - .address_space:  global
        .offset:         8
        .size:           8
        .value_kind:     global_buffer
      - .address_space:  global
        .offset:         16
        .size:           8
        .value_kind:     global_buffer
      - .offset:         24
        .size:           4
        .value_kind:     by_value
      - .offset:         28
        .size:           4
        .value_kind:     by_value
      - .offset:         32
        .size:           4
        .value_kind:     by_value
      - .address_space:  global
        .offset:         40
        .size:           8
        .value_kind:     global_buffer
      - .offset:         48
        .size:           4
        .value_kind:     hidden_block_count_x
      - .offset:         52
        .size:           4
        .value_kind:     hidden_block_count_y
      - .offset:         56
        .size:           4
        .value_kind:     hidden_block_count_z
      - .offset:         60
        .size:           2
        .value_kind:     hidden_group_size_x
      - .offset:         62
        .size:           2
        .value_kind:     hidden_group_size_y
      - .offset:         64
        .size:           2
        .value_kind:     hidden_group_size_z
      - .offset:         66
        .size:           2
        .value_kind:     hidden_remainder_x
      - .offset:         68
        .size:           2
        .value_kind:     hidden_remainder_y
      - .offset:         70
        .size:           2
        .value_kind:     hidden_remainder_z
      - .offset:         88
        .size:           8
        .value_kind:     hidden_global_offset_x
      - .offset:         96
        .size:           8
        .value_kind:     hidden_global_offset_y
      - .offset:         104
        .size:           8
        .value_kind:     hidden_global_offset_z
      - .offset:         112
        .size:           2
        .value_kind:     hidden_grid_dims
    .group_segment_fixed_size: 0
    .kernarg_segment_align: 8
    .kernarg_segment_size: 304
    .language:       OpenCL C
    .language_version:
      - 2
      - 0
    .max_flat_workgroup_size: 1024
    .name:           _ZN12_GLOBAL__N_121softmax_warp_backwardIfffLi6ELb0ELb0ELi32EEEvPT0_PKT_S5_iiiPKb
    .private_segment_fixed_size: 0
    .sgpr_count:     18
    .sgpr_spill_count: 0
    .symbol:         _ZN12_GLOBAL__N_121softmax_warp_backwardIfffLi6ELb0ELb0ELi32EEEvPT0_PKT_S5_iiiPKb.kd
    .uniform_work_group_size: 1
    .uses_dynamic_stack: false
    .vgpr_count:     17
    .vgpr_spill_count: 0
    .wavefront_size: 32
    .workgroup_processor_mode: 1
  - .args:
      - .address_space:  global
        .offset:         0
        .size:           8
        .value_kind:     global_buffer
      - .address_space:  global
        .offset:         8
        .size:           8
        .value_kind:     global_buffer
      - .address_space:  global
        .offset:         16
        .size:           8
        .value_kind:     global_buffer
      - .offset:         24
        .size:           4
        .value_kind:     by_value
      - .offset:         28
        .size:           4
        .value_kind:     by_value
      - .offset:         32
        .size:           4
        .value_kind:     by_value
      - .address_space:  global
        .offset:         40
        .size:           8
        .value_kind:     global_buffer
      - .offset:         48
        .size:           4
        .value_kind:     hidden_block_count_x
      - .offset:         52
        .size:           4
        .value_kind:     hidden_block_count_y
      - .offset:         56
        .size:           4
        .value_kind:     hidden_block_count_z
      - .offset:         60
        .size:           2
        .value_kind:     hidden_group_size_x
      - .offset:         62
        .size:           2
        .value_kind:     hidden_group_size_y
      - .offset:         64
        .size:           2
        .value_kind:     hidden_group_size_z
      - .offset:         66
        .size:           2
        .value_kind:     hidden_remainder_x
      - .offset:         68
        .size:           2
        .value_kind:     hidden_remainder_y
      - .offset:         70
        .size:           2
        .value_kind:     hidden_remainder_z
      - .offset:         88
        .size:           8
        .value_kind:     hidden_global_offset_x
      - .offset:         96
        .size:           8
        .value_kind:     hidden_global_offset_y
      - .offset:         104
        .size:           8
        .value_kind:     hidden_global_offset_z
      - .offset:         112
        .size:           2
        .value_kind:     hidden_grid_dims
    .group_segment_fixed_size: 0
    .kernarg_segment_align: 8
    .kernarg_segment_size: 304
    .language:       OpenCL C
    .language_version:
      - 2
      - 0
    .max_flat_workgroup_size: 1024
    .name:           _ZN12_GLOBAL__N_121softmax_warp_backwardIfffLi7ELb0ELb0ELi64EEEvPT0_PKT_S5_iiiPKb
    .private_segment_fixed_size: 0
    .sgpr_count:     18
    .sgpr_spill_count: 0
    .symbol:         _ZN12_GLOBAL__N_121softmax_warp_backwardIfffLi7ELb0ELb0ELi64EEEvPT0_PKT_S5_iiiPKb.kd
    .uniform_work_group_size: 1
    .uses_dynamic_stack: false
    .vgpr_count:     17
    .vgpr_spill_count: 0
    .wavefront_size: 32
    .workgroup_processor_mode: 1
  - .args:
      - .address_space:  global
        .offset:         0
        .size:           8
        .value_kind:     global_buffer
      - .address_space:  global
        .offset:         8
        .size:           8
        .value_kind:     global_buffer
      - .address_space:  global
        .offset:         16
        .size:           8
        .value_kind:     global_buffer
      - .offset:         24
        .size:           4
        .value_kind:     by_value
      - .offset:         28
        .size:           4
        .value_kind:     by_value
      - .offset:         32
        .size:           4
        .value_kind:     by_value
      - .address_space:  global
        .offset:         40
        .size:           8
        .value_kind:     global_buffer
      - .offset:         48
        .size:           4
        .value_kind:     hidden_block_count_x
      - .offset:         52
        .size:           4
        .value_kind:     hidden_block_count_y
      - .offset:         56
        .size:           4
        .value_kind:     hidden_block_count_z
      - .offset:         60
        .size:           2
        .value_kind:     hidden_group_size_x
      - .offset:         62
        .size:           2
        .value_kind:     hidden_group_size_y
      - .offset:         64
        .size:           2
        .value_kind:     hidden_group_size_z
      - .offset:         66
        .size:           2
        .value_kind:     hidden_remainder_x
      - .offset:         68
        .size:           2
        .value_kind:     hidden_remainder_y
      - .offset:         70
        .size:           2
        .value_kind:     hidden_remainder_z
      - .offset:         88
        .size:           8
        .value_kind:     hidden_global_offset_x
      - .offset:         96
        .size:           8
        .value_kind:     hidden_global_offset_y
      - .offset:         104
        .size:           8
        .value_kind:     hidden_global_offset_z
      - .offset:         112
        .size:           2
        .value_kind:     hidden_grid_dims
    .group_segment_fixed_size: 0
    .kernarg_segment_align: 8
    .kernarg_segment_size: 304
    .language:       OpenCL C
    .language_version:
      - 2
      - 0
    .max_flat_workgroup_size: 1024
    .name:           _ZN12_GLOBAL__N_121softmax_warp_backwardIfffLi7ELb0ELb0ELi32EEEvPT0_PKT_S5_iiiPKb
    .private_segment_fixed_size: 0
    .sgpr_count:     18
    .sgpr_spill_count: 0
    .symbol:         _ZN12_GLOBAL__N_121softmax_warp_backwardIfffLi7ELb0ELb0ELi32EEEvPT0_PKT_S5_iiiPKb.kd
    .uniform_work_group_size: 1
    .uses_dynamic_stack: false
    .vgpr_count:     25
    .vgpr_spill_count: 0
    .wavefront_size: 32
    .workgroup_processor_mode: 1
  - .args:
      - .address_space:  global
        .offset:         0
        .size:           8
        .value_kind:     global_buffer
      - .address_space:  global
        .offset:         8
        .size:           8
        .value_kind:     global_buffer
      - .address_space:  global
        .offset:         16
        .size:           8
        .value_kind:     global_buffer
      - .offset:         24
        .size:           4
        .value_kind:     by_value
      - .offset:         28
        .size:           4
        .value_kind:     by_value
      - .offset:         32
        .size:           4
        .value_kind:     by_value
      - .address_space:  global
        .offset:         40
        .size:           8
        .value_kind:     global_buffer
      - .offset:         48
        .size:           4
        .value_kind:     hidden_block_count_x
      - .offset:         52
        .size:           4
        .value_kind:     hidden_block_count_y
      - .offset:         56
        .size:           4
        .value_kind:     hidden_block_count_z
      - .offset:         60
        .size:           2
        .value_kind:     hidden_group_size_x
      - .offset:         62
        .size:           2
        .value_kind:     hidden_group_size_y
      - .offset:         64
        .size:           2
        .value_kind:     hidden_group_size_z
      - .offset:         66
        .size:           2
        .value_kind:     hidden_remainder_x
      - .offset:         68
        .size:           2
        .value_kind:     hidden_remainder_y
      - .offset:         70
        .size:           2
        .value_kind:     hidden_remainder_z
      - .offset:         88
        .size:           8
        .value_kind:     hidden_global_offset_x
      - .offset:         96
        .size:           8
        .value_kind:     hidden_global_offset_y
      - .offset:         104
        .size:           8
        .value_kind:     hidden_global_offset_z
      - .offset:         112
        .size:           2
        .value_kind:     hidden_grid_dims
    .group_segment_fixed_size: 0
    .kernarg_segment_align: 8
    .kernarg_segment_size: 304
    .language:       OpenCL C
    .language_version:
      - 2
      - 0
    .max_flat_workgroup_size: 1024
    .name:           _ZN12_GLOBAL__N_121softmax_warp_backwardIfffLi8ELb0ELb0ELi64EEEvPT0_PKT_S5_iiiPKb
    .private_segment_fixed_size: 0
    .sgpr_count:     18
    .sgpr_spill_count: 0
    .symbol:         _ZN12_GLOBAL__N_121softmax_warp_backwardIfffLi8ELb0ELb0ELi64EEEvPT0_PKT_S5_iiiPKb.kd
    .uniform_work_group_size: 1
    .uses_dynamic_stack: false
    .vgpr_count:     15
    .vgpr_spill_count: 0
    .wavefront_size: 32
    .workgroup_processor_mode: 1
  - .args:
      - .address_space:  global
        .offset:         0
        .size:           8
        .value_kind:     global_buffer
      - .address_space:  global
        .offset:         8
        .size:           8
        .value_kind:     global_buffer
      - .address_space:  global
        .offset:         16
        .size:           8
        .value_kind:     global_buffer
      - .offset:         24
        .size:           4
        .value_kind:     by_value
      - .offset:         28
        .size:           4
        .value_kind:     by_value
      - .offset:         32
        .size:           4
        .value_kind:     by_value
      - .address_space:  global
        .offset:         40
        .size:           8
        .value_kind:     global_buffer
      - .offset:         48
        .size:           4
        .value_kind:     hidden_block_count_x
      - .offset:         52
        .size:           4
        .value_kind:     hidden_block_count_y
      - .offset:         56
        .size:           4
        .value_kind:     hidden_block_count_z
      - .offset:         60
        .size:           2
        .value_kind:     hidden_group_size_x
      - .offset:         62
        .size:           2
        .value_kind:     hidden_group_size_y
      - .offset:         64
        .size:           2
        .value_kind:     hidden_group_size_z
      - .offset:         66
        .size:           2
        .value_kind:     hidden_remainder_x
      - .offset:         68
        .size:           2
        .value_kind:     hidden_remainder_y
      - .offset:         70
        .size:           2
        .value_kind:     hidden_remainder_z
      - .offset:         88
        .size:           8
        .value_kind:     hidden_global_offset_x
      - .offset:         96
        .size:           8
        .value_kind:     hidden_global_offset_y
      - .offset:         104
        .size:           8
        .value_kind:     hidden_global_offset_z
      - .offset:         112
        .size:           2
        .value_kind:     hidden_grid_dims
    .group_segment_fixed_size: 0
    .kernarg_segment_align: 8
    .kernarg_segment_size: 304
    .language:       OpenCL C
    .language_version:
      - 2
      - 0
    .max_flat_workgroup_size: 1024
    .name:           _ZN12_GLOBAL__N_121softmax_warp_backwardIfffLi8ELb0ELb0ELi32EEEvPT0_PKT_S5_iiiPKb
    .private_segment_fixed_size: 0
    .sgpr_count:     22
    .sgpr_spill_count: 0
    .symbol:         _ZN12_GLOBAL__N_121softmax_warp_backwardIfffLi8ELb0ELb0ELi32EEEvPT0_PKT_S5_iiiPKb.kd
    .uniform_work_group_size: 1
    .uses_dynamic_stack: false
    .vgpr_count:     23
    .vgpr_spill_count: 0
    .wavefront_size: 32
    .workgroup_processor_mode: 1
  - .args:
      - .address_space:  global
        .offset:         0
        .size:           8
        .value_kind:     global_buffer
      - .address_space:  global
        .offset:         8
        .size:           8
        .value_kind:     global_buffer
      - .address_space:  global
        .offset:         16
        .size:           8
        .value_kind:     global_buffer
      - .offset:         24
        .size:           4
        .value_kind:     by_value
      - .offset:         28
        .size:           4
        .value_kind:     by_value
      - .offset:         32
        .size:           4
        .value_kind:     by_value
      - .address_space:  global
        .offset:         40
        .size:           8
        .value_kind:     global_buffer
      - .offset:         48
        .size:           4
        .value_kind:     hidden_block_count_x
      - .offset:         52
        .size:           4
        .value_kind:     hidden_block_count_y
      - .offset:         56
        .size:           4
        .value_kind:     hidden_block_count_z
      - .offset:         60
        .size:           2
        .value_kind:     hidden_group_size_x
      - .offset:         62
        .size:           2
        .value_kind:     hidden_group_size_y
      - .offset:         64
        .size:           2
        .value_kind:     hidden_group_size_z
      - .offset:         66
        .size:           2
        .value_kind:     hidden_remainder_x
      - .offset:         68
        .size:           2
        .value_kind:     hidden_remainder_y
      - .offset:         70
        .size:           2
        .value_kind:     hidden_remainder_z
      - .offset:         88
        .size:           8
        .value_kind:     hidden_global_offset_x
      - .offset:         96
        .size:           8
        .value_kind:     hidden_global_offset_y
      - .offset:         104
        .size:           8
        .value_kind:     hidden_global_offset_z
      - .offset:         112
        .size:           2
        .value_kind:     hidden_grid_dims
    .group_segment_fixed_size: 0
    .kernarg_segment_align: 8
    .kernarg_segment_size: 304
    .language:       OpenCL C
    .language_version:
      - 2
      - 0
    .max_flat_workgroup_size: 1024
    .name:           _ZN12_GLOBAL__N_121softmax_warp_backwardIfffLi9ELb0ELb0ELi64EEEvPT0_PKT_S5_iiiPKb
    .private_segment_fixed_size: 0
    .sgpr_count:     18
    .sgpr_spill_count: 0
    .symbol:         _ZN12_GLOBAL__N_121softmax_warp_backwardIfffLi9ELb0ELb0ELi64EEEvPT0_PKT_S5_iiiPKb.kd
    .uniform_work_group_size: 1
    .uses_dynamic_stack: false
    .vgpr_count:     23
    .vgpr_spill_count: 0
    .wavefront_size: 32
    .workgroup_processor_mode: 1
  - .args:
      - .address_space:  global
        .offset:         0
        .size:           8
        .value_kind:     global_buffer
      - .address_space:  global
        .offset:         8
        .size:           8
        .value_kind:     global_buffer
      - .address_space:  global
        .offset:         16
        .size:           8
        .value_kind:     global_buffer
      - .offset:         24
        .size:           4
        .value_kind:     by_value
      - .offset:         28
        .size:           4
        .value_kind:     by_value
      - .offset:         32
        .size:           4
        .value_kind:     by_value
      - .address_space:  global
        .offset:         40
        .size:           8
        .value_kind:     global_buffer
      - .offset:         48
        .size:           4
        .value_kind:     hidden_block_count_x
      - .offset:         52
        .size:           4
        .value_kind:     hidden_block_count_y
      - .offset:         56
        .size:           4
        .value_kind:     hidden_block_count_z
      - .offset:         60
        .size:           2
        .value_kind:     hidden_group_size_x
      - .offset:         62
        .size:           2
        .value_kind:     hidden_group_size_y
      - .offset:         64
        .size:           2
        .value_kind:     hidden_group_size_z
      - .offset:         66
        .size:           2
        .value_kind:     hidden_remainder_x
      - .offset:         68
        .size:           2
        .value_kind:     hidden_remainder_y
      - .offset:         70
        .size:           2
        .value_kind:     hidden_remainder_z
      - .offset:         88
        .size:           8
        .value_kind:     hidden_global_offset_x
      - .offset:         96
        .size:           8
        .value_kind:     hidden_global_offset_y
      - .offset:         104
        .size:           8
        .value_kind:     hidden_global_offset_z
      - .offset:         112
        .size:           2
        .value_kind:     hidden_grid_dims
    .group_segment_fixed_size: 0
    .kernarg_segment_align: 8
    .kernarg_segment_size: 304
    .language:       OpenCL C
    .language_version:
      - 2
      - 0
    .max_flat_workgroup_size: 1024
    .name:           _ZN12_GLOBAL__N_121softmax_warp_backwardIfffLi9ELb0ELb0ELi32EEEvPT0_PKT_S5_iiiPKb
    .private_segment_fixed_size: 0
    .sgpr_count:     26
    .sgpr_spill_count: 0
    .symbol:         _ZN12_GLOBAL__N_121softmax_warp_backwardIfffLi9ELb0ELb0ELi32EEEvPT0_PKT_S5_iiiPKb.kd
    .uniform_work_group_size: 1
    .uses_dynamic_stack: false
    .vgpr_count:     39
    .vgpr_spill_count: 0
    .wavefront_size: 32
    .workgroup_processor_mode: 1
  - .args:
      - .address_space:  global
        .offset:         0
        .size:           8
        .value_kind:     global_buffer
      - .address_space:  global
        .offset:         8
        .size:           8
        .value_kind:     global_buffer
      - .address_space:  global
        .offset:         16
        .size:           8
        .value_kind:     global_buffer
      - .offset:         24
        .size:           4
        .value_kind:     by_value
      - .offset:         28
        .size:           4
        .value_kind:     by_value
      - .offset:         32
        .size:           4
        .value_kind:     by_value
      - .address_space:  global
        .offset:         40
        .size:           8
        .value_kind:     global_buffer
      - .offset:         48
        .size:           4
        .value_kind:     hidden_block_count_x
      - .offset:         52
        .size:           4
        .value_kind:     hidden_block_count_y
      - .offset:         56
        .size:           4
        .value_kind:     hidden_block_count_z
      - .offset:         60
        .size:           2
        .value_kind:     hidden_group_size_x
      - .offset:         62
        .size:           2
        .value_kind:     hidden_group_size_y
      - .offset:         64
        .size:           2
        .value_kind:     hidden_group_size_z
      - .offset:         66
        .size:           2
        .value_kind:     hidden_remainder_x
      - .offset:         68
        .size:           2
        .value_kind:     hidden_remainder_y
      - .offset:         70
        .size:           2
        .value_kind:     hidden_remainder_z
      - .offset:         88
        .size:           8
        .value_kind:     hidden_global_offset_x
      - .offset:         96
        .size:           8
        .value_kind:     hidden_global_offset_y
      - .offset:         104
        .size:           8
        .value_kind:     hidden_global_offset_z
      - .offset:         112
        .size:           2
        .value_kind:     hidden_grid_dims
    .group_segment_fixed_size: 0
    .kernarg_segment_align: 8
    .kernarg_segment_size: 304
    .language:       OpenCL C
    .language_version:
      - 2
      - 0
    .max_flat_workgroup_size: 1024
    .name:           _ZN12_GLOBAL__N_121softmax_warp_backwardIfffLi10ELb0ELb0ELi64EEEvPT0_PKT_S5_iiiPKb
    .private_segment_fixed_size: 0
    .sgpr_count:     26
    .sgpr_spill_count: 0
    .symbol:         _ZN12_GLOBAL__N_121softmax_warp_backwardIfffLi10ELb0ELb0ELi64EEEvPT0_PKT_S5_iiiPKb.kd
    .uniform_work_group_size: 1
    .uses_dynamic_stack: false
    .vgpr_count:     39
    .vgpr_spill_count: 0
    .wavefront_size: 32
    .workgroup_processor_mode: 1
  - .args:
      - .address_space:  global
        .offset:         0
        .size:           8
        .value_kind:     global_buffer
      - .address_space:  global
        .offset:         8
        .size:           8
        .value_kind:     global_buffer
      - .address_space:  global
        .offset:         16
        .size:           8
        .value_kind:     global_buffer
      - .offset:         24
        .size:           4
        .value_kind:     by_value
      - .offset:         28
        .size:           4
        .value_kind:     by_value
      - .offset:         32
        .size:           4
        .value_kind:     by_value
      - .address_space:  global
        .offset:         40
        .size:           8
        .value_kind:     global_buffer
      - .offset:         48
        .size:           4
        .value_kind:     hidden_block_count_x
      - .offset:         52
        .size:           4
        .value_kind:     hidden_block_count_y
      - .offset:         56
        .size:           4
        .value_kind:     hidden_block_count_z
      - .offset:         60
        .size:           2
        .value_kind:     hidden_group_size_x
      - .offset:         62
        .size:           2
        .value_kind:     hidden_group_size_y
      - .offset:         64
        .size:           2
        .value_kind:     hidden_group_size_z
      - .offset:         66
        .size:           2
        .value_kind:     hidden_remainder_x
      - .offset:         68
        .size:           2
        .value_kind:     hidden_remainder_y
      - .offset:         70
        .size:           2
        .value_kind:     hidden_remainder_z
      - .offset:         88
        .size:           8
        .value_kind:     hidden_global_offset_x
      - .offset:         96
        .size:           8
        .value_kind:     hidden_global_offset_y
      - .offset:         104
        .size:           8
        .value_kind:     hidden_global_offset_z
      - .offset:         112
        .size:           2
        .value_kind:     hidden_grid_dims
    .group_segment_fixed_size: 0
    .kernarg_segment_align: 8
    .kernarg_segment_size: 304
    .language:       OpenCL C
    .language_version:
      - 2
      - 0
    .max_flat_workgroup_size: 1024
    .name:           _ZN12_GLOBAL__N_121softmax_warp_backwardIfffLi10ELb0ELb0ELi32EEEvPT0_PKT_S5_iiiPKb
    .private_segment_fixed_size: 0
    .sgpr_count:     46
    .sgpr_spill_count: 0
    .symbol:         _ZN12_GLOBAL__N_121softmax_warp_backwardIfffLi10ELb0ELb0ELi32EEEvPT0_PKT_S5_iiiPKb.kd
    .uniform_work_group_size: 1
    .uses_dynamic_stack: false
    .vgpr_count:     71
    .vgpr_spill_count: 0
    .wavefront_size: 32
    .workgroup_processor_mode: 1
  - .args:
      - .address_space:  global
        .offset:         0
        .size:           8
        .value_kind:     global_buffer
      - .address_space:  global
        .offset:         8
        .size:           8
        .value_kind:     global_buffer
      - .address_space:  global
        .offset:         16
        .size:           8
        .value_kind:     global_buffer
      - .offset:         24
        .size:           8
        .value_kind:     by_value
      - .offset:         32
        .size:           4
        .value_kind:     hidden_block_count_x
      - .offset:         36
        .size:           4
        .value_kind:     hidden_block_count_y
      - .offset:         40
        .size:           4
        .value_kind:     hidden_block_count_z
      - .offset:         44
        .size:           2
        .value_kind:     hidden_group_size_x
      - .offset:         46
        .size:           2
        .value_kind:     hidden_group_size_y
      - .offset:         48
        .size:           2
        .value_kind:     hidden_group_size_z
      - .offset:         50
        .size:           2
        .value_kind:     hidden_remainder_x
      - .offset:         52
        .size:           2
        .value_kind:     hidden_remainder_y
      - .offset:         54
        .size:           2
        .value_kind:     hidden_remainder_z
      - .offset:         72
        .size:           8
        .value_kind:     hidden_global_offset_x
      - .offset:         80
        .size:           8
        .value_kind:     hidden_global_offset_y
      - .offset:         88
        .size:           8
        .value_kind:     hidden_global_offset_z
      - .offset:         96
        .size:           2
        .value_kind:     hidden_grid_dims
      - .offset:         152
        .size:           4
        .value_kind:     hidden_dynamic_lds_size
    .group_segment_fixed_size: 0
    .kernarg_segment_align: 8
    .kernarg_segment_size: 288
    .language:       OpenCL C
    .language_version:
      - 2
      - 0
    .max_flat_workgroup_size: 1024
    .name:           _ZN2at6native12_GLOBAL__N_124cunn_SoftMaxBackwardSmemILi4EfffNS1_23SoftMaxBackwardEpilogueEEEvPT0_PKT2_S8_l
    .private_segment_fixed_size: 0
    .sgpr_count:     20
    .sgpr_spill_count: 0
    .symbol:         _ZN2at6native12_GLOBAL__N_124cunn_SoftMaxBackwardSmemILi4EfffNS1_23SoftMaxBackwardEpilogueEEEvPT0_PKT2_S8_l.kd
    .uniform_work_group_size: 1
    .uses_dynamic_stack: false
    .vgpr_count:     16
    .vgpr_spill_count: 0
    .wavefront_size: 32
    .workgroup_processor_mode: 1
  - .args:
      - .address_space:  global
        .offset:         0
        .size:           8
        .value_kind:     global_buffer
      - .address_space:  global
        .offset:         8
        .size:           8
        .value_kind:     global_buffer
      - .address_space:  global
        .offset:         16
        .size:           8
        .value_kind:     global_buffer
      - .offset:         24
        .size:           8
        .value_kind:     by_value
      - .offset:         32
        .size:           4
        .value_kind:     hidden_block_count_x
      - .offset:         36
        .size:           4
        .value_kind:     hidden_block_count_y
      - .offset:         40
        .size:           4
        .value_kind:     hidden_block_count_z
      - .offset:         44
        .size:           2
        .value_kind:     hidden_group_size_x
      - .offset:         46
        .size:           2
        .value_kind:     hidden_group_size_y
      - .offset:         48
        .size:           2
        .value_kind:     hidden_group_size_z
      - .offset:         50
        .size:           2
        .value_kind:     hidden_remainder_x
      - .offset:         52
        .size:           2
        .value_kind:     hidden_remainder_y
      - .offset:         54
        .size:           2
        .value_kind:     hidden_remainder_z
      - .offset:         72
        .size:           8
        .value_kind:     hidden_global_offset_x
      - .offset:         80
        .size:           8
        .value_kind:     hidden_global_offset_y
      - .offset:         88
        .size:           8
        .value_kind:     hidden_global_offset_z
      - .offset:         96
        .size:           2
        .value_kind:     hidden_grid_dims
      - .offset:         152
        .size:           4
        .value_kind:     hidden_dynamic_lds_size
    .group_segment_fixed_size: 0
    .kernarg_segment_align: 8
    .kernarg_segment_size: 288
    .language:       OpenCL C
    .language_version:
      - 2
      - 0
    .max_flat_workgroup_size: 1024
    .name:           _ZN2at6native12_GLOBAL__N_120cunn_SoftMaxBackwardILi4EfffNS1_23SoftMaxBackwardEpilogueEEEvPT0_PKT2_S8_l
    .private_segment_fixed_size: 0
    .sgpr_count:     58
    .sgpr_spill_count: 0
    .symbol:         _ZN2at6native12_GLOBAL__N_120cunn_SoftMaxBackwardILi4EfffNS1_23SoftMaxBackwardEpilogueEEEvPT0_PKT2_S8_l.kd
    .uniform_work_group_size: 1
    .uses_dynamic_stack: false
    .vgpr_count:     27
    .vgpr_spill_count: 0
    .wavefront_size: 32
    .workgroup_processor_mode: 1
  - .args:
      - .address_space:  global
        .offset:         0
        .size:           8
        .value_kind:     global_buffer
      - .address_space:  global
        .offset:         8
        .size:           8
        .value_kind:     global_buffer
      - .address_space:  global
        .offset:         16
        .size:           8
        .value_kind:     global_buffer
      - .offset:         24
        .size:           4
        .value_kind:     by_value
      - .offset:         28
        .size:           4
        .value_kind:     by_value
      - .offset:         32
        .size:           4
        .value_kind:     by_value
      - .address_space:  global
        .offset:         40
        .size:           8
        .value_kind:     global_buffer
      - .offset:         48
        .size:           4
        .value_kind:     hidden_block_count_x
      - .offset:         52
        .size:           4
        .value_kind:     hidden_block_count_y
      - .offset:         56
        .size:           4
        .value_kind:     hidden_block_count_z
      - .offset:         60
        .size:           2
        .value_kind:     hidden_group_size_x
      - .offset:         62
        .size:           2
        .value_kind:     hidden_group_size_y
      - .offset:         64
        .size:           2
        .value_kind:     hidden_group_size_z
      - .offset:         66
        .size:           2
        .value_kind:     hidden_remainder_x
      - .offset:         68
        .size:           2
        .value_kind:     hidden_remainder_y
      - .offset:         70
        .size:           2
        .value_kind:     hidden_remainder_z
      - .offset:         88
        .size:           8
        .value_kind:     hidden_global_offset_x
      - .offset:         96
        .size:           8
        .value_kind:     hidden_global_offset_y
      - .offset:         104
        .size:           8
        .value_kind:     hidden_global_offset_z
      - .offset:         112
        .size:           2
        .value_kind:     hidden_grid_dims
    .group_segment_fixed_size: 0
    .kernarg_segment_align: 8
    .kernarg_segment_size: 304
    .language:       OpenCL C
    .language_version:
      - 2
      - 0
    .max_flat_workgroup_size: 1024
    .name:           _ZN12_GLOBAL__N_121softmax_warp_backwardIN3c104HalfES2_fLi0ELb0ELb0ELi64EEEvPT0_PKT_S7_iiiPKb
    .private_segment_fixed_size: 0
    .sgpr_count:     18
    .sgpr_spill_count: 0
    .symbol:         _ZN12_GLOBAL__N_121softmax_warp_backwardIN3c104HalfES2_fLi0ELb0ELb0ELi64EEEvPT0_PKT_S7_iiiPKb.kd
    .uniform_work_group_size: 1
    .uses_dynamic_stack: false
    .vgpr_count:     11
    .vgpr_spill_count: 0
    .wavefront_size: 32
    .workgroup_processor_mode: 1
  - .args:
      - .address_space:  global
        .offset:         0
        .size:           8
        .value_kind:     global_buffer
      - .address_space:  global
        .offset:         8
        .size:           8
        .value_kind:     global_buffer
      - .address_space:  global
        .offset:         16
        .size:           8
        .value_kind:     global_buffer
      - .offset:         24
        .size:           4
        .value_kind:     by_value
      - .offset:         28
        .size:           4
        .value_kind:     by_value
      - .offset:         32
        .size:           4
        .value_kind:     by_value
      - .address_space:  global
        .offset:         40
        .size:           8
        .value_kind:     global_buffer
      - .offset:         48
        .size:           4
        .value_kind:     hidden_block_count_x
      - .offset:         52
        .size:           4
        .value_kind:     hidden_block_count_y
      - .offset:         56
        .size:           4
        .value_kind:     hidden_block_count_z
      - .offset:         60
        .size:           2
        .value_kind:     hidden_group_size_x
      - .offset:         62
        .size:           2
        .value_kind:     hidden_group_size_y
      - .offset:         64
        .size:           2
        .value_kind:     hidden_group_size_z
      - .offset:         66
        .size:           2
        .value_kind:     hidden_remainder_x
      - .offset:         68
        .size:           2
        .value_kind:     hidden_remainder_y
      - .offset:         70
        .size:           2
        .value_kind:     hidden_remainder_z
      - .offset:         88
        .size:           8
        .value_kind:     hidden_global_offset_x
      - .offset:         96
        .size:           8
        .value_kind:     hidden_global_offset_y
      - .offset:         104
        .size:           8
        .value_kind:     hidden_global_offset_z
      - .offset:         112
        .size:           2
        .value_kind:     hidden_grid_dims
    .group_segment_fixed_size: 0
    .kernarg_segment_align: 8
    .kernarg_segment_size: 304
    .language:       OpenCL C
    .language_version:
      - 2
      - 0
    .max_flat_workgroup_size: 1024
    .name:           _ZN12_GLOBAL__N_121softmax_warp_backwardIN3c104HalfES2_fLi0ELb0ELb0ELi32EEEvPT0_PKT_S7_iiiPKb
    .private_segment_fixed_size: 0
    .sgpr_count:     18
    .sgpr_spill_count: 0
    .symbol:         _ZN12_GLOBAL__N_121softmax_warp_backwardIN3c104HalfES2_fLi0ELb0ELb0ELi32EEEvPT0_PKT_S7_iiiPKb.kd
    .uniform_work_group_size: 1
    .uses_dynamic_stack: false
    .vgpr_count:     11
    .vgpr_spill_count: 0
    .wavefront_size: 32
    .workgroup_processor_mode: 1
  - .args:
      - .address_space:  global
        .offset:         0
        .size:           8
        .value_kind:     global_buffer
      - .address_space:  global
        .offset:         8
        .size:           8
        .value_kind:     global_buffer
      - .address_space:  global
        .offset:         16
        .size:           8
        .value_kind:     global_buffer
      - .offset:         24
        .size:           4
        .value_kind:     by_value
      - .offset:         28
        .size:           4
        .value_kind:     by_value
      - .offset:         32
        .size:           4
        .value_kind:     by_value
      - .address_space:  global
        .offset:         40
        .size:           8
        .value_kind:     global_buffer
      - .offset:         48
        .size:           4
        .value_kind:     hidden_block_count_x
      - .offset:         52
        .size:           4
        .value_kind:     hidden_block_count_y
      - .offset:         56
        .size:           4
        .value_kind:     hidden_block_count_z
      - .offset:         60
        .size:           2
        .value_kind:     hidden_group_size_x
      - .offset:         62
        .size:           2
        .value_kind:     hidden_group_size_y
      - .offset:         64
        .size:           2
        .value_kind:     hidden_group_size_z
      - .offset:         66
        .size:           2
        .value_kind:     hidden_remainder_x
      - .offset:         68
        .size:           2
        .value_kind:     hidden_remainder_y
      - .offset:         70
        .size:           2
        .value_kind:     hidden_remainder_z
      - .offset:         88
        .size:           8
        .value_kind:     hidden_global_offset_x
      - .offset:         96
        .size:           8
        .value_kind:     hidden_global_offset_y
      - .offset:         104
        .size:           8
        .value_kind:     hidden_global_offset_z
      - .offset:         112
        .size:           2
        .value_kind:     hidden_grid_dims
    .group_segment_fixed_size: 0
    .kernarg_segment_align: 8
    .kernarg_segment_size: 304
    .language:       OpenCL C
    .language_version:
      - 2
      - 0
    .max_flat_workgroup_size: 1024
    .name:           _ZN12_GLOBAL__N_121softmax_warp_backwardIN3c104HalfES2_fLi1ELb0ELb0ELi64EEEvPT0_PKT_S7_iiiPKb
    .private_segment_fixed_size: 0
    .sgpr_count:     18
    .sgpr_spill_count: 0
    .symbol:         _ZN12_GLOBAL__N_121softmax_warp_backwardIN3c104HalfES2_fLi1ELb0ELb0ELi64EEEvPT0_PKT_S7_iiiPKb.kd
    .uniform_work_group_size: 1
    .uses_dynamic_stack: false
    .vgpr_count:     11
    .vgpr_spill_count: 0
    .wavefront_size: 32
    .workgroup_processor_mode: 1
  - .args:
      - .address_space:  global
        .offset:         0
        .size:           8
        .value_kind:     global_buffer
      - .address_space:  global
        .offset:         8
        .size:           8
        .value_kind:     global_buffer
      - .address_space:  global
        .offset:         16
        .size:           8
        .value_kind:     global_buffer
      - .offset:         24
        .size:           4
        .value_kind:     by_value
      - .offset:         28
        .size:           4
        .value_kind:     by_value
      - .offset:         32
        .size:           4
        .value_kind:     by_value
      - .address_space:  global
        .offset:         40
        .size:           8
        .value_kind:     global_buffer
      - .offset:         48
        .size:           4
        .value_kind:     hidden_block_count_x
      - .offset:         52
        .size:           4
        .value_kind:     hidden_block_count_y
      - .offset:         56
        .size:           4
        .value_kind:     hidden_block_count_z
      - .offset:         60
        .size:           2
        .value_kind:     hidden_group_size_x
      - .offset:         62
        .size:           2
        .value_kind:     hidden_group_size_y
      - .offset:         64
        .size:           2
        .value_kind:     hidden_group_size_z
      - .offset:         66
        .size:           2
        .value_kind:     hidden_remainder_x
      - .offset:         68
        .size:           2
        .value_kind:     hidden_remainder_y
      - .offset:         70
        .size:           2
        .value_kind:     hidden_remainder_z
      - .offset:         88
        .size:           8
        .value_kind:     hidden_global_offset_x
      - .offset:         96
        .size:           8
        .value_kind:     hidden_global_offset_y
      - .offset:         104
        .size:           8
        .value_kind:     hidden_global_offset_z
      - .offset:         112
        .size:           2
        .value_kind:     hidden_grid_dims
    .group_segment_fixed_size: 0
    .kernarg_segment_align: 8
    .kernarg_segment_size: 304
    .language:       OpenCL C
    .language_version:
      - 2
      - 0
    .max_flat_workgroup_size: 1024
    .name:           _ZN12_GLOBAL__N_121softmax_warp_backwardIN3c104HalfES2_fLi1ELb0ELb0ELi32EEEvPT0_PKT_S7_iiiPKb
    .private_segment_fixed_size: 0
    .sgpr_count:     18
    .sgpr_spill_count: 0
    .symbol:         _ZN12_GLOBAL__N_121softmax_warp_backwardIN3c104HalfES2_fLi1ELb0ELb0ELi32EEEvPT0_PKT_S7_iiiPKb.kd
    .uniform_work_group_size: 1
    .uses_dynamic_stack: false
    .vgpr_count:     11
    .vgpr_spill_count: 0
    .wavefront_size: 32
    .workgroup_processor_mode: 1
  - .args:
      - .address_space:  global
        .offset:         0
        .size:           8
        .value_kind:     global_buffer
      - .address_space:  global
        .offset:         8
        .size:           8
        .value_kind:     global_buffer
      - .address_space:  global
        .offset:         16
        .size:           8
        .value_kind:     global_buffer
      - .offset:         24
        .size:           4
        .value_kind:     by_value
      - .offset:         28
        .size:           4
        .value_kind:     by_value
      - .offset:         32
        .size:           4
        .value_kind:     by_value
      - .address_space:  global
        .offset:         40
        .size:           8
        .value_kind:     global_buffer
      - .offset:         48
        .size:           4
        .value_kind:     hidden_block_count_x
      - .offset:         52
        .size:           4
        .value_kind:     hidden_block_count_y
      - .offset:         56
        .size:           4
        .value_kind:     hidden_block_count_z
      - .offset:         60
        .size:           2
        .value_kind:     hidden_group_size_x
      - .offset:         62
        .size:           2
        .value_kind:     hidden_group_size_y
      - .offset:         64
        .size:           2
        .value_kind:     hidden_group_size_z
      - .offset:         66
        .size:           2
        .value_kind:     hidden_remainder_x
      - .offset:         68
        .size:           2
        .value_kind:     hidden_remainder_y
      - .offset:         70
        .size:           2
        .value_kind:     hidden_remainder_z
      - .offset:         88
        .size:           8
        .value_kind:     hidden_global_offset_x
      - .offset:         96
        .size:           8
        .value_kind:     hidden_global_offset_y
      - .offset:         104
        .size:           8
        .value_kind:     hidden_global_offset_z
      - .offset:         112
        .size:           2
        .value_kind:     hidden_grid_dims
    .group_segment_fixed_size: 0
    .kernarg_segment_align: 8
    .kernarg_segment_size: 304
    .language:       OpenCL C
    .language_version:
      - 2
      - 0
    .max_flat_workgroup_size: 1024
    .name:           _ZN12_GLOBAL__N_121softmax_warp_backwardIN3c104HalfES2_fLi2ELb0ELb0ELi64EEEvPT0_PKT_S7_iiiPKb
    .private_segment_fixed_size: 0
    .sgpr_count:     18
    .sgpr_spill_count: 0
    .symbol:         _ZN12_GLOBAL__N_121softmax_warp_backwardIN3c104HalfES2_fLi2ELb0ELb0ELi64EEEvPT0_PKT_S7_iiiPKb.kd
    .uniform_work_group_size: 1
    .uses_dynamic_stack: false
    .vgpr_count:     14
    .vgpr_spill_count: 0
    .wavefront_size: 32
    .workgroup_processor_mode: 1
  - .args:
      - .address_space:  global
        .offset:         0
        .size:           8
        .value_kind:     global_buffer
      - .address_space:  global
        .offset:         8
        .size:           8
        .value_kind:     global_buffer
      - .address_space:  global
        .offset:         16
        .size:           8
        .value_kind:     global_buffer
      - .offset:         24
        .size:           4
        .value_kind:     by_value
      - .offset:         28
        .size:           4
        .value_kind:     by_value
      - .offset:         32
        .size:           4
        .value_kind:     by_value
      - .address_space:  global
        .offset:         40
        .size:           8
        .value_kind:     global_buffer
      - .offset:         48
        .size:           4
        .value_kind:     hidden_block_count_x
      - .offset:         52
        .size:           4
        .value_kind:     hidden_block_count_y
      - .offset:         56
        .size:           4
        .value_kind:     hidden_block_count_z
      - .offset:         60
        .size:           2
        .value_kind:     hidden_group_size_x
      - .offset:         62
        .size:           2
        .value_kind:     hidden_group_size_y
      - .offset:         64
        .size:           2
        .value_kind:     hidden_group_size_z
      - .offset:         66
        .size:           2
        .value_kind:     hidden_remainder_x
      - .offset:         68
        .size:           2
        .value_kind:     hidden_remainder_y
      - .offset:         70
        .size:           2
        .value_kind:     hidden_remainder_z
      - .offset:         88
        .size:           8
        .value_kind:     hidden_global_offset_x
      - .offset:         96
        .size:           8
        .value_kind:     hidden_global_offset_y
      - .offset:         104
        .size:           8
        .value_kind:     hidden_global_offset_z
      - .offset:         112
        .size:           2
        .value_kind:     hidden_grid_dims
    .group_segment_fixed_size: 0
    .kernarg_segment_align: 8
    .kernarg_segment_size: 304
    .language:       OpenCL C
    .language_version:
      - 2
      - 0
    .max_flat_workgroup_size: 1024
    .name:           _ZN12_GLOBAL__N_121softmax_warp_backwardIN3c104HalfES2_fLi2ELb0ELb0ELi32EEEvPT0_PKT_S7_iiiPKb
    .private_segment_fixed_size: 0
    .sgpr_count:     18
    .sgpr_spill_count: 0
    .symbol:         _ZN12_GLOBAL__N_121softmax_warp_backwardIN3c104HalfES2_fLi2ELb0ELb0ELi32EEEvPT0_PKT_S7_iiiPKb.kd
    .uniform_work_group_size: 1
    .uses_dynamic_stack: false
    .vgpr_count:     14
    .vgpr_spill_count: 0
    .wavefront_size: 32
    .workgroup_processor_mode: 1
  - .args:
      - .address_space:  global
        .offset:         0
        .size:           8
        .value_kind:     global_buffer
      - .address_space:  global
        .offset:         8
        .size:           8
        .value_kind:     global_buffer
      - .address_space:  global
        .offset:         16
        .size:           8
        .value_kind:     global_buffer
      - .offset:         24
        .size:           4
        .value_kind:     by_value
      - .offset:         28
        .size:           4
        .value_kind:     by_value
      - .offset:         32
        .size:           4
        .value_kind:     by_value
      - .address_space:  global
        .offset:         40
        .size:           8
        .value_kind:     global_buffer
      - .offset:         48
        .size:           4
        .value_kind:     hidden_block_count_x
      - .offset:         52
        .size:           4
        .value_kind:     hidden_block_count_y
      - .offset:         56
        .size:           4
        .value_kind:     hidden_block_count_z
      - .offset:         60
        .size:           2
        .value_kind:     hidden_group_size_x
      - .offset:         62
        .size:           2
        .value_kind:     hidden_group_size_y
      - .offset:         64
        .size:           2
        .value_kind:     hidden_group_size_z
      - .offset:         66
        .size:           2
        .value_kind:     hidden_remainder_x
      - .offset:         68
        .size:           2
        .value_kind:     hidden_remainder_y
      - .offset:         70
        .size:           2
        .value_kind:     hidden_remainder_z
      - .offset:         88
        .size:           8
        .value_kind:     hidden_global_offset_x
      - .offset:         96
        .size:           8
        .value_kind:     hidden_global_offset_y
      - .offset:         104
        .size:           8
        .value_kind:     hidden_global_offset_z
      - .offset:         112
        .size:           2
        .value_kind:     hidden_grid_dims
    .group_segment_fixed_size: 0
    .kernarg_segment_align: 8
    .kernarg_segment_size: 304
    .language:       OpenCL C
    .language_version:
      - 2
      - 0
    .max_flat_workgroup_size: 1024
    .name:           _ZN12_GLOBAL__N_121softmax_warp_backwardIN3c104HalfES2_fLi3ELb0ELb0ELi64EEEvPT0_PKT_S7_iiiPKb
    .private_segment_fixed_size: 0
    .sgpr_count:     18
    .sgpr_spill_count: 0
    .symbol:         _ZN12_GLOBAL__N_121softmax_warp_backwardIN3c104HalfES2_fLi3ELb0ELb0ELi64EEEvPT0_PKT_S7_iiiPKb.kd
    .uniform_work_group_size: 1
    .uses_dynamic_stack: false
    .vgpr_count:     14
    .vgpr_spill_count: 0
    .wavefront_size: 32
    .workgroup_processor_mode: 1
  - .args:
      - .address_space:  global
        .offset:         0
        .size:           8
        .value_kind:     global_buffer
      - .address_space:  global
        .offset:         8
        .size:           8
        .value_kind:     global_buffer
      - .address_space:  global
        .offset:         16
        .size:           8
        .value_kind:     global_buffer
      - .offset:         24
        .size:           4
        .value_kind:     by_value
      - .offset:         28
        .size:           4
        .value_kind:     by_value
      - .offset:         32
        .size:           4
        .value_kind:     by_value
      - .address_space:  global
        .offset:         40
        .size:           8
        .value_kind:     global_buffer
      - .offset:         48
        .size:           4
        .value_kind:     hidden_block_count_x
      - .offset:         52
        .size:           4
        .value_kind:     hidden_block_count_y
      - .offset:         56
        .size:           4
        .value_kind:     hidden_block_count_z
      - .offset:         60
        .size:           2
        .value_kind:     hidden_group_size_x
      - .offset:         62
        .size:           2
        .value_kind:     hidden_group_size_y
      - .offset:         64
        .size:           2
        .value_kind:     hidden_group_size_z
      - .offset:         66
        .size:           2
        .value_kind:     hidden_remainder_x
      - .offset:         68
        .size:           2
        .value_kind:     hidden_remainder_y
      - .offset:         70
        .size:           2
        .value_kind:     hidden_remainder_z
      - .offset:         88
        .size:           8
        .value_kind:     hidden_global_offset_x
      - .offset:         96
        .size:           8
        .value_kind:     hidden_global_offset_y
      - .offset:         104
        .size:           8
        .value_kind:     hidden_global_offset_z
      - .offset:         112
        .size:           2
        .value_kind:     hidden_grid_dims
    .group_segment_fixed_size: 0
    .kernarg_segment_align: 8
    .kernarg_segment_size: 304
    .language:       OpenCL C
    .language_version:
      - 2
      - 0
    .max_flat_workgroup_size: 1024
    .name:           _ZN12_GLOBAL__N_121softmax_warp_backwardIN3c104HalfES2_fLi3ELb0ELb0ELi32EEEvPT0_PKT_S7_iiiPKb
    .private_segment_fixed_size: 0
    .sgpr_count:     18
    .sgpr_spill_count: 0
    .symbol:         _ZN12_GLOBAL__N_121softmax_warp_backwardIN3c104HalfES2_fLi3ELb0ELb0ELi32EEEvPT0_PKT_S7_iiiPKb.kd
    .uniform_work_group_size: 1
    .uses_dynamic_stack: false
    .vgpr_count:     14
    .vgpr_spill_count: 0
    .wavefront_size: 32
    .workgroup_processor_mode: 1
  - .args:
      - .address_space:  global
        .offset:         0
        .size:           8
        .value_kind:     global_buffer
      - .address_space:  global
        .offset:         8
        .size:           8
        .value_kind:     global_buffer
      - .address_space:  global
        .offset:         16
        .size:           8
        .value_kind:     global_buffer
      - .offset:         24
        .size:           4
        .value_kind:     by_value
      - .offset:         28
        .size:           4
        .value_kind:     by_value
      - .offset:         32
        .size:           4
        .value_kind:     by_value
      - .address_space:  global
        .offset:         40
        .size:           8
        .value_kind:     global_buffer
      - .offset:         48
        .size:           4
        .value_kind:     hidden_block_count_x
      - .offset:         52
        .size:           4
        .value_kind:     hidden_block_count_y
      - .offset:         56
        .size:           4
        .value_kind:     hidden_block_count_z
      - .offset:         60
        .size:           2
        .value_kind:     hidden_group_size_x
      - .offset:         62
        .size:           2
        .value_kind:     hidden_group_size_y
      - .offset:         64
        .size:           2
        .value_kind:     hidden_group_size_z
      - .offset:         66
        .size:           2
        .value_kind:     hidden_remainder_x
      - .offset:         68
        .size:           2
        .value_kind:     hidden_remainder_y
      - .offset:         70
        .size:           2
        .value_kind:     hidden_remainder_z
      - .offset:         88
        .size:           8
        .value_kind:     hidden_global_offset_x
      - .offset:         96
        .size:           8
        .value_kind:     hidden_global_offset_y
      - .offset:         104
        .size:           8
        .value_kind:     hidden_global_offset_z
      - .offset:         112
        .size:           2
        .value_kind:     hidden_grid_dims
    .group_segment_fixed_size: 0
    .kernarg_segment_align: 8
    .kernarg_segment_size: 304
    .language:       OpenCL C
    .language_version:
      - 2
      - 0
    .max_flat_workgroup_size: 1024
    .name:           _ZN12_GLOBAL__N_121softmax_warp_backwardIN3c104HalfES2_fLi4ELb0ELb0ELi64EEEvPT0_PKT_S7_iiiPKb
    .private_segment_fixed_size: 0
    .sgpr_count:     18
    .sgpr_spill_count: 0
    .symbol:         _ZN12_GLOBAL__N_121softmax_warp_backwardIN3c104HalfES2_fLi4ELb0ELb0ELi64EEEvPT0_PKT_S7_iiiPKb.kd
    .uniform_work_group_size: 1
    .uses_dynamic_stack: false
    .vgpr_count:     14
    .vgpr_spill_count: 0
    .wavefront_size: 32
    .workgroup_processor_mode: 1
  - .args:
      - .address_space:  global
        .offset:         0
        .size:           8
        .value_kind:     global_buffer
      - .address_space:  global
        .offset:         8
        .size:           8
        .value_kind:     global_buffer
      - .address_space:  global
        .offset:         16
        .size:           8
        .value_kind:     global_buffer
      - .offset:         24
        .size:           4
        .value_kind:     by_value
      - .offset:         28
        .size:           4
        .value_kind:     by_value
      - .offset:         32
        .size:           4
        .value_kind:     by_value
      - .address_space:  global
        .offset:         40
        .size:           8
        .value_kind:     global_buffer
      - .offset:         48
        .size:           4
        .value_kind:     hidden_block_count_x
      - .offset:         52
        .size:           4
        .value_kind:     hidden_block_count_y
      - .offset:         56
        .size:           4
        .value_kind:     hidden_block_count_z
      - .offset:         60
        .size:           2
        .value_kind:     hidden_group_size_x
      - .offset:         62
        .size:           2
        .value_kind:     hidden_group_size_y
      - .offset:         64
        .size:           2
        .value_kind:     hidden_group_size_z
      - .offset:         66
        .size:           2
        .value_kind:     hidden_remainder_x
      - .offset:         68
        .size:           2
        .value_kind:     hidden_remainder_y
      - .offset:         70
        .size:           2
        .value_kind:     hidden_remainder_z
      - .offset:         88
        .size:           8
        .value_kind:     hidden_global_offset_x
      - .offset:         96
        .size:           8
        .value_kind:     hidden_global_offset_y
      - .offset:         104
        .size:           8
        .value_kind:     hidden_global_offset_z
      - .offset:         112
        .size:           2
        .value_kind:     hidden_grid_dims
    .group_segment_fixed_size: 0
    .kernarg_segment_align: 8
    .kernarg_segment_size: 304
    .language:       OpenCL C
    .language_version:
      - 2
      - 0
    .max_flat_workgroup_size: 1024
    .name:           _ZN12_GLOBAL__N_121softmax_warp_backwardIN3c104HalfES2_fLi4ELb0ELb0ELi32EEEvPT0_PKT_S7_iiiPKb
    .private_segment_fixed_size: 0
    .sgpr_count:     18
    .sgpr_spill_count: 0
    .symbol:         _ZN12_GLOBAL__N_121softmax_warp_backwardIN3c104HalfES2_fLi4ELb0ELb0ELi32EEEvPT0_PKT_S7_iiiPKb.kd
    .uniform_work_group_size: 1
    .uses_dynamic_stack: false
    .vgpr_count:     14
    .vgpr_spill_count: 0
    .wavefront_size: 32
    .workgroup_processor_mode: 1
  - .args:
      - .address_space:  global
        .offset:         0
        .size:           8
        .value_kind:     global_buffer
      - .address_space:  global
        .offset:         8
        .size:           8
        .value_kind:     global_buffer
      - .address_space:  global
        .offset:         16
        .size:           8
        .value_kind:     global_buffer
      - .offset:         24
        .size:           4
        .value_kind:     by_value
      - .offset:         28
        .size:           4
        .value_kind:     by_value
      - .offset:         32
        .size:           4
        .value_kind:     by_value
      - .address_space:  global
        .offset:         40
        .size:           8
        .value_kind:     global_buffer
      - .offset:         48
        .size:           4
        .value_kind:     hidden_block_count_x
      - .offset:         52
        .size:           4
        .value_kind:     hidden_block_count_y
      - .offset:         56
        .size:           4
        .value_kind:     hidden_block_count_z
      - .offset:         60
        .size:           2
        .value_kind:     hidden_group_size_x
      - .offset:         62
        .size:           2
        .value_kind:     hidden_group_size_y
      - .offset:         64
        .size:           2
        .value_kind:     hidden_group_size_z
      - .offset:         66
        .size:           2
        .value_kind:     hidden_remainder_x
      - .offset:         68
        .size:           2
        .value_kind:     hidden_remainder_y
      - .offset:         70
        .size:           2
        .value_kind:     hidden_remainder_z
      - .offset:         88
        .size:           8
        .value_kind:     hidden_global_offset_x
      - .offset:         96
        .size:           8
        .value_kind:     hidden_global_offset_y
      - .offset:         104
        .size:           8
        .value_kind:     hidden_global_offset_z
      - .offset:         112
        .size:           2
        .value_kind:     hidden_grid_dims
    .group_segment_fixed_size: 0
    .kernarg_segment_align: 8
    .kernarg_segment_size: 304
    .language:       OpenCL C
    .language_version:
      - 2
      - 0
    .max_flat_workgroup_size: 1024
    .name:           _ZN12_GLOBAL__N_121softmax_warp_backwardIN3c104HalfES2_fLi5ELb0ELb0ELi64EEEvPT0_PKT_S7_iiiPKb
    .private_segment_fixed_size: 0
    .sgpr_count:     18
    .sgpr_spill_count: 0
    .symbol:         _ZN12_GLOBAL__N_121softmax_warp_backwardIN3c104HalfES2_fLi5ELb0ELb0ELi64EEEvPT0_PKT_S7_iiiPKb.kd
    .uniform_work_group_size: 1
    .uses_dynamic_stack: false
    .vgpr_count:     13
    .vgpr_spill_count: 0
    .wavefront_size: 32
    .workgroup_processor_mode: 1
  - .args:
      - .address_space:  global
        .offset:         0
        .size:           8
        .value_kind:     global_buffer
      - .address_space:  global
        .offset:         8
        .size:           8
        .value_kind:     global_buffer
      - .address_space:  global
        .offset:         16
        .size:           8
        .value_kind:     global_buffer
      - .offset:         24
        .size:           4
        .value_kind:     by_value
      - .offset:         28
        .size:           4
        .value_kind:     by_value
      - .offset:         32
        .size:           4
        .value_kind:     by_value
      - .address_space:  global
        .offset:         40
        .size:           8
        .value_kind:     global_buffer
      - .offset:         48
        .size:           4
        .value_kind:     hidden_block_count_x
      - .offset:         52
        .size:           4
        .value_kind:     hidden_block_count_y
      - .offset:         56
        .size:           4
        .value_kind:     hidden_block_count_z
      - .offset:         60
        .size:           2
        .value_kind:     hidden_group_size_x
      - .offset:         62
        .size:           2
        .value_kind:     hidden_group_size_y
      - .offset:         64
        .size:           2
        .value_kind:     hidden_group_size_z
      - .offset:         66
        .size:           2
        .value_kind:     hidden_remainder_x
      - .offset:         68
        .size:           2
        .value_kind:     hidden_remainder_y
      - .offset:         70
        .size:           2
        .value_kind:     hidden_remainder_z
      - .offset:         88
        .size:           8
        .value_kind:     hidden_global_offset_x
      - .offset:         96
        .size:           8
        .value_kind:     hidden_global_offset_y
      - .offset:         104
        .size:           8
        .value_kind:     hidden_global_offset_z
      - .offset:         112
        .size:           2
        .value_kind:     hidden_grid_dims
    .group_segment_fixed_size: 0
    .kernarg_segment_align: 8
    .kernarg_segment_size: 304
    .language:       OpenCL C
    .language_version:
      - 2
      - 0
    .max_flat_workgroup_size: 1024
    .name:           _ZN12_GLOBAL__N_121softmax_warp_backwardIN3c104HalfES2_fLi5ELb0ELb0ELi32EEEvPT0_PKT_S7_iiiPKb
    .private_segment_fixed_size: 0
    .sgpr_count:     18
    .sgpr_spill_count: 0
    .symbol:         _ZN12_GLOBAL__N_121softmax_warp_backwardIN3c104HalfES2_fLi5ELb0ELb0ELi32EEEvPT0_PKT_S7_iiiPKb.kd
    .uniform_work_group_size: 1
    .uses_dynamic_stack: false
    .vgpr_count:     13
    .vgpr_spill_count: 0
    .wavefront_size: 32
    .workgroup_processor_mode: 1
  - .args:
      - .address_space:  global
        .offset:         0
        .size:           8
        .value_kind:     global_buffer
      - .address_space:  global
        .offset:         8
        .size:           8
        .value_kind:     global_buffer
      - .address_space:  global
        .offset:         16
        .size:           8
        .value_kind:     global_buffer
      - .offset:         24
        .size:           4
        .value_kind:     by_value
      - .offset:         28
        .size:           4
        .value_kind:     by_value
      - .offset:         32
        .size:           4
        .value_kind:     by_value
      - .address_space:  global
        .offset:         40
        .size:           8
        .value_kind:     global_buffer
      - .offset:         48
        .size:           4
        .value_kind:     hidden_block_count_x
      - .offset:         52
        .size:           4
        .value_kind:     hidden_block_count_y
      - .offset:         56
        .size:           4
        .value_kind:     hidden_block_count_z
      - .offset:         60
        .size:           2
        .value_kind:     hidden_group_size_x
      - .offset:         62
        .size:           2
        .value_kind:     hidden_group_size_y
      - .offset:         64
        .size:           2
        .value_kind:     hidden_group_size_z
      - .offset:         66
        .size:           2
        .value_kind:     hidden_remainder_x
      - .offset:         68
        .size:           2
        .value_kind:     hidden_remainder_y
      - .offset:         70
        .size:           2
        .value_kind:     hidden_remainder_z
      - .offset:         88
        .size:           8
        .value_kind:     hidden_global_offset_x
      - .offset:         96
        .size:           8
        .value_kind:     hidden_global_offset_y
      - .offset:         104
        .size:           8
        .value_kind:     hidden_global_offset_z
      - .offset:         112
        .size:           2
        .value_kind:     hidden_grid_dims
    .group_segment_fixed_size: 0
    .kernarg_segment_align: 8
    .kernarg_segment_size: 304
    .language:       OpenCL C
    .language_version:
      - 2
      - 0
    .max_flat_workgroup_size: 1024
    .name:           _ZN12_GLOBAL__N_121softmax_warp_backwardIN3c104HalfES2_fLi6ELb0ELb0ELi64EEEvPT0_PKT_S7_iiiPKb
    .private_segment_fixed_size: 0
    .sgpr_count:     18
    .sgpr_spill_count: 0
    .symbol:         _ZN12_GLOBAL__N_121softmax_warp_backwardIN3c104HalfES2_fLi6ELb0ELb0ELi64EEEvPT0_PKT_S7_iiiPKb.kd
    .uniform_work_group_size: 1
    .uses_dynamic_stack: false
    .vgpr_count:     13
    .vgpr_spill_count: 0
    .wavefront_size: 32
    .workgroup_processor_mode: 1
  - .args:
      - .address_space:  global
        .offset:         0
        .size:           8
        .value_kind:     global_buffer
      - .address_space:  global
        .offset:         8
        .size:           8
        .value_kind:     global_buffer
      - .address_space:  global
        .offset:         16
        .size:           8
        .value_kind:     global_buffer
      - .offset:         24
        .size:           4
        .value_kind:     by_value
      - .offset:         28
        .size:           4
        .value_kind:     by_value
      - .offset:         32
        .size:           4
        .value_kind:     by_value
      - .address_space:  global
        .offset:         40
        .size:           8
        .value_kind:     global_buffer
      - .offset:         48
        .size:           4
        .value_kind:     hidden_block_count_x
      - .offset:         52
        .size:           4
        .value_kind:     hidden_block_count_y
      - .offset:         56
        .size:           4
        .value_kind:     hidden_block_count_z
      - .offset:         60
        .size:           2
        .value_kind:     hidden_group_size_x
      - .offset:         62
        .size:           2
        .value_kind:     hidden_group_size_y
      - .offset:         64
        .size:           2
        .value_kind:     hidden_group_size_z
      - .offset:         66
        .size:           2
        .value_kind:     hidden_remainder_x
      - .offset:         68
        .size:           2
        .value_kind:     hidden_remainder_y
      - .offset:         70
        .size:           2
        .value_kind:     hidden_remainder_z
      - .offset:         88
        .size:           8
        .value_kind:     hidden_global_offset_x
      - .offset:         96
        .size:           8
        .value_kind:     hidden_global_offset_y
      - .offset:         104
        .size:           8
        .value_kind:     hidden_global_offset_z
      - .offset:         112
        .size:           2
        .value_kind:     hidden_grid_dims
    .group_segment_fixed_size: 0
    .kernarg_segment_align: 8
    .kernarg_segment_size: 304
    .language:       OpenCL C
    .language_version:
      - 2
      - 0
    .max_flat_workgroup_size: 1024
    .name:           _ZN12_GLOBAL__N_121softmax_warp_backwardIN3c104HalfES2_fLi6ELb0ELb0ELi32EEEvPT0_PKT_S7_iiiPKb
    .private_segment_fixed_size: 0
    .sgpr_count:     18
    .sgpr_spill_count: 0
    .symbol:         _ZN12_GLOBAL__N_121softmax_warp_backwardIN3c104HalfES2_fLi6ELb0ELb0ELi32EEEvPT0_PKT_S7_iiiPKb.kd
    .uniform_work_group_size: 1
    .uses_dynamic_stack: false
    .vgpr_count:     17
    .vgpr_spill_count: 0
    .wavefront_size: 32
    .workgroup_processor_mode: 1
  - .args:
      - .address_space:  global
        .offset:         0
        .size:           8
        .value_kind:     global_buffer
      - .address_space:  global
        .offset:         8
        .size:           8
        .value_kind:     global_buffer
      - .address_space:  global
        .offset:         16
        .size:           8
        .value_kind:     global_buffer
      - .offset:         24
        .size:           4
        .value_kind:     by_value
      - .offset:         28
        .size:           4
        .value_kind:     by_value
      - .offset:         32
        .size:           4
        .value_kind:     by_value
      - .address_space:  global
        .offset:         40
        .size:           8
        .value_kind:     global_buffer
      - .offset:         48
        .size:           4
        .value_kind:     hidden_block_count_x
      - .offset:         52
        .size:           4
        .value_kind:     hidden_block_count_y
      - .offset:         56
        .size:           4
        .value_kind:     hidden_block_count_z
      - .offset:         60
        .size:           2
        .value_kind:     hidden_group_size_x
      - .offset:         62
        .size:           2
        .value_kind:     hidden_group_size_y
      - .offset:         64
        .size:           2
        .value_kind:     hidden_group_size_z
      - .offset:         66
        .size:           2
        .value_kind:     hidden_remainder_x
      - .offset:         68
        .size:           2
        .value_kind:     hidden_remainder_y
      - .offset:         70
        .size:           2
        .value_kind:     hidden_remainder_z
      - .offset:         88
        .size:           8
        .value_kind:     hidden_global_offset_x
      - .offset:         96
        .size:           8
        .value_kind:     hidden_global_offset_y
      - .offset:         104
        .size:           8
        .value_kind:     hidden_global_offset_z
      - .offset:         112
        .size:           2
        .value_kind:     hidden_grid_dims
    .group_segment_fixed_size: 0
    .kernarg_segment_align: 8
    .kernarg_segment_size: 304
    .language:       OpenCL C
    .language_version:
      - 2
      - 0
    .max_flat_workgroup_size: 1024
    .name:           _ZN12_GLOBAL__N_121softmax_warp_backwardIN3c104HalfES2_fLi7ELb0ELb0ELi64EEEvPT0_PKT_S7_iiiPKb
    .private_segment_fixed_size: 0
    .sgpr_count:     18
    .sgpr_spill_count: 0
    .symbol:         _ZN12_GLOBAL__N_121softmax_warp_backwardIN3c104HalfES2_fLi7ELb0ELb0ELi64EEEvPT0_PKT_S7_iiiPKb.kd
    .uniform_work_group_size: 1
    .uses_dynamic_stack: false
    .vgpr_count:     17
    .vgpr_spill_count: 0
    .wavefront_size: 32
    .workgroup_processor_mode: 1
  - .args:
      - .address_space:  global
        .offset:         0
        .size:           8
        .value_kind:     global_buffer
      - .address_space:  global
        .offset:         8
        .size:           8
        .value_kind:     global_buffer
      - .address_space:  global
        .offset:         16
        .size:           8
        .value_kind:     global_buffer
      - .offset:         24
        .size:           4
        .value_kind:     by_value
      - .offset:         28
        .size:           4
        .value_kind:     by_value
      - .offset:         32
        .size:           4
        .value_kind:     by_value
      - .address_space:  global
        .offset:         40
        .size:           8
        .value_kind:     global_buffer
      - .offset:         48
        .size:           4
        .value_kind:     hidden_block_count_x
      - .offset:         52
        .size:           4
        .value_kind:     hidden_block_count_y
      - .offset:         56
        .size:           4
        .value_kind:     hidden_block_count_z
      - .offset:         60
        .size:           2
        .value_kind:     hidden_group_size_x
      - .offset:         62
        .size:           2
        .value_kind:     hidden_group_size_y
      - .offset:         64
        .size:           2
        .value_kind:     hidden_group_size_z
      - .offset:         66
        .size:           2
        .value_kind:     hidden_remainder_x
      - .offset:         68
        .size:           2
        .value_kind:     hidden_remainder_y
      - .offset:         70
        .size:           2
        .value_kind:     hidden_remainder_z
      - .offset:         88
        .size:           8
        .value_kind:     hidden_global_offset_x
      - .offset:         96
        .size:           8
        .value_kind:     hidden_global_offset_y
      - .offset:         104
        .size:           8
        .value_kind:     hidden_global_offset_z
      - .offset:         112
        .size:           2
        .value_kind:     hidden_grid_dims
    .group_segment_fixed_size: 0
    .kernarg_segment_align: 8
    .kernarg_segment_size: 304
    .language:       OpenCL C
    .language_version:
      - 2
      - 0
    .max_flat_workgroup_size: 1024
    .name:           _ZN12_GLOBAL__N_121softmax_warp_backwardIN3c104HalfES2_fLi7ELb0ELb0ELi32EEEvPT0_PKT_S7_iiiPKb
    .private_segment_fixed_size: 0
    .sgpr_count:     18
    .sgpr_spill_count: 0
    .symbol:         _ZN12_GLOBAL__N_121softmax_warp_backwardIN3c104HalfES2_fLi7ELb0ELb0ELi32EEEvPT0_PKT_S7_iiiPKb.kd
    .uniform_work_group_size: 1
    .uses_dynamic_stack: false
    .vgpr_count:     25
    .vgpr_spill_count: 0
    .wavefront_size: 32
    .workgroup_processor_mode: 1
  - .args:
      - .address_space:  global
        .offset:         0
        .size:           8
        .value_kind:     global_buffer
      - .address_space:  global
        .offset:         8
        .size:           8
        .value_kind:     global_buffer
      - .address_space:  global
        .offset:         16
        .size:           8
        .value_kind:     global_buffer
      - .offset:         24
        .size:           4
        .value_kind:     by_value
      - .offset:         28
        .size:           4
        .value_kind:     by_value
      - .offset:         32
        .size:           4
        .value_kind:     by_value
      - .address_space:  global
        .offset:         40
        .size:           8
        .value_kind:     global_buffer
      - .offset:         48
        .size:           4
        .value_kind:     hidden_block_count_x
      - .offset:         52
        .size:           4
        .value_kind:     hidden_block_count_y
      - .offset:         56
        .size:           4
        .value_kind:     hidden_block_count_z
      - .offset:         60
        .size:           2
        .value_kind:     hidden_group_size_x
      - .offset:         62
        .size:           2
        .value_kind:     hidden_group_size_y
      - .offset:         64
        .size:           2
        .value_kind:     hidden_group_size_z
      - .offset:         66
        .size:           2
        .value_kind:     hidden_remainder_x
      - .offset:         68
        .size:           2
        .value_kind:     hidden_remainder_y
      - .offset:         70
        .size:           2
        .value_kind:     hidden_remainder_z
      - .offset:         88
        .size:           8
        .value_kind:     hidden_global_offset_x
      - .offset:         96
        .size:           8
        .value_kind:     hidden_global_offset_y
      - .offset:         104
        .size:           8
        .value_kind:     hidden_global_offset_z
      - .offset:         112
        .size:           2
        .value_kind:     hidden_grid_dims
    .group_segment_fixed_size: 0
    .kernarg_segment_align: 8
    .kernarg_segment_size: 304
    .language:       OpenCL C
    .language_version:
      - 2
      - 0
    .max_flat_workgroup_size: 1024
    .name:           _ZN12_GLOBAL__N_121softmax_warp_backwardIN3c104HalfES2_fLi8ELb0ELb0ELi64EEEvPT0_PKT_S7_iiiPKb
    .private_segment_fixed_size: 0
    .sgpr_count:     18
    .sgpr_spill_count: 0
    .symbol:         _ZN12_GLOBAL__N_121softmax_warp_backwardIN3c104HalfES2_fLi8ELb0ELb0ELi64EEEvPT0_PKT_S7_iiiPKb.kd
    .uniform_work_group_size: 1
    .uses_dynamic_stack: false
    .vgpr_count:     15
    .vgpr_spill_count: 0
    .wavefront_size: 32
    .workgroup_processor_mode: 1
  - .args:
      - .address_space:  global
        .offset:         0
        .size:           8
        .value_kind:     global_buffer
      - .address_space:  global
        .offset:         8
        .size:           8
        .value_kind:     global_buffer
      - .address_space:  global
        .offset:         16
        .size:           8
        .value_kind:     global_buffer
      - .offset:         24
        .size:           4
        .value_kind:     by_value
      - .offset:         28
        .size:           4
        .value_kind:     by_value
      - .offset:         32
        .size:           4
        .value_kind:     by_value
      - .address_space:  global
        .offset:         40
        .size:           8
        .value_kind:     global_buffer
      - .offset:         48
        .size:           4
        .value_kind:     hidden_block_count_x
      - .offset:         52
        .size:           4
        .value_kind:     hidden_block_count_y
      - .offset:         56
        .size:           4
        .value_kind:     hidden_block_count_z
      - .offset:         60
        .size:           2
        .value_kind:     hidden_group_size_x
      - .offset:         62
        .size:           2
        .value_kind:     hidden_group_size_y
      - .offset:         64
        .size:           2
        .value_kind:     hidden_group_size_z
      - .offset:         66
        .size:           2
        .value_kind:     hidden_remainder_x
      - .offset:         68
        .size:           2
        .value_kind:     hidden_remainder_y
      - .offset:         70
        .size:           2
        .value_kind:     hidden_remainder_z
      - .offset:         88
        .size:           8
        .value_kind:     hidden_global_offset_x
      - .offset:         96
        .size:           8
        .value_kind:     hidden_global_offset_y
      - .offset:         104
        .size:           8
        .value_kind:     hidden_global_offset_z
      - .offset:         112
        .size:           2
        .value_kind:     hidden_grid_dims
    .group_segment_fixed_size: 0
    .kernarg_segment_align: 8
    .kernarg_segment_size: 304
    .language:       OpenCL C
    .language_version:
      - 2
      - 0
    .max_flat_workgroup_size: 1024
    .name:           _ZN12_GLOBAL__N_121softmax_warp_backwardIN3c104HalfES2_fLi8ELb0ELb0ELi32EEEvPT0_PKT_S7_iiiPKb
    .private_segment_fixed_size: 0
    .sgpr_count:     22
    .sgpr_spill_count: 0
    .symbol:         _ZN12_GLOBAL__N_121softmax_warp_backwardIN3c104HalfES2_fLi8ELb0ELb0ELi32EEEvPT0_PKT_S7_iiiPKb.kd
    .uniform_work_group_size: 1
    .uses_dynamic_stack: false
    .vgpr_count:     23
    .vgpr_spill_count: 0
    .wavefront_size: 32
    .workgroup_processor_mode: 1
  - .args:
      - .address_space:  global
        .offset:         0
        .size:           8
        .value_kind:     global_buffer
      - .address_space:  global
        .offset:         8
        .size:           8
        .value_kind:     global_buffer
      - .address_space:  global
        .offset:         16
        .size:           8
        .value_kind:     global_buffer
      - .offset:         24
        .size:           4
        .value_kind:     by_value
      - .offset:         28
        .size:           4
        .value_kind:     by_value
      - .offset:         32
        .size:           4
        .value_kind:     by_value
      - .address_space:  global
        .offset:         40
        .size:           8
        .value_kind:     global_buffer
      - .offset:         48
        .size:           4
        .value_kind:     hidden_block_count_x
      - .offset:         52
        .size:           4
        .value_kind:     hidden_block_count_y
      - .offset:         56
        .size:           4
        .value_kind:     hidden_block_count_z
      - .offset:         60
        .size:           2
        .value_kind:     hidden_group_size_x
      - .offset:         62
        .size:           2
        .value_kind:     hidden_group_size_y
      - .offset:         64
        .size:           2
        .value_kind:     hidden_group_size_z
      - .offset:         66
        .size:           2
        .value_kind:     hidden_remainder_x
      - .offset:         68
        .size:           2
        .value_kind:     hidden_remainder_y
      - .offset:         70
        .size:           2
        .value_kind:     hidden_remainder_z
      - .offset:         88
        .size:           8
        .value_kind:     hidden_global_offset_x
      - .offset:         96
        .size:           8
        .value_kind:     hidden_global_offset_y
      - .offset:         104
        .size:           8
        .value_kind:     hidden_global_offset_z
      - .offset:         112
        .size:           2
        .value_kind:     hidden_grid_dims
    .group_segment_fixed_size: 0
    .kernarg_segment_align: 8
    .kernarg_segment_size: 304
    .language:       OpenCL C
    .language_version:
      - 2
      - 0
    .max_flat_workgroup_size: 1024
    .name:           _ZN12_GLOBAL__N_121softmax_warp_backwardIN3c104HalfES2_fLi9ELb0ELb0ELi64EEEvPT0_PKT_S7_iiiPKb
    .private_segment_fixed_size: 0
    .sgpr_count:     22
    .sgpr_spill_count: 0
    .symbol:         _ZN12_GLOBAL__N_121softmax_warp_backwardIN3c104HalfES2_fLi9ELb0ELb0ELi64EEEvPT0_PKT_S7_iiiPKb.kd
    .uniform_work_group_size: 1
    .uses_dynamic_stack: false
    .vgpr_count:     23
    .vgpr_spill_count: 0
    .wavefront_size: 32
    .workgroup_processor_mode: 1
  - .args:
      - .address_space:  global
        .offset:         0
        .size:           8
        .value_kind:     global_buffer
      - .address_space:  global
        .offset:         8
        .size:           8
        .value_kind:     global_buffer
      - .address_space:  global
        .offset:         16
        .size:           8
        .value_kind:     global_buffer
      - .offset:         24
        .size:           4
        .value_kind:     by_value
      - .offset:         28
        .size:           4
        .value_kind:     by_value
      - .offset:         32
        .size:           4
        .value_kind:     by_value
      - .address_space:  global
        .offset:         40
        .size:           8
        .value_kind:     global_buffer
      - .offset:         48
        .size:           4
        .value_kind:     hidden_block_count_x
      - .offset:         52
        .size:           4
        .value_kind:     hidden_block_count_y
      - .offset:         56
        .size:           4
        .value_kind:     hidden_block_count_z
      - .offset:         60
        .size:           2
        .value_kind:     hidden_group_size_x
      - .offset:         62
        .size:           2
        .value_kind:     hidden_group_size_y
      - .offset:         64
        .size:           2
        .value_kind:     hidden_group_size_z
      - .offset:         66
        .size:           2
        .value_kind:     hidden_remainder_x
      - .offset:         68
        .size:           2
        .value_kind:     hidden_remainder_y
      - .offset:         70
        .size:           2
        .value_kind:     hidden_remainder_z
      - .offset:         88
        .size:           8
        .value_kind:     hidden_global_offset_x
      - .offset:         96
        .size:           8
        .value_kind:     hidden_global_offset_y
      - .offset:         104
        .size:           8
        .value_kind:     hidden_global_offset_z
      - .offset:         112
        .size:           2
        .value_kind:     hidden_grid_dims
    .group_segment_fixed_size: 0
    .kernarg_segment_align: 8
    .kernarg_segment_size: 304
    .language:       OpenCL C
    .language_version:
      - 2
      - 0
    .max_flat_workgroup_size: 1024
    .name:           _ZN12_GLOBAL__N_121softmax_warp_backwardIN3c104HalfES2_fLi9ELb0ELb0ELi32EEEvPT0_PKT_S7_iiiPKb
    .private_segment_fixed_size: 0
    .sgpr_count:     26
    .sgpr_spill_count: 0
    .symbol:         _ZN12_GLOBAL__N_121softmax_warp_backwardIN3c104HalfES2_fLi9ELb0ELb0ELi32EEEvPT0_PKT_S7_iiiPKb.kd
    .uniform_work_group_size: 1
    .uses_dynamic_stack: false
    .vgpr_count:     39
    .vgpr_spill_count: 0
    .wavefront_size: 32
    .workgroup_processor_mode: 1
  - .args:
      - .address_space:  global
        .offset:         0
        .size:           8
        .value_kind:     global_buffer
      - .address_space:  global
        .offset:         8
        .size:           8
        .value_kind:     global_buffer
      - .address_space:  global
        .offset:         16
        .size:           8
        .value_kind:     global_buffer
      - .offset:         24
        .size:           4
        .value_kind:     by_value
      - .offset:         28
        .size:           4
        .value_kind:     by_value
      - .offset:         32
        .size:           4
        .value_kind:     by_value
      - .address_space:  global
        .offset:         40
        .size:           8
        .value_kind:     global_buffer
      - .offset:         48
        .size:           4
        .value_kind:     hidden_block_count_x
      - .offset:         52
        .size:           4
        .value_kind:     hidden_block_count_y
      - .offset:         56
        .size:           4
        .value_kind:     hidden_block_count_z
      - .offset:         60
        .size:           2
        .value_kind:     hidden_group_size_x
      - .offset:         62
        .size:           2
        .value_kind:     hidden_group_size_y
      - .offset:         64
        .size:           2
        .value_kind:     hidden_group_size_z
      - .offset:         66
        .size:           2
        .value_kind:     hidden_remainder_x
      - .offset:         68
        .size:           2
        .value_kind:     hidden_remainder_y
      - .offset:         70
        .size:           2
        .value_kind:     hidden_remainder_z
      - .offset:         88
        .size:           8
        .value_kind:     hidden_global_offset_x
      - .offset:         96
        .size:           8
        .value_kind:     hidden_global_offset_y
      - .offset:         104
        .size:           8
        .value_kind:     hidden_global_offset_z
      - .offset:         112
        .size:           2
        .value_kind:     hidden_grid_dims
    .group_segment_fixed_size: 0
    .kernarg_segment_align: 8
    .kernarg_segment_size: 304
    .language:       OpenCL C
    .language_version:
      - 2
      - 0
    .max_flat_workgroup_size: 1024
    .name:           _ZN12_GLOBAL__N_121softmax_warp_backwardIN3c104HalfES2_fLi10ELb0ELb0ELi64EEEvPT0_PKT_S7_iiiPKb
    .private_segment_fixed_size: 0
    .sgpr_count:     26
    .sgpr_spill_count: 0
    .symbol:         _ZN12_GLOBAL__N_121softmax_warp_backwardIN3c104HalfES2_fLi10ELb0ELb0ELi64EEEvPT0_PKT_S7_iiiPKb.kd
    .uniform_work_group_size: 1
    .uses_dynamic_stack: false
    .vgpr_count:     39
    .vgpr_spill_count: 0
    .wavefront_size: 32
    .workgroup_processor_mode: 1
  - .args:
      - .address_space:  global
        .offset:         0
        .size:           8
        .value_kind:     global_buffer
      - .address_space:  global
        .offset:         8
        .size:           8
        .value_kind:     global_buffer
      - .address_space:  global
        .offset:         16
        .size:           8
        .value_kind:     global_buffer
      - .offset:         24
        .size:           4
        .value_kind:     by_value
      - .offset:         28
        .size:           4
        .value_kind:     by_value
      - .offset:         32
        .size:           4
        .value_kind:     by_value
      - .address_space:  global
        .offset:         40
        .size:           8
        .value_kind:     global_buffer
      - .offset:         48
        .size:           4
        .value_kind:     hidden_block_count_x
      - .offset:         52
        .size:           4
        .value_kind:     hidden_block_count_y
      - .offset:         56
        .size:           4
        .value_kind:     hidden_block_count_z
      - .offset:         60
        .size:           2
        .value_kind:     hidden_group_size_x
      - .offset:         62
        .size:           2
        .value_kind:     hidden_group_size_y
      - .offset:         64
        .size:           2
        .value_kind:     hidden_group_size_z
      - .offset:         66
        .size:           2
        .value_kind:     hidden_remainder_x
      - .offset:         68
        .size:           2
        .value_kind:     hidden_remainder_y
      - .offset:         70
        .size:           2
        .value_kind:     hidden_remainder_z
      - .offset:         88
        .size:           8
        .value_kind:     hidden_global_offset_x
      - .offset:         96
        .size:           8
        .value_kind:     hidden_global_offset_y
      - .offset:         104
        .size:           8
        .value_kind:     hidden_global_offset_z
      - .offset:         112
        .size:           2
        .value_kind:     hidden_grid_dims
    .group_segment_fixed_size: 0
    .kernarg_segment_align: 8
    .kernarg_segment_size: 304
    .language:       OpenCL C
    .language_version:
      - 2
      - 0
    .max_flat_workgroup_size: 1024
    .name:           _ZN12_GLOBAL__N_121softmax_warp_backwardIN3c104HalfES2_fLi10ELb0ELb0ELi32EEEvPT0_PKT_S7_iiiPKb
    .private_segment_fixed_size: 0
    .sgpr_count:     46
    .sgpr_spill_count: 0
    .symbol:         _ZN12_GLOBAL__N_121softmax_warp_backwardIN3c104HalfES2_fLi10ELb0ELb0ELi32EEEvPT0_PKT_S7_iiiPKb.kd
    .uniform_work_group_size: 1
    .uses_dynamic_stack: false
    .vgpr_count:     71
    .vgpr_spill_count: 0
    .wavefront_size: 32
    .workgroup_processor_mode: 1
  - .args:
      - .address_space:  global
        .offset:         0
        .size:           8
        .value_kind:     global_buffer
      - .address_space:  global
        .offset:         8
        .size:           8
        .value_kind:     global_buffer
      - .address_space:  global
        .offset:         16
        .size:           8
        .value_kind:     global_buffer
      - .offset:         24
        .size:           8
        .value_kind:     by_value
      - .offset:         32
        .size:           4
        .value_kind:     hidden_block_count_x
      - .offset:         36
        .size:           4
        .value_kind:     hidden_block_count_y
      - .offset:         40
        .size:           4
        .value_kind:     hidden_block_count_z
      - .offset:         44
        .size:           2
        .value_kind:     hidden_group_size_x
      - .offset:         46
        .size:           2
        .value_kind:     hidden_group_size_y
      - .offset:         48
        .size:           2
        .value_kind:     hidden_group_size_z
      - .offset:         50
        .size:           2
        .value_kind:     hidden_remainder_x
      - .offset:         52
        .size:           2
        .value_kind:     hidden_remainder_y
      - .offset:         54
        .size:           2
        .value_kind:     hidden_remainder_z
      - .offset:         72
        .size:           8
        .value_kind:     hidden_global_offset_x
      - .offset:         80
        .size:           8
        .value_kind:     hidden_global_offset_y
      - .offset:         88
        .size:           8
        .value_kind:     hidden_global_offset_z
      - .offset:         96
        .size:           2
        .value_kind:     hidden_grid_dims
      - .offset:         152
        .size:           4
        .value_kind:     hidden_dynamic_lds_size
    .group_segment_fixed_size: 0
    .kernarg_segment_align: 8
    .kernarg_segment_size: 288
    .language:       OpenCL C
    .language_version:
      - 2
      - 0
    .max_flat_workgroup_size: 1024
    .name:           _ZN2at6native12_GLOBAL__N_124cunn_SoftMaxBackwardSmemILi8EN3c104HalfEfS4_NS1_23SoftMaxBackwardEpilogueEEEvPT0_PKT2_SA_l
    .private_segment_fixed_size: 0
    .sgpr_count:     20
    .sgpr_spill_count: 0
    .symbol:         _ZN2at6native12_GLOBAL__N_124cunn_SoftMaxBackwardSmemILi8EN3c104HalfEfS4_NS1_23SoftMaxBackwardEpilogueEEEvPT0_PKT2_SA_l.kd
    .uniform_work_group_size: 1
    .uses_dynamic_stack: false
    .vgpr_count:     21
    .vgpr_spill_count: 0
    .wavefront_size: 32
    .workgroup_processor_mode: 1
  - .args:
      - .address_space:  global
        .offset:         0
        .size:           8
        .value_kind:     global_buffer
      - .address_space:  global
        .offset:         8
        .size:           8
        .value_kind:     global_buffer
      - .address_space:  global
        .offset:         16
        .size:           8
        .value_kind:     global_buffer
      - .offset:         24
        .size:           8
        .value_kind:     by_value
      - .offset:         32
        .size:           4
        .value_kind:     hidden_block_count_x
      - .offset:         36
        .size:           4
        .value_kind:     hidden_block_count_y
      - .offset:         40
        .size:           4
        .value_kind:     hidden_block_count_z
      - .offset:         44
        .size:           2
        .value_kind:     hidden_group_size_x
      - .offset:         46
        .size:           2
        .value_kind:     hidden_group_size_y
      - .offset:         48
        .size:           2
        .value_kind:     hidden_group_size_z
      - .offset:         50
        .size:           2
        .value_kind:     hidden_remainder_x
      - .offset:         52
        .size:           2
        .value_kind:     hidden_remainder_y
      - .offset:         54
        .size:           2
        .value_kind:     hidden_remainder_z
      - .offset:         72
        .size:           8
        .value_kind:     hidden_global_offset_x
      - .offset:         80
        .size:           8
        .value_kind:     hidden_global_offset_y
      - .offset:         88
        .size:           8
        .value_kind:     hidden_global_offset_z
      - .offset:         96
        .size:           2
        .value_kind:     hidden_grid_dims
      - .offset:         152
        .size:           4
        .value_kind:     hidden_dynamic_lds_size
    .group_segment_fixed_size: 0
    .kernarg_segment_align: 8
    .kernarg_segment_size: 288
    .language:       OpenCL C
    .language_version:
      - 2
      - 0
    .max_flat_workgroup_size: 1024
    .name:           _ZN2at6native12_GLOBAL__N_120cunn_SoftMaxBackwardILi8EN3c104HalfEfS4_NS1_23SoftMaxBackwardEpilogueEEEvPT0_PKT2_SA_l
    .private_segment_fixed_size: 0
    .sgpr_count:     38
    .sgpr_spill_count: 0
    .symbol:         _ZN2at6native12_GLOBAL__N_120cunn_SoftMaxBackwardILi8EN3c104HalfEfS4_NS1_23SoftMaxBackwardEpilogueEEEvPT0_PKT2_SA_l.kd
    .uniform_work_group_size: 1
    .uses_dynamic_stack: false
    .vgpr_count:     51
    .vgpr_spill_count: 0
    .wavefront_size: 32
    .workgroup_processor_mode: 1
  - .args:
      - .address_space:  global
        .offset:         0
        .size:           8
        .value_kind:     global_buffer
      - .address_space:  global
        .offset:         8
        .size:           8
        .value_kind:     global_buffer
      - .address_space:  global
        .offset:         16
        .size:           8
        .value_kind:     global_buffer
      - .offset:         24
        .size:           4
        .value_kind:     by_value
      - .offset:         28
        .size:           4
        .value_kind:     by_value
      - .offset:         32
        .size:           4
        .value_kind:     by_value
      - .address_space:  global
        .offset:         40
        .size:           8
        .value_kind:     global_buffer
      - .offset:         48
        .size:           4
        .value_kind:     hidden_block_count_x
      - .offset:         52
        .size:           4
        .value_kind:     hidden_block_count_y
      - .offset:         56
        .size:           4
        .value_kind:     hidden_block_count_z
      - .offset:         60
        .size:           2
        .value_kind:     hidden_group_size_x
      - .offset:         62
        .size:           2
        .value_kind:     hidden_group_size_y
      - .offset:         64
        .size:           2
        .value_kind:     hidden_group_size_z
      - .offset:         66
        .size:           2
        .value_kind:     hidden_remainder_x
      - .offset:         68
        .size:           2
        .value_kind:     hidden_remainder_y
      - .offset:         70
        .size:           2
        .value_kind:     hidden_remainder_z
      - .offset:         88
        .size:           8
        .value_kind:     hidden_global_offset_x
      - .offset:         96
        .size:           8
        .value_kind:     hidden_global_offset_y
      - .offset:         104
        .size:           8
        .value_kind:     hidden_global_offset_z
      - .offset:         112
        .size:           2
        .value_kind:     hidden_grid_dims
    .group_segment_fixed_size: 0
    .kernarg_segment_align: 8
    .kernarg_segment_size: 304
    .language:       OpenCL C
    .language_version:
      - 2
      - 0
    .max_flat_workgroup_size: 1024
    .name:           _ZN12_GLOBAL__N_121softmax_warp_backwardIfN3c104HalfEfLi0ELb0ELb0ELi64EEEvPT0_PKT_S7_iiiPKb
    .private_segment_fixed_size: 0
    .sgpr_count:     18
    .sgpr_spill_count: 0
    .symbol:         _ZN12_GLOBAL__N_121softmax_warp_backwardIfN3c104HalfEfLi0ELb0ELb0ELi64EEEvPT0_PKT_S7_iiiPKb.kd
    .uniform_work_group_size: 1
    .uses_dynamic_stack: false
    .vgpr_count:     11
    .vgpr_spill_count: 0
    .wavefront_size: 32
    .workgroup_processor_mode: 1
  - .args:
      - .address_space:  global
        .offset:         0
        .size:           8
        .value_kind:     global_buffer
      - .address_space:  global
        .offset:         8
        .size:           8
        .value_kind:     global_buffer
      - .address_space:  global
        .offset:         16
        .size:           8
        .value_kind:     global_buffer
      - .offset:         24
        .size:           4
        .value_kind:     by_value
      - .offset:         28
        .size:           4
        .value_kind:     by_value
      - .offset:         32
        .size:           4
        .value_kind:     by_value
      - .address_space:  global
        .offset:         40
        .size:           8
        .value_kind:     global_buffer
      - .offset:         48
        .size:           4
        .value_kind:     hidden_block_count_x
      - .offset:         52
        .size:           4
        .value_kind:     hidden_block_count_y
      - .offset:         56
        .size:           4
        .value_kind:     hidden_block_count_z
      - .offset:         60
        .size:           2
        .value_kind:     hidden_group_size_x
      - .offset:         62
        .size:           2
        .value_kind:     hidden_group_size_y
      - .offset:         64
        .size:           2
        .value_kind:     hidden_group_size_z
      - .offset:         66
        .size:           2
        .value_kind:     hidden_remainder_x
      - .offset:         68
        .size:           2
        .value_kind:     hidden_remainder_y
      - .offset:         70
        .size:           2
        .value_kind:     hidden_remainder_z
      - .offset:         88
        .size:           8
        .value_kind:     hidden_global_offset_x
      - .offset:         96
        .size:           8
        .value_kind:     hidden_global_offset_y
      - .offset:         104
        .size:           8
        .value_kind:     hidden_global_offset_z
      - .offset:         112
        .size:           2
        .value_kind:     hidden_grid_dims
    .group_segment_fixed_size: 0
    .kernarg_segment_align: 8
    .kernarg_segment_size: 304
    .language:       OpenCL C
    .language_version:
      - 2
      - 0
    .max_flat_workgroup_size: 1024
    .name:           _ZN12_GLOBAL__N_121softmax_warp_backwardIfN3c104HalfEfLi0ELb0ELb0ELi32EEEvPT0_PKT_S7_iiiPKb
    .private_segment_fixed_size: 0
    .sgpr_count:     18
    .sgpr_spill_count: 0
    .symbol:         _ZN12_GLOBAL__N_121softmax_warp_backwardIfN3c104HalfEfLi0ELb0ELb0ELi32EEEvPT0_PKT_S7_iiiPKb.kd
    .uniform_work_group_size: 1
    .uses_dynamic_stack: false
    .vgpr_count:     11
    .vgpr_spill_count: 0
    .wavefront_size: 32
    .workgroup_processor_mode: 1
  - .args:
      - .address_space:  global
        .offset:         0
        .size:           8
        .value_kind:     global_buffer
      - .address_space:  global
        .offset:         8
        .size:           8
        .value_kind:     global_buffer
      - .address_space:  global
        .offset:         16
        .size:           8
        .value_kind:     global_buffer
      - .offset:         24
        .size:           4
        .value_kind:     by_value
      - .offset:         28
        .size:           4
        .value_kind:     by_value
      - .offset:         32
        .size:           4
        .value_kind:     by_value
      - .address_space:  global
        .offset:         40
        .size:           8
        .value_kind:     global_buffer
      - .offset:         48
        .size:           4
        .value_kind:     hidden_block_count_x
      - .offset:         52
        .size:           4
        .value_kind:     hidden_block_count_y
      - .offset:         56
        .size:           4
        .value_kind:     hidden_block_count_z
      - .offset:         60
        .size:           2
        .value_kind:     hidden_group_size_x
      - .offset:         62
        .size:           2
        .value_kind:     hidden_group_size_y
      - .offset:         64
        .size:           2
        .value_kind:     hidden_group_size_z
      - .offset:         66
        .size:           2
        .value_kind:     hidden_remainder_x
      - .offset:         68
        .size:           2
        .value_kind:     hidden_remainder_y
      - .offset:         70
        .size:           2
        .value_kind:     hidden_remainder_z
      - .offset:         88
        .size:           8
        .value_kind:     hidden_global_offset_x
      - .offset:         96
        .size:           8
        .value_kind:     hidden_global_offset_y
      - .offset:         104
        .size:           8
        .value_kind:     hidden_global_offset_z
      - .offset:         112
        .size:           2
        .value_kind:     hidden_grid_dims
    .group_segment_fixed_size: 0
    .kernarg_segment_align: 8
    .kernarg_segment_size: 304
    .language:       OpenCL C
    .language_version:
      - 2
      - 0
    .max_flat_workgroup_size: 1024
    .name:           _ZN12_GLOBAL__N_121softmax_warp_backwardIfN3c104HalfEfLi1ELb0ELb0ELi64EEEvPT0_PKT_S7_iiiPKb
    .private_segment_fixed_size: 0
    .sgpr_count:     18
    .sgpr_spill_count: 0
    .symbol:         _ZN12_GLOBAL__N_121softmax_warp_backwardIfN3c104HalfEfLi1ELb0ELb0ELi64EEEvPT0_PKT_S7_iiiPKb.kd
    .uniform_work_group_size: 1
    .uses_dynamic_stack: false
    .vgpr_count:     11
    .vgpr_spill_count: 0
    .wavefront_size: 32
    .workgroup_processor_mode: 1
  - .args:
      - .address_space:  global
        .offset:         0
        .size:           8
        .value_kind:     global_buffer
      - .address_space:  global
        .offset:         8
        .size:           8
        .value_kind:     global_buffer
      - .address_space:  global
        .offset:         16
        .size:           8
        .value_kind:     global_buffer
      - .offset:         24
        .size:           4
        .value_kind:     by_value
      - .offset:         28
        .size:           4
        .value_kind:     by_value
      - .offset:         32
        .size:           4
        .value_kind:     by_value
      - .address_space:  global
        .offset:         40
        .size:           8
        .value_kind:     global_buffer
      - .offset:         48
        .size:           4
        .value_kind:     hidden_block_count_x
      - .offset:         52
        .size:           4
        .value_kind:     hidden_block_count_y
      - .offset:         56
        .size:           4
        .value_kind:     hidden_block_count_z
      - .offset:         60
        .size:           2
        .value_kind:     hidden_group_size_x
      - .offset:         62
        .size:           2
        .value_kind:     hidden_group_size_y
      - .offset:         64
        .size:           2
        .value_kind:     hidden_group_size_z
      - .offset:         66
        .size:           2
        .value_kind:     hidden_remainder_x
      - .offset:         68
        .size:           2
        .value_kind:     hidden_remainder_y
      - .offset:         70
        .size:           2
        .value_kind:     hidden_remainder_z
      - .offset:         88
        .size:           8
        .value_kind:     hidden_global_offset_x
      - .offset:         96
        .size:           8
        .value_kind:     hidden_global_offset_y
      - .offset:         104
        .size:           8
        .value_kind:     hidden_global_offset_z
      - .offset:         112
        .size:           2
        .value_kind:     hidden_grid_dims
    .group_segment_fixed_size: 0
    .kernarg_segment_align: 8
    .kernarg_segment_size: 304
    .language:       OpenCL C
    .language_version:
      - 2
      - 0
    .max_flat_workgroup_size: 1024
    .name:           _ZN12_GLOBAL__N_121softmax_warp_backwardIfN3c104HalfEfLi1ELb0ELb0ELi32EEEvPT0_PKT_S7_iiiPKb
    .private_segment_fixed_size: 0
    .sgpr_count:     18
    .sgpr_spill_count: 0
    .symbol:         _ZN12_GLOBAL__N_121softmax_warp_backwardIfN3c104HalfEfLi1ELb0ELb0ELi32EEEvPT0_PKT_S7_iiiPKb.kd
    .uniform_work_group_size: 1
    .uses_dynamic_stack: false
    .vgpr_count:     11
    .vgpr_spill_count: 0
    .wavefront_size: 32
    .workgroup_processor_mode: 1
  - .args:
      - .address_space:  global
        .offset:         0
        .size:           8
        .value_kind:     global_buffer
      - .address_space:  global
        .offset:         8
        .size:           8
        .value_kind:     global_buffer
      - .address_space:  global
        .offset:         16
        .size:           8
        .value_kind:     global_buffer
      - .offset:         24
        .size:           4
        .value_kind:     by_value
      - .offset:         28
        .size:           4
        .value_kind:     by_value
      - .offset:         32
        .size:           4
        .value_kind:     by_value
      - .address_space:  global
        .offset:         40
        .size:           8
        .value_kind:     global_buffer
      - .offset:         48
        .size:           4
        .value_kind:     hidden_block_count_x
      - .offset:         52
        .size:           4
        .value_kind:     hidden_block_count_y
      - .offset:         56
        .size:           4
        .value_kind:     hidden_block_count_z
      - .offset:         60
        .size:           2
        .value_kind:     hidden_group_size_x
      - .offset:         62
        .size:           2
        .value_kind:     hidden_group_size_y
      - .offset:         64
        .size:           2
        .value_kind:     hidden_group_size_z
      - .offset:         66
        .size:           2
        .value_kind:     hidden_remainder_x
      - .offset:         68
        .size:           2
        .value_kind:     hidden_remainder_y
      - .offset:         70
        .size:           2
        .value_kind:     hidden_remainder_z
      - .offset:         88
        .size:           8
        .value_kind:     hidden_global_offset_x
      - .offset:         96
        .size:           8
        .value_kind:     hidden_global_offset_y
      - .offset:         104
        .size:           8
        .value_kind:     hidden_global_offset_z
      - .offset:         112
        .size:           2
        .value_kind:     hidden_grid_dims
    .group_segment_fixed_size: 0
    .kernarg_segment_align: 8
    .kernarg_segment_size: 304
    .language:       OpenCL C
    .language_version:
      - 2
      - 0
    .max_flat_workgroup_size: 1024
    .name:           _ZN12_GLOBAL__N_121softmax_warp_backwardIfN3c104HalfEfLi2ELb0ELb0ELi64EEEvPT0_PKT_S7_iiiPKb
    .private_segment_fixed_size: 0
    .sgpr_count:     18
    .sgpr_spill_count: 0
    .symbol:         _ZN12_GLOBAL__N_121softmax_warp_backwardIfN3c104HalfEfLi2ELb0ELb0ELi64EEEvPT0_PKT_S7_iiiPKb.kd
    .uniform_work_group_size: 1
    .uses_dynamic_stack: false
    .vgpr_count:     14
    .vgpr_spill_count: 0
    .wavefront_size: 32
    .workgroup_processor_mode: 1
  - .args:
      - .address_space:  global
        .offset:         0
        .size:           8
        .value_kind:     global_buffer
      - .address_space:  global
        .offset:         8
        .size:           8
        .value_kind:     global_buffer
      - .address_space:  global
        .offset:         16
        .size:           8
        .value_kind:     global_buffer
      - .offset:         24
        .size:           4
        .value_kind:     by_value
      - .offset:         28
        .size:           4
        .value_kind:     by_value
      - .offset:         32
        .size:           4
        .value_kind:     by_value
      - .address_space:  global
        .offset:         40
        .size:           8
        .value_kind:     global_buffer
      - .offset:         48
        .size:           4
        .value_kind:     hidden_block_count_x
      - .offset:         52
        .size:           4
        .value_kind:     hidden_block_count_y
      - .offset:         56
        .size:           4
        .value_kind:     hidden_block_count_z
      - .offset:         60
        .size:           2
        .value_kind:     hidden_group_size_x
      - .offset:         62
        .size:           2
        .value_kind:     hidden_group_size_y
      - .offset:         64
        .size:           2
        .value_kind:     hidden_group_size_z
      - .offset:         66
        .size:           2
        .value_kind:     hidden_remainder_x
      - .offset:         68
        .size:           2
        .value_kind:     hidden_remainder_y
      - .offset:         70
        .size:           2
        .value_kind:     hidden_remainder_z
      - .offset:         88
        .size:           8
        .value_kind:     hidden_global_offset_x
      - .offset:         96
        .size:           8
        .value_kind:     hidden_global_offset_y
      - .offset:         104
        .size:           8
        .value_kind:     hidden_global_offset_z
      - .offset:         112
        .size:           2
        .value_kind:     hidden_grid_dims
    .group_segment_fixed_size: 0
    .kernarg_segment_align: 8
    .kernarg_segment_size: 304
    .language:       OpenCL C
    .language_version:
      - 2
      - 0
    .max_flat_workgroup_size: 1024
    .name:           _ZN12_GLOBAL__N_121softmax_warp_backwardIfN3c104HalfEfLi2ELb0ELb0ELi32EEEvPT0_PKT_S7_iiiPKb
    .private_segment_fixed_size: 0
    .sgpr_count:     18
    .sgpr_spill_count: 0
    .symbol:         _ZN12_GLOBAL__N_121softmax_warp_backwardIfN3c104HalfEfLi2ELb0ELb0ELi32EEEvPT0_PKT_S7_iiiPKb.kd
    .uniform_work_group_size: 1
    .uses_dynamic_stack: false
    .vgpr_count:     14
    .vgpr_spill_count: 0
    .wavefront_size: 32
    .workgroup_processor_mode: 1
  - .args:
      - .address_space:  global
        .offset:         0
        .size:           8
        .value_kind:     global_buffer
      - .address_space:  global
        .offset:         8
        .size:           8
        .value_kind:     global_buffer
      - .address_space:  global
        .offset:         16
        .size:           8
        .value_kind:     global_buffer
      - .offset:         24
        .size:           4
        .value_kind:     by_value
      - .offset:         28
        .size:           4
        .value_kind:     by_value
      - .offset:         32
        .size:           4
        .value_kind:     by_value
      - .address_space:  global
        .offset:         40
        .size:           8
        .value_kind:     global_buffer
      - .offset:         48
        .size:           4
        .value_kind:     hidden_block_count_x
      - .offset:         52
        .size:           4
        .value_kind:     hidden_block_count_y
      - .offset:         56
        .size:           4
        .value_kind:     hidden_block_count_z
      - .offset:         60
        .size:           2
        .value_kind:     hidden_group_size_x
      - .offset:         62
        .size:           2
        .value_kind:     hidden_group_size_y
      - .offset:         64
        .size:           2
        .value_kind:     hidden_group_size_z
      - .offset:         66
        .size:           2
        .value_kind:     hidden_remainder_x
      - .offset:         68
        .size:           2
        .value_kind:     hidden_remainder_y
      - .offset:         70
        .size:           2
        .value_kind:     hidden_remainder_z
      - .offset:         88
        .size:           8
        .value_kind:     hidden_global_offset_x
      - .offset:         96
        .size:           8
        .value_kind:     hidden_global_offset_y
      - .offset:         104
        .size:           8
        .value_kind:     hidden_global_offset_z
      - .offset:         112
        .size:           2
        .value_kind:     hidden_grid_dims
    .group_segment_fixed_size: 0
    .kernarg_segment_align: 8
    .kernarg_segment_size: 304
    .language:       OpenCL C
    .language_version:
      - 2
      - 0
    .max_flat_workgroup_size: 1024
    .name:           _ZN12_GLOBAL__N_121softmax_warp_backwardIfN3c104HalfEfLi3ELb0ELb0ELi64EEEvPT0_PKT_S7_iiiPKb
    .private_segment_fixed_size: 0
    .sgpr_count:     18
    .sgpr_spill_count: 0
    .symbol:         _ZN12_GLOBAL__N_121softmax_warp_backwardIfN3c104HalfEfLi3ELb0ELb0ELi64EEEvPT0_PKT_S7_iiiPKb.kd
    .uniform_work_group_size: 1
    .uses_dynamic_stack: false
    .vgpr_count:     14
    .vgpr_spill_count: 0
    .wavefront_size: 32
    .workgroup_processor_mode: 1
  - .args:
      - .address_space:  global
        .offset:         0
        .size:           8
        .value_kind:     global_buffer
      - .address_space:  global
        .offset:         8
        .size:           8
        .value_kind:     global_buffer
      - .address_space:  global
        .offset:         16
        .size:           8
        .value_kind:     global_buffer
      - .offset:         24
        .size:           4
        .value_kind:     by_value
      - .offset:         28
        .size:           4
        .value_kind:     by_value
      - .offset:         32
        .size:           4
        .value_kind:     by_value
      - .address_space:  global
        .offset:         40
        .size:           8
        .value_kind:     global_buffer
      - .offset:         48
        .size:           4
        .value_kind:     hidden_block_count_x
      - .offset:         52
        .size:           4
        .value_kind:     hidden_block_count_y
      - .offset:         56
        .size:           4
        .value_kind:     hidden_block_count_z
      - .offset:         60
        .size:           2
        .value_kind:     hidden_group_size_x
      - .offset:         62
        .size:           2
        .value_kind:     hidden_group_size_y
      - .offset:         64
        .size:           2
        .value_kind:     hidden_group_size_z
      - .offset:         66
        .size:           2
        .value_kind:     hidden_remainder_x
      - .offset:         68
        .size:           2
        .value_kind:     hidden_remainder_y
      - .offset:         70
        .size:           2
        .value_kind:     hidden_remainder_z
      - .offset:         88
        .size:           8
        .value_kind:     hidden_global_offset_x
      - .offset:         96
        .size:           8
        .value_kind:     hidden_global_offset_y
      - .offset:         104
        .size:           8
        .value_kind:     hidden_global_offset_z
      - .offset:         112
        .size:           2
        .value_kind:     hidden_grid_dims
    .group_segment_fixed_size: 0
    .kernarg_segment_align: 8
    .kernarg_segment_size: 304
    .language:       OpenCL C
    .language_version:
      - 2
      - 0
    .max_flat_workgroup_size: 1024
    .name:           _ZN12_GLOBAL__N_121softmax_warp_backwardIfN3c104HalfEfLi3ELb0ELb0ELi32EEEvPT0_PKT_S7_iiiPKb
    .private_segment_fixed_size: 0
    .sgpr_count:     18
    .sgpr_spill_count: 0
    .symbol:         _ZN12_GLOBAL__N_121softmax_warp_backwardIfN3c104HalfEfLi3ELb0ELb0ELi32EEEvPT0_PKT_S7_iiiPKb.kd
    .uniform_work_group_size: 1
    .uses_dynamic_stack: false
    .vgpr_count:     14
    .vgpr_spill_count: 0
    .wavefront_size: 32
    .workgroup_processor_mode: 1
  - .args:
      - .address_space:  global
        .offset:         0
        .size:           8
        .value_kind:     global_buffer
      - .address_space:  global
        .offset:         8
        .size:           8
        .value_kind:     global_buffer
      - .address_space:  global
        .offset:         16
        .size:           8
        .value_kind:     global_buffer
      - .offset:         24
        .size:           4
        .value_kind:     by_value
      - .offset:         28
        .size:           4
        .value_kind:     by_value
      - .offset:         32
        .size:           4
        .value_kind:     by_value
      - .address_space:  global
        .offset:         40
        .size:           8
        .value_kind:     global_buffer
      - .offset:         48
        .size:           4
        .value_kind:     hidden_block_count_x
      - .offset:         52
        .size:           4
        .value_kind:     hidden_block_count_y
      - .offset:         56
        .size:           4
        .value_kind:     hidden_block_count_z
      - .offset:         60
        .size:           2
        .value_kind:     hidden_group_size_x
      - .offset:         62
        .size:           2
        .value_kind:     hidden_group_size_y
      - .offset:         64
        .size:           2
        .value_kind:     hidden_group_size_z
      - .offset:         66
        .size:           2
        .value_kind:     hidden_remainder_x
      - .offset:         68
        .size:           2
        .value_kind:     hidden_remainder_y
      - .offset:         70
        .size:           2
        .value_kind:     hidden_remainder_z
      - .offset:         88
        .size:           8
        .value_kind:     hidden_global_offset_x
      - .offset:         96
        .size:           8
        .value_kind:     hidden_global_offset_y
      - .offset:         104
        .size:           8
        .value_kind:     hidden_global_offset_z
      - .offset:         112
        .size:           2
        .value_kind:     hidden_grid_dims
    .group_segment_fixed_size: 0
    .kernarg_segment_align: 8
    .kernarg_segment_size: 304
    .language:       OpenCL C
    .language_version:
      - 2
      - 0
    .max_flat_workgroup_size: 1024
    .name:           _ZN12_GLOBAL__N_121softmax_warp_backwardIfN3c104HalfEfLi4ELb0ELb0ELi64EEEvPT0_PKT_S7_iiiPKb
    .private_segment_fixed_size: 0
    .sgpr_count:     18
    .sgpr_spill_count: 0
    .symbol:         _ZN12_GLOBAL__N_121softmax_warp_backwardIfN3c104HalfEfLi4ELb0ELb0ELi64EEEvPT0_PKT_S7_iiiPKb.kd
    .uniform_work_group_size: 1
    .uses_dynamic_stack: false
    .vgpr_count:     14
    .vgpr_spill_count: 0
    .wavefront_size: 32
    .workgroup_processor_mode: 1
  - .args:
      - .address_space:  global
        .offset:         0
        .size:           8
        .value_kind:     global_buffer
      - .address_space:  global
        .offset:         8
        .size:           8
        .value_kind:     global_buffer
      - .address_space:  global
        .offset:         16
        .size:           8
        .value_kind:     global_buffer
      - .offset:         24
        .size:           4
        .value_kind:     by_value
      - .offset:         28
        .size:           4
        .value_kind:     by_value
      - .offset:         32
        .size:           4
        .value_kind:     by_value
      - .address_space:  global
        .offset:         40
        .size:           8
        .value_kind:     global_buffer
      - .offset:         48
        .size:           4
        .value_kind:     hidden_block_count_x
      - .offset:         52
        .size:           4
        .value_kind:     hidden_block_count_y
      - .offset:         56
        .size:           4
        .value_kind:     hidden_block_count_z
      - .offset:         60
        .size:           2
        .value_kind:     hidden_group_size_x
      - .offset:         62
        .size:           2
        .value_kind:     hidden_group_size_y
      - .offset:         64
        .size:           2
        .value_kind:     hidden_group_size_z
      - .offset:         66
        .size:           2
        .value_kind:     hidden_remainder_x
      - .offset:         68
        .size:           2
        .value_kind:     hidden_remainder_y
      - .offset:         70
        .size:           2
        .value_kind:     hidden_remainder_z
      - .offset:         88
        .size:           8
        .value_kind:     hidden_global_offset_x
      - .offset:         96
        .size:           8
        .value_kind:     hidden_global_offset_y
      - .offset:         104
        .size:           8
        .value_kind:     hidden_global_offset_z
      - .offset:         112
        .size:           2
        .value_kind:     hidden_grid_dims
    .group_segment_fixed_size: 0
    .kernarg_segment_align: 8
    .kernarg_segment_size: 304
    .language:       OpenCL C
    .language_version:
      - 2
      - 0
    .max_flat_workgroup_size: 1024
    .name:           _ZN12_GLOBAL__N_121softmax_warp_backwardIfN3c104HalfEfLi4ELb0ELb0ELi32EEEvPT0_PKT_S7_iiiPKb
    .private_segment_fixed_size: 0
    .sgpr_count:     18
    .sgpr_spill_count: 0
    .symbol:         _ZN12_GLOBAL__N_121softmax_warp_backwardIfN3c104HalfEfLi4ELb0ELb0ELi32EEEvPT0_PKT_S7_iiiPKb.kd
    .uniform_work_group_size: 1
    .uses_dynamic_stack: false
    .vgpr_count:     14
    .vgpr_spill_count: 0
    .wavefront_size: 32
    .workgroup_processor_mode: 1
  - .args:
      - .address_space:  global
        .offset:         0
        .size:           8
        .value_kind:     global_buffer
      - .address_space:  global
        .offset:         8
        .size:           8
        .value_kind:     global_buffer
      - .address_space:  global
        .offset:         16
        .size:           8
        .value_kind:     global_buffer
      - .offset:         24
        .size:           4
        .value_kind:     by_value
      - .offset:         28
        .size:           4
        .value_kind:     by_value
      - .offset:         32
        .size:           4
        .value_kind:     by_value
      - .address_space:  global
        .offset:         40
        .size:           8
        .value_kind:     global_buffer
      - .offset:         48
        .size:           4
        .value_kind:     hidden_block_count_x
      - .offset:         52
        .size:           4
        .value_kind:     hidden_block_count_y
      - .offset:         56
        .size:           4
        .value_kind:     hidden_block_count_z
      - .offset:         60
        .size:           2
        .value_kind:     hidden_group_size_x
      - .offset:         62
        .size:           2
        .value_kind:     hidden_group_size_y
      - .offset:         64
        .size:           2
        .value_kind:     hidden_group_size_z
      - .offset:         66
        .size:           2
        .value_kind:     hidden_remainder_x
      - .offset:         68
        .size:           2
        .value_kind:     hidden_remainder_y
      - .offset:         70
        .size:           2
        .value_kind:     hidden_remainder_z
      - .offset:         88
        .size:           8
        .value_kind:     hidden_global_offset_x
      - .offset:         96
        .size:           8
        .value_kind:     hidden_global_offset_y
      - .offset:         104
        .size:           8
        .value_kind:     hidden_global_offset_z
      - .offset:         112
        .size:           2
        .value_kind:     hidden_grid_dims
    .group_segment_fixed_size: 0
    .kernarg_segment_align: 8
    .kernarg_segment_size: 304
    .language:       OpenCL C
    .language_version:
      - 2
      - 0
    .max_flat_workgroup_size: 1024
    .name:           _ZN12_GLOBAL__N_121softmax_warp_backwardIfN3c104HalfEfLi5ELb0ELb0ELi64EEEvPT0_PKT_S7_iiiPKb
    .private_segment_fixed_size: 0
    .sgpr_count:     18
    .sgpr_spill_count: 0
    .symbol:         _ZN12_GLOBAL__N_121softmax_warp_backwardIfN3c104HalfEfLi5ELb0ELb0ELi64EEEvPT0_PKT_S7_iiiPKb.kd
    .uniform_work_group_size: 1
    .uses_dynamic_stack: false
    .vgpr_count:     13
    .vgpr_spill_count: 0
    .wavefront_size: 32
    .workgroup_processor_mode: 1
  - .args:
      - .address_space:  global
        .offset:         0
        .size:           8
        .value_kind:     global_buffer
      - .address_space:  global
        .offset:         8
        .size:           8
        .value_kind:     global_buffer
      - .address_space:  global
        .offset:         16
        .size:           8
        .value_kind:     global_buffer
      - .offset:         24
        .size:           4
        .value_kind:     by_value
      - .offset:         28
        .size:           4
        .value_kind:     by_value
      - .offset:         32
        .size:           4
        .value_kind:     by_value
      - .address_space:  global
        .offset:         40
        .size:           8
        .value_kind:     global_buffer
      - .offset:         48
        .size:           4
        .value_kind:     hidden_block_count_x
      - .offset:         52
        .size:           4
        .value_kind:     hidden_block_count_y
      - .offset:         56
        .size:           4
        .value_kind:     hidden_block_count_z
      - .offset:         60
        .size:           2
        .value_kind:     hidden_group_size_x
      - .offset:         62
        .size:           2
        .value_kind:     hidden_group_size_y
      - .offset:         64
        .size:           2
        .value_kind:     hidden_group_size_z
      - .offset:         66
        .size:           2
        .value_kind:     hidden_remainder_x
      - .offset:         68
        .size:           2
        .value_kind:     hidden_remainder_y
      - .offset:         70
        .size:           2
        .value_kind:     hidden_remainder_z
      - .offset:         88
        .size:           8
        .value_kind:     hidden_global_offset_x
      - .offset:         96
        .size:           8
        .value_kind:     hidden_global_offset_y
      - .offset:         104
        .size:           8
        .value_kind:     hidden_global_offset_z
      - .offset:         112
        .size:           2
        .value_kind:     hidden_grid_dims
    .group_segment_fixed_size: 0
    .kernarg_segment_align: 8
    .kernarg_segment_size: 304
    .language:       OpenCL C
    .language_version:
      - 2
      - 0
    .max_flat_workgroup_size: 1024
    .name:           _ZN12_GLOBAL__N_121softmax_warp_backwardIfN3c104HalfEfLi5ELb0ELb0ELi32EEEvPT0_PKT_S7_iiiPKb
    .private_segment_fixed_size: 0
    .sgpr_count:     18
    .sgpr_spill_count: 0
    .symbol:         _ZN12_GLOBAL__N_121softmax_warp_backwardIfN3c104HalfEfLi5ELb0ELb0ELi32EEEvPT0_PKT_S7_iiiPKb.kd
    .uniform_work_group_size: 1
    .uses_dynamic_stack: false
    .vgpr_count:     13
    .vgpr_spill_count: 0
    .wavefront_size: 32
    .workgroup_processor_mode: 1
  - .args:
      - .address_space:  global
        .offset:         0
        .size:           8
        .value_kind:     global_buffer
      - .address_space:  global
        .offset:         8
        .size:           8
        .value_kind:     global_buffer
      - .address_space:  global
        .offset:         16
        .size:           8
        .value_kind:     global_buffer
      - .offset:         24
        .size:           4
        .value_kind:     by_value
      - .offset:         28
        .size:           4
        .value_kind:     by_value
      - .offset:         32
        .size:           4
        .value_kind:     by_value
      - .address_space:  global
        .offset:         40
        .size:           8
        .value_kind:     global_buffer
      - .offset:         48
        .size:           4
        .value_kind:     hidden_block_count_x
      - .offset:         52
        .size:           4
        .value_kind:     hidden_block_count_y
      - .offset:         56
        .size:           4
        .value_kind:     hidden_block_count_z
      - .offset:         60
        .size:           2
        .value_kind:     hidden_group_size_x
      - .offset:         62
        .size:           2
        .value_kind:     hidden_group_size_y
      - .offset:         64
        .size:           2
        .value_kind:     hidden_group_size_z
      - .offset:         66
        .size:           2
        .value_kind:     hidden_remainder_x
      - .offset:         68
        .size:           2
        .value_kind:     hidden_remainder_y
      - .offset:         70
        .size:           2
        .value_kind:     hidden_remainder_z
      - .offset:         88
        .size:           8
        .value_kind:     hidden_global_offset_x
      - .offset:         96
        .size:           8
        .value_kind:     hidden_global_offset_y
      - .offset:         104
        .size:           8
        .value_kind:     hidden_global_offset_z
      - .offset:         112
        .size:           2
        .value_kind:     hidden_grid_dims
    .group_segment_fixed_size: 0
    .kernarg_segment_align: 8
    .kernarg_segment_size: 304
    .language:       OpenCL C
    .language_version:
      - 2
      - 0
    .max_flat_workgroup_size: 1024
    .name:           _ZN12_GLOBAL__N_121softmax_warp_backwardIfN3c104HalfEfLi6ELb0ELb0ELi64EEEvPT0_PKT_S7_iiiPKb
    .private_segment_fixed_size: 0
    .sgpr_count:     18
    .sgpr_spill_count: 0
    .symbol:         _ZN12_GLOBAL__N_121softmax_warp_backwardIfN3c104HalfEfLi6ELb0ELb0ELi64EEEvPT0_PKT_S7_iiiPKb.kd
    .uniform_work_group_size: 1
    .uses_dynamic_stack: false
    .vgpr_count:     13
    .vgpr_spill_count: 0
    .wavefront_size: 32
    .workgroup_processor_mode: 1
  - .args:
      - .address_space:  global
        .offset:         0
        .size:           8
        .value_kind:     global_buffer
      - .address_space:  global
        .offset:         8
        .size:           8
        .value_kind:     global_buffer
      - .address_space:  global
        .offset:         16
        .size:           8
        .value_kind:     global_buffer
      - .offset:         24
        .size:           4
        .value_kind:     by_value
      - .offset:         28
        .size:           4
        .value_kind:     by_value
      - .offset:         32
        .size:           4
        .value_kind:     by_value
      - .address_space:  global
        .offset:         40
        .size:           8
        .value_kind:     global_buffer
      - .offset:         48
        .size:           4
        .value_kind:     hidden_block_count_x
      - .offset:         52
        .size:           4
        .value_kind:     hidden_block_count_y
      - .offset:         56
        .size:           4
        .value_kind:     hidden_block_count_z
      - .offset:         60
        .size:           2
        .value_kind:     hidden_group_size_x
      - .offset:         62
        .size:           2
        .value_kind:     hidden_group_size_y
      - .offset:         64
        .size:           2
        .value_kind:     hidden_group_size_z
      - .offset:         66
        .size:           2
        .value_kind:     hidden_remainder_x
      - .offset:         68
        .size:           2
        .value_kind:     hidden_remainder_y
      - .offset:         70
        .size:           2
        .value_kind:     hidden_remainder_z
      - .offset:         88
        .size:           8
        .value_kind:     hidden_global_offset_x
      - .offset:         96
        .size:           8
        .value_kind:     hidden_global_offset_y
      - .offset:         104
        .size:           8
        .value_kind:     hidden_global_offset_z
      - .offset:         112
        .size:           2
        .value_kind:     hidden_grid_dims
    .group_segment_fixed_size: 0
    .kernarg_segment_align: 8
    .kernarg_segment_size: 304
    .language:       OpenCL C
    .language_version:
      - 2
      - 0
    .max_flat_workgroup_size: 1024
    .name:           _ZN12_GLOBAL__N_121softmax_warp_backwardIfN3c104HalfEfLi6ELb0ELb0ELi32EEEvPT0_PKT_S7_iiiPKb
    .private_segment_fixed_size: 0
    .sgpr_count:     18
    .sgpr_spill_count: 0
    .symbol:         _ZN12_GLOBAL__N_121softmax_warp_backwardIfN3c104HalfEfLi6ELb0ELb0ELi32EEEvPT0_PKT_S7_iiiPKb.kd
    .uniform_work_group_size: 1
    .uses_dynamic_stack: false
    .vgpr_count:     17
    .vgpr_spill_count: 0
    .wavefront_size: 32
    .workgroup_processor_mode: 1
  - .args:
      - .address_space:  global
        .offset:         0
        .size:           8
        .value_kind:     global_buffer
      - .address_space:  global
        .offset:         8
        .size:           8
        .value_kind:     global_buffer
      - .address_space:  global
        .offset:         16
        .size:           8
        .value_kind:     global_buffer
      - .offset:         24
        .size:           4
        .value_kind:     by_value
      - .offset:         28
        .size:           4
        .value_kind:     by_value
      - .offset:         32
        .size:           4
        .value_kind:     by_value
      - .address_space:  global
        .offset:         40
        .size:           8
        .value_kind:     global_buffer
      - .offset:         48
        .size:           4
        .value_kind:     hidden_block_count_x
      - .offset:         52
        .size:           4
        .value_kind:     hidden_block_count_y
      - .offset:         56
        .size:           4
        .value_kind:     hidden_block_count_z
      - .offset:         60
        .size:           2
        .value_kind:     hidden_group_size_x
      - .offset:         62
        .size:           2
        .value_kind:     hidden_group_size_y
      - .offset:         64
        .size:           2
        .value_kind:     hidden_group_size_z
      - .offset:         66
        .size:           2
        .value_kind:     hidden_remainder_x
      - .offset:         68
        .size:           2
        .value_kind:     hidden_remainder_y
      - .offset:         70
        .size:           2
        .value_kind:     hidden_remainder_z
      - .offset:         88
        .size:           8
        .value_kind:     hidden_global_offset_x
      - .offset:         96
        .size:           8
        .value_kind:     hidden_global_offset_y
      - .offset:         104
        .size:           8
        .value_kind:     hidden_global_offset_z
      - .offset:         112
        .size:           2
        .value_kind:     hidden_grid_dims
    .group_segment_fixed_size: 0
    .kernarg_segment_align: 8
    .kernarg_segment_size: 304
    .language:       OpenCL C
    .language_version:
      - 2
      - 0
    .max_flat_workgroup_size: 1024
    .name:           _ZN12_GLOBAL__N_121softmax_warp_backwardIfN3c104HalfEfLi7ELb0ELb0ELi64EEEvPT0_PKT_S7_iiiPKb
    .private_segment_fixed_size: 0
    .sgpr_count:     18
    .sgpr_spill_count: 0
    .symbol:         _ZN12_GLOBAL__N_121softmax_warp_backwardIfN3c104HalfEfLi7ELb0ELb0ELi64EEEvPT0_PKT_S7_iiiPKb.kd
    .uniform_work_group_size: 1
    .uses_dynamic_stack: false
    .vgpr_count:     17
    .vgpr_spill_count: 0
    .wavefront_size: 32
    .workgroup_processor_mode: 1
  - .args:
      - .address_space:  global
        .offset:         0
        .size:           8
        .value_kind:     global_buffer
      - .address_space:  global
        .offset:         8
        .size:           8
        .value_kind:     global_buffer
      - .address_space:  global
        .offset:         16
        .size:           8
        .value_kind:     global_buffer
      - .offset:         24
        .size:           4
        .value_kind:     by_value
      - .offset:         28
        .size:           4
        .value_kind:     by_value
      - .offset:         32
        .size:           4
        .value_kind:     by_value
      - .address_space:  global
        .offset:         40
        .size:           8
        .value_kind:     global_buffer
      - .offset:         48
        .size:           4
        .value_kind:     hidden_block_count_x
      - .offset:         52
        .size:           4
        .value_kind:     hidden_block_count_y
      - .offset:         56
        .size:           4
        .value_kind:     hidden_block_count_z
      - .offset:         60
        .size:           2
        .value_kind:     hidden_group_size_x
      - .offset:         62
        .size:           2
        .value_kind:     hidden_group_size_y
      - .offset:         64
        .size:           2
        .value_kind:     hidden_group_size_z
      - .offset:         66
        .size:           2
        .value_kind:     hidden_remainder_x
      - .offset:         68
        .size:           2
        .value_kind:     hidden_remainder_y
      - .offset:         70
        .size:           2
        .value_kind:     hidden_remainder_z
      - .offset:         88
        .size:           8
        .value_kind:     hidden_global_offset_x
      - .offset:         96
        .size:           8
        .value_kind:     hidden_global_offset_y
      - .offset:         104
        .size:           8
        .value_kind:     hidden_global_offset_z
      - .offset:         112
        .size:           2
        .value_kind:     hidden_grid_dims
    .group_segment_fixed_size: 0
    .kernarg_segment_align: 8
    .kernarg_segment_size: 304
    .language:       OpenCL C
    .language_version:
      - 2
      - 0
    .max_flat_workgroup_size: 1024
    .name:           _ZN12_GLOBAL__N_121softmax_warp_backwardIfN3c104HalfEfLi7ELb0ELb0ELi32EEEvPT0_PKT_S7_iiiPKb
    .private_segment_fixed_size: 0
    .sgpr_count:     18
    .sgpr_spill_count: 0
    .symbol:         _ZN12_GLOBAL__N_121softmax_warp_backwardIfN3c104HalfEfLi7ELb0ELb0ELi32EEEvPT0_PKT_S7_iiiPKb.kd
    .uniform_work_group_size: 1
    .uses_dynamic_stack: false
    .vgpr_count:     25
    .vgpr_spill_count: 0
    .wavefront_size: 32
    .workgroup_processor_mode: 1
  - .args:
      - .address_space:  global
        .offset:         0
        .size:           8
        .value_kind:     global_buffer
      - .address_space:  global
        .offset:         8
        .size:           8
        .value_kind:     global_buffer
      - .address_space:  global
        .offset:         16
        .size:           8
        .value_kind:     global_buffer
      - .offset:         24
        .size:           4
        .value_kind:     by_value
      - .offset:         28
        .size:           4
        .value_kind:     by_value
      - .offset:         32
        .size:           4
        .value_kind:     by_value
      - .address_space:  global
        .offset:         40
        .size:           8
        .value_kind:     global_buffer
      - .offset:         48
        .size:           4
        .value_kind:     hidden_block_count_x
      - .offset:         52
        .size:           4
        .value_kind:     hidden_block_count_y
      - .offset:         56
        .size:           4
        .value_kind:     hidden_block_count_z
      - .offset:         60
        .size:           2
        .value_kind:     hidden_group_size_x
      - .offset:         62
        .size:           2
        .value_kind:     hidden_group_size_y
      - .offset:         64
        .size:           2
        .value_kind:     hidden_group_size_z
      - .offset:         66
        .size:           2
        .value_kind:     hidden_remainder_x
      - .offset:         68
        .size:           2
        .value_kind:     hidden_remainder_y
      - .offset:         70
        .size:           2
        .value_kind:     hidden_remainder_z
      - .offset:         88
        .size:           8
        .value_kind:     hidden_global_offset_x
      - .offset:         96
        .size:           8
        .value_kind:     hidden_global_offset_y
      - .offset:         104
        .size:           8
        .value_kind:     hidden_global_offset_z
      - .offset:         112
        .size:           2
        .value_kind:     hidden_grid_dims
    .group_segment_fixed_size: 0
    .kernarg_segment_align: 8
    .kernarg_segment_size: 304
    .language:       OpenCL C
    .language_version:
      - 2
      - 0
    .max_flat_workgroup_size: 1024
    .name:           _ZN12_GLOBAL__N_121softmax_warp_backwardIfN3c104HalfEfLi8ELb0ELb0ELi64EEEvPT0_PKT_S7_iiiPKb
    .private_segment_fixed_size: 0
    .sgpr_count:     18
    .sgpr_spill_count: 0
    .symbol:         _ZN12_GLOBAL__N_121softmax_warp_backwardIfN3c104HalfEfLi8ELb0ELb0ELi64EEEvPT0_PKT_S7_iiiPKb.kd
    .uniform_work_group_size: 1
    .uses_dynamic_stack: false
    .vgpr_count:     15
    .vgpr_spill_count: 0
    .wavefront_size: 32
    .workgroup_processor_mode: 1
  - .args:
      - .address_space:  global
        .offset:         0
        .size:           8
        .value_kind:     global_buffer
      - .address_space:  global
        .offset:         8
        .size:           8
        .value_kind:     global_buffer
      - .address_space:  global
        .offset:         16
        .size:           8
        .value_kind:     global_buffer
      - .offset:         24
        .size:           4
        .value_kind:     by_value
      - .offset:         28
        .size:           4
        .value_kind:     by_value
      - .offset:         32
        .size:           4
        .value_kind:     by_value
      - .address_space:  global
        .offset:         40
        .size:           8
        .value_kind:     global_buffer
      - .offset:         48
        .size:           4
        .value_kind:     hidden_block_count_x
      - .offset:         52
        .size:           4
        .value_kind:     hidden_block_count_y
      - .offset:         56
        .size:           4
        .value_kind:     hidden_block_count_z
      - .offset:         60
        .size:           2
        .value_kind:     hidden_group_size_x
      - .offset:         62
        .size:           2
        .value_kind:     hidden_group_size_y
      - .offset:         64
        .size:           2
        .value_kind:     hidden_group_size_z
      - .offset:         66
        .size:           2
        .value_kind:     hidden_remainder_x
      - .offset:         68
        .size:           2
        .value_kind:     hidden_remainder_y
      - .offset:         70
        .size:           2
        .value_kind:     hidden_remainder_z
      - .offset:         88
        .size:           8
        .value_kind:     hidden_global_offset_x
      - .offset:         96
        .size:           8
        .value_kind:     hidden_global_offset_y
      - .offset:         104
        .size:           8
        .value_kind:     hidden_global_offset_z
      - .offset:         112
        .size:           2
        .value_kind:     hidden_grid_dims
    .group_segment_fixed_size: 0
    .kernarg_segment_align: 8
    .kernarg_segment_size: 304
    .language:       OpenCL C
    .language_version:
      - 2
      - 0
    .max_flat_workgroup_size: 1024
    .name:           _ZN12_GLOBAL__N_121softmax_warp_backwardIfN3c104HalfEfLi8ELb0ELb0ELi32EEEvPT0_PKT_S7_iiiPKb
    .private_segment_fixed_size: 0
    .sgpr_count:     18
    .sgpr_spill_count: 0
    .symbol:         _ZN12_GLOBAL__N_121softmax_warp_backwardIfN3c104HalfEfLi8ELb0ELb0ELi32EEEvPT0_PKT_S7_iiiPKb.kd
    .uniform_work_group_size: 1
    .uses_dynamic_stack: false
    .vgpr_count:     23
    .vgpr_spill_count: 0
    .wavefront_size: 32
    .workgroup_processor_mode: 1
  - .args:
      - .address_space:  global
        .offset:         0
        .size:           8
        .value_kind:     global_buffer
      - .address_space:  global
        .offset:         8
        .size:           8
        .value_kind:     global_buffer
      - .address_space:  global
        .offset:         16
        .size:           8
        .value_kind:     global_buffer
      - .offset:         24
        .size:           4
        .value_kind:     by_value
      - .offset:         28
        .size:           4
        .value_kind:     by_value
      - .offset:         32
        .size:           4
        .value_kind:     by_value
      - .address_space:  global
        .offset:         40
        .size:           8
        .value_kind:     global_buffer
      - .offset:         48
        .size:           4
        .value_kind:     hidden_block_count_x
      - .offset:         52
        .size:           4
        .value_kind:     hidden_block_count_y
      - .offset:         56
        .size:           4
        .value_kind:     hidden_block_count_z
      - .offset:         60
        .size:           2
        .value_kind:     hidden_group_size_x
      - .offset:         62
        .size:           2
        .value_kind:     hidden_group_size_y
      - .offset:         64
        .size:           2
        .value_kind:     hidden_group_size_z
      - .offset:         66
        .size:           2
        .value_kind:     hidden_remainder_x
      - .offset:         68
        .size:           2
        .value_kind:     hidden_remainder_y
      - .offset:         70
        .size:           2
        .value_kind:     hidden_remainder_z
      - .offset:         88
        .size:           8
        .value_kind:     hidden_global_offset_x
      - .offset:         96
        .size:           8
        .value_kind:     hidden_global_offset_y
      - .offset:         104
        .size:           8
        .value_kind:     hidden_global_offset_z
      - .offset:         112
        .size:           2
        .value_kind:     hidden_grid_dims
    .group_segment_fixed_size: 0
    .kernarg_segment_align: 8
    .kernarg_segment_size: 304
    .language:       OpenCL C
    .language_version:
      - 2
      - 0
    .max_flat_workgroup_size: 1024
    .name:           _ZN12_GLOBAL__N_121softmax_warp_backwardIfN3c104HalfEfLi9ELb0ELb0ELi64EEEvPT0_PKT_S7_iiiPKb
    .private_segment_fixed_size: 0
    .sgpr_count:     18
    .sgpr_spill_count: 0
    .symbol:         _ZN12_GLOBAL__N_121softmax_warp_backwardIfN3c104HalfEfLi9ELb0ELb0ELi64EEEvPT0_PKT_S7_iiiPKb.kd
    .uniform_work_group_size: 1
    .uses_dynamic_stack: false
    .vgpr_count:     23
    .vgpr_spill_count: 0
    .wavefront_size: 32
    .workgroup_processor_mode: 1
  - .args:
      - .address_space:  global
        .offset:         0
        .size:           8
        .value_kind:     global_buffer
      - .address_space:  global
        .offset:         8
        .size:           8
        .value_kind:     global_buffer
      - .address_space:  global
        .offset:         16
        .size:           8
        .value_kind:     global_buffer
      - .offset:         24
        .size:           4
        .value_kind:     by_value
      - .offset:         28
        .size:           4
        .value_kind:     by_value
      - .offset:         32
        .size:           4
        .value_kind:     by_value
      - .address_space:  global
        .offset:         40
        .size:           8
        .value_kind:     global_buffer
      - .offset:         48
        .size:           4
        .value_kind:     hidden_block_count_x
      - .offset:         52
        .size:           4
        .value_kind:     hidden_block_count_y
      - .offset:         56
        .size:           4
        .value_kind:     hidden_block_count_z
      - .offset:         60
        .size:           2
        .value_kind:     hidden_group_size_x
      - .offset:         62
        .size:           2
        .value_kind:     hidden_group_size_y
      - .offset:         64
        .size:           2
        .value_kind:     hidden_group_size_z
      - .offset:         66
        .size:           2
        .value_kind:     hidden_remainder_x
      - .offset:         68
        .size:           2
        .value_kind:     hidden_remainder_y
      - .offset:         70
        .size:           2
        .value_kind:     hidden_remainder_z
      - .offset:         88
        .size:           8
        .value_kind:     hidden_global_offset_x
      - .offset:         96
        .size:           8
        .value_kind:     hidden_global_offset_y
      - .offset:         104
        .size:           8
        .value_kind:     hidden_global_offset_z
      - .offset:         112
        .size:           2
        .value_kind:     hidden_grid_dims
    .group_segment_fixed_size: 0
    .kernarg_segment_align: 8
    .kernarg_segment_size: 304
    .language:       OpenCL C
    .language_version:
      - 2
      - 0
    .max_flat_workgroup_size: 1024
    .name:           _ZN12_GLOBAL__N_121softmax_warp_backwardIfN3c104HalfEfLi9ELb0ELb0ELi32EEEvPT0_PKT_S7_iiiPKb
    .private_segment_fixed_size: 0
    .sgpr_count:     26
    .sgpr_spill_count: 0
    .symbol:         _ZN12_GLOBAL__N_121softmax_warp_backwardIfN3c104HalfEfLi9ELb0ELb0ELi32EEEvPT0_PKT_S7_iiiPKb.kd
    .uniform_work_group_size: 1
    .uses_dynamic_stack: false
    .vgpr_count:     39
    .vgpr_spill_count: 0
    .wavefront_size: 32
    .workgroup_processor_mode: 1
  - .args:
      - .address_space:  global
        .offset:         0
        .size:           8
        .value_kind:     global_buffer
      - .address_space:  global
        .offset:         8
        .size:           8
        .value_kind:     global_buffer
      - .address_space:  global
        .offset:         16
        .size:           8
        .value_kind:     global_buffer
      - .offset:         24
        .size:           4
        .value_kind:     by_value
      - .offset:         28
        .size:           4
        .value_kind:     by_value
      - .offset:         32
        .size:           4
        .value_kind:     by_value
      - .address_space:  global
        .offset:         40
        .size:           8
        .value_kind:     global_buffer
      - .offset:         48
        .size:           4
        .value_kind:     hidden_block_count_x
      - .offset:         52
        .size:           4
        .value_kind:     hidden_block_count_y
      - .offset:         56
        .size:           4
        .value_kind:     hidden_block_count_z
      - .offset:         60
        .size:           2
        .value_kind:     hidden_group_size_x
      - .offset:         62
        .size:           2
        .value_kind:     hidden_group_size_y
      - .offset:         64
        .size:           2
        .value_kind:     hidden_group_size_z
      - .offset:         66
        .size:           2
        .value_kind:     hidden_remainder_x
      - .offset:         68
        .size:           2
        .value_kind:     hidden_remainder_y
      - .offset:         70
        .size:           2
        .value_kind:     hidden_remainder_z
      - .offset:         88
        .size:           8
        .value_kind:     hidden_global_offset_x
      - .offset:         96
        .size:           8
        .value_kind:     hidden_global_offset_y
      - .offset:         104
        .size:           8
        .value_kind:     hidden_global_offset_z
      - .offset:         112
        .size:           2
        .value_kind:     hidden_grid_dims
    .group_segment_fixed_size: 0
    .kernarg_segment_align: 8
    .kernarg_segment_size: 304
    .language:       OpenCL C
    .language_version:
      - 2
      - 0
    .max_flat_workgroup_size: 1024
    .name:           _ZN12_GLOBAL__N_121softmax_warp_backwardIfN3c104HalfEfLi10ELb0ELb0ELi64EEEvPT0_PKT_S7_iiiPKb
    .private_segment_fixed_size: 0
    .sgpr_count:     26
    .sgpr_spill_count: 0
    .symbol:         _ZN12_GLOBAL__N_121softmax_warp_backwardIfN3c104HalfEfLi10ELb0ELb0ELi64EEEvPT0_PKT_S7_iiiPKb.kd
    .uniform_work_group_size: 1
    .uses_dynamic_stack: false
    .vgpr_count:     39
    .vgpr_spill_count: 0
    .wavefront_size: 32
    .workgroup_processor_mode: 1
  - .args:
      - .address_space:  global
        .offset:         0
        .size:           8
        .value_kind:     global_buffer
      - .address_space:  global
        .offset:         8
        .size:           8
        .value_kind:     global_buffer
      - .address_space:  global
        .offset:         16
        .size:           8
        .value_kind:     global_buffer
      - .offset:         24
        .size:           4
        .value_kind:     by_value
      - .offset:         28
        .size:           4
        .value_kind:     by_value
      - .offset:         32
        .size:           4
        .value_kind:     by_value
      - .address_space:  global
        .offset:         40
        .size:           8
        .value_kind:     global_buffer
      - .offset:         48
        .size:           4
        .value_kind:     hidden_block_count_x
      - .offset:         52
        .size:           4
        .value_kind:     hidden_block_count_y
      - .offset:         56
        .size:           4
        .value_kind:     hidden_block_count_z
      - .offset:         60
        .size:           2
        .value_kind:     hidden_group_size_x
      - .offset:         62
        .size:           2
        .value_kind:     hidden_group_size_y
      - .offset:         64
        .size:           2
        .value_kind:     hidden_group_size_z
      - .offset:         66
        .size:           2
        .value_kind:     hidden_remainder_x
      - .offset:         68
        .size:           2
        .value_kind:     hidden_remainder_y
      - .offset:         70
        .size:           2
        .value_kind:     hidden_remainder_z
      - .offset:         88
        .size:           8
        .value_kind:     hidden_global_offset_x
      - .offset:         96
        .size:           8
        .value_kind:     hidden_global_offset_y
      - .offset:         104
        .size:           8
        .value_kind:     hidden_global_offset_z
      - .offset:         112
        .size:           2
        .value_kind:     hidden_grid_dims
    .group_segment_fixed_size: 0
    .kernarg_segment_align: 8
    .kernarg_segment_size: 304
    .language:       OpenCL C
    .language_version:
      - 2
      - 0
    .max_flat_workgroup_size: 1024
    .name:           _ZN12_GLOBAL__N_121softmax_warp_backwardIfN3c104HalfEfLi10ELb0ELb0ELi32EEEvPT0_PKT_S7_iiiPKb
    .private_segment_fixed_size: 0
    .sgpr_count:     46
    .sgpr_spill_count: 0
    .symbol:         _ZN12_GLOBAL__N_121softmax_warp_backwardIfN3c104HalfEfLi10ELb0ELb0ELi32EEEvPT0_PKT_S7_iiiPKb.kd
    .uniform_work_group_size: 1
    .uses_dynamic_stack: false
    .vgpr_count:     71
    .vgpr_spill_count: 0
    .wavefront_size: 32
    .workgroup_processor_mode: 1
  - .args:
      - .address_space:  global
        .offset:         0
        .size:           8
        .value_kind:     global_buffer
      - .address_space:  global
        .offset:         8
        .size:           8
        .value_kind:     global_buffer
      - .address_space:  global
        .offset:         16
        .size:           8
        .value_kind:     global_buffer
      - .offset:         24
        .size:           8
        .value_kind:     by_value
      - .offset:         32
        .size:           4
        .value_kind:     hidden_block_count_x
      - .offset:         36
        .size:           4
        .value_kind:     hidden_block_count_y
      - .offset:         40
        .size:           4
        .value_kind:     hidden_block_count_z
      - .offset:         44
        .size:           2
        .value_kind:     hidden_group_size_x
      - .offset:         46
        .size:           2
        .value_kind:     hidden_group_size_y
      - .offset:         48
        .size:           2
        .value_kind:     hidden_group_size_z
      - .offset:         50
        .size:           2
        .value_kind:     hidden_remainder_x
      - .offset:         52
        .size:           2
        .value_kind:     hidden_remainder_y
      - .offset:         54
        .size:           2
        .value_kind:     hidden_remainder_z
      - .offset:         72
        .size:           8
        .value_kind:     hidden_global_offset_x
      - .offset:         80
        .size:           8
        .value_kind:     hidden_global_offset_y
      - .offset:         88
        .size:           8
        .value_kind:     hidden_global_offset_z
      - .offset:         96
        .size:           2
        .value_kind:     hidden_grid_dims
      - .offset:         152
        .size:           4
        .value_kind:     hidden_dynamic_lds_size
    .group_segment_fixed_size: 0
    .kernarg_segment_align: 8
    .kernarg_segment_size: 288
    .language:       OpenCL C
    .language_version:
      - 2
      - 0
    .max_flat_workgroup_size: 1024
    .name:           _ZN2at6native12_GLOBAL__N_124cunn_SoftMaxBackwardSmemILi4EN3c104HalfEffNS1_23SoftMaxBackwardEpilogueEEEvPT0_PKT2_SA_l
    .private_segment_fixed_size: 0
    .sgpr_count:     20
    .sgpr_spill_count: 0
    .symbol:         _ZN2at6native12_GLOBAL__N_124cunn_SoftMaxBackwardSmemILi4EN3c104HalfEffNS1_23SoftMaxBackwardEpilogueEEEvPT0_PKT2_SA_l.kd
    .uniform_work_group_size: 1
    .uses_dynamic_stack: false
    .vgpr_count:     18
    .vgpr_spill_count: 0
    .wavefront_size: 32
    .workgroup_processor_mode: 1
  - .args:
      - .address_space:  global
        .offset:         0
        .size:           8
        .value_kind:     global_buffer
      - .address_space:  global
        .offset:         8
        .size:           8
        .value_kind:     global_buffer
      - .address_space:  global
        .offset:         16
        .size:           8
        .value_kind:     global_buffer
      - .offset:         24
        .size:           8
        .value_kind:     by_value
      - .offset:         32
        .size:           4
        .value_kind:     hidden_block_count_x
      - .offset:         36
        .size:           4
        .value_kind:     hidden_block_count_y
      - .offset:         40
        .size:           4
        .value_kind:     hidden_block_count_z
      - .offset:         44
        .size:           2
        .value_kind:     hidden_group_size_x
      - .offset:         46
        .size:           2
        .value_kind:     hidden_group_size_y
      - .offset:         48
        .size:           2
        .value_kind:     hidden_group_size_z
      - .offset:         50
        .size:           2
        .value_kind:     hidden_remainder_x
      - .offset:         52
        .size:           2
        .value_kind:     hidden_remainder_y
      - .offset:         54
        .size:           2
        .value_kind:     hidden_remainder_z
      - .offset:         72
        .size:           8
        .value_kind:     hidden_global_offset_x
      - .offset:         80
        .size:           8
        .value_kind:     hidden_global_offset_y
      - .offset:         88
        .size:           8
        .value_kind:     hidden_global_offset_z
      - .offset:         96
        .size:           2
        .value_kind:     hidden_grid_dims
      - .offset:         152
        .size:           4
        .value_kind:     hidden_dynamic_lds_size
    .group_segment_fixed_size: 0
    .kernarg_segment_align: 8
    .kernarg_segment_size: 288
    .language:       OpenCL C
    .language_version:
      - 2
      - 0
    .max_flat_workgroup_size: 1024
    .name:           _ZN2at6native12_GLOBAL__N_120cunn_SoftMaxBackwardILi4EN3c104HalfEffNS1_23SoftMaxBackwardEpilogueEEEvPT0_PKT2_SA_l
    .private_segment_fixed_size: 0
    .sgpr_count:     56
    .sgpr_spill_count: 0
    .symbol:         _ZN2at6native12_GLOBAL__N_120cunn_SoftMaxBackwardILi4EN3c104HalfEffNS1_23SoftMaxBackwardEpilogueEEEvPT0_PKT2_SA_l.kd
    .uniform_work_group_size: 1
    .uses_dynamic_stack: false
    .vgpr_count:     27
    .vgpr_spill_count: 0
    .wavefront_size: 32
    .workgroup_processor_mode: 1
  - .args:
      - .address_space:  global
        .offset:         0
        .size:           8
        .value_kind:     global_buffer
      - .address_space:  global
        .offset:         8
        .size:           8
        .value_kind:     global_buffer
      - .address_space:  global
        .offset:         16
        .size:           8
        .value_kind:     global_buffer
      - .offset:         24
        .size:           4
        .value_kind:     by_value
      - .offset:         28
        .size:           4
        .value_kind:     by_value
      - .offset:         32
        .size:           4
        .value_kind:     by_value
      - .address_space:  global
        .offset:         40
        .size:           8
        .value_kind:     global_buffer
      - .offset:         48
        .size:           4
        .value_kind:     hidden_block_count_x
      - .offset:         52
        .size:           4
        .value_kind:     hidden_block_count_y
      - .offset:         56
        .size:           4
        .value_kind:     hidden_block_count_z
      - .offset:         60
        .size:           2
        .value_kind:     hidden_group_size_x
      - .offset:         62
        .size:           2
        .value_kind:     hidden_group_size_y
      - .offset:         64
        .size:           2
        .value_kind:     hidden_group_size_z
      - .offset:         66
        .size:           2
        .value_kind:     hidden_remainder_x
      - .offset:         68
        .size:           2
        .value_kind:     hidden_remainder_y
      - .offset:         70
        .size:           2
        .value_kind:     hidden_remainder_z
      - .offset:         88
        .size:           8
        .value_kind:     hidden_global_offset_x
      - .offset:         96
        .size:           8
        .value_kind:     hidden_global_offset_y
      - .offset:         104
        .size:           8
        .value_kind:     hidden_global_offset_z
      - .offset:         112
        .size:           2
        .value_kind:     hidden_grid_dims
    .group_segment_fixed_size: 0
    .kernarg_segment_align: 8
    .kernarg_segment_size: 304
    .language:       OpenCL C
    .language_version:
      - 2
      - 0
    .max_flat_workgroup_size: 1024
    .name:           _ZN12_GLOBAL__N_121softmax_warp_backwardIN3c108BFloat16ES2_fLi0ELb0ELb0ELi64EEEvPT0_PKT_S7_iiiPKb
    .private_segment_fixed_size: 0
    .sgpr_count:     18
    .sgpr_spill_count: 0
    .symbol:         _ZN12_GLOBAL__N_121softmax_warp_backwardIN3c108BFloat16ES2_fLi0ELb0ELb0ELi64EEEvPT0_PKT_S7_iiiPKb.kd
    .uniform_work_group_size: 1
    .uses_dynamic_stack: false
    .vgpr_count:     11
    .vgpr_spill_count: 0
    .wavefront_size: 32
    .workgroup_processor_mode: 1
  - .args:
      - .address_space:  global
        .offset:         0
        .size:           8
        .value_kind:     global_buffer
      - .address_space:  global
        .offset:         8
        .size:           8
        .value_kind:     global_buffer
      - .address_space:  global
        .offset:         16
        .size:           8
        .value_kind:     global_buffer
      - .offset:         24
        .size:           4
        .value_kind:     by_value
      - .offset:         28
        .size:           4
        .value_kind:     by_value
      - .offset:         32
        .size:           4
        .value_kind:     by_value
      - .address_space:  global
        .offset:         40
        .size:           8
        .value_kind:     global_buffer
      - .offset:         48
        .size:           4
        .value_kind:     hidden_block_count_x
      - .offset:         52
        .size:           4
        .value_kind:     hidden_block_count_y
      - .offset:         56
        .size:           4
        .value_kind:     hidden_block_count_z
      - .offset:         60
        .size:           2
        .value_kind:     hidden_group_size_x
      - .offset:         62
        .size:           2
        .value_kind:     hidden_group_size_y
      - .offset:         64
        .size:           2
        .value_kind:     hidden_group_size_z
      - .offset:         66
        .size:           2
        .value_kind:     hidden_remainder_x
      - .offset:         68
        .size:           2
        .value_kind:     hidden_remainder_y
      - .offset:         70
        .size:           2
        .value_kind:     hidden_remainder_z
      - .offset:         88
        .size:           8
        .value_kind:     hidden_global_offset_x
      - .offset:         96
        .size:           8
        .value_kind:     hidden_global_offset_y
      - .offset:         104
        .size:           8
        .value_kind:     hidden_global_offset_z
      - .offset:         112
        .size:           2
        .value_kind:     hidden_grid_dims
    .group_segment_fixed_size: 0
    .kernarg_segment_align: 8
    .kernarg_segment_size: 304
    .language:       OpenCL C
    .language_version:
      - 2
      - 0
    .max_flat_workgroup_size: 1024
    .name:           _ZN12_GLOBAL__N_121softmax_warp_backwardIN3c108BFloat16ES2_fLi0ELb0ELb0ELi32EEEvPT0_PKT_S7_iiiPKb
    .private_segment_fixed_size: 0
    .sgpr_count:     18
    .sgpr_spill_count: 0
    .symbol:         _ZN12_GLOBAL__N_121softmax_warp_backwardIN3c108BFloat16ES2_fLi0ELb0ELb0ELi32EEEvPT0_PKT_S7_iiiPKb.kd
    .uniform_work_group_size: 1
    .uses_dynamic_stack: false
    .vgpr_count:     11
    .vgpr_spill_count: 0
    .wavefront_size: 32
    .workgroup_processor_mode: 1
  - .args:
      - .address_space:  global
        .offset:         0
        .size:           8
        .value_kind:     global_buffer
      - .address_space:  global
        .offset:         8
        .size:           8
        .value_kind:     global_buffer
      - .address_space:  global
        .offset:         16
        .size:           8
        .value_kind:     global_buffer
      - .offset:         24
        .size:           4
        .value_kind:     by_value
      - .offset:         28
        .size:           4
        .value_kind:     by_value
      - .offset:         32
        .size:           4
        .value_kind:     by_value
      - .address_space:  global
        .offset:         40
        .size:           8
        .value_kind:     global_buffer
      - .offset:         48
        .size:           4
        .value_kind:     hidden_block_count_x
      - .offset:         52
        .size:           4
        .value_kind:     hidden_block_count_y
      - .offset:         56
        .size:           4
        .value_kind:     hidden_block_count_z
      - .offset:         60
        .size:           2
        .value_kind:     hidden_group_size_x
      - .offset:         62
        .size:           2
        .value_kind:     hidden_group_size_y
      - .offset:         64
        .size:           2
        .value_kind:     hidden_group_size_z
      - .offset:         66
        .size:           2
        .value_kind:     hidden_remainder_x
      - .offset:         68
        .size:           2
        .value_kind:     hidden_remainder_y
      - .offset:         70
        .size:           2
        .value_kind:     hidden_remainder_z
      - .offset:         88
        .size:           8
        .value_kind:     hidden_global_offset_x
      - .offset:         96
        .size:           8
        .value_kind:     hidden_global_offset_y
      - .offset:         104
        .size:           8
        .value_kind:     hidden_global_offset_z
      - .offset:         112
        .size:           2
        .value_kind:     hidden_grid_dims
    .group_segment_fixed_size: 0
    .kernarg_segment_align: 8
    .kernarg_segment_size: 304
    .language:       OpenCL C
    .language_version:
      - 2
      - 0
    .max_flat_workgroup_size: 1024
    .name:           _ZN12_GLOBAL__N_121softmax_warp_backwardIN3c108BFloat16ES2_fLi1ELb0ELb0ELi64EEEvPT0_PKT_S7_iiiPKb
    .private_segment_fixed_size: 0
    .sgpr_count:     18
    .sgpr_spill_count: 0
    .symbol:         _ZN12_GLOBAL__N_121softmax_warp_backwardIN3c108BFloat16ES2_fLi1ELb0ELb0ELi64EEEvPT0_PKT_S7_iiiPKb.kd
    .uniform_work_group_size: 1
    .uses_dynamic_stack: false
    .vgpr_count:     11
    .vgpr_spill_count: 0
    .wavefront_size: 32
    .workgroup_processor_mode: 1
  - .args:
      - .address_space:  global
        .offset:         0
        .size:           8
        .value_kind:     global_buffer
      - .address_space:  global
        .offset:         8
        .size:           8
        .value_kind:     global_buffer
      - .address_space:  global
        .offset:         16
        .size:           8
        .value_kind:     global_buffer
      - .offset:         24
        .size:           4
        .value_kind:     by_value
      - .offset:         28
        .size:           4
        .value_kind:     by_value
      - .offset:         32
        .size:           4
        .value_kind:     by_value
      - .address_space:  global
        .offset:         40
        .size:           8
        .value_kind:     global_buffer
      - .offset:         48
        .size:           4
        .value_kind:     hidden_block_count_x
      - .offset:         52
        .size:           4
        .value_kind:     hidden_block_count_y
      - .offset:         56
        .size:           4
        .value_kind:     hidden_block_count_z
      - .offset:         60
        .size:           2
        .value_kind:     hidden_group_size_x
      - .offset:         62
        .size:           2
        .value_kind:     hidden_group_size_y
      - .offset:         64
        .size:           2
        .value_kind:     hidden_group_size_z
      - .offset:         66
        .size:           2
        .value_kind:     hidden_remainder_x
      - .offset:         68
        .size:           2
        .value_kind:     hidden_remainder_y
      - .offset:         70
        .size:           2
        .value_kind:     hidden_remainder_z
      - .offset:         88
        .size:           8
        .value_kind:     hidden_global_offset_x
      - .offset:         96
        .size:           8
        .value_kind:     hidden_global_offset_y
      - .offset:         104
        .size:           8
        .value_kind:     hidden_global_offset_z
      - .offset:         112
        .size:           2
        .value_kind:     hidden_grid_dims
    .group_segment_fixed_size: 0
    .kernarg_segment_align: 8
    .kernarg_segment_size: 304
    .language:       OpenCL C
    .language_version:
      - 2
      - 0
    .max_flat_workgroup_size: 1024
    .name:           _ZN12_GLOBAL__N_121softmax_warp_backwardIN3c108BFloat16ES2_fLi1ELb0ELb0ELi32EEEvPT0_PKT_S7_iiiPKb
    .private_segment_fixed_size: 0
    .sgpr_count:     18
    .sgpr_spill_count: 0
    .symbol:         _ZN12_GLOBAL__N_121softmax_warp_backwardIN3c108BFloat16ES2_fLi1ELb0ELb0ELi32EEEvPT0_PKT_S7_iiiPKb.kd
    .uniform_work_group_size: 1
    .uses_dynamic_stack: false
    .vgpr_count:     11
    .vgpr_spill_count: 0
    .wavefront_size: 32
    .workgroup_processor_mode: 1
  - .args:
      - .address_space:  global
        .offset:         0
        .size:           8
        .value_kind:     global_buffer
      - .address_space:  global
        .offset:         8
        .size:           8
        .value_kind:     global_buffer
      - .address_space:  global
        .offset:         16
        .size:           8
        .value_kind:     global_buffer
      - .offset:         24
        .size:           4
        .value_kind:     by_value
      - .offset:         28
        .size:           4
        .value_kind:     by_value
      - .offset:         32
        .size:           4
        .value_kind:     by_value
      - .address_space:  global
        .offset:         40
        .size:           8
        .value_kind:     global_buffer
      - .offset:         48
        .size:           4
        .value_kind:     hidden_block_count_x
      - .offset:         52
        .size:           4
        .value_kind:     hidden_block_count_y
      - .offset:         56
        .size:           4
        .value_kind:     hidden_block_count_z
      - .offset:         60
        .size:           2
        .value_kind:     hidden_group_size_x
      - .offset:         62
        .size:           2
        .value_kind:     hidden_group_size_y
      - .offset:         64
        .size:           2
        .value_kind:     hidden_group_size_z
      - .offset:         66
        .size:           2
        .value_kind:     hidden_remainder_x
      - .offset:         68
        .size:           2
        .value_kind:     hidden_remainder_y
      - .offset:         70
        .size:           2
        .value_kind:     hidden_remainder_z
      - .offset:         88
        .size:           8
        .value_kind:     hidden_global_offset_x
      - .offset:         96
        .size:           8
        .value_kind:     hidden_global_offset_y
      - .offset:         104
        .size:           8
        .value_kind:     hidden_global_offset_z
      - .offset:         112
        .size:           2
        .value_kind:     hidden_grid_dims
    .group_segment_fixed_size: 0
    .kernarg_segment_align: 8
    .kernarg_segment_size: 304
    .language:       OpenCL C
    .language_version:
      - 2
      - 0
    .max_flat_workgroup_size: 1024
    .name:           _ZN12_GLOBAL__N_121softmax_warp_backwardIN3c108BFloat16ES2_fLi2ELb0ELb0ELi64EEEvPT0_PKT_S7_iiiPKb
    .private_segment_fixed_size: 0
    .sgpr_count:     18
    .sgpr_spill_count: 0
    .symbol:         _ZN12_GLOBAL__N_121softmax_warp_backwardIN3c108BFloat16ES2_fLi2ELb0ELb0ELi64EEEvPT0_PKT_S7_iiiPKb.kd
    .uniform_work_group_size: 1
    .uses_dynamic_stack: false
    .vgpr_count:     14
    .vgpr_spill_count: 0
    .wavefront_size: 32
    .workgroup_processor_mode: 1
  - .args:
      - .address_space:  global
        .offset:         0
        .size:           8
        .value_kind:     global_buffer
      - .address_space:  global
        .offset:         8
        .size:           8
        .value_kind:     global_buffer
      - .address_space:  global
        .offset:         16
        .size:           8
        .value_kind:     global_buffer
      - .offset:         24
        .size:           4
        .value_kind:     by_value
      - .offset:         28
        .size:           4
        .value_kind:     by_value
      - .offset:         32
        .size:           4
        .value_kind:     by_value
      - .address_space:  global
        .offset:         40
        .size:           8
        .value_kind:     global_buffer
      - .offset:         48
        .size:           4
        .value_kind:     hidden_block_count_x
      - .offset:         52
        .size:           4
        .value_kind:     hidden_block_count_y
      - .offset:         56
        .size:           4
        .value_kind:     hidden_block_count_z
      - .offset:         60
        .size:           2
        .value_kind:     hidden_group_size_x
      - .offset:         62
        .size:           2
        .value_kind:     hidden_group_size_y
      - .offset:         64
        .size:           2
        .value_kind:     hidden_group_size_z
      - .offset:         66
        .size:           2
        .value_kind:     hidden_remainder_x
      - .offset:         68
        .size:           2
        .value_kind:     hidden_remainder_y
      - .offset:         70
        .size:           2
        .value_kind:     hidden_remainder_z
      - .offset:         88
        .size:           8
        .value_kind:     hidden_global_offset_x
      - .offset:         96
        .size:           8
        .value_kind:     hidden_global_offset_y
      - .offset:         104
        .size:           8
        .value_kind:     hidden_global_offset_z
      - .offset:         112
        .size:           2
        .value_kind:     hidden_grid_dims
    .group_segment_fixed_size: 0
    .kernarg_segment_align: 8
    .kernarg_segment_size: 304
    .language:       OpenCL C
    .language_version:
      - 2
      - 0
    .max_flat_workgroup_size: 1024
    .name:           _ZN12_GLOBAL__N_121softmax_warp_backwardIN3c108BFloat16ES2_fLi2ELb0ELb0ELi32EEEvPT0_PKT_S7_iiiPKb
    .private_segment_fixed_size: 0
    .sgpr_count:     18
    .sgpr_spill_count: 0
    .symbol:         _ZN12_GLOBAL__N_121softmax_warp_backwardIN3c108BFloat16ES2_fLi2ELb0ELb0ELi32EEEvPT0_PKT_S7_iiiPKb.kd
    .uniform_work_group_size: 1
    .uses_dynamic_stack: false
    .vgpr_count:     14
    .vgpr_spill_count: 0
    .wavefront_size: 32
    .workgroup_processor_mode: 1
  - .args:
      - .address_space:  global
        .offset:         0
        .size:           8
        .value_kind:     global_buffer
      - .address_space:  global
        .offset:         8
        .size:           8
        .value_kind:     global_buffer
      - .address_space:  global
        .offset:         16
        .size:           8
        .value_kind:     global_buffer
      - .offset:         24
        .size:           4
        .value_kind:     by_value
      - .offset:         28
        .size:           4
        .value_kind:     by_value
      - .offset:         32
        .size:           4
        .value_kind:     by_value
      - .address_space:  global
        .offset:         40
        .size:           8
        .value_kind:     global_buffer
      - .offset:         48
        .size:           4
        .value_kind:     hidden_block_count_x
      - .offset:         52
        .size:           4
        .value_kind:     hidden_block_count_y
      - .offset:         56
        .size:           4
        .value_kind:     hidden_block_count_z
      - .offset:         60
        .size:           2
        .value_kind:     hidden_group_size_x
      - .offset:         62
        .size:           2
        .value_kind:     hidden_group_size_y
      - .offset:         64
        .size:           2
        .value_kind:     hidden_group_size_z
      - .offset:         66
        .size:           2
        .value_kind:     hidden_remainder_x
      - .offset:         68
        .size:           2
        .value_kind:     hidden_remainder_y
      - .offset:         70
        .size:           2
        .value_kind:     hidden_remainder_z
      - .offset:         88
        .size:           8
        .value_kind:     hidden_global_offset_x
      - .offset:         96
        .size:           8
        .value_kind:     hidden_global_offset_y
      - .offset:         104
        .size:           8
        .value_kind:     hidden_global_offset_z
      - .offset:         112
        .size:           2
        .value_kind:     hidden_grid_dims
    .group_segment_fixed_size: 0
    .kernarg_segment_align: 8
    .kernarg_segment_size: 304
    .language:       OpenCL C
    .language_version:
      - 2
      - 0
    .max_flat_workgroup_size: 1024
    .name:           _ZN12_GLOBAL__N_121softmax_warp_backwardIN3c108BFloat16ES2_fLi3ELb0ELb0ELi64EEEvPT0_PKT_S7_iiiPKb
    .private_segment_fixed_size: 0
    .sgpr_count:     18
    .sgpr_spill_count: 0
    .symbol:         _ZN12_GLOBAL__N_121softmax_warp_backwardIN3c108BFloat16ES2_fLi3ELb0ELb0ELi64EEEvPT0_PKT_S7_iiiPKb.kd
    .uniform_work_group_size: 1
    .uses_dynamic_stack: false
    .vgpr_count:     14
    .vgpr_spill_count: 0
    .wavefront_size: 32
    .workgroup_processor_mode: 1
  - .args:
      - .address_space:  global
        .offset:         0
        .size:           8
        .value_kind:     global_buffer
      - .address_space:  global
        .offset:         8
        .size:           8
        .value_kind:     global_buffer
      - .address_space:  global
        .offset:         16
        .size:           8
        .value_kind:     global_buffer
      - .offset:         24
        .size:           4
        .value_kind:     by_value
      - .offset:         28
        .size:           4
        .value_kind:     by_value
      - .offset:         32
        .size:           4
        .value_kind:     by_value
      - .address_space:  global
        .offset:         40
        .size:           8
        .value_kind:     global_buffer
      - .offset:         48
        .size:           4
        .value_kind:     hidden_block_count_x
      - .offset:         52
        .size:           4
        .value_kind:     hidden_block_count_y
      - .offset:         56
        .size:           4
        .value_kind:     hidden_block_count_z
      - .offset:         60
        .size:           2
        .value_kind:     hidden_group_size_x
      - .offset:         62
        .size:           2
        .value_kind:     hidden_group_size_y
      - .offset:         64
        .size:           2
        .value_kind:     hidden_group_size_z
      - .offset:         66
        .size:           2
        .value_kind:     hidden_remainder_x
      - .offset:         68
        .size:           2
        .value_kind:     hidden_remainder_y
      - .offset:         70
        .size:           2
        .value_kind:     hidden_remainder_z
      - .offset:         88
        .size:           8
        .value_kind:     hidden_global_offset_x
      - .offset:         96
        .size:           8
        .value_kind:     hidden_global_offset_y
      - .offset:         104
        .size:           8
        .value_kind:     hidden_global_offset_z
      - .offset:         112
        .size:           2
        .value_kind:     hidden_grid_dims
    .group_segment_fixed_size: 0
    .kernarg_segment_align: 8
    .kernarg_segment_size: 304
    .language:       OpenCL C
    .language_version:
      - 2
      - 0
    .max_flat_workgroup_size: 1024
    .name:           _ZN12_GLOBAL__N_121softmax_warp_backwardIN3c108BFloat16ES2_fLi3ELb0ELb0ELi32EEEvPT0_PKT_S7_iiiPKb
    .private_segment_fixed_size: 0
    .sgpr_count:     18
    .sgpr_spill_count: 0
    .symbol:         _ZN12_GLOBAL__N_121softmax_warp_backwardIN3c108BFloat16ES2_fLi3ELb0ELb0ELi32EEEvPT0_PKT_S7_iiiPKb.kd
    .uniform_work_group_size: 1
    .uses_dynamic_stack: false
    .vgpr_count:     14
    .vgpr_spill_count: 0
    .wavefront_size: 32
    .workgroup_processor_mode: 1
  - .args:
      - .address_space:  global
        .offset:         0
        .size:           8
        .value_kind:     global_buffer
      - .address_space:  global
        .offset:         8
        .size:           8
        .value_kind:     global_buffer
      - .address_space:  global
        .offset:         16
        .size:           8
        .value_kind:     global_buffer
      - .offset:         24
        .size:           4
        .value_kind:     by_value
      - .offset:         28
        .size:           4
        .value_kind:     by_value
      - .offset:         32
        .size:           4
        .value_kind:     by_value
      - .address_space:  global
        .offset:         40
        .size:           8
        .value_kind:     global_buffer
      - .offset:         48
        .size:           4
        .value_kind:     hidden_block_count_x
      - .offset:         52
        .size:           4
        .value_kind:     hidden_block_count_y
      - .offset:         56
        .size:           4
        .value_kind:     hidden_block_count_z
      - .offset:         60
        .size:           2
        .value_kind:     hidden_group_size_x
      - .offset:         62
        .size:           2
        .value_kind:     hidden_group_size_y
      - .offset:         64
        .size:           2
        .value_kind:     hidden_group_size_z
      - .offset:         66
        .size:           2
        .value_kind:     hidden_remainder_x
      - .offset:         68
        .size:           2
        .value_kind:     hidden_remainder_y
      - .offset:         70
        .size:           2
        .value_kind:     hidden_remainder_z
      - .offset:         88
        .size:           8
        .value_kind:     hidden_global_offset_x
      - .offset:         96
        .size:           8
        .value_kind:     hidden_global_offset_y
      - .offset:         104
        .size:           8
        .value_kind:     hidden_global_offset_z
      - .offset:         112
        .size:           2
        .value_kind:     hidden_grid_dims
    .group_segment_fixed_size: 0
    .kernarg_segment_align: 8
    .kernarg_segment_size: 304
    .language:       OpenCL C
    .language_version:
      - 2
      - 0
    .max_flat_workgroup_size: 1024
    .name:           _ZN12_GLOBAL__N_121softmax_warp_backwardIN3c108BFloat16ES2_fLi4ELb0ELb0ELi64EEEvPT0_PKT_S7_iiiPKb
    .private_segment_fixed_size: 0
    .sgpr_count:     18
    .sgpr_spill_count: 0
    .symbol:         _ZN12_GLOBAL__N_121softmax_warp_backwardIN3c108BFloat16ES2_fLi4ELb0ELb0ELi64EEEvPT0_PKT_S7_iiiPKb.kd
    .uniform_work_group_size: 1
    .uses_dynamic_stack: false
    .vgpr_count:     14
    .vgpr_spill_count: 0
    .wavefront_size: 32
    .workgroup_processor_mode: 1
  - .args:
      - .address_space:  global
        .offset:         0
        .size:           8
        .value_kind:     global_buffer
      - .address_space:  global
        .offset:         8
        .size:           8
        .value_kind:     global_buffer
      - .address_space:  global
        .offset:         16
        .size:           8
        .value_kind:     global_buffer
      - .offset:         24
        .size:           4
        .value_kind:     by_value
      - .offset:         28
        .size:           4
        .value_kind:     by_value
      - .offset:         32
        .size:           4
        .value_kind:     by_value
      - .address_space:  global
        .offset:         40
        .size:           8
        .value_kind:     global_buffer
      - .offset:         48
        .size:           4
        .value_kind:     hidden_block_count_x
      - .offset:         52
        .size:           4
        .value_kind:     hidden_block_count_y
      - .offset:         56
        .size:           4
        .value_kind:     hidden_block_count_z
      - .offset:         60
        .size:           2
        .value_kind:     hidden_group_size_x
      - .offset:         62
        .size:           2
        .value_kind:     hidden_group_size_y
      - .offset:         64
        .size:           2
        .value_kind:     hidden_group_size_z
      - .offset:         66
        .size:           2
        .value_kind:     hidden_remainder_x
      - .offset:         68
        .size:           2
        .value_kind:     hidden_remainder_y
      - .offset:         70
        .size:           2
        .value_kind:     hidden_remainder_z
      - .offset:         88
        .size:           8
        .value_kind:     hidden_global_offset_x
      - .offset:         96
        .size:           8
        .value_kind:     hidden_global_offset_y
      - .offset:         104
        .size:           8
        .value_kind:     hidden_global_offset_z
      - .offset:         112
        .size:           2
        .value_kind:     hidden_grid_dims
    .group_segment_fixed_size: 0
    .kernarg_segment_align: 8
    .kernarg_segment_size: 304
    .language:       OpenCL C
    .language_version:
      - 2
      - 0
    .max_flat_workgroup_size: 1024
    .name:           _ZN12_GLOBAL__N_121softmax_warp_backwardIN3c108BFloat16ES2_fLi4ELb0ELb0ELi32EEEvPT0_PKT_S7_iiiPKb
    .private_segment_fixed_size: 0
    .sgpr_count:     18
    .sgpr_spill_count: 0
    .symbol:         _ZN12_GLOBAL__N_121softmax_warp_backwardIN3c108BFloat16ES2_fLi4ELb0ELb0ELi32EEEvPT0_PKT_S7_iiiPKb.kd
    .uniform_work_group_size: 1
    .uses_dynamic_stack: false
    .vgpr_count:     14
    .vgpr_spill_count: 0
    .wavefront_size: 32
    .workgroup_processor_mode: 1
  - .args:
      - .address_space:  global
        .offset:         0
        .size:           8
        .value_kind:     global_buffer
      - .address_space:  global
        .offset:         8
        .size:           8
        .value_kind:     global_buffer
      - .address_space:  global
        .offset:         16
        .size:           8
        .value_kind:     global_buffer
      - .offset:         24
        .size:           4
        .value_kind:     by_value
      - .offset:         28
        .size:           4
        .value_kind:     by_value
      - .offset:         32
        .size:           4
        .value_kind:     by_value
      - .address_space:  global
        .offset:         40
        .size:           8
        .value_kind:     global_buffer
      - .offset:         48
        .size:           4
        .value_kind:     hidden_block_count_x
      - .offset:         52
        .size:           4
        .value_kind:     hidden_block_count_y
      - .offset:         56
        .size:           4
        .value_kind:     hidden_block_count_z
      - .offset:         60
        .size:           2
        .value_kind:     hidden_group_size_x
      - .offset:         62
        .size:           2
        .value_kind:     hidden_group_size_y
      - .offset:         64
        .size:           2
        .value_kind:     hidden_group_size_z
      - .offset:         66
        .size:           2
        .value_kind:     hidden_remainder_x
      - .offset:         68
        .size:           2
        .value_kind:     hidden_remainder_y
      - .offset:         70
        .size:           2
        .value_kind:     hidden_remainder_z
      - .offset:         88
        .size:           8
        .value_kind:     hidden_global_offset_x
      - .offset:         96
        .size:           8
        .value_kind:     hidden_global_offset_y
      - .offset:         104
        .size:           8
        .value_kind:     hidden_global_offset_z
      - .offset:         112
        .size:           2
        .value_kind:     hidden_grid_dims
    .group_segment_fixed_size: 0
    .kernarg_segment_align: 8
    .kernarg_segment_size: 304
    .language:       OpenCL C
    .language_version:
      - 2
      - 0
    .max_flat_workgroup_size: 1024
    .name:           _ZN12_GLOBAL__N_121softmax_warp_backwardIN3c108BFloat16ES2_fLi5ELb0ELb0ELi64EEEvPT0_PKT_S7_iiiPKb
    .private_segment_fixed_size: 0
    .sgpr_count:     18
    .sgpr_spill_count: 0
    .symbol:         _ZN12_GLOBAL__N_121softmax_warp_backwardIN3c108BFloat16ES2_fLi5ELb0ELb0ELi64EEEvPT0_PKT_S7_iiiPKb.kd
    .uniform_work_group_size: 1
    .uses_dynamic_stack: false
    .vgpr_count:     13
    .vgpr_spill_count: 0
    .wavefront_size: 32
    .workgroup_processor_mode: 1
  - .args:
      - .address_space:  global
        .offset:         0
        .size:           8
        .value_kind:     global_buffer
      - .address_space:  global
        .offset:         8
        .size:           8
        .value_kind:     global_buffer
      - .address_space:  global
        .offset:         16
        .size:           8
        .value_kind:     global_buffer
      - .offset:         24
        .size:           4
        .value_kind:     by_value
      - .offset:         28
        .size:           4
        .value_kind:     by_value
      - .offset:         32
        .size:           4
        .value_kind:     by_value
      - .address_space:  global
        .offset:         40
        .size:           8
        .value_kind:     global_buffer
      - .offset:         48
        .size:           4
        .value_kind:     hidden_block_count_x
      - .offset:         52
        .size:           4
        .value_kind:     hidden_block_count_y
      - .offset:         56
        .size:           4
        .value_kind:     hidden_block_count_z
      - .offset:         60
        .size:           2
        .value_kind:     hidden_group_size_x
      - .offset:         62
        .size:           2
        .value_kind:     hidden_group_size_y
      - .offset:         64
        .size:           2
        .value_kind:     hidden_group_size_z
      - .offset:         66
        .size:           2
        .value_kind:     hidden_remainder_x
      - .offset:         68
        .size:           2
        .value_kind:     hidden_remainder_y
      - .offset:         70
        .size:           2
        .value_kind:     hidden_remainder_z
      - .offset:         88
        .size:           8
        .value_kind:     hidden_global_offset_x
      - .offset:         96
        .size:           8
        .value_kind:     hidden_global_offset_y
      - .offset:         104
        .size:           8
        .value_kind:     hidden_global_offset_z
      - .offset:         112
        .size:           2
        .value_kind:     hidden_grid_dims
    .group_segment_fixed_size: 0
    .kernarg_segment_align: 8
    .kernarg_segment_size: 304
    .language:       OpenCL C
    .language_version:
      - 2
      - 0
    .max_flat_workgroup_size: 1024
    .name:           _ZN12_GLOBAL__N_121softmax_warp_backwardIN3c108BFloat16ES2_fLi5ELb0ELb0ELi32EEEvPT0_PKT_S7_iiiPKb
    .private_segment_fixed_size: 0
    .sgpr_count:     18
    .sgpr_spill_count: 0
    .symbol:         _ZN12_GLOBAL__N_121softmax_warp_backwardIN3c108BFloat16ES2_fLi5ELb0ELb0ELi32EEEvPT0_PKT_S7_iiiPKb.kd
    .uniform_work_group_size: 1
    .uses_dynamic_stack: false
    .vgpr_count:     13
    .vgpr_spill_count: 0
    .wavefront_size: 32
    .workgroup_processor_mode: 1
  - .args:
      - .address_space:  global
        .offset:         0
        .size:           8
        .value_kind:     global_buffer
      - .address_space:  global
        .offset:         8
        .size:           8
        .value_kind:     global_buffer
      - .address_space:  global
        .offset:         16
        .size:           8
        .value_kind:     global_buffer
      - .offset:         24
        .size:           4
        .value_kind:     by_value
      - .offset:         28
        .size:           4
        .value_kind:     by_value
      - .offset:         32
        .size:           4
        .value_kind:     by_value
      - .address_space:  global
        .offset:         40
        .size:           8
        .value_kind:     global_buffer
      - .offset:         48
        .size:           4
        .value_kind:     hidden_block_count_x
      - .offset:         52
        .size:           4
        .value_kind:     hidden_block_count_y
      - .offset:         56
        .size:           4
        .value_kind:     hidden_block_count_z
      - .offset:         60
        .size:           2
        .value_kind:     hidden_group_size_x
      - .offset:         62
        .size:           2
        .value_kind:     hidden_group_size_y
      - .offset:         64
        .size:           2
        .value_kind:     hidden_group_size_z
      - .offset:         66
        .size:           2
        .value_kind:     hidden_remainder_x
      - .offset:         68
        .size:           2
        .value_kind:     hidden_remainder_y
      - .offset:         70
        .size:           2
        .value_kind:     hidden_remainder_z
      - .offset:         88
        .size:           8
        .value_kind:     hidden_global_offset_x
      - .offset:         96
        .size:           8
        .value_kind:     hidden_global_offset_y
      - .offset:         104
        .size:           8
        .value_kind:     hidden_global_offset_z
      - .offset:         112
        .size:           2
        .value_kind:     hidden_grid_dims
    .group_segment_fixed_size: 0
    .kernarg_segment_align: 8
    .kernarg_segment_size: 304
    .language:       OpenCL C
    .language_version:
      - 2
      - 0
    .max_flat_workgroup_size: 1024
    .name:           _ZN12_GLOBAL__N_121softmax_warp_backwardIN3c108BFloat16ES2_fLi6ELb0ELb0ELi64EEEvPT0_PKT_S7_iiiPKb
    .private_segment_fixed_size: 0
    .sgpr_count:     18
    .sgpr_spill_count: 0
    .symbol:         _ZN12_GLOBAL__N_121softmax_warp_backwardIN3c108BFloat16ES2_fLi6ELb0ELb0ELi64EEEvPT0_PKT_S7_iiiPKb.kd
    .uniform_work_group_size: 1
    .uses_dynamic_stack: false
    .vgpr_count:     13
    .vgpr_spill_count: 0
    .wavefront_size: 32
    .workgroup_processor_mode: 1
  - .args:
      - .address_space:  global
        .offset:         0
        .size:           8
        .value_kind:     global_buffer
      - .address_space:  global
        .offset:         8
        .size:           8
        .value_kind:     global_buffer
      - .address_space:  global
        .offset:         16
        .size:           8
        .value_kind:     global_buffer
      - .offset:         24
        .size:           4
        .value_kind:     by_value
      - .offset:         28
        .size:           4
        .value_kind:     by_value
      - .offset:         32
        .size:           4
        .value_kind:     by_value
      - .address_space:  global
        .offset:         40
        .size:           8
        .value_kind:     global_buffer
      - .offset:         48
        .size:           4
        .value_kind:     hidden_block_count_x
      - .offset:         52
        .size:           4
        .value_kind:     hidden_block_count_y
      - .offset:         56
        .size:           4
        .value_kind:     hidden_block_count_z
      - .offset:         60
        .size:           2
        .value_kind:     hidden_group_size_x
      - .offset:         62
        .size:           2
        .value_kind:     hidden_group_size_y
      - .offset:         64
        .size:           2
        .value_kind:     hidden_group_size_z
      - .offset:         66
        .size:           2
        .value_kind:     hidden_remainder_x
      - .offset:         68
        .size:           2
        .value_kind:     hidden_remainder_y
      - .offset:         70
        .size:           2
        .value_kind:     hidden_remainder_z
      - .offset:         88
        .size:           8
        .value_kind:     hidden_global_offset_x
      - .offset:         96
        .size:           8
        .value_kind:     hidden_global_offset_y
      - .offset:         104
        .size:           8
        .value_kind:     hidden_global_offset_z
      - .offset:         112
        .size:           2
        .value_kind:     hidden_grid_dims
    .group_segment_fixed_size: 0
    .kernarg_segment_align: 8
    .kernarg_segment_size: 304
    .language:       OpenCL C
    .language_version:
      - 2
      - 0
    .max_flat_workgroup_size: 1024
    .name:           _ZN12_GLOBAL__N_121softmax_warp_backwardIN3c108BFloat16ES2_fLi6ELb0ELb0ELi32EEEvPT0_PKT_S7_iiiPKb
    .private_segment_fixed_size: 0
    .sgpr_count:     18
    .sgpr_spill_count: 0
    .symbol:         _ZN12_GLOBAL__N_121softmax_warp_backwardIN3c108BFloat16ES2_fLi6ELb0ELb0ELi32EEEvPT0_PKT_S7_iiiPKb.kd
    .uniform_work_group_size: 1
    .uses_dynamic_stack: false
    .vgpr_count:     17
    .vgpr_spill_count: 0
    .wavefront_size: 32
    .workgroup_processor_mode: 1
  - .args:
      - .address_space:  global
        .offset:         0
        .size:           8
        .value_kind:     global_buffer
      - .address_space:  global
        .offset:         8
        .size:           8
        .value_kind:     global_buffer
      - .address_space:  global
        .offset:         16
        .size:           8
        .value_kind:     global_buffer
      - .offset:         24
        .size:           4
        .value_kind:     by_value
      - .offset:         28
        .size:           4
        .value_kind:     by_value
      - .offset:         32
        .size:           4
        .value_kind:     by_value
      - .address_space:  global
        .offset:         40
        .size:           8
        .value_kind:     global_buffer
      - .offset:         48
        .size:           4
        .value_kind:     hidden_block_count_x
      - .offset:         52
        .size:           4
        .value_kind:     hidden_block_count_y
      - .offset:         56
        .size:           4
        .value_kind:     hidden_block_count_z
      - .offset:         60
        .size:           2
        .value_kind:     hidden_group_size_x
      - .offset:         62
        .size:           2
        .value_kind:     hidden_group_size_y
      - .offset:         64
        .size:           2
        .value_kind:     hidden_group_size_z
      - .offset:         66
        .size:           2
        .value_kind:     hidden_remainder_x
      - .offset:         68
        .size:           2
        .value_kind:     hidden_remainder_y
      - .offset:         70
        .size:           2
        .value_kind:     hidden_remainder_z
      - .offset:         88
        .size:           8
        .value_kind:     hidden_global_offset_x
      - .offset:         96
        .size:           8
        .value_kind:     hidden_global_offset_y
      - .offset:         104
        .size:           8
        .value_kind:     hidden_global_offset_z
      - .offset:         112
        .size:           2
        .value_kind:     hidden_grid_dims
    .group_segment_fixed_size: 0
    .kernarg_segment_align: 8
    .kernarg_segment_size: 304
    .language:       OpenCL C
    .language_version:
      - 2
      - 0
    .max_flat_workgroup_size: 1024
    .name:           _ZN12_GLOBAL__N_121softmax_warp_backwardIN3c108BFloat16ES2_fLi7ELb0ELb0ELi64EEEvPT0_PKT_S7_iiiPKb
    .private_segment_fixed_size: 0
    .sgpr_count:     18
    .sgpr_spill_count: 0
    .symbol:         _ZN12_GLOBAL__N_121softmax_warp_backwardIN3c108BFloat16ES2_fLi7ELb0ELb0ELi64EEEvPT0_PKT_S7_iiiPKb.kd
    .uniform_work_group_size: 1
    .uses_dynamic_stack: false
    .vgpr_count:     17
    .vgpr_spill_count: 0
    .wavefront_size: 32
    .workgroup_processor_mode: 1
  - .args:
      - .address_space:  global
        .offset:         0
        .size:           8
        .value_kind:     global_buffer
      - .address_space:  global
        .offset:         8
        .size:           8
        .value_kind:     global_buffer
      - .address_space:  global
        .offset:         16
        .size:           8
        .value_kind:     global_buffer
      - .offset:         24
        .size:           4
        .value_kind:     by_value
      - .offset:         28
        .size:           4
        .value_kind:     by_value
      - .offset:         32
        .size:           4
        .value_kind:     by_value
      - .address_space:  global
        .offset:         40
        .size:           8
        .value_kind:     global_buffer
      - .offset:         48
        .size:           4
        .value_kind:     hidden_block_count_x
      - .offset:         52
        .size:           4
        .value_kind:     hidden_block_count_y
      - .offset:         56
        .size:           4
        .value_kind:     hidden_block_count_z
      - .offset:         60
        .size:           2
        .value_kind:     hidden_group_size_x
      - .offset:         62
        .size:           2
        .value_kind:     hidden_group_size_y
      - .offset:         64
        .size:           2
        .value_kind:     hidden_group_size_z
      - .offset:         66
        .size:           2
        .value_kind:     hidden_remainder_x
      - .offset:         68
        .size:           2
        .value_kind:     hidden_remainder_y
      - .offset:         70
        .size:           2
        .value_kind:     hidden_remainder_z
      - .offset:         88
        .size:           8
        .value_kind:     hidden_global_offset_x
      - .offset:         96
        .size:           8
        .value_kind:     hidden_global_offset_y
      - .offset:         104
        .size:           8
        .value_kind:     hidden_global_offset_z
      - .offset:         112
        .size:           2
        .value_kind:     hidden_grid_dims
    .group_segment_fixed_size: 0
    .kernarg_segment_align: 8
    .kernarg_segment_size: 304
    .language:       OpenCL C
    .language_version:
      - 2
      - 0
    .max_flat_workgroup_size: 1024
    .name:           _ZN12_GLOBAL__N_121softmax_warp_backwardIN3c108BFloat16ES2_fLi7ELb0ELb0ELi32EEEvPT0_PKT_S7_iiiPKb
    .private_segment_fixed_size: 0
    .sgpr_count:     18
    .sgpr_spill_count: 0
    .symbol:         _ZN12_GLOBAL__N_121softmax_warp_backwardIN3c108BFloat16ES2_fLi7ELb0ELb0ELi32EEEvPT0_PKT_S7_iiiPKb.kd
    .uniform_work_group_size: 1
    .uses_dynamic_stack: false
    .vgpr_count:     25
    .vgpr_spill_count: 0
    .wavefront_size: 32
    .workgroup_processor_mode: 1
  - .args:
      - .address_space:  global
        .offset:         0
        .size:           8
        .value_kind:     global_buffer
      - .address_space:  global
        .offset:         8
        .size:           8
        .value_kind:     global_buffer
      - .address_space:  global
        .offset:         16
        .size:           8
        .value_kind:     global_buffer
      - .offset:         24
        .size:           4
        .value_kind:     by_value
      - .offset:         28
        .size:           4
        .value_kind:     by_value
      - .offset:         32
        .size:           4
        .value_kind:     by_value
      - .address_space:  global
        .offset:         40
        .size:           8
        .value_kind:     global_buffer
      - .offset:         48
        .size:           4
        .value_kind:     hidden_block_count_x
      - .offset:         52
        .size:           4
        .value_kind:     hidden_block_count_y
      - .offset:         56
        .size:           4
        .value_kind:     hidden_block_count_z
      - .offset:         60
        .size:           2
        .value_kind:     hidden_group_size_x
      - .offset:         62
        .size:           2
        .value_kind:     hidden_group_size_y
      - .offset:         64
        .size:           2
        .value_kind:     hidden_group_size_z
      - .offset:         66
        .size:           2
        .value_kind:     hidden_remainder_x
      - .offset:         68
        .size:           2
        .value_kind:     hidden_remainder_y
      - .offset:         70
        .size:           2
        .value_kind:     hidden_remainder_z
      - .offset:         88
        .size:           8
        .value_kind:     hidden_global_offset_x
      - .offset:         96
        .size:           8
        .value_kind:     hidden_global_offset_y
      - .offset:         104
        .size:           8
        .value_kind:     hidden_global_offset_z
      - .offset:         112
        .size:           2
        .value_kind:     hidden_grid_dims
    .group_segment_fixed_size: 0
    .kernarg_segment_align: 8
    .kernarg_segment_size: 304
    .language:       OpenCL C
    .language_version:
      - 2
      - 0
    .max_flat_workgroup_size: 1024
    .name:           _ZN12_GLOBAL__N_121softmax_warp_backwardIN3c108BFloat16ES2_fLi8ELb0ELb0ELi64EEEvPT0_PKT_S7_iiiPKb
    .private_segment_fixed_size: 0
    .sgpr_count:     18
    .sgpr_spill_count: 0
    .symbol:         _ZN12_GLOBAL__N_121softmax_warp_backwardIN3c108BFloat16ES2_fLi8ELb0ELb0ELi64EEEvPT0_PKT_S7_iiiPKb.kd
    .uniform_work_group_size: 1
    .uses_dynamic_stack: false
    .vgpr_count:     15
    .vgpr_spill_count: 0
    .wavefront_size: 32
    .workgroup_processor_mode: 1
  - .args:
      - .address_space:  global
        .offset:         0
        .size:           8
        .value_kind:     global_buffer
      - .address_space:  global
        .offset:         8
        .size:           8
        .value_kind:     global_buffer
      - .address_space:  global
        .offset:         16
        .size:           8
        .value_kind:     global_buffer
      - .offset:         24
        .size:           4
        .value_kind:     by_value
      - .offset:         28
        .size:           4
        .value_kind:     by_value
      - .offset:         32
        .size:           4
        .value_kind:     by_value
      - .address_space:  global
        .offset:         40
        .size:           8
        .value_kind:     global_buffer
      - .offset:         48
        .size:           4
        .value_kind:     hidden_block_count_x
      - .offset:         52
        .size:           4
        .value_kind:     hidden_block_count_y
      - .offset:         56
        .size:           4
        .value_kind:     hidden_block_count_z
      - .offset:         60
        .size:           2
        .value_kind:     hidden_group_size_x
      - .offset:         62
        .size:           2
        .value_kind:     hidden_group_size_y
      - .offset:         64
        .size:           2
        .value_kind:     hidden_group_size_z
      - .offset:         66
        .size:           2
        .value_kind:     hidden_remainder_x
      - .offset:         68
        .size:           2
        .value_kind:     hidden_remainder_y
      - .offset:         70
        .size:           2
        .value_kind:     hidden_remainder_z
      - .offset:         88
        .size:           8
        .value_kind:     hidden_global_offset_x
      - .offset:         96
        .size:           8
        .value_kind:     hidden_global_offset_y
      - .offset:         104
        .size:           8
        .value_kind:     hidden_global_offset_z
      - .offset:         112
        .size:           2
        .value_kind:     hidden_grid_dims
    .group_segment_fixed_size: 0
    .kernarg_segment_align: 8
    .kernarg_segment_size: 304
    .language:       OpenCL C
    .language_version:
      - 2
      - 0
    .max_flat_workgroup_size: 1024
    .name:           _ZN12_GLOBAL__N_121softmax_warp_backwardIN3c108BFloat16ES2_fLi8ELb0ELb0ELi32EEEvPT0_PKT_S7_iiiPKb
    .private_segment_fixed_size: 0
    .sgpr_count:     18
    .sgpr_spill_count: 0
    .symbol:         _ZN12_GLOBAL__N_121softmax_warp_backwardIN3c108BFloat16ES2_fLi8ELb0ELb0ELi32EEEvPT0_PKT_S7_iiiPKb.kd
    .uniform_work_group_size: 1
    .uses_dynamic_stack: false
    .vgpr_count:     23
    .vgpr_spill_count: 0
    .wavefront_size: 32
    .workgroup_processor_mode: 1
  - .args:
      - .address_space:  global
        .offset:         0
        .size:           8
        .value_kind:     global_buffer
      - .address_space:  global
        .offset:         8
        .size:           8
        .value_kind:     global_buffer
      - .address_space:  global
        .offset:         16
        .size:           8
        .value_kind:     global_buffer
      - .offset:         24
        .size:           4
        .value_kind:     by_value
      - .offset:         28
        .size:           4
        .value_kind:     by_value
      - .offset:         32
        .size:           4
        .value_kind:     by_value
      - .address_space:  global
        .offset:         40
        .size:           8
        .value_kind:     global_buffer
      - .offset:         48
        .size:           4
        .value_kind:     hidden_block_count_x
      - .offset:         52
        .size:           4
        .value_kind:     hidden_block_count_y
      - .offset:         56
        .size:           4
        .value_kind:     hidden_block_count_z
      - .offset:         60
        .size:           2
        .value_kind:     hidden_group_size_x
      - .offset:         62
        .size:           2
        .value_kind:     hidden_group_size_y
      - .offset:         64
        .size:           2
        .value_kind:     hidden_group_size_z
      - .offset:         66
        .size:           2
        .value_kind:     hidden_remainder_x
      - .offset:         68
        .size:           2
        .value_kind:     hidden_remainder_y
      - .offset:         70
        .size:           2
        .value_kind:     hidden_remainder_z
      - .offset:         88
        .size:           8
        .value_kind:     hidden_global_offset_x
      - .offset:         96
        .size:           8
        .value_kind:     hidden_global_offset_y
      - .offset:         104
        .size:           8
        .value_kind:     hidden_global_offset_z
      - .offset:         112
        .size:           2
        .value_kind:     hidden_grid_dims
    .group_segment_fixed_size: 0
    .kernarg_segment_align: 8
    .kernarg_segment_size: 304
    .language:       OpenCL C
    .language_version:
      - 2
      - 0
    .max_flat_workgroup_size: 1024
    .name:           _ZN12_GLOBAL__N_121softmax_warp_backwardIN3c108BFloat16ES2_fLi9ELb0ELb0ELi64EEEvPT0_PKT_S7_iiiPKb
    .private_segment_fixed_size: 0
    .sgpr_count:     18
    .sgpr_spill_count: 0
    .symbol:         _ZN12_GLOBAL__N_121softmax_warp_backwardIN3c108BFloat16ES2_fLi9ELb0ELb0ELi64EEEvPT0_PKT_S7_iiiPKb.kd
    .uniform_work_group_size: 1
    .uses_dynamic_stack: false
    .vgpr_count:     23
    .vgpr_spill_count: 0
    .wavefront_size: 32
    .workgroup_processor_mode: 1
  - .args:
      - .address_space:  global
        .offset:         0
        .size:           8
        .value_kind:     global_buffer
      - .address_space:  global
        .offset:         8
        .size:           8
        .value_kind:     global_buffer
      - .address_space:  global
        .offset:         16
        .size:           8
        .value_kind:     global_buffer
      - .offset:         24
        .size:           4
        .value_kind:     by_value
      - .offset:         28
        .size:           4
        .value_kind:     by_value
      - .offset:         32
        .size:           4
        .value_kind:     by_value
      - .address_space:  global
        .offset:         40
        .size:           8
        .value_kind:     global_buffer
      - .offset:         48
        .size:           4
        .value_kind:     hidden_block_count_x
      - .offset:         52
        .size:           4
        .value_kind:     hidden_block_count_y
      - .offset:         56
        .size:           4
        .value_kind:     hidden_block_count_z
      - .offset:         60
        .size:           2
        .value_kind:     hidden_group_size_x
      - .offset:         62
        .size:           2
        .value_kind:     hidden_group_size_y
      - .offset:         64
        .size:           2
        .value_kind:     hidden_group_size_z
      - .offset:         66
        .size:           2
        .value_kind:     hidden_remainder_x
      - .offset:         68
        .size:           2
        .value_kind:     hidden_remainder_y
      - .offset:         70
        .size:           2
        .value_kind:     hidden_remainder_z
      - .offset:         88
        .size:           8
        .value_kind:     hidden_global_offset_x
      - .offset:         96
        .size:           8
        .value_kind:     hidden_global_offset_y
      - .offset:         104
        .size:           8
        .value_kind:     hidden_global_offset_z
      - .offset:         112
        .size:           2
        .value_kind:     hidden_grid_dims
    .group_segment_fixed_size: 0
    .kernarg_segment_align: 8
    .kernarg_segment_size: 304
    .language:       OpenCL C
    .language_version:
      - 2
      - 0
    .max_flat_workgroup_size: 1024
    .name:           _ZN12_GLOBAL__N_121softmax_warp_backwardIN3c108BFloat16ES2_fLi9ELb0ELb0ELi32EEEvPT0_PKT_S7_iiiPKb
    .private_segment_fixed_size: 0
    .sgpr_count:     26
    .sgpr_spill_count: 0
    .symbol:         _ZN12_GLOBAL__N_121softmax_warp_backwardIN3c108BFloat16ES2_fLi9ELb0ELb0ELi32EEEvPT0_PKT_S7_iiiPKb.kd
    .uniform_work_group_size: 1
    .uses_dynamic_stack: false
    .vgpr_count:     39
    .vgpr_spill_count: 0
    .wavefront_size: 32
    .workgroup_processor_mode: 1
  - .args:
      - .address_space:  global
        .offset:         0
        .size:           8
        .value_kind:     global_buffer
      - .address_space:  global
        .offset:         8
        .size:           8
        .value_kind:     global_buffer
      - .address_space:  global
        .offset:         16
        .size:           8
        .value_kind:     global_buffer
      - .offset:         24
        .size:           4
        .value_kind:     by_value
      - .offset:         28
        .size:           4
        .value_kind:     by_value
      - .offset:         32
        .size:           4
        .value_kind:     by_value
      - .address_space:  global
        .offset:         40
        .size:           8
        .value_kind:     global_buffer
      - .offset:         48
        .size:           4
        .value_kind:     hidden_block_count_x
      - .offset:         52
        .size:           4
        .value_kind:     hidden_block_count_y
      - .offset:         56
        .size:           4
        .value_kind:     hidden_block_count_z
      - .offset:         60
        .size:           2
        .value_kind:     hidden_group_size_x
      - .offset:         62
        .size:           2
        .value_kind:     hidden_group_size_y
      - .offset:         64
        .size:           2
        .value_kind:     hidden_group_size_z
      - .offset:         66
        .size:           2
        .value_kind:     hidden_remainder_x
      - .offset:         68
        .size:           2
        .value_kind:     hidden_remainder_y
      - .offset:         70
        .size:           2
        .value_kind:     hidden_remainder_z
      - .offset:         88
        .size:           8
        .value_kind:     hidden_global_offset_x
      - .offset:         96
        .size:           8
        .value_kind:     hidden_global_offset_y
      - .offset:         104
        .size:           8
        .value_kind:     hidden_global_offset_z
      - .offset:         112
        .size:           2
        .value_kind:     hidden_grid_dims
    .group_segment_fixed_size: 0
    .kernarg_segment_align: 8
    .kernarg_segment_size: 304
    .language:       OpenCL C
    .language_version:
      - 2
      - 0
    .max_flat_workgroup_size: 1024
    .name:           _ZN12_GLOBAL__N_121softmax_warp_backwardIN3c108BFloat16ES2_fLi10ELb0ELb0ELi64EEEvPT0_PKT_S7_iiiPKb
    .private_segment_fixed_size: 0
    .sgpr_count:     26
    .sgpr_spill_count: 0
    .symbol:         _ZN12_GLOBAL__N_121softmax_warp_backwardIN3c108BFloat16ES2_fLi10ELb0ELb0ELi64EEEvPT0_PKT_S7_iiiPKb.kd
    .uniform_work_group_size: 1
    .uses_dynamic_stack: false
    .vgpr_count:     39
    .vgpr_spill_count: 0
    .wavefront_size: 32
    .workgroup_processor_mode: 1
  - .args:
      - .address_space:  global
        .offset:         0
        .size:           8
        .value_kind:     global_buffer
      - .address_space:  global
        .offset:         8
        .size:           8
        .value_kind:     global_buffer
      - .address_space:  global
        .offset:         16
        .size:           8
        .value_kind:     global_buffer
      - .offset:         24
        .size:           4
        .value_kind:     by_value
      - .offset:         28
        .size:           4
        .value_kind:     by_value
      - .offset:         32
        .size:           4
        .value_kind:     by_value
      - .address_space:  global
        .offset:         40
        .size:           8
        .value_kind:     global_buffer
      - .offset:         48
        .size:           4
        .value_kind:     hidden_block_count_x
      - .offset:         52
        .size:           4
        .value_kind:     hidden_block_count_y
      - .offset:         56
        .size:           4
        .value_kind:     hidden_block_count_z
      - .offset:         60
        .size:           2
        .value_kind:     hidden_group_size_x
      - .offset:         62
        .size:           2
        .value_kind:     hidden_group_size_y
      - .offset:         64
        .size:           2
        .value_kind:     hidden_group_size_z
      - .offset:         66
        .size:           2
        .value_kind:     hidden_remainder_x
      - .offset:         68
        .size:           2
        .value_kind:     hidden_remainder_y
      - .offset:         70
        .size:           2
        .value_kind:     hidden_remainder_z
      - .offset:         88
        .size:           8
        .value_kind:     hidden_global_offset_x
      - .offset:         96
        .size:           8
        .value_kind:     hidden_global_offset_y
      - .offset:         104
        .size:           8
        .value_kind:     hidden_global_offset_z
      - .offset:         112
        .size:           2
        .value_kind:     hidden_grid_dims
    .group_segment_fixed_size: 0
    .kernarg_segment_align: 8
    .kernarg_segment_size: 304
    .language:       OpenCL C
    .language_version:
      - 2
      - 0
    .max_flat_workgroup_size: 1024
    .name:           _ZN12_GLOBAL__N_121softmax_warp_backwardIN3c108BFloat16ES2_fLi10ELb0ELb0ELi32EEEvPT0_PKT_S7_iiiPKb
    .private_segment_fixed_size: 0
    .sgpr_count:     46
    .sgpr_spill_count: 0
    .symbol:         _ZN12_GLOBAL__N_121softmax_warp_backwardIN3c108BFloat16ES2_fLi10ELb0ELb0ELi32EEEvPT0_PKT_S7_iiiPKb.kd
    .uniform_work_group_size: 1
    .uses_dynamic_stack: false
    .vgpr_count:     71
    .vgpr_spill_count: 0
    .wavefront_size: 32
    .workgroup_processor_mode: 1
  - .args:
      - .address_space:  global
        .offset:         0
        .size:           8
        .value_kind:     global_buffer
      - .address_space:  global
        .offset:         8
        .size:           8
        .value_kind:     global_buffer
      - .address_space:  global
        .offset:         16
        .size:           8
        .value_kind:     global_buffer
      - .offset:         24
        .size:           8
        .value_kind:     by_value
      - .offset:         32
        .size:           4
        .value_kind:     hidden_block_count_x
      - .offset:         36
        .size:           4
        .value_kind:     hidden_block_count_y
      - .offset:         40
        .size:           4
        .value_kind:     hidden_block_count_z
      - .offset:         44
        .size:           2
        .value_kind:     hidden_group_size_x
      - .offset:         46
        .size:           2
        .value_kind:     hidden_group_size_y
      - .offset:         48
        .size:           2
        .value_kind:     hidden_group_size_z
      - .offset:         50
        .size:           2
        .value_kind:     hidden_remainder_x
      - .offset:         52
        .size:           2
        .value_kind:     hidden_remainder_y
      - .offset:         54
        .size:           2
        .value_kind:     hidden_remainder_z
      - .offset:         72
        .size:           8
        .value_kind:     hidden_global_offset_x
      - .offset:         80
        .size:           8
        .value_kind:     hidden_global_offset_y
      - .offset:         88
        .size:           8
        .value_kind:     hidden_global_offset_z
      - .offset:         96
        .size:           2
        .value_kind:     hidden_grid_dims
      - .offset:         152
        .size:           4
        .value_kind:     hidden_dynamic_lds_size
    .group_segment_fixed_size: 0
    .kernarg_segment_align: 8
    .kernarg_segment_size: 288
    .language:       OpenCL C
    .language_version:
      - 2
      - 0
    .max_flat_workgroup_size: 1024
    .name:           _ZN2at6native12_GLOBAL__N_124cunn_SoftMaxBackwardSmemILi8EN3c108BFloat16EfS4_NS1_23SoftMaxBackwardEpilogueEEEvPT0_PKT2_SA_l
    .private_segment_fixed_size: 0
    .sgpr_count:     21
    .sgpr_spill_count: 0
    .symbol:         _ZN2at6native12_GLOBAL__N_124cunn_SoftMaxBackwardSmemILi8EN3c108BFloat16EfS4_NS1_23SoftMaxBackwardEpilogueEEEvPT0_PKT2_SA_l.kd
    .uniform_work_group_size: 1
    .uses_dynamic_stack: false
    .vgpr_count:     22
    .vgpr_spill_count: 0
    .wavefront_size: 32
    .workgroup_processor_mode: 1
  - .args:
      - .address_space:  global
        .offset:         0
        .size:           8
        .value_kind:     global_buffer
      - .address_space:  global
        .offset:         8
        .size:           8
        .value_kind:     global_buffer
      - .address_space:  global
        .offset:         16
        .size:           8
        .value_kind:     global_buffer
      - .offset:         24
        .size:           8
        .value_kind:     by_value
      - .offset:         32
        .size:           4
        .value_kind:     hidden_block_count_x
      - .offset:         36
        .size:           4
        .value_kind:     hidden_block_count_y
      - .offset:         40
        .size:           4
        .value_kind:     hidden_block_count_z
      - .offset:         44
        .size:           2
        .value_kind:     hidden_group_size_x
      - .offset:         46
        .size:           2
        .value_kind:     hidden_group_size_y
      - .offset:         48
        .size:           2
        .value_kind:     hidden_group_size_z
      - .offset:         50
        .size:           2
        .value_kind:     hidden_remainder_x
      - .offset:         52
        .size:           2
        .value_kind:     hidden_remainder_y
      - .offset:         54
        .size:           2
        .value_kind:     hidden_remainder_z
      - .offset:         72
        .size:           8
        .value_kind:     hidden_global_offset_x
      - .offset:         80
        .size:           8
        .value_kind:     hidden_global_offset_y
      - .offset:         88
        .size:           8
        .value_kind:     hidden_global_offset_z
      - .offset:         96
        .size:           2
        .value_kind:     hidden_grid_dims
      - .offset:         152
        .size:           4
        .value_kind:     hidden_dynamic_lds_size
    .group_segment_fixed_size: 0
    .kernarg_segment_align: 8
    .kernarg_segment_size: 288
    .language:       OpenCL C
    .language_version:
      - 2
      - 0
    .max_flat_workgroup_size: 1024
    .name:           _ZN2at6native12_GLOBAL__N_120cunn_SoftMaxBackwardILi8EN3c108BFloat16EfS4_NS1_23SoftMaxBackwardEpilogueEEEvPT0_PKT2_SA_l
    .private_segment_fixed_size: 0
    .sgpr_count:     42
    .sgpr_spill_count: 0
    .symbol:         _ZN2at6native12_GLOBAL__N_120cunn_SoftMaxBackwardILi8EN3c108BFloat16EfS4_NS1_23SoftMaxBackwardEpilogueEEEvPT0_PKT2_SA_l.kd
    .uniform_work_group_size: 1
    .uses_dynamic_stack: false
    .vgpr_count:     51
    .vgpr_spill_count: 0
    .wavefront_size: 32
    .workgroup_processor_mode: 1
  - .args:
      - .address_space:  global
        .offset:         0
        .size:           8
        .value_kind:     global_buffer
      - .address_space:  global
        .offset:         8
        .size:           8
        .value_kind:     global_buffer
      - .address_space:  global
        .offset:         16
        .size:           8
        .value_kind:     global_buffer
      - .offset:         24
        .size:           4
        .value_kind:     by_value
      - .offset:         28
        .size:           4
        .value_kind:     by_value
      - .offset:         32
        .size:           4
        .value_kind:     by_value
      - .address_space:  global
        .offset:         40
        .size:           8
        .value_kind:     global_buffer
      - .offset:         48
        .size:           4
        .value_kind:     hidden_block_count_x
      - .offset:         52
        .size:           4
        .value_kind:     hidden_block_count_y
      - .offset:         56
        .size:           4
        .value_kind:     hidden_block_count_z
      - .offset:         60
        .size:           2
        .value_kind:     hidden_group_size_x
      - .offset:         62
        .size:           2
        .value_kind:     hidden_group_size_y
      - .offset:         64
        .size:           2
        .value_kind:     hidden_group_size_z
      - .offset:         66
        .size:           2
        .value_kind:     hidden_remainder_x
      - .offset:         68
        .size:           2
        .value_kind:     hidden_remainder_y
      - .offset:         70
        .size:           2
        .value_kind:     hidden_remainder_z
      - .offset:         88
        .size:           8
        .value_kind:     hidden_global_offset_x
      - .offset:         96
        .size:           8
        .value_kind:     hidden_global_offset_y
      - .offset:         104
        .size:           8
        .value_kind:     hidden_global_offset_z
      - .offset:         112
        .size:           2
        .value_kind:     hidden_grid_dims
    .group_segment_fixed_size: 0
    .kernarg_segment_align: 8
    .kernarg_segment_size: 304
    .language:       OpenCL C
    .language_version:
      - 2
      - 0
    .max_flat_workgroup_size: 1024
    .name:           _ZN12_GLOBAL__N_121softmax_warp_backwardIfN3c108BFloat16EfLi0ELb0ELb0ELi64EEEvPT0_PKT_S7_iiiPKb
    .private_segment_fixed_size: 0
    .sgpr_count:     18
    .sgpr_spill_count: 0
    .symbol:         _ZN12_GLOBAL__N_121softmax_warp_backwardIfN3c108BFloat16EfLi0ELb0ELb0ELi64EEEvPT0_PKT_S7_iiiPKb.kd
    .uniform_work_group_size: 1
    .uses_dynamic_stack: false
    .vgpr_count:     11
    .vgpr_spill_count: 0
    .wavefront_size: 32
    .workgroup_processor_mode: 1
  - .args:
      - .address_space:  global
        .offset:         0
        .size:           8
        .value_kind:     global_buffer
      - .address_space:  global
        .offset:         8
        .size:           8
        .value_kind:     global_buffer
      - .address_space:  global
        .offset:         16
        .size:           8
        .value_kind:     global_buffer
      - .offset:         24
        .size:           4
        .value_kind:     by_value
      - .offset:         28
        .size:           4
        .value_kind:     by_value
      - .offset:         32
        .size:           4
        .value_kind:     by_value
      - .address_space:  global
        .offset:         40
        .size:           8
        .value_kind:     global_buffer
      - .offset:         48
        .size:           4
        .value_kind:     hidden_block_count_x
      - .offset:         52
        .size:           4
        .value_kind:     hidden_block_count_y
      - .offset:         56
        .size:           4
        .value_kind:     hidden_block_count_z
      - .offset:         60
        .size:           2
        .value_kind:     hidden_group_size_x
      - .offset:         62
        .size:           2
        .value_kind:     hidden_group_size_y
      - .offset:         64
        .size:           2
        .value_kind:     hidden_group_size_z
      - .offset:         66
        .size:           2
        .value_kind:     hidden_remainder_x
      - .offset:         68
        .size:           2
        .value_kind:     hidden_remainder_y
      - .offset:         70
        .size:           2
        .value_kind:     hidden_remainder_z
      - .offset:         88
        .size:           8
        .value_kind:     hidden_global_offset_x
      - .offset:         96
        .size:           8
        .value_kind:     hidden_global_offset_y
      - .offset:         104
        .size:           8
        .value_kind:     hidden_global_offset_z
      - .offset:         112
        .size:           2
        .value_kind:     hidden_grid_dims
    .group_segment_fixed_size: 0
    .kernarg_segment_align: 8
    .kernarg_segment_size: 304
    .language:       OpenCL C
    .language_version:
      - 2
      - 0
    .max_flat_workgroup_size: 1024
    .name:           _ZN12_GLOBAL__N_121softmax_warp_backwardIfN3c108BFloat16EfLi0ELb0ELb0ELi32EEEvPT0_PKT_S7_iiiPKb
    .private_segment_fixed_size: 0
    .sgpr_count:     18
    .sgpr_spill_count: 0
    .symbol:         _ZN12_GLOBAL__N_121softmax_warp_backwardIfN3c108BFloat16EfLi0ELb0ELb0ELi32EEEvPT0_PKT_S7_iiiPKb.kd
    .uniform_work_group_size: 1
    .uses_dynamic_stack: false
    .vgpr_count:     11
    .vgpr_spill_count: 0
    .wavefront_size: 32
    .workgroup_processor_mode: 1
  - .args:
      - .address_space:  global
        .offset:         0
        .size:           8
        .value_kind:     global_buffer
      - .address_space:  global
        .offset:         8
        .size:           8
        .value_kind:     global_buffer
      - .address_space:  global
        .offset:         16
        .size:           8
        .value_kind:     global_buffer
      - .offset:         24
        .size:           4
        .value_kind:     by_value
      - .offset:         28
        .size:           4
        .value_kind:     by_value
      - .offset:         32
        .size:           4
        .value_kind:     by_value
      - .address_space:  global
        .offset:         40
        .size:           8
        .value_kind:     global_buffer
      - .offset:         48
        .size:           4
        .value_kind:     hidden_block_count_x
      - .offset:         52
        .size:           4
        .value_kind:     hidden_block_count_y
      - .offset:         56
        .size:           4
        .value_kind:     hidden_block_count_z
      - .offset:         60
        .size:           2
        .value_kind:     hidden_group_size_x
      - .offset:         62
        .size:           2
        .value_kind:     hidden_group_size_y
      - .offset:         64
        .size:           2
        .value_kind:     hidden_group_size_z
      - .offset:         66
        .size:           2
        .value_kind:     hidden_remainder_x
      - .offset:         68
        .size:           2
        .value_kind:     hidden_remainder_y
      - .offset:         70
        .size:           2
        .value_kind:     hidden_remainder_z
      - .offset:         88
        .size:           8
        .value_kind:     hidden_global_offset_x
      - .offset:         96
        .size:           8
        .value_kind:     hidden_global_offset_y
      - .offset:         104
        .size:           8
        .value_kind:     hidden_global_offset_z
      - .offset:         112
        .size:           2
        .value_kind:     hidden_grid_dims
    .group_segment_fixed_size: 0
    .kernarg_segment_align: 8
    .kernarg_segment_size: 304
    .language:       OpenCL C
    .language_version:
      - 2
      - 0
    .max_flat_workgroup_size: 1024
    .name:           _ZN12_GLOBAL__N_121softmax_warp_backwardIfN3c108BFloat16EfLi1ELb0ELb0ELi64EEEvPT0_PKT_S7_iiiPKb
    .private_segment_fixed_size: 0
    .sgpr_count:     18
    .sgpr_spill_count: 0
    .symbol:         _ZN12_GLOBAL__N_121softmax_warp_backwardIfN3c108BFloat16EfLi1ELb0ELb0ELi64EEEvPT0_PKT_S7_iiiPKb.kd
    .uniform_work_group_size: 1
    .uses_dynamic_stack: false
    .vgpr_count:     11
    .vgpr_spill_count: 0
    .wavefront_size: 32
    .workgroup_processor_mode: 1
  - .args:
      - .address_space:  global
        .offset:         0
        .size:           8
        .value_kind:     global_buffer
      - .address_space:  global
        .offset:         8
        .size:           8
        .value_kind:     global_buffer
      - .address_space:  global
        .offset:         16
        .size:           8
        .value_kind:     global_buffer
      - .offset:         24
        .size:           4
        .value_kind:     by_value
      - .offset:         28
        .size:           4
        .value_kind:     by_value
      - .offset:         32
        .size:           4
        .value_kind:     by_value
      - .address_space:  global
        .offset:         40
        .size:           8
        .value_kind:     global_buffer
      - .offset:         48
        .size:           4
        .value_kind:     hidden_block_count_x
      - .offset:         52
        .size:           4
        .value_kind:     hidden_block_count_y
      - .offset:         56
        .size:           4
        .value_kind:     hidden_block_count_z
      - .offset:         60
        .size:           2
        .value_kind:     hidden_group_size_x
      - .offset:         62
        .size:           2
        .value_kind:     hidden_group_size_y
      - .offset:         64
        .size:           2
        .value_kind:     hidden_group_size_z
      - .offset:         66
        .size:           2
        .value_kind:     hidden_remainder_x
      - .offset:         68
        .size:           2
        .value_kind:     hidden_remainder_y
      - .offset:         70
        .size:           2
        .value_kind:     hidden_remainder_z
      - .offset:         88
        .size:           8
        .value_kind:     hidden_global_offset_x
      - .offset:         96
        .size:           8
        .value_kind:     hidden_global_offset_y
      - .offset:         104
        .size:           8
        .value_kind:     hidden_global_offset_z
      - .offset:         112
        .size:           2
        .value_kind:     hidden_grid_dims
    .group_segment_fixed_size: 0
    .kernarg_segment_align: 8
    .kernarg_segment_size: 304
    .language:       OpenCL C
    .language_version:
      - 2
      - 0
    .max_flat_workgroup_size: 1024
    .name:           _ZN12_GLOBAL__N_121softmax_warp_backwardIfN3c108BFloat16EfLi1ELb0ELb0ELi32EEEvPT0_PKT_S7_iiiPKb
    .private_segment_fixed_size: 0
    .sgpr_count:     18
    .sgpr_spill_count: 0
    .symbol:         _ZN12_GLOBAL__N_121softmax_warp_backwardIfN3c108BFloat16EfLi1ELb0ELb0ELi32EEEvPT0_PKT_S7_iiiPKb.kd
    .uniform_work_group_size: 1
    .uses_dynamic_stack: false
    .vgpr_count:     11
    .vgpr_spill_count: 0
    .wavefront_size: 32
    .workgroup_processor_mode: 1
  - .args:
      - .address_space:  global
        .offset:         0
        .size:           8
        .value_kind:     global_buffer
      - .address_space:  global
        .offset:         8
        .size:           8
        .value_kind:     global_buffer
      - .address_space:  global
        .offset:         16
        .size:           8
        .value_kind:     global_buffer
      - .offset:         24
        .size:           4
        .value_kind:     by_value
      - .offset:         28
        .size:           4
        .value_kind:     by_value
      - .offset:         32
        .size:           4
        .value_kind:     by_value
      - .address_space:  global
        .offset:         40
        .size:           8
        .value_kind:     global_buffer
      - .offset:         48
        .size:           4
        .value_kind:     hidden_block_count_x
      - .offset:         52
        .size:           4
        .value_kind:     hidden_block_count_y
      - .offset:         56
        .size:           4
        .value_kind:     hidden_block_count_z
      - .offset:         60
        .size:           2
        .value_kind:     hidden_group_size_x
      - .offset:         62
        .size:           2
        .value_kind:     hidden_group_size_y
      - .offset:         64
        .size:           2
        .value_kind:     hidden_group_size_z
      - .offset:         66
        .size:           2
        .value_kind:     hidden_remainder_x
      - .offset:         68
        .size:           2
        .value_kind:     hidden_remainder_y
      - .offset:         70
        .size:           2
        .value_kind:     hidden_remainder_z
      - .offset:         88
        .size:           8
        .value_kind:     hidden_global_offset_x
      - .offset:         96
        .size:           8
        .value_kind:     hidden_global_offset_y
      - .offset:         104
        .size:           8
        .value_kind:     hidden_global_offset_z
      - .offset:         112
        .size:           2
        .value_kind:     hidden_grid_dims
    .group_segment_fixed_size: 0
    .kernarg_segment_align: 8
    .kernarg_segment_size: 304
    .language:       OpenCL C
    .language_version:
      - 2
      - 0
    .max_flat_workgroup_size: 1024
    .name:           _ZN12_GLOBAL__N_121softmax_warp_backwardIfN3c108BFloat16EfLi2ELb0ELb0ELi64EEEvPT0_PKT_S7_iiiPKb
    .private_segment_fixed_size: 0
    .sgpr_count:     18
    .sgpr_spill_count: 0
    .symbol:         _ZN12_GLOBAL__N_121softmax_warp_backwardIfN3c108BFloat16EfLi2ELb0ELb0ELi64EEEvPT0_PKT_S7_iiiPKb.kd
    .uniform_work_group_size: 1
    .uses_dynamic_stack: false
    .vgpr_count:     14
    .vgpr_spill_count: 0
    .wavefront_size: 32
    .workgroup_processor_mode: 1
  - .args:
      - .address_space:  global
        .offset:         0
        .size:           8
        .value_kind:     global_buffer
      - .address_space:  global
        .offset:         8
        .size:           8
        .value_kind:     global_buffer
      - .address_space:  global
        .offset:         16
        .size:           8
        .value_kind:     global_buffer
      - .offset:         24
        .size:           4
        .value_kind:     by_value
      - .offset:         28
        .size:           4
        .value_kind:     by_value
      - .offset:         32
        .size:           4
        .value_kind:     by_value
      - .address_space:  global
        .offset:         40
        .size:           8
        .value_kind:     global_buffer
      - .offset:         48
        .size:           4
        .value_kind:     hidden_block_count_x
      - .offset:         52
        .size:           4
        .value_kind:     hidden_block_count_y
      - .offset:         56
        .size:           4
        .value_kind:     hidden_block_count_z
      - .offset:         60
        .size:           2
        .value_kind:     hidden_group_size_x
      - .offset:         62
        .size:           2
        .value_kind:     hidden_group_size_y
      - .offset:         64
        .size:           2
        .value_kind:     hidden_group_size_z
      - .offset:         66
        .size:           2
        .value_kind:     hidden_remainder_x
      - .offset:         68
        .size:           2
        .value_kind:     hidden_remainder_y
      - .offset:         70
        .size:           2
        .value_kind:     hidden_remainder_z
      - .offset:         88
        .size:           8
        .value_kind:     hidden_global_offset_x
      - .offset:         96
        .size:           8
        .value_kind:     hidden_global_offset_y
      - .offset:         104
        .size:           8
        .value_kind:     hidden_global_offset_z
      - .offset:         112
        .size:           2
        .value_kind:     hidden_grid_dims
    .group_segment_fixed_size: 0
    .kernarg_segment_align: 8
    .kernarg_segment_size: 304
    .language:       OpenCL C
    .language_version:
      - 2
      - 0
    .max_flat_workgroup_size: 1024
    .name:           _ZN12_GLOBAL__N_121softmax_warp_backwardIfN3c108BFloat16EfLi2ELb0ELb0ELi32EEEvPT0_PKT_S7_iiiPKb
    .private_segment_fixed_size: 0
    .sgpr_count:     18
    .sgpr_spill_count: 0
    .symbol:         _ZN12_GLOBAL__N_121softmax_warp_backwardIfN3c108BFloat16EfLi2ELb0ELb0ELi32EEEvPT0_PKT_S7_iiiPKb.kd
    .uniform_work_group_size: 1
    .uses_dynamic_stack: false
    .vgpr_count:     14
    .vgpr_spill_count: 0
    .wavefront_size: 32
    .workgroup_processor_mode: 1
  - .args:
      - .address_space:  global
        .offset:         0
        .size:           8
        .value_kind:     global_buffer
      - .address_space:  global
        .offset:         8
        .size:           8
        .value_kind:     global_buffer
      - .address_space:  global
        .offset:         16
        .size:           8
        .value_kind:     global_buffer
      - .offset:         24
        .size:           4
        .value_kind:     by_value
      - .offset:         28
        .size:           4
        .value_kind:     by_value
      - .offset:         32
        .size:           4
        .value_kind:     by_value
      - .address_space:  global
        .offset:         40
        .size:           8
        .value_kind:     global_buffer
      - .offset:         48
        .size:           4
        .value_kind:     hidden_block_count_x
      - .offset:         52
        .size:           4
        .value_kind:     hidden_block_count_y
      - .offset:         56
        .size:           4
        .value_kind:     hidden_block_count_z
      - .offset:         60
        .size:           2
        .value_kind:     hidden_group_size_x
      - .offset:         62
        .size:           2
        .value_kind:     hidden_group_size_y
      - .offset:         64
        .size:           2
        .value_kind:     hidden_group_size_z
      - .offset:         66
        .size:           2
        .value_kind:     hidden_remainder_x
      - .offset:         68
        .size:           2
        .value_kind:     hidden_remainder_y
      - .offset:         70
        .size:           2
        .value_kind:     hidden_remainder_z
      - .offset:         88
        .size:           8
        .value_kind:     hidden_global_offset_x
      - .offset:         96
        .size:           8
        .value_kind:     hidden_global_offset_y
      - .offset:         104
        .size:           8
        .value_kind:     hidden_global_offset_z
      - .offset:         112
        .size:           2
        .value_kind:     hidden_grid_dims
    .group_segment_fixed_size: 0
    .kernarg_segment_align: 8
    .kernarg_segment_size: 304
    .language:       OpenCL C
    .language_version:
      - 2
      - 0
    .max_flat_workgroup_size: 1024
    .name:           _ZN12_GLOBAL__N_121softmax_warp_backwardIfN3c108BFloat16EfLi3ELb0ELb0ELi64EEEvPT0_PKT_S7_iiiPKb
    .private_segment_fixed_size: 0
    .sgpr_count:     18
    .sgpr_spill_count: 0
    .symbol:         _ZN12_GLOBAL__N_121softmax_warp_backwardIfN3c108BFloat16EfLi3ELb0ELb0ELi64EEEvPT0_PKT_S7_iiiPKb.kd
    .uniform_work_group_size: 1
    .uses_dynamic_stack: false
    .vgpr_count:     14
    .vgpr_spill_count: 0
    .wavefront_size: 32
    .workgroup_processor_mode: 1
  - .args:
      - .address_space:  global
        .offset:         0
        .size:           8
        .value_kind:     global_buffer
      - .address_space:  global
        .offset:         8
        .size:           8
        .value_kind:     global_buffer
      - .address_space:  global
        .offset:         16
        .size:           8
        .value_kind:     global_buffer
      - .offset:         24
        .size:           4
        .value_kind:     by_value
      - .offset:         28
        .size:           4
        .value_kind:     by_value
      - .offset:         32
        .size:           4
        .value_kind:     by_value
      - .address_space:  global
        .offset:         40
        .size:           8
        .value_kind:     global_buffer
      - .offset:         48
        .size:           4
        .value_kind:     hidden_block_count_x
      - .offset:         52
        .size:           4
        .value_kind:     hidden_block_count_y
      - .offset:         56
        .size:           4
        .value_kind:     hidden_block_count_z
      - .offset:         60
        .size:           2
        .value_kind:     hidden_group_size_x
      - .offset:         62
        .size:           2
        .value_kind:     hidden_group_size_y
      - .offset:         64
        .size:           2
        .value_kind:     hidden_group_size_z
      - .offset:         66
        .size:           2
        .value_kind:     hidden_remainder_x
      - .offset:         68
        .size:           2
        .value_kind:     hidden_remainder_y
      - .offset:         70
        .size:           2
        .value_kind:     hidden_remainder_z
      - .offset:         88
        .size:           8
        .value_kind:     hidden_global_offset_x
      - .offset:         96
        .size:           8
        .value_kind:     hidden_global_offset_y
      - .offset:         104
        .size:           8
        .value_kind:     hidden_global_offset_z
      - .offset:         112
        .size:           2
        .value_kind:     hidden_grid_dims
    .group_segment_fixed_size: 0
    .kernarg_segment_align: 8
    .kernarg_segment_size: 304
    .language:       OpenCL C
    .language_version:
      - 2
      - 0
    .max_flat_workgroup_size: 1024
    .name:           _ZN12_GLOBAL__N_121softmax_warp_backwardIfN3c108BFloat16EfLi3ELb0ELb0ELi32EEEvPT0_PKT_S7_iiiPKb
    .private_segment_fixed_size: 0
    .sgpr_count:     18
    .sgpr_spill_count: 0
    .symbol:         _ZN12_GLOBAL__N_121softmax_warp_backwardIfN3c108BFloat16EfLi3ELb0ELb0ELi32EEEvPT0_PKT_S7_iiiPKb.kd
    .uniform_work_group_size: 1
    .uses_dynamic_stack: false
    .vgpr_count:     14
    .vgpr_spill_count: 0
    .wavefront_size: 32
    .workgroup_processor_mode: 1
  - .args:
      - .address_space:  global
        .offset:         0
        .size:           8
        .value_kind:     global_buffer
      - .address_space:  global
        .offset:         8
        .size:           8
        .value_kind:     global_buffer
      - .address_space:  global
        .offset:         16
        .size:           8
        .value_kind:     global_buffer
      - .offset:         24
        .size:           4
        .value_kind:     by_value
      - .offset:         28
        .size:           4
        .value_kind:     by_value
      - .offset:         32
        .size:           4
        .value_kind:     by_value
      - .address_space:  global
        .offset:         40
        .size:           8
        .value_kind:     global_buffer
      - .offset:         48
        .size:           4
        .value_kind:     hidden_block_count_x
      - .offset:         52
        .size:           4
        .value_kind:     hidden_block_count_y
      - .offset:         56
        .size:           4
        .value_kind:     hidden_block_count_z
      - .offset:         60
        .size:           2
        .value_kind:     hidden_group_size_x
      - .offset:         62
        .size:           2
        .value_kind:     hidden_group_size_y
      - .offset:         64
        .size:           2
        .value_kind:     hidden_group_size_z
      - .offset:         66
        .size:           2
        .value_kind:     hidden_remainder_x
      - .offset:         68
        .size:           2
        .value_kind:     hidden_remainder_y
      - .offset:         70
        .size:           2
        .value_kind:     hidden_remainder_z
      - .offset:         88
        .size:           8
        .value_kind:     hidden_global_offset_x
      - .offset:         96
        .size:           8
        .value_kind:     hidden_global_offset_y
      - .offset:         104
        .size:           8
        .value_kind:     hidden_global_offset_z
      - .offset:         112
        .size:           2
        .value_kind:     hidden_grid_dims
    .group_segment_fixed_size: 0
    .kernarg_segment_align: 8
    .kernarg_segment_size: 304
    .language:       OpenCL C
    .language_version:
      - 2
      - 0
    .max_flat_workgroup_size: 1024
    .name:           _ZN12_GLOBAL__N_121softmax_warp_backwardIfN3c108BFloat16EfLi4ELb0ELb0ELi64EEEvPT0_PKT_S7_iiiPKb
    .private_segment_fixed_size: 0
    .sgpr_count:     18
    .sgpr_spill_count: 0
    .symbol:         _ZN12_GLOBAL__N_121softmax_warp_backwardIfN3c108BFloat16EfLi4ELb0ELb0ELi64EEEvPT0_PKT_S7_iiiPKb.kd
    .uniform_work_group_size: 1
    .uses_dynamic_stack: false
    .vgpr_count:     14
    .vgpr_spill_count: 0
    .wavefront_size: 32
    .workgroup_processor_mode: 1
  - .args:
      - .address_space:  global
        .offset:         0
        .size:           8
        .value_kind:     global_buffer
      - .address_space:  global
        .offset:         8
        .size:           8
        .value_kind:     global_buffer
      - .address_space:  global
        .offset:         16
        .size:           8
        .value_kind:     global_buffer
      - .offset:         24
        .size:           4
        .value_kind:     by_value
      - .offset:         28
        .size:           4
        .value_kind:     by_value
      - .offset:         32
        .size:           4
        .value_kind:     by_value
      - .address_space:  global
        .offset:         40
        .size:           8
        .value_kind:     global_buffer
      - .offset:         48
        .size:           4
        .value_kind:     hidden_block_count_x
      - .offset:         52
        .size:           4
        .value_kind:     hidden_block_count_y
      - .offset:         56
        .size:           4
        .value_kind:     hidden_block_count_z
      - .offset:         60
        .size:           2
        .value_kind:     hidden_group_size_x
      - .offset:         62
        .size:           2
        .value_kind:     hidden_group_size_y
      - .offset:         64
        .size:           2
        .value_kind:     hidden_group_size_z
      - .offset:         66
        .size:           2
        .value_kind:     hidden_remainder_x
      - .offset:         68
        .size:           2
        .value_kind:     hidden_remainder_y
      - .offset:         70
        .size:           2
        .value_kind:     hidden_remainder_z
      - .offset:         88
        .size:           8
        .value_kind:     hidden_global_offset_x
      - .offset:         96
        .size:           8
        .value_kind:     hidden_global_offset_y
      - .offset:         104
        .size:           8
        .value_kind:     hidden_global_offset_z
      - .offset:         112
        .size:           2
        .value_kind:     hidden_grid_dims
    .group_segment_fixed_size: 0
    .kernarg_segment_align: 8
    .kernarg_segment_size: 304
    .language:       OpenCL C
    .language_version:
      - 2
      - 0
    .max_flat_workgroup_size: 1024
    .name:           _ZN12_GLOBAL__N_121softmax_warp_backwardIfN3c108BFloat16EfLi4ELb0ELb0ELi32EEEvPT0_PKT_S7_iiiPKb
    .private_segment_fixed_size: 0
    .sgpr_count:     18
    .sgpr_spill_count: 0
    .symbol:         _ZN12_GLOBAL__N_121softmax_warp_backwardIfN3c108BFloat16EfLi4ELb0ELb0ELi32EEEvPT0_PKT_S7_iiiPKb.kd
    .uniform_work_group_size: 1
    .uses_dynamic_stack: false
    .vgpr_count:     14
    .vgpr_spill_count: 0
    .wavefront_size: 32
    .workgroup_processor_mode: 1
  - .args:
      - .address_space:  global
        .offset:         0
        .size:           8
        .value_kind:     global_buffer
      - .address_space:  global
        .offset:         8
        .size:           8
        .value_kind:     global_buffer
      - .address_space:  global
        .offset:         16
        .size:           8
        .value_kind:     global_buffer
      - .offset:         24
        .size:           4
        .value_kind:     by_value
      - .offset:         28
        .size:           4
        .value_kind:     by_value
      - .offset:         32
        .size:           4
        .value_kind:     by_value
      - .address_space:  global
        .offset:         40
        .size:           8
        .value_kind:     global_buffer
      - .offset:         48
        .size:           4
        .value_kind:     hidden_block_count_x
      - .offset:         52
        .size:           4
        .value_kind:     hidden_block_count_y
      - .offset:         56
        .size:           4
        .value_kind:     hidden_block_count_z
      - .offset:         60
        .size:           2
        .value_kind:     hidden_group_size_x
      - .offset:         62
        .size:           2
        .value_kind:     hidden_group_size_y
      - .offset:         64
        .size:           2
        .value_kind:     hidden_group_size_z
      - .offset:         66
        .size:           2
        .value_kind:     hidden_remainder_x
      - .offset:         68
        .size:           2
        .value_kind:     hidden_remainder_y
      - .offset:         70
        .size:           2
        .value_kind:     hidden_remainder_z
      - .offset:         88
        .size:           8
        .value_kind:     hidden_global_offset_x
      - .offset:         96
        .size:           8
        .value_kind:     hidden_global_offset_y
      - .offset:         104
        .size:           8
        .value_kind:     hidden_global_offset_z
      - .offset:         112
        .size:           2
        .value_kind:     hidden_grid_dims
    .group_segment_fixed_size: 0
    .kernarg_segment_align: 8
    .kernarg_segment_size: 304
    .language:       OpenCL C
    .language_version:
      - 2
      - 0
    .max_flat_workgroup_size: 1024
    .name:           _ZN12_GLOBAL__N_121softmax_warp_backwardIfN3c108BFloat16EfLi5ELb0ELb0ELi64EEEvPT0_PKT_S7_iiiPKb
    .private_segment_fixed_size: 0
    .sgpr_count:     18
    .sgpr_spill_count: 0
    .symbol:         _ZN12_GLOBAL__N_121softmax_warp_backwardIfN3c108BFloat16EfLi5ELb0ELb0ELi64EEEvPT0_PKT_S7_iiiPKb.kd
    .uniform_work_group_size: 1
    .uses_dynamic_stack: false
    .vgpr_count:     13
    .vgpr_spill_count: 0
    .wavefront_size: 32
    .workgroup_processor_mode: 1
  - .args:
      - .address_space:  global
        .offset:         0
        .size:           8
        .value_kind:     global_buffer
      - .address_space:  global
        .offset:         8
        .size:           8
        .value_kind:     global_buffer
      - .address_space:  global
        .offset:         16
        .size:           8
        .value_kind:     global_buffer
      - .offset:         24
        .size:           4
        .value_kind:     by_value
      - .offset:         28
        .size:           4
        .value_kind:     by_value
      - .offset:         32
        .size:           4
        .value_kind:     by_value
      - .address_space:  global
        .offset:         40
        .size:           8
        .value_kind:     global_buffer
      - .offset:         48
        .size:           4
        .value_kind:     hidden_block_count_x
      - .offset:         52
        .size:           4
        .value_kind:     hidden_block_count_y
      - .offset:         56
        .size:           4
        .value_kind:     hidden_block_count_z
      - .offset:         60
        .size:           2
        .value_kind:     hidden_group_size_x
      - .offset:         62
        .size:           2
        .value_kind:     hidden_group_size_y
      - .offset:         64
        .size:           2
        .value_kind:     hidden_group_size_z
      - .offset:         66
        .size:           2
        .value_kind:     hidden_remainder_x
      - .offset:         68
        .size:           2
        .value_kind:     hidden_remainder_y
      - .offset:         70
        .size:           2
        .value_kind:     hidden_remainder_z
      - .offset:         88
        .size:           8
        .value_kind:     hidden_global_offset_x
      - .offset:         96
        .size:           8
        .value_kind:     hidden_global_offset_y
      - .offset:         104
        .size:           8
        .value_kind:     hidden_global_offset_z
      - .offset:         112
        .size:           2
        .value_kind:     hidden_grid_dims
    .group_segment_fixed_size: 0
    .kernarg_segment_align: 8
    .kernarg_segment_size: 304
    .language:       OpenCL C
    .language_version:
      - 2
      - 0
    .max_flat_workgroup_size: 1024
    .name:           _ZN12_GLOBAL__N_121softmax_warp_backwardIfN3c108BFloat16EfLi5ELb0ELb0ELi32EEEvPT0_PKT_S7_iiiPKb
    .private_segment_fixed_size: 0
    .sgpr_count:     18
    .sgpr_spill_count: 0
    .symbol:         _ZN12_GLOBAL__N_121softmax_warp_backwardIfN3c108BFloat16EfLi5ELb0ELb0ELi32EEEvPT0_PKT_S7_iiiPKb.kd
    .uniform_work_group_size: 1
    .uses_dynamic_stack: false
    .vgpr_count:     13
    .vgpr_spill_count: 0
    .wavefront_size: 32
    .workgroup_processor_mode: 1
  - .args:
      - .address_space:  global
        .offset:         0
        .size:           8
        .value_kind:     global_buffer
      - .address_space:  global
        .offset:         8
        .size:           8
        .value_kind:     global_buffer
      - .address_space:  global
        .offset:         16
        .size:           8
        .value_kind:     global_buffer
      - .offset:         24
        .size:           4
        .value_kind:     by_value
      - .offset:         28
        .size:           4
        .value_kind:     by_value
      - .offset:         32
        .size:           4
        .value_kind:     by_value
      - .address_space:  global
        .offset:         40
        .size:           8
        .value_kind:     global_buffer
      - .offset:         48
        .size:           4
        .value_kind:     hidden_block_count_x
      - .offset:         52
        .size:           4
        .value_kind:     hidden_block_count_y
      - .offset:         56
        .size:           4
        .value_kind:     hidden_block_count_z
      - .offset:         60
        .size:           2
        .value_kind:     hidden_group_size_x
      - .offset:         62
        .size:           2
        .value_kind:     hidden_group_size_y
      - .offset:         64
        .size:           2
        .value_kind:     hidden_group_size_z
      - .offset:         66
        .size:           2
        .value_kind:     hidden_remainder_x
      - .offset:         68
        .size:           2
        .value_kind:     hidden_remainder_y
      - .offset:         70
        .size:           2
        .value_kind:     hidden_remainder_z
      - .offset:         88
        .size:           8
        .value_kind:     hidden_global_offset_x
      - .offset:         96
        .size:           8
        .value_kind:     hidden_global_offset_y
      - .offset:         104
        .size:           8
        .value_kind:     hidden_global_offset_z
      - .offset:         112
        .size:           2
        .value_kind:     hidden_grid_dims
    .group_segment_fixed_size: 0
    .kernarg_segment_align: 8
    .kernarg_segment_size: 304
    .language:       OpenCL C
    .language_version:
      - 2
      - 0
    .max_flat_workgroup_size: 1024
    .name:           _ZN12_GLOBAL__N_121softmax_warp_backwardIfN3c108BFloat16EfLi6ELb0ELb0ELi64EEEvPT0_PKT_S7_iiiPKb
    .private_segment_fixed_size: 0
    .sgpr_count:     18
    .sgpr_spill_count: 0
    .symbol:         _ZN12_GLOBAL__N_121softmax_warp_backwardIfN3c108BFloat16EfLi6ELb0ELb0ELi64EEEvPT0_PKT_S7_iiiPKb.kd
    .uniform_work_group_size: 1
    .uses_dynamic_stack: false
    .vgpr_count:     13
    .vgpr_spill_count: 0
    .wavefront_size: 32
    .workgroup_processor_mode: 1
  - .args:
      - .address_space:  global
        .offset:         0
        .size:           8
        .value_kind:     global_buffer
      - .address_space:  global
        .offset:         8
        .size:           8
        .value_kind:     global_buffer
      - .address_space:  global
        .offset:         16
        .size:           8
        .value_kind:     global_buffer
      - .offset:         24
        .size:           4
        .value_kind:     by_value
      - .offset:         28
        .size:           4
        .value_kind:     by_value
      - .offset:         32
        .size:           4
        .value_kind:     by_value
      - .address_space:  global
        .offset:         40
        .size:           8
        .value_kind:     global_buffer
      - .offset:         48
        .size:           4
        .value_kind:     hidden_block_count_x
      - .offset:         52
        .size:           4
        .value_kind:     hidden_block_count_y
      - .offset:         56
        .size:           4
        .value_kind:     hidden_block_count_z
      - .offset:         60
        .size:           2
        .value_kind:     hidden_group_size_x
      - .offset:         62
        .size:           2
        .value_kind:     hidden_group_size_y
      - .offset:         64
        .size:           2
        .value_kind:     hidden_group_size_z
      - .offset:         66
        .size:           2
        .value_kind:     hidden_remainder_x
      - .offset:         68
        .size:           2
        .value_kind:     hidden_remainder_y
      - .offset:         70
        .size:           2
        .value_kind:     hidden_remainder_z
      - .offset:         88
        .size:           8
        .value_kind:     hidden_global_offset_x
      - .offset:         96
        .size:           8
        .value_kind:     hidden_global_offset_y
      - .offset:         104
        .size:           8
        .value_kind:     hidden_global_offset_z
      - .offset:         112
        .size:           2
        .value_kind:     hidden_grid_dims
    .group_segment_fixed_size: 0
    .kernarg_segment_align: 8
    .kernarg_segment_size: 304
    .language:       OpenCL C
    .language_version:
      - 2
      - 0
    .max_flat_workgroup_size: 1024
    .name:           _ZN12_GLOBAL__N_121softmax_warp_backwardIfN3c108BFloat16EfLi6ELb0ELb0ELi32EEEvPT0_PKT_S7_iiiPKb
    .private_segment_fixed_size: 0
    .sgpr_count:     18
    .sgpr_spill_count: 0
    .symbol:         _ZN12_GLOBAL__N_121softmax_warp_backwardIfN3c108BFloat16EfLi6ELb0ELb0ELi32EEEvPT0_PKT_S7_iiiPKb.kd
    .uniform_work_group_size: 1
    .uses_dynamic_stack: false
    .vgpr_count:     17
    .vgpr_spill_count: 0
    .wavefront_size: 32
    .workgroup_processor_mode: 1
  - .args:
      - .address_space:  global
        .offset:         0
        .size:           8
        .value_kind:     global_buffer
      - .address_space:  global
        .offset:         8
        .size:           8
        .value_kind:     global_buffer
      - .address_space:  global
        .offset:         16
        .size:           8
        .value_kind:     global_buffer
      - .offset:         24
        .size:           4
        .value_kind:     by_value
      - .offset:         28
        .size:           4
        .value_kind:     by_value
      - .offset:         32
        .size:           4
        .value_kind:     by_value
      - .address_space:  global
        .offset:         40
        .size:           8
        .value_kind:     global_buffer
      - .offset:         48
        .size:           4
        .value_kind:     hidden_block_count_x
      - .offset:         52
        .size:           4
        .value_kind:     hidden_block_count_y
      - .offset:         56
        .size:           4
        .value_kind:     hidden_block_count_z
      - .offset:         60
        .size:           2
        .value_kind:     hidden_group_size_x
      - .offset:         62
        .size:           2
        .value_kind:     hidden_group_size_y
      - .offset:         64
        .size:           2
        .value_kind:     hidden_group_size_z
      - .offset:         66
        .size:           2
        .value_kind:     hidden_remainder_x
      - .offset:         68
        .size:           2
        .value_kind:     hidden_remainder_y
      - .offset:         70
        .size:           2
        .value_kind:     hidden_remainder_z
      - .offset:         88
        .size:           8
        .value_kind:     hidden_global_offset_x
      - .offset:         96
        .size:           8
        .value_kind:     hidden_global_offset_y
      - .offset:         104
        .size:           8
        .value_kind:     hidden_global_offset_z
      - .offset:         112
        .size:           2
        .value_kind:     hidden_grid_dims
    .group_segment_fixed_size: 0
    .kernarg_segment_align: 8
    .kernarg_segment_size: 304
    .language:       OpenCL C
    .language_version:
      - 2
      - 0
    .max_flat_workgroup_size: 1024
    .name:           _ZN12_GLOBAL__N_121softmax_warp_backwardIfN3c108BFloat16EfLi7ELb0ELb0ELi64EEEvPT0_PKT_S7_iiiPKb
    .private_segment_fixed_size: 0
    .sgpr_count:     18
    .sgpr_spill_count: 0
    .symbol:         _ZN12_GLOBAL__N_121softmax_warp_backwardIfN3c108BFloat16EfLi7ELb0ELb0ELi64EEEvPT0_PKT_S7_iiiPKb.kd
    .uniform_work_group_size: 1
    .uses_dynamic_stack: false
    .vgpr_count:     17
    .vgpr_spill_count: 0
    .wavefront_size: 32
    .workgroup_processor_mode: 1
  - .args:
      - .address_space:  global
        .offset:         0
        .size:           8
        .value_kind:     global_buffer
      - .address_space:  global
        .offset:         8
        .size:           8
        .value_kind:     global_buffer
      - .address_space:  global
        .offset:         16
        .size:           8
        .value_kind:     global_buffer
      - .offset:         24
        .size:           4
        .value_kind:     by_value
      - .offset:         28
        .size:           4
        .value_kind:     by_value
      - .offset:         32
        .size:           4
        .value_kind:     by_value
      - .address_space:  global
        .offset:         40
        .size:           8
        .value_kind:     global_buffer
      - .offset:         48
        .size:           4
        .value_kind:     hidden_block_count_x
      - .offset:         52
        .size:           4
        .value_kind:     hidden_block_count_y
      - .offset:         56
        .size:           4
        .value_kind:     hidden_block_count_z
      - .offset:         60
        .size:           2
        .value_kind:     hidden_group_size_x
      - .offset:         62
        .size:           2
        .value_kind:     hidden_group_size_y
      - .offset:         64
        .size:           2
        .value_kind:     hidden_group_size_z
      - .offset:         66
        .size:           2
        .value_kind:     hidden_remainder_x
      - .offset:         68
        .size:           2
        .value_kind:     hidden_remainder_y
      - .offset:         70
        .size:           2
        .value_kind:     hidden_remainder_z
      - .offset:         88
        .size:           8
        .value_kind:     hidden_global_offset_x
      - .offset:         96
        .size:           8
        .value_kind:     hidden_global_offset_y
      - .offset:         104
        .size:           8
        .value_kind:     hidden_global_offset_z
      - .offset:         112
        .size:           2
        .value_kind:     hidden_grid_dims
    .group_segment_fixed_size: 0
    .kernarg_segment_align: 8
    .kernarg_segment_size: 304
    .language:       OpenCL C
    .language_version:
      - 2
      - 0
    .max_flat_workgroup_size: 1024
    .name:           _ZN12_GLOBAL__N_121softmax_warp_backwardIfN3c108BFloat16EfLi7ELb0ELb0ELi32EEEvPT0_PKT_S7_iiiPKb
    .private_segment_fixed_size: 0
    .sgpr_count:     18
    .sgpr_spill_count: 0
    .symbol:         _ZN12_GLOBAL__N_121softmax_warp_backwardIfN3c108BFloat16EfLi7ELb0ELb0ELi32EEEvPT0_PKT_S7_iiiPKb.kd
    .uniform_work_group_size: 1
    .uses_dynamic_stack: false
    .vgpr_count:     25
    .vgpr_spill_count: 0
    .wavefront_size: 32
    .workgroup_processor_mode: 1
  - .args:
      - .address_space:  global
        .offset:         0
        .size:           8
        .value_kind:     global_buffer
      - .address_space:  global
        .offset:         8
        .size:           8
        .value_kind:     global_buffer
      - .address_space:  global
        .offset:         16
        .size:           8
        .value_kind:     global_buffer
      - .offset:         24
        .size:           4
        .value_kind:     by_value
      - .offset:         28
        .size:           4
        .value_kind:     by_value
      - .offset:         32
        .size:           4
        .value_kind:     by_value
      - .address_space:  global
        .offset:         40
        .size:           8
        .value_kind:     global_buffer
      - .offset:         48
        .size:           4
        .value_kind:     hidden_block_count_x
      - .offset:         52
        .size:           4
        .value_kind:     hidden_block_count_y
      - .offset:         56
        .size:           4
        .value_kind:     hidden_block_count_z
      - .offset:         60
        .size:           2
        .value_kind:     hidden_group_size_x
      - .offset:         62
        .size:           2
        .value_kind:     hidden_group_size_y
      - .offset:         64
        .size:           2
        .value_kind:     hidden_group_size_z
      - .offset:         66
        .size:           2
        .value_kind:     hidden_remainder_x
      - .offset:         68
        .size:           2
        .value_kind:     hidden_remainder_y
      - .offset:         70
        .size:           2
        .value_kind:     hidden_remainder_z
      - .offset:         88
        .size:           8
        .value_kind:     hidden_global_offset_x
      - .offset:         96
        .size:           8
        .value_kind:     hidden_global_offset_y
      - .offset:         104
        .size:           8
        .value_kind:     hidden_global_offset_z
      - .offset:         112
        .size:           2
        .value_kind:     hidden_grid_dims
    .group_segment_fixed_size: 0
    .kernarg_segment_align: 8
    .kernarg_segment_size: 304
    .language:       OpenCL C
    .language_version:
      - 2
      - 0
    .max_flat_workgroup_size: 1024
    .name:           _ZN12_GLOBAL__N_121softmax_warp_backwardIfN3c108BFloat16EfLi8ELb0ELb0ELi64EEEvPT0_PKT_S7_iiiPKb
    .private_segment_fixed_size: 0
    .sgpr_count:     18
    .sgpr_spill_count: 0
    .symbol:         _ZN12_GLOBAL__N_121softmax_warp_backwardIfN3c108BFloat16EfLi8ELb0ELb0ELi64EEEvPT0_PKT_S7_iiiPKb.kd
    .uniform_work_group_size: 1
    .uses_dynamic_stack: false
    .vgpr_count:     15
    .vgpr_spill_count: 0
    .wavefront_size: 32
    .workgroup_processor_mode: 1
  - .args:
      - .address_space:  global
        .offset:         0
        .size:           8
        .value_kind:     global_buffer
      - .address_space:  global
        .offset:         8
        .size:           8
        .value_kind:     global_buffer
      - .address_space:  global
        .offset:         16
        .size:           8
        .value_kind:     global_buffer
      - .offset:         24
        .size:           4
        .value_kind:     by_value
      - .offset:         28
        .size:           4
        .value_kind:     by_value
      - .offset:         32
        .size:           4
        .value_kind:     by_value
      - .address_space:  global
        .offset:         40
        .size:           8
        .value_kind:     global_buffer
      - .offset:         48
        .size:           4
        .value_kind:     hidden_block_count_x
      - .offset:         52
        .size:           4
        .value_kind:     hidden_block_count_y
      - .offset:         56
        .size:           4
        .value_kind:     hidden_block_count_z
      - .offset:         60
        .size:           2
        .value_kind:     hidden_group_size_x
      - .offset:         62
        .size:           2
        .value_kind:     hidden_group_size_y
      - .offset:         64
        .size:           2
        .value_kind:     hidden_group_size_z
      - .offset:         66
        .size:           2
        .value_kind:     hidden_remainder_x
      - .offset:         68
        .size:           2
        .value_kind:     hidden_remainder_y
      - .offset:         70
        .size:           2
        .value_kind:     hidden_remainder_z
      - .offset:         88
        .size:           8
        .value_kind:     hidden_global_offset_x
      - .offset:         96
        .size:           8
        .value_kind:     hidden_global_offset_y
      - .offset:         104
        .size:           8
        .value_kind:     hidden_global_offset_z
      - .offset:         112
        .size:           2
        .value_kind:     hidden_grid_dims
    .group_segment_fixed_size: 0
    .kernarg_segment_align: 8
    .kernarg_segment_size: 304
    .language:       OpenCL C
    .language_version:
      - 2
      - 0
    .max_flat_workgroup_size: 1024
    .name:           _ZN12_GLOBAL__N_121softmax_warp_backwardIfN3c108BFloat16EfLi8ELb0ELb0ELi32EEEvPT0_PKT_S7_iiiPKb
    .private_segment_fixed_size: 0
    .sgpr_count:     18
    .sgpr_spill_count: 0
    .symbol:         _ZN12_GLOBAL__N_121softmax_warp_backwardIfN3c108BFloat16EfLi8ELb0ELb0ELi32EEEvPT0_PKT_S7_iiiPKb.kd
    .uniform_work_group_size: 1
    .uses_dynamic_stack: false
    .vgpr_count:     23
    .vgpr_spill_count: 0
    .wavefront_size: 32
    .workgroup_processor_mode: 1
  - .args:
      - .address_space:  global
        .offset:         0
        .size:           8
        .value_kind:     global_buffer
      - .address_space:  global
        .offset:         8
        .size:           8
        .value_kind:     global_buffer
      - .address_space:  global
        .offset:         16
        .size:           8
        .value_kind:     global_buffer
      - .offset:         24
        .size:           4
        .value_kind:     by_value
      - .offset:         28
        .size:           4
        .value_kind:     by_value
      - .offset:         32
        .size:           4
        .value_kind:     by_value
      - .address_space:  global
        .offset:         40
        .size:           8
        .value_kind:     global_buffer
      - .offset:         48
        .size:           4
        .value_kind:     hidden_block_count_x
      - .offset:         52
        .size:           4
        .value_kind:     hidden_block_count_y
      - .offset:         56
        .size:           4
        .value_kind:     hidden_block_count_z
      - .offset:         60
        .size:           2
        .value_kind:     hidden_group_size_x
      - .offset:         62
        .size:           2
        .value_kind:     hidden_group_size_y
      - .offset:         64
        .size:           2
        .value_kind:     hidden_group_size_z
      - .offset:         66
        .size:           2
        .value_kind:     hidden_remainder_x
      - .offset:         68
        .size:           2
        .value_kind:     hidden_remainder_y
      - .offset:         70
        .size:           2
        .value_kind:     hidden_remainder_z
      - .offset:         88
        .size:           8
        .value_kind:     hidden_global_offset_x
      - .offset:         96
        .size:           8
        .value_kind:     hidden_global_offset_y
      - .offset:         104
        .size:           8
        .value_kind:     hidden_global_offset_z
      - .offset:         112
        .size:           2
        .value_kind:     hidden_grid_dims
    .group_segment_fixed_size: 0
    .kernarg_segment_align: 8
    .kernarg_segment_size: 304
    .language:       OpenCL C
    .language_version:
      - 2
      - 0
    .max_flat_workgroup_size: 1024
    .name:           _ZN12_GLOBAL__N_121softmax_warp_backwardIfN3c108BFloat16EfLi9ELb0ELb0ELi64EEEvPT0_PKT_S7_iiiPKb
    .private_segment_fixed_size: 0
    .sgpr_count:     18
    .sgpr_spill_count: 0
    .symbol:         _ZN12_GLOBAL__N_121softmax_warp_backwardIfN3c108BFloat16EfLi9ELb0ELb0ELi64EEEvPT0_PKT_S7_iiiPKb.kd
    .uniform_work_group_size: 1
    .uses_dynamic_stack: false
    .vgpr_count:     23
    .vgpr_spill_count: 0
    .wavefront_size: 32
    .workgroup_processor_mode: 1
  - .args:
      - .address_space:  global
        .offset:         0
        .size:           8
        .value_kind:     global_buffer
      - .address_space:  global
        .offset:         8
        .size:           8
        .value_kind:     global_buffer
      - .address_space:  global
        .offset:         16
        .size:           8
        .value_kind:     global_buffer
      - .offset:         24
        .size:           4
        .value_kind:     by_value
      - .offset:         28
        .size:           4
        .value_kind:     by_value
      - .offset:         32
        .size:           4
        .value_kind:     by_value
      - .address_space:  global
        .offset:         40
        .size:           8
        .value_kind:     global_buffer
      - .offset:         48
        .size:           4
        .value_kind:     hidden_block_count_x
      - .offset:         52
        .size:           4
        .value_kind:     hidden_block_count_y
      - .offset:         56
        .size:           4
        .value_kind:     hidden_block_count_z
      - .offset:         60
        .size:           2
        .value_kind:     hidden_group_size_x
      - .offset:         62
        .size:           2
        .value_kind:     hidden_group_size_y
      - .offset:         64
        .size:           2
        .value_kind:     hidden_group_size_z
      - .offset:         66
        .size:           2
        .value_kind:     hidden_remainder_x
      - .offset:         68
        .size:           2
        .value_kind:     hidden_remainder_y
      - .offset:         70
        .size:           2
        .value_kind:     hidden_remainder_z
      - .offset:         88
        .size:           8
        .value_kind:     hidden_global_offset_x
      - .offset:         96
        .size:           8
        .value_kind:     hidden_global_offset_y
      - .offset:         104
        .size:           8
        .value_kind:     hidden_global_offset_z
      - .offset:         112
        .size:           2
        .value_kind:     hidden_grid_dims
    .group_segment_fixed_size: 0
    .kernarg_segment_align: 8
    .kernarg_segment_size: 304
    .language:       OpenCL C
    .language_version:
      - 2
      - 0
    .max_flat_workgroup_size: 1024
    .name:           _ZN12_GLOBAL__N_121softmax_warp_backwardIfN3c108BFloat16EfLi9ELb0ELb0ELi32EEEvPT0_PKT_S7_iiiPKb
    .private_segment_fixed_size: 0
    .sgpr_count:     26
    .sgpr_spill_count: 0
    .symbol:         _ZN12_GLOBAL__N_121softmax_warp_backwardIfN3c108BFloat16EfLi9ELb0ELb0ELi32EEEvPT0_PKT_S7_iiiPKb.kd
    .uniform_work_group_size: 1
    .uses_dynamic_stack: false
    .vgpr_count:     39
    .vgpr_spill_count: 0
    .wavefront_size: 32
    .workgroup_processor_mode: 1
  - .args:
      - .address_space:  global
        .offset:         0
        .size:           8
        .value_kind:     global_buffer
      - .address_space:  global
        .offset:         8
        .size:           8
        .value_kind:     global_buffer
      - .address_space:  global
        .offset:         16
        .size:           8
        .value_kind:     global_buffer
      - .offset:         24
        .size:           4
        .value_kind:     by_value
      - .offset:         28
        .size:           4
        .value_kind:     by_value
      - .offset:         32
        .size:           4
        .value_kind:     by_value
      - .address_space:  global
        .offset:         40
        .size:           8
        .value_kind:     global_buffer
      - .offset:         48
        .size:           4
        .value_kind:     hidden_block_count_x
      - .offset:         52
        .size:           4
        .value_kind:     hidden_block_count_y
      - .offset:         56
        .size:           4
        .value_kind:     hidden_block_count_z
      - .offset:         60
        .size:           2
        .value_kind:     hidden_group_size_x
      - .offset:         62
        .size:           2
        .value_kind:     hidden_group_size_y
      - .offset:         64
        .size:           2
        .value_kind:     hidden_group_size_z
      - .offset:         66
        .size:           2
        .value_kind:     hidden_remainder_x
      - .offset:         68
        .size:           2
        .value_kind:     hidden_remainder_y
      - .offset:         70
        .size:           2
        .value_kind:     hidden_remainder_z
      - .offset:         88
        .size:           8
        .value_kind:     hidden_global_offset_x
      - .offset:         96
        .size:           8
        .value_kind:     hidden_global_offset_y
      - .offset:         104
        .size:           8
        .value_kind:     hidden_global_offset_z
      - .offset:         112
        .size:           2
        .value_kind:     hidden_grid_dims
    .group_segment_fixed_size: 0
    .kernarg_segment_align: 8
    .kernarg_segment_size: 304
    .language:       OpenCL C
    .language_version:
      - 2
      - 0
    .max_flat_workgroup_size: 1024
    .name:           _ZN12_GLOBAL__N_121softmax_warp_backwardIfN3c108BFloat16EfLi10ELb0ELb0ELi64EEEvPT0_PKT_S7_iiiPKb
    .private_segment_fixed_size: 0
    .sgpr_count:     26
    .sgpr_spill_count: 0
    .symbol:         _ZN12_GLOBAL__N_121softmax_warp_backwardIfN3c108BFloat16EfLi10ELb0ELb0ELi64EEEvPT0_PKT_S7_iiiPKb.kd
    .uniform_work_group_size: 1
    .uses_dynamic_stack: false
    .vgpr_count:     39
    .vgpr_spill_count: 0
    .wavefront_size: 32
    .workgroup_processor_mode: 1
  - .args:
      - .address_space:  global
        .offset:         0
        .size:           8
        .value_kind:     global_buffer
      - .address_space:  global
        .offset:         8
        .size:           8
        .value_kind:     global_buffer
      - .address_space:  global
        .offset:         16
        .size:           8
        .value_kind:     global_buffer
      - .offset:         24
        .size:           4
        .value_kind:     by_value
      - .offset:         28
        .size:           4
        .value_kind:     by_value
      - .offset:         32
        .size:           4
        .value_kind:     by_value
      - .address_space:  global
        .offset:         40
        .size:           8
        .value_kind:     global_buffer
      - .offset:         48
        .size:           4
        .value_kind:     hidden_block_count_x
      - .offset:         52
        .size:           4
        .value_kind:     hidden_block_count_y
      - .offset:         56
        .size:           4
        .value_kind:     hidden_block_count_z
      - .offset:         60
        .size:           2
        .value_kind:     hidden_group_size_x
      - .offset:         62
        .size:           2
        .value_kind:     hidden_group_size_y
      - .offset:         64
        .size:           2
        .value_kind:     hidden_group_size_z
      - .offset:         66
        .size:           2
        .value_kind:     hidden_remainder_x
      - .offset:         68
        .size:           2
        .value_kind:     hidden_remainder_y
      - .offset:         70
        .size:           2
        .value_kind:     hidden_remainder_z
      - .offset:         88
        .size:           8
        .value_kind:     hidden_global_offset_x
      - .offset:         96
        .size:           8
        .value_kind:     hidden_global_offset_y
      - .offset:         104
        .size:           8
        .value_kind:     hidden_global_offset_z
      - .offset:         112
        .size:           2
        .value_kind:     hidden_grid_dims
    .group_segment_fixed_size: 0
    .kernarg_segment_align: 8
    .kernarg_segment_size: 304
    .language:       OpenCL C
    .language_version:
      - 2
      - 0
    .max_flat_workgroup_size: 1024
    .name:           _ZN12_GLOBAL__N_121softmax_warp_backwardIfN3c108BFloat16EfLi10ELb0ELb0ELi32EEEvPT0_PKT_S7_iiiPKb
    .private_segment_fixed_size: 0
    .sgpr_count:     46
    .sgpr_spill_count: 0
    .symbol:         _ZN12_GLOBAL__N_121softmax_warp_backwardIfN3c108BFloat16EfLi10ELb0ELb0ELi32EEEvPT0_PKT_S7_iiiPKb.kd
    .uniform_work_group_size: 1
    .uses_dynamic_stack: false
    .vgpr_count:     71
    .vgpr_spill_count: 0
    .wavefront_size: 32
    .workgroup_processor_mode: 1
  - .args:
      - .address_space:  global
        .offset:         0
        .size:           8
        .value_kind:     global_buffer
      - .address_space:  global
        .offset:         8
        .size:           8
        .value_kind:     global_buffer
      - .address_space:  global
        .offset:         16
        .size:           8
        .value_kind:     global_buffer
      - .offset:         24
        .size:           8
        .value_kind:     by_value
      - .offset:         32
        .size:           4
        .value_kind:     hidden_block_count_x
      - .offset:         36
        .size:           4
        .value_kind:     hidden_block_count_y
      - .offset:         40
        .size:           4
        .value_kind:     hidden_block_count_z
      - .offset:         44
        .size:           2
        .value_kind:     hidden_group_size_x
      - .offset:         46
        .size:           2
        .value_kind:     hidden_group_size_y
      - .offset:         48
        .size:           2
        .value_kind:     hidden_group_size_z
      - .offset:         50
        .size:           2
        .value_kind:     hidden_remainder_x
      - .offset:         52
        .size:           2
        .value_kind:     hidden_remainder_y
      - .offset:         54
        .size:           2
        .value_kind:     hidden_remainder_z
      - .offset:         72
        .size:           8
        .value_kind:     hidden_global_offset_x
      - .offset:         80
        .size:           8
        .value_kind:     hidden_global_offset_y
      - .offset:         88
        .size:           8
        .value_kind:     hidden_global_offset_z
      - .offset:         96
        .size:           2
        .value_kind:     hidden_grid_dims
      - .offset:         152
        .size:           4
        .value_kind:     hidden_dynamic_lds_size
    .group_segment_fixed_size: 0
    .kernarg_segment_align: 8
    .kernarg_segment_size: 288
    .language:       OpenCL C
    .language_version:
      - 2
      - 0
    .max_flat_workgroup_size: 1024
    .name:           _ZN2at6native12_GLOBAL__N_124cunn_SoftMaxBackwardSmemILi4EN3c108BFloat16EffNS1_23SoftMaxBackwardEpilogueEEEvPT0_PKT2_SA_l
    .private_segment_fixed_size: 0
    .sgpr_count:     20
    .sgpr_spill_count: 0
    .symbol:         _ZN2at6native12_GLOBAL__N_124cunn_SoftMaxBackwardSmemILi4EN3c108BFloat16EffNS1_23SoftMaxBackwardEpilogueEEEvPT0_PKT2_SA_l.kd
    .uniform_work_group_size: 1
    .uses_dynamic_stack: false
    .vgpr_count:     16
    .vgpr_spill_count: 0
    .wavefront_size: 32
    .workgroup_processor_mode: 1
  - .args:
      - .address_space:  global
        .offset:         0
        .size:           8
        .value_kind:     global_buffer
      - .address_space:  global
        .offset:         8
        .size:           8
        .value_kind:     global_buffer
      - .address_space:  global
        .offset:         16
        .size:           8
        .value_kind:     global_buffer
      - .offset:         24
        .size:           8
        .value_kind:     by_value
      - .offset:         32
        .size:           4
        .value_kind:     hidden_block_count_x
      - .offset:         36
        .size:           4
        .value_kind:     hidden_block_count_y
      - .offset:         40
        .size:           4
        .value_kind:     hidden_block_count_z
      - .offset:         44
        .size:           2
        .value_kind:     hidden_group_size_x
      - .offset:         46
        .size:           2
        .value_kind:     hidden_group_size_y
      - .offset:         48
        .size:           2
        .value_kind:     hidden_group_size_z
      - .offset:         50
        .size:           2
        .value_kind:     hidden_remainder_x
      - .offset:         52
        .size:           2
        .value_kind:     hidden_remainder_y
      - .offset:         54
        .size:           2
        .value_kind:     hidden_remainder_z
      - .offset:         72
        .size:           8
        .value_kind:     hidden_global_offset_x
      - .offset:         80
        .size:           8
        .value_kind:     hidden_global_offset_y
      - .offset:         88
        .size:           8
        .value_kind:     hidden_global_offset_z
      - .offset:         96
        .size:           2
        .value_kind:     hidden_grid_dims
      - .offset:         152
        .size:           4
        .value_kind:     hidden_dynamic_lds_size
    .group_segment_fixed_size: 0
    .kernarg_segment_align: 8
    .kernarg_segment_size: 288
    .language:       OpenCL C
    .language_version:
      - 2
      - 0
    .max_flat_workgroup_size: 1024
    .name:           _ZN2at6native12_GLOBAL__N_120cunn_SoftMaxBackwardILi4EN3c108BFloat16EffNS1_23SoftMaxBackwardEpilogueEEEvPT0_PKT2_SA_l
    .private_segment_fixed_size: 0
    .sgpr_count:     59
    .sgpr_spill_count: 0
    .symbol:         _ZN2at6native12_GLOBAL__N_120cunn_SoftMaxBackwardILi4EN3c108BFloat16EffNS1_23SoftMaxBackwardEpilogueEEEvPT0_PKT2_SA_l.kd
    .uniform_work_group_size: 1
    .uses_dynamic_stack: false
    .vgpr_count:     27
    .vgpr_spill_count: 0
    .wavefront_size: 32
    .workgroup_processor_mode: 1
  - .args:
      - .address_space:  global
        .offset:         0
        .size:           8
        .value_kind:     global_buffer
      - .address_space:  global
        .offset:         8
        .size:           8
        .value_kind:     global_buffer
      - .address_space:  global
        .offset:         16
        .size:           8
        .value_kind:     global_buffer
      - .offset:         24
        .size:           4
        .value_kind:     by_value
      - .offset:         28
        .size:           4
        .value_kind:     by_value
      - .offset:         32
        .size:           4
        .value_kind:     by_value
      - .offset:         40
        .size:           4
        .value_kind:     hidden_block_count_x
      - .offset:         44
        .size:           4
        .value_kind:     hidden_block_count_y
      - .offset:         48
        .size:           4
        .value_kind:     hidden_block_count_z
      - .offset:         52
        .size:           2
        .value_kind:     hidden_group_size_x
      - .offset:         54
        .size:           2
        .value_kind:     hidden_group_size_y
      - .offset:         56
        .size:           2
        .value_kind:     hidden_group_size_z
      - .offset:         58
        .size:           2
        .value_kind:     hidden_remainder_x
      - .offset:         60
        .size:           2
        .value_kind:     hidden_remainder_y
      - .offset:         62
        .size:           2
        .value_kind:     hidden_remainder_z
      - .offset:         80
        .size:           8
        .value_kind:     hidden_global_offset_x
      - .offset:         88
        .size:           8
        .value_kind:     hidden_global_offset_y
      - .offset:         96
        .size:           8
        .value_kind:     hidden_global_offset_z
      - .offset:         104
        .size:           2
        .value_kind:     hidden_grid_dims
      - .offset:         160
        .size:           4
        .value_kind:     hidden_dynamic_lds_size
    .group_segment_fixed_size: 0
    .kernarg_segment_align: 8
    .kernarg_segment_size: 296
    .language:       OpenCL C
    .language_version:
      - 2
      - 0
    .max_flat_workgroup_size: 1024
    .name:           _ZN2at6native12_GLOBAL__N_127cunn_SpatialSoftMaxBackwardIdddNS1_23SoftMaxBackwardEpilogueEEEvPT_PKT1_S8_jjj
    .private_segment_fixed_size: 0
    .sgpr_count:     28
    .sgpr_spill_count: 0
    .symbol:         _ZN2at6native12_GLOBAL__N_127cunn_SpatialSoftMaxBackwardIdddNS1_23SoftMaxBackwardEpilogueEEEvPT_PKT1_S8_jjj.kd
    .uniform_work_group_size: 1
    .uses_dynamic_stack: false
    .vgpr_count:     21
    .vgpr_spill_count: 0
    .wavefront_size: 32
    .workgroup_processor_mode: 1
  - .args:
      - .address_space:  global
        .offset:         0
        .size:           8
        .value_kind:     global_buffer
      - .address_space:  global
        .offset:         8
        .size:           8
        .value_kind:     global_buffer
      - .address_space:  global
        .offset:         16
        .size:           8
        .value_kind:     global_buffer
      - .offset:         24
        .size:           4
        .value_kind:     by_value
      - .offset:         28
        .size:           4
        .value_kind:     by_value
      - .offset:         32
        .size:           4
        .value_kind:     by_value
      - .offset:         40
        .size:           4
        .value_kind:     hidden_block_count_x
      - .offset:         44
        .size:           4
        .value_kind:     hidden_block_count_y
      - .offset:         48
        .size:           4
        .value_kind:     hidden_block_count_z
      - .offset:         52
        .size:           2
        .value_kind:     hidden_group_size_x
      - .offset:         54
        .size:           2
        .value_kind:     hidden_group_size_y
      - .offset:         56
        .size:           2
        .value_kind:     hidden_group_size_z
      - .offset:         58
        .size:           2
        .value_kind:     hidden_remainder_x
      - .offset:         60
        .size:           2
        .value_kind:     hidden_remainder_y
      - .offset:         62
        .size:           2
        .value_kind:     hidden_remainder_z
      - .offset:         80
        .size:           8
        .value_kind:     hidden_global_offset_x
      - .offset:         88
        .size:           8
        .value_kind:     hidden_global_offset_y
      - .offset:         96
        .size:           8
        .value_kind:     hidden_global_offset_z
      - .offset:         104
        .size:           2
        .value_kind:     hidden_grid_dims
      - .offset:         160
        .size:           4
        .value_kind:     hidden_dynamic_lds_size
    .group_segment_fixed_size: 0
    .kernarg_segment_align: 8
    .kernarg_segment_size: 296
    .language:       OpenCL C
    .language_version:
      - 2
      - 0
    .max_flat_workgroup_size: 1024
    .name:           _ZN2at6native12_GLOBAL__N_127cunn_SpatialSoftMaxBackwardIfffNS1_23SoftMaxBackwardEpilogueEEEvPT_PKT1_S8_jjj
    .private_segment_fixed_size: 0
    .sgpr_count:     28
    .sgpr_spill_count: 0
    .symbol:         _ZN2at6native12_GLOBAL__N_127cunn_SpatialSoftMaxBackwardIfffNS1_23SoftMaxBackwardEpilogueEEEvPT_PKT1_S8_jjj.kd
    .uniform_work_group_size: 1
    .uses_dynamic_stack: false
    .vgpr_count:     20
    .vgpr_spill_count: 0
    .wavefront_size: 32
    .workgroup_processor_mode: 1
  - .args:
      - .address_space:  global
        .offset:         0
        .size:           8
        .value_kind:     global_buffer
      - .address_space:  global
        .offset:         8
        .size:           8
        .value_kind:     global_buffer
      - .address_space:  global
        .offset:         16
        .size:           8
        .value_kind:     global_buffer
      - .offset:         24
        .size:           4
        .value_kind:     by_value
      - .offset:         28
        .size:           4
        .value_kind:     by_value
      - .offset:         32
        .size:           4
        .value_kind:     by_value
      - .offset:         40
        .size:           4
        .value_kind:     hidden_block_count_x
      - .offset:         44
        .size:           4
        .value_kind:     hidden_block_count_y
      - .offset:         48
        .size:           4
        .value_kind:     hidden_block_count_z
      - .offset:         52
        .size:           2
        .value_kind:     hidden_group_size_x
      - .offset:         54
        .size:           2
        .value_kind:     hidden_group_size_y
      - .offset:         56
        .size:           2
        .value_kind:     hidden_group_size_z
      - .offset:         58
        .size:           2
        .value_kind:     hidden_remainder_x
      - .offset:         60
        .size:           2
        .value_kind:     hidden_remainder_y
      - .offset:         62
        .size:           2
        .value_kind:     hidden_remainder_z
      - .offset:         80
        .size:           8
        .value_kind:     hidden_global_offset_x
      - .offset:         88
        .size:           8
        .value_kind:     hidden_global_offset_y
      - .offset:         96
        .size:           8
        .value_kind:     hidden_global_offset_z
      - .offset:         104
        .size:           2
        .value_kind:     hidden_grid_dims
      - .offset:         160
        .size:           4
        .value_kind:     hidden_dynamic_lds_size
    .group_segment_fixed_size: 0
    .kernarg_segment_align: 8
    .kernarg_segment_size: 296
    .language:       OpenCL C
    .language_version:
      - 2
      - 0
    .max_flat_workgroup_size: 1024
    .name:           _ZN2at6native12_GLOBAL__N_127cunn_SpatialSoftMaxBackwardIN3c104HalfEfS4_NS1_23SoftMaxBackwardEpilogueEEEvPT_PKT1_SA_jjj
    .private_segment_fixed_size: 0
    .sgpr_count:     28
    .sgpr_spill_count: 0
    .symbol:         _ZN2at6native12_GLOBAL__N_127cunn_SpatialSoftMaxBackwardIN3c104HalfEfS4_NS1_23SoftMaxBackwardEpilogueEEEvPT_PKT1_SA_jjj.kd
    .uniform_work_group_size: 1
    .uses_dynamic_stack: false
    .vgpr_count:     20
    .vgpr_spill_count: 0
    .wavefront_size: 32
    .workgroup_processor_mode: 1
  - .args:
      - .address_space:  global
        .offset:         0
        .size:           8
        .value_kind:     global_buffer
      - .address_space:  global
        .offset:         8
        .size:           8
        .value_kind:     global_buffer
      - .address_space:  global
        .offset:         16
        .size:           8
        .value_kind:     global_buffer
      - .offset:         24
        .size:           4
        .value_kind:     by_value
      - .offset:         28
        .size:           4
        .value_kind:     by_value
      - .offset:         32
        .size:           4
        .value_kind:     by_value
      - .offset:         40
        .size:           4
        .value_kind:     hidden_block_count_x
      - .offset:         44
        .size:           4
        .value_kind:     hidden_block_count_y
      - .offset:         48
        .size:           4
        .value_kind:     hidden_block_count_z
      - .offset:         52
        .size:           2
        .value_kind:     hidden_group_size_x
      - .offset:         54
        .size:           2
        .value_kind:     hidden_group_size_y
      - .offset:         56
        .size:           2
        .value_kind:     hidden_group_size_z
      - .offset:         58
        .size:           2
        .value_kind:     hidden_remainder_x
      - .offset:         60
        .size:           2
        .value_kind:     hidden_remainder_y
      - .offset:         62
        .size:           2
        .value_kind:     hidden_remainder_z
      - .offset:         80
        .size:           8
        .value_kind:     hidden_global_offset_x
      - .offset:         88
        .size:           8
        .value_kind:     hidden_global_offset_y
      - .offset:         96
        .size:           8
        .value_kind:     hidden_global_offset_z
      - .offset:         104
        .size:           2
        .value_kind:     hidden_grid_dims
      - .offset:         160
        .size:           4
        .value_kind:     hidden_dynamic_lds_size
    .group_segment_fixed_size: 0
    .kernarg_segment_align: 8
    .kernarg_segment_size: 296
    .language:       OpenCL C
    .language_version:
      - 2
      - 0
    .max_flat_workgroup_size: 1024
    .name:           _ZN2at6native12_GLOBAL__N_127cunn_SpatialSoftMaxBackwardIN3c104HalfEffNS1_23SoftMaxBackwardEpilogueEEEvPT_PKT1_SA_jjj
    .private_segment_fixed_size: 0
    .sgpr_count:     28
    .sgpr_spill_count: 0
    .symbol:         _ZN2at6native12_GLOBAL__N_127cunn_SpatialSoftMaxBackwardIN3c104HalfEffNS1_23SoftMaxBackwardEpilogueEEEvPT_PKT1_SA_jjj.kd
    .uniform_work_group_size: 1
    .uses_dynamic_stack: false
    .vgpr_count:     18
    .vgpr_spill_count: 0
    .wavefront_size: 32
    .workgroup_processor_mode: 1
  - .args:
      - .address_space:  global
        .offset:         0
        .size:           8
        .value_kind:     global_buffer
      - .address_space:  global
        .offset:         8
        .size:           8
        .value_kind:     global_buffer
      - .address_space:  global
        .offset:         16
        .size:           8
        .value_kind:     global_buffer
      - .offset:         24
        .size:           4
        .value_kind:     by_value
      - .offset:         28
        .size:           4
        .value_kind:     by_value
      - .offset:         32
        .size:           4
        .value_kind:     by_value
      - .offset:         40
        .size:           4
        .value_kind:     hidden_block_count_x
      - .offset:         44
        .size:           4
        .value_kind:     hidden_block_count_y
      - .offset:         48
        .size:           4
        .value_kind:     hidden_block_count_z
      - .offset:         52
        .size:           2
        .value_kind:     hidden_group_size_x
      - .offset:         54
        .size:           2
        .value_kind:     hidden_group_size_y
      - .offset:         56
        .size:           2
        .value_kind:     hidden_group_size_z
      - .offset:         58
        .size:           2
        .value_kind:     hidden_remainder_x
      - .offset:         60
        .size:           2
        .value_kind:     hidden_remainder_y
      - .offset:         62
        .size:           2
        .value_kind:     hidden_remainder_z
      - .offset:         80
        .size:           8
        .value_kind:     hidden_global_offset_x
      - .offset:         88
        .size:           8
        .value_kind:     hidden_global_offset_y
      - .offset:         96
        .size:           8
        .value_kind:     hidden_global_offset_z
      - .offset:         104
        .size:           2
        .value_kind:     hidden_grid_dims
      - .offset:         160
        .size:           4
        .value_kind:     hidden_dynamic_lds_size
    .group_segment_fixed_size: 0
    .kernarg_segment_align: 8
    .kernarg_segment_size: 296
    .language:       OpenCL C
    .language_version:
      - 2
      - 0
    .max_flat_workgroup_size: 1024
    .name:           _ZN2at6native12_GLOBAL__N_127cunn_SpatialSoftMaxBackwardIN3c108BFloat16EfS4_NS1_23SoftMaxBackwardEpilogueEEEvPT_PKT1_SA_jjj
    .private_segment_fixed_size: 0
    .sgpr_count:     28
    .sgpr_spill_count: 0
    .symbol:         _ZN2at6native12_GLOBAL__N_127cunn_SpatialSoftMaxBackwardIN3c108BFloat16EfS4_NS1_23SoftMaxBackwardEpilogueEEEvPT_PKT1_SA_jjj.kd
    .uniform_work_group_size: 1
    .uses_dynamic_stack: false
    .vgpr_count:     20
    .vgpr_spill_count: 0
    .wavefront_size: 32
    .workgroup_processor_mode: 1
  - .args:
      - .address_space:  global
        .offset:         0
        .size:           8
        .value_kind:     global_buffer
      - .address_space:  global
        .offset:         8
        .size:           8
        .value_kind:     global_buffer
      - .address_space:  global
        .offset:         16
        .size:           8
        .value_kind:     global_buffer
      - .offset:         24
        .size:           4
        .value_kind:     by_value
      - .offset:         28
        .size:           4
        .value_kind:     by_value
      - .offset:         32
        .size:           4
        .value_kind:     by_value
      - .offset:         40
        .size:           4
        .value_kind:     hidden_block_count_x
      - .offset:         44
        .size:           4
        .value_kind:     hidden_block_count_y
      - .offset:         48
        .size:           4
        .value_kind:     hidden_block_count_z
      - .offset:         52
        .size:           2
        .value_kind:     hidden_group_size_x
      - .offset:         54
        .size:           2
        .value_kind:     hidden_group_size_y
      - .offset:         56
        .size:           2
        .value_kind:     hidden_group_size_z
      - .offset:         58
        .size:           2
        .value_kind:     hidden_remainder_x
      - .offset:         60
        .size:           2
        .value_kind:     hidden_remainder_y
      - .offset:         62
        .size:           2
        .value_kind:     hidden_remainder_z
      - .offset:         80
        .size:           8
        .value_kind:     hidden_global_offset_x
      - .offset:         88
        .size:           8
        .value_kind:     hidden_global_offset_y
      - .offset:         96
        .size:           8
        .value_kind:     hidden_global_offset_z
      - .offset:         104
        .size:           2
        .value_kind:     hidden_grid_dims
      - .offset:         160
        .size:           4
        .value_kind:     hidden_dynamic_lds_size
    .group_segment_fixed_size: 0
    .kernarg_segment_align: 8
    .kernarg_segment_size: 296
    .language:       OpenCL C
    .language_version:
      - 2
      - 0
    .max_flat_workgroup_size: 1024
    .name:           _ZN2at6native12_GLOBAL__N_127cunn_SpatialSoftMaxBackwardIN3c108BFloat16EffNS1_23SoftMaxBackwardEpilogueEEEvPT_PKT1_SA_jjj
    .private_segment_fixed_size: 0
    .sgpr_count:     28
    .sgpr_spill_count: 0
    .symbol:         _ZN2at6native12_GLOBAL__N_127cunn_SpatialSoftMaxBackwardIN3c108BFloat16EffNS1_23SoftMaxBackwardEpilogueEEEvPT_PKT1_SA_jjj.kd
    .uniform_work_group_size: 1
    .uses_dynamic_stack: false
    .vgpr_count:     18
    .vgpr_spill_count: 0
    .wavefront_size: 32
    .workgroup_processor_mode: 1
  - .args:
      - .address_space:  global
        .offset:         0
        .size:           8
        .value_kind:     global_buffer
      - .address_space:  global
        .offset:         8
        .size:           8
        .value_kind:     global_buffer
      - .offset:         16
        .size:           4
        .value_kind:     by_value
      - .offset:         20
        .size:           4
        .value_kind:     by_value
      - .offset:         24
        .size:           4
        .value_kind:     by_value
      - .address_space:  global
        .offset:         32
        .size:           8
        .value_kind:     global_buffer
      - .offset:         40
        .size:           4
        .value_kind:     by_value
      - .offset:         44
        .size:           1
        .value_kind:     by_value
      - .offset:         48
        .size:           4
        .value_kind:     hidden_block_count_x
      - .offset:         52
        .size:           4
        .value_kind:     hidden_block_count_y
      - .offset:         56
        .size:           4
        .value_kind:     hidden_block_count_z
      - .offset:         60
        .size:           2
        .value_kind:     hidden_group_size_x
      - .offset:         62
        .size:           2
        .value_kind:     hidden_group_size_y
      - .offset:         64
        .size:           2
        .value_kind:     hidden_group_size_z
      - .offset:         66
        .size:           2
        .value_kind:     hidden_remainder_x
      - .offset:         68
        .size:           2
        .value_kind:     hidden_remainder_y
      - .offset:         70
        .size:           2
        .value_kind:     hidden_remainder_z
      - .offset:         88
        .size:           8
        .value_kind:     hidden_global_offset_x
      - .offset:         96
        .size:           8
        .value_kind:     hidden_global_offset_y
      - .offset:         104
        .size:           8
        .value_kind:     hidden_global_offset_z
      - .offset:         112
        .size:           2
        .value_kind:     hidden_grid_dims
    .group_segment_fixed_size: 0
    .kernarg_segment_align: 8
    .kernarg_segment_size: 304
    .language:       OpenCL C
    .language_version:
      - 2
      - 0
    .max_flat_workgroup_size: 1024
    .name:           _ZN12_GLOBAL__N_120softmax_warp_forwardIdddLi0ELb0ELb1ELi64EEEvPT0_PKT_iiiPKbib
    .private_segment_fixed_size: 0
    .sgpr_count:     19
    .sgpr_spill_count: 0
    .symbol:         _ZN12_GLOBAL__N_120softmax_warp_forwardIdddLi0ELb0ELb1ELi64EEEvPT0_PKT_iiiPKbib.kd
    .uniform_work_group_size: 1
    .uses_dynamic_stack: false
    .vgpr_count:     21
    .vgpr_spill_count: 0
    .wavefront_size: 32
    .workgroup_processor_mode: 1
  - .args:
      - .address_space:  global
        .offset:         0
        .size:           8
        .value_kind:     global_buffer
      - .address_space:  global
        .offset:         8
        .size:           8
        .value_kind:     global_buffer
      - .offset:         16
        .size:           4
        .value_kind:     by_value
      - .offset:         20
        .size:           4
        .value_kind:     by_value
      - .offset:         24
        .size:           4
        .value_kind:     by_value
      - .address_space:  global
        .offset:         32
        .size:           8
        .value_kind:     global_buffer
      - .offset:         40
        .size:           4
        .value_kind:     by_value
      - .offset:         44
        .size:           1
        .value_kind:     by_value
      - .offset:         48
        .size:           4
        .value_kind:     hidden_block_count_x
      - .offset:         52
        .size:           4
        .value_kind:     hidden_block_count_y
      - .offset:         56
        .size:           4
        .value_kind:     hidden_block_count_z
      - .offset:         60
        .size:           2
        .value_kind:     hidden_group_size_x
      - .offset:         62
        .size:           2
        .value_kind:     hidden_group_size_y
      - .offset:         64
        .size:           2
        .value_kind:     hidden_group_size_z
      - .offset:         66
        .size:           2
        .value_kind:     hidden_remainder_x
      - .offset:         68
        .size:           2
        .value_kind:     hidden_remainder_y
      - .offset:         70
        .size:           2
        .value_kind:     hidden_remainder_z
      - .offset:         88
        .size:           8
        .value_kind:     hidden_global_offset_x
      - .offset:         96
        .size:           8
        .value_kind:     hidden_global_offset_y
      - .offset:         104
        .size:           8
        .value_kind:     hidden_global_offset_z
      - .offset:         112
        .size:           2
        .value_kind:     hidden_grid_dims
    .group_segment_fixed_size: 0
    .kernarg_segment_align: 8
    .kernarg_segment_size: 304
    .language:       OpenCL C
    .language_version:
      - 2
      - 0
    .max_flat_workgroup_size: 1024
    .name:           _ZN12_GLOBAL__N_120softmax_warp_forwardIdddLi0ELb0ELb1ELi32EEEvPT0_PKT_iiiPKbib
    .private_segment_fixed_size: 0
    .sgpr_count:     19
    .sgpr_spill_count: 0
    .symbol:         _ZN12_GLOBAL__N_120softmax_warp_forwardIdddLi0ELb0ELb1ELi32EEEvPT0_PKT_iiiPKbib.kd
    .uniform_work_group_size: 1
    .uses_dynamic_stack: false
    .vgpr_count:     21
    .vgpr_spill_count: 0
    .wavefront_size: 32
    .workgroup_processor_mode: 1
  - .args:
      - .address_space:  global
        .offset:         0
        .size:           8
        .value_kind:     global_buffer
      - .address_space:  global
        .offset:         8
        .size:           8
        .value_kind:     global_buffer
      - .offset:         16
        .size:           4
        .value_kind:     by_value
      - .offset:         20
        .size:           4
        .value_kind:     by_value
      - .offset:         24
        .size:           4
        .value_kind:     by_value
      - .address_space:  global
        .offset:         32
        .size:           8
        .value_kind:     global_buffer
      - .offset:         40
        .size:           4
        .value_kind:     by_value
      - .offset:         44
        .size:           1
        .value_kind:     by_value
      - .offset:         48
        .size:           4
        .value_kind:     hidden_block_count_x
      - .offset:         52
        .size:           4
        .value_kind:     hidden_block_count_y
      - .offset:         56
        .size:           4
        .value_kind:     hidden_block_count_z
      - .offset:         60
        .size:           2
        .value_kind:     hidden_group_size_x
      - .offset:         62
        .size:           2
        .value_kind:     hidden_group_size_y
      - .offset:         64
        .size:           2
        .value_kind:     hidden_group_size_z
      - .offset:         66
        .size:           2
        .value_kind:     hidden_remainder_x
      - .offset:         68
        .size:           2
        .value_kind:     hidden_remainder_y
      - .offset:         70
        .size:           2
        .value_kind:     hidden_remainder_z
      - .offset:         88
        .size:           8
        .value_kind:     hidden_global_offset_x
      - .offset:         96
        .size:           8
        .value_kind:     hidden_global_offset_y
      - .offset:         104
        .size:           8
        .value_kind:     hidden_global_offset_z
      - .offset:         112
        .size:           2
        .value_kind:     hidden_grid_dims
    .group_segment_fixed_size: 0
    .kernarg_segment_align: 8
    .kernarg_segment_size: 304
    .language:       OpenCL C
    .language_version:
      - 2
      - 0
    .max_flat_workgroup_size: 1024
    .name:           _ZN12_GLOBAL__N_120softmax_warp_forwardIdddLi1ELb0ELb1ELi64EEEvPT0_PKT_iiiPKbib
    .private_segment_fixed_size: 0
    .sgpr_count:     19
    .sgpr_spill_count: 0
    .symbol:         _ZN12_GLOBAL__N_120softmax_warp_forwardIdddLi1ELb0ELb1ELi64EEEvPT0_PKT_iiiPKbib.kd
    .uniform_work_group_size: 1
    .uses_dynamic_stack: false
    .vgpr_count:     26
    .vgpr_spill_count: 0
    .wavefront_size: 32
    .workgroup_processor_mode: 1
  - .args:
      - .address_space:  global
        .offset:         0
        .size:           8
        .value_kind:     global_buffer
      - .address_space:  global
        .offset:         8
        .size:           8
        .value_kind:     global_buffer
      - .offset:         16
        .size:           4
        .value_kind:     by_value
      - .offset:         20
        .size:           4
        .value_kind:     by_value
      - .offset:         24
        .size:           4
        .value_kind:     by_value
      - .address_space:  global
        .offset:         32
        .size:           8
        .value_kind:     global_buffer
      - .offset:         40
        .size:           4
        .value_kind:     by_value
      - .offset:         44
        .size:           1
        .value_kind:     by_value
      - .offset:         48
        .size:           4
        .value_kind:     hidden_block_count_x
      - .offset:         52
        .size:           4
        .value_kind:     hidden_block_count_y
      - .offset:         56
        .size:           4
        .value_kind:     hidden_block_count_z
      - .offset:         60
        .size:           2
        .value_kind:     hidden_group_size_x
      - .offset:         62
        .size:           2
        .value_kind:     hidden_group_size_y
      - .offset:         64
        .size:           2
        .value_kind:     hidden_group_size_z
      - .offset:         66
        .size:           2
        .value_kind:     hidden_remainder_x
      - .offset:         68
        .size:           2
        .value_kind:     hidden_remainder_y
      - .offset:         70
        .size:           2
        .value_kind:     hidden_remainder_z
      - .offset:         88
        .size:           8
        .value_kind:     hidden_global_offset_x
      - .offset:         96
        .size:           8
        .value_kind:     hidden_global_offset_y
      - .offset:         104
        .size:           8
        .value_kind:     hidden_global_offset_z
      - .offset:         112
        .size:           2
        .value_kind:     hidden_grid_dims
    .group_segment_fixed_size: 0
    .kernarg_segment_align: 8
    .kernarg_segment_size: 304
    .language:       OpenCL C
    .language_version:
      - 2
      - 0
    .max_flat_workgroup_size: 1024
    .name:           _ZN12_GLOBAL__N_120softmax_warp_forwardIdddLi1ELb0ELb1ELi32EEEvPT0_PKT_iiiPKbib
    .private_segment_fixed_size: 0
    .sgpr_count:     19
    .sgpr_spill_count: 0
    .symbol:         _ZN12_GLOBAL__N_120softmax_warp_forwardIdddLi1ELb0ELb1ELi32EEEvPT0_PKT_iiiPKbib.kd
    .uniform_work_group_size: 1
    .uses_dynamic_stack: false
    .vgpr_count:     26
    .vgpr_spill_count: 0
    .wavefront_size: 32
    .workgroup_processor_mode: 1
  - .args:
      - .address_space:  global
        .offset:         0
        .size:           8
        .value_kind:     global_buffer
      - .address_space:  global
        .offset:         8
        .size:           8
        .value_kind:     global_buffer
      - .offset:         16
        .size:           4
        .value_kind:     by_value
      - .offset:         20
        .size:           4
        .value_kind:     by_value
      - .offset:         24
        .size:           4
        .value_kind:     by_value
      - .address_space:  global
        .offset:         32
        .size:           8
        .value_kind:     global_buffer
      - .offset:         40
        .size:           4
        .value_kind:     by_value
      - .offset:         44
        .size:           1
        .value_kind:     by_value
      - .offset:         48
        .size:           4
        .value_kind:     hidden_block_count_x
      - .offset:         52
        .size:           4
        .value_kind:     hidden_block_count_y
      - .offset:         56
        .size:           4
        .value_kind:     hidden_block_count_z
      - .offset:         60
        .size:           2
        .value_kind:     hidden_group_size_x
      - .offset:         62
        .size:           2
        .value_kind:     hidden_group_size_y
      - .offset:         64
        .size:           2
        .value_kind:     hidden_group_size_z
      - .offset:         66
        .size:           2
        .value_kind:     hidden_remainder_x
      - .offset:         68
        .size:           2
        .value_kind:     hidden_remainder_y
      - .offset:         70
        .size:           2
        .value_kind:     hidden_remainder_z
      - .offset:         88
        .size:           8
        .value_kind:     hidden_global_offset_x
      - .offset:         96
        .size:           8
        .value_kind:     hidden_global_offset_y
      - .offset:         104
        .size:           8
        .value_kind:     hidden_global_offset_z
      - .offset:         112
        .size:           2
        .value_kind:     hidden_grid_dims
    .group_segment_fixed_size: 0
    .kernarg_segment_align: 8
    .kernarg_segment_size: 304
    .language:       OpenCL C
    .language_version:
      - 2
      - 0
    .max_flat_workgroup_size: 1024
    .name:           _ZN12_GLOBAL__N_120softmax_warp_forwardIdddLi2ELb0ELb1ELi64EEEvPT0_PKT_iiiPKbib
    .private_segment_fixed_size: 0
    .sgpr_count:     19
    .sgpr_spill_count: 0
    .symbol:         _ZN12_GLOBAL__N_120softmax_warp_forwardIdddLi2ELb0ELb1ELi64EEEvPT0_PKT_iiiPKbib.kd
    .uniform_work_group_size: 1
    .uses_dynamic_stack: false
    .vgpr_count:     27
    .vgpr_spill_count: 0
    .wavefront_size: 32
    .workgroup_processor_mode: 1
  - .args:
      - .address_space:  global
        .offset:         0
        .size:           8
        .value_kind:     global_buffer
      - .address_space:  global
        .offset:         8
        .size:           8
        .value_kind:     global_buffer
      - .offset:         16
        .size:           4
        .value_kind:     by_value
      - .offset:         20
        .size:           4
        .value_kind:     by_value
      - .offset:         24
        .size:           4
        .value_kind:     by_value
      - .address_space:  global
        .offset:         32
        .size:           8
        .value_kind:     global_buffer
      - .offset:         40
        .size:           4
        .value_kind:     by_value
      - .offset:         44
        .size:           1
        .value_kind:     by_value
      - .offset:         48
        .size:           4
        .value_kind:     hidden_block_count_x
      - .offset:         52
        .size:           4
        .value_kind:     hidden_block_count_y
      - .offset:         56
        .size:           4
        .value_kind:     hidden_block_count_z
      - .offset:         60
        .size:           2
        .value_kind:     hidden_group_size_x
      - .offset:         62
        .size:           2
        .value_kind:     hidden_group_size_y
      - .offset:         64
        .size:           2
        .value_kind:     hidden_group_size_z
      - .offset:         66
        .size:           2
        .value_kind:     hidden_remainder_x
      - .offset:         68
        .size:           2
        .value_kind:     hidden_remainder_y
      - .offset:         70
        .size:           2
        .value_kind:     hidden_remainder_z
      - .offset:         88
        .size:           8
        .value_kind:     hidden_global_offset_x
      - .offset:         96
        .size:           8
        .value_kind:     hidden_global_offset_y
      - .offset:         104
        .size:           8
        .value_kind:     hidden_global_offset_z
      - .offset:         112
        .size:           2
        .value_kind:     hidden_grid_dims
    .group_segment_fixed_size: 0
    .kernarg_segment_align: 8
    .kernarg_segment_size: 304
    .language:       OpenCL C
    .language_version:
      - 2
      - 0
    .max_flat_workgroup_size: 1024
    .name:           _ZN12_GLOBAL__N_120softmax_warp_forwardIdddLi2ELb0ELb1ELi32EEEvPT0_PKT_iiiPKbib
    .private_segment_fixed_size: 0
    .sgpr_count:     19
    .sgpr_spill_count: 0
    .symbol:         _ZN12_GLOBAL__N_120softmax_warp_forwardIdddLi2ELb0ELb1ELi32EEEvPT0_PKT_iiiPKbib.kd
    .uniform_work_group_size: 1
    .uses_dynamic_stack: false
    .vgpr_count:     27
    .vgpr_spill_count: 0
    .wavefront_size: 32
    .workgroup_processor_mode: 1
  - .args:
      - .address_space:  global
        .offset:         0
        .size:           8
        .value_kind:     global_buffer
      - .address_space:  global
        .offset:         8
        .size:           8
        .value_kind:     global_buffer
      - .offset:         16
        .size:           4
        .value_kind:     by_value
      - .offset:         20
        .size:           4
        .value_kind:     by_value
      - .offset:         24
        .size:           4
        .value_kind:     by_value
      - .address_space:  global
        .offset:         32
        .size:           8
        .value_kind:     global_buffer
      - .offset:         40
        .size:           4
        .value_kind:     by_value
      - .offset:         44
        .size:           1
        .value_kind:     by_value
      - .offset:         48
        .size:           4
        .value_kind:     hidden_block_count_x
      - .offset:         52
        .size:           4
        .value_kind:     hidden_block_count_y
      - .offset:         56
        .size:           4
        .value_kind:     hidden_block_count_z
      - .offset:         60
        .size:           2
        .value_kind:     hidden_group_size_x
      - .offset:         62
        .size:           2
        .value_kind:     hidden_group_size_y
      - .offset:         64
        .size:           2
        .value_kind:     hidden_group_size_z
      - .offset:         66
        .size:           2
        .value_kind:     hidden_remainder_x
      - .offset:         68
        .size:           2
        .value_kind:     hidden_remainder_y
      - .offset:         70
        .size:           2
        .value_kind:     hidden_remainder_z
      - .offset:         88
        .size:           8
        .value_kind:     hidden_global_offset_x
      - .offset:         96
        .size:           8
        .value_kind:     hidden_global_offset_y
      - .offset:         104
        .size:           8
        .value_kind:     hidden_global_offset_z
      - .offset:         112
        .size:           2
        .value_kind:     hidden_grid_dims
    .group_segment_fixed_size: 0
    .kernarg_segment_align: 8
    .kernarg_segment_size: 304
    .language:       OpenCL C
    .language_version:
      - 2
      - 0
    .max_flat_workgroup_size: 1024
    .name:           _ZN12_GLOBAL__N_120softmax_warp_forwardIdddLi3ELb0ELb1ELi64EEEvPT0_PKT_iiiPKbib
    .private_segment_fixed_size: 0
    .sgpr_count:     19
    .sgpr_spill_count: 0
    .symbol:         _ZN12_GLOBAL__N_120softmax_warp_forwardIdddLi3ELb0ELb1ELi64EEEvPT0_PKT_iiiPKbib.kd
    .uniform_work_group_size: 1
    .uses_dynamic_stack: false
    .vgpr_count:     28
    .vgpr_spill_count: 0
    .wavefront_size: 32
    .workgroup_processor_mode: 1
  - .args:
      - .address_space:  global
        .offset:         0
        .size:           8
        .value_kind:     global_buffer
      - .address_space:  global
        .offset:         8
        .size:           8
        .value_kind:     global_buffer
      - .offset:         16
        .size:           4
        .value_kind:     by_value
      - .offset:         20
        .size:           4
        .value_kind:     by_value
      - .offset:         24
        .size:           4
        .value_kind:     by_value
      - .address_space:  global
        .offset:         32
        .size:           8
        .value_kind:     global_buffer
      - .offset:         40
        .size:           4
        .value_kind:     by_value
      - .offset:         44
        .size:           1
        .value_kind:     by_value
      - .offset:         48
        .size:           4
        .value_kind:     hidden_block_count_x
      - .offset:         52
        .size:           4
        .value_kind:     hidden_block_count_y
      - .offset:         56
        .size:           4
        .value_kind:     hidden_block_count_z
      - .offset:         60
        .size:           2
        .value_kind:     hidden_group_size_x
      - .offset:         62
        .size:           2
        .value_kind:     hidden_group_size_y
      - .offset:         64
        .size:           2
        .value_kind:     hidden_group_size_z
      - .offset:         66
        .size:           2
        .value_kind:     hidden_remainder_x
      - .offset:         68
        .size:           2
        .value_kind:     hidden_remainder_y
      - .offset:         70
        .size:           2
        .value_kind:     hidden_remainder_z
      - .offset:         88
        .size:           8
        .value_kind:     hidden_global_offset_x
      - .offset:         96
        .size:           8
        .value_kind:     hidden_global_offset_y
      - .offset:         104
        .size:           8
        .value_kind:     hidden_global_offset_z
      - .offset:         112
        .size:           2
        .value_kind:     hidden_grid_dims
    .group_segment_fixed_size: 0
    .kernarg_segment_align: 8
    .kernarg_segment_size: 304
    .language:       OpenCL C
    .language_version:
      - 2
      - 0
    .max_flat_workgroup_size: 1024
    .name:           _ZN12_GLOBAL__N_120softmax_warp_forwardIdddLi3ELb0ELb1ELi32EEEvPT0_PKT_iiiPKbib
    .private_segment_fixed_size: 0
    .sgpr_count:     19
    .sgpr_spill_count: 0
    .symbol:         _ZN12_GLOBAL__N_120softmax_warp_forwardIdddLi3ELb0ELb1ELi32EEEvPT0_PKT_iiiPKbib.kd
    .uniform_work_group_size: 1
    .uses_dynamic_stack: false
    .vgpr_count:     28
    .vgpr_spill_count: 0
    .wavefront_size: 32
    .workgroup_processor_mode: 1
  - .args:
      - .address_space:  global
        .offset:         0
        .size:           8
        .value_kind:     global_buffer
      - .address_space:  global
        .offset:         8
        .size:           8
        .value_kind:     global_buffer
      - .offset:         16
        .size:           4
        .value_kind:     by_value
      - .offset:         20
        .size:           4
        .value_kind:     by_value
      - .offset:         24
        .size:           4
        .value_kind:     by_value
      - .address_space:  global
        .offset:         32
        .size:           8
        .value_kind:     global_buffer
      - .offset:         40
        .size:           4
        .value_kind:     by_value
      - .offset:         44
        .size:           1
        .value_kind:     by_value
      - .offset:         48
        .size:           4
        .value_kind:     hidden_block_count_x
      - .offset:         52
        .size:           4
        .value_kind:     hidden_block_count_y
      - .offset:         56
        .size:           4
        .value_kind:     hidden_block_count_z
      - .offset:         60
        .size:           2
        .value_kind:     hidden_group_size_x
      - .offset:         62
        .size:           2
        .value_kind:     hidden_group_size_y
      - .offset:         64
        .size:           2
        .value_kind:     hidden_group_size_z
      - .offset:         66
        .size:           2
        .value_kind:     hidden_remainder_x
      - .offset:         68
        .size:           2
        .value_kind:     hidden_remainder_y
      - .offset:         70
        .size:           2
        .value_kind:     hidden_remainder_z
      - .offset:         88
        .size:           8
        .value_kind:     hidden_global_offset_x
      - .offset:         96
        .size:           8
        .value_kind:     hidden_global_offset_y
      - .offset:         104
        .size:           8
        .value_kind:     hidden_global_offset_z
      - .offset:         112
        .size:           2
        .value_kind:     hidden_grid_dims
    .group_segment_fixed_size: 0
    .kernarg_segment_align: 8
    .kernarg_segment_size: 304
    .language:       OpenCL C
    .language_version:
      - 2
      - 0
    .max_flat_workgroup_size: 1024
    .name:           _ZN12_GLOBAL__N_120softmax_warp_forwardIdddLi4ELb0ELb1ELi64EEEvPT0_PKT_iiiPKbib
    .private_segment_fixed_size: 0
    .sgpr_count:     19
    .sgpr_spill_count: 0
    .symbol:         _ZN12_GLOBAL__N_120softmax_warp_forwardIdddLi4ELb0ELb1ELi64EEEvPT0_PKT_iiiPKbib.kd
    .uniform_work_group_size: 1
    .uses_dynamic_stack: false
    .vgpr_count:     29
    .vgpr_spill_count: 0
    .wavefront_size: 32
    .workgroup_processor_mode: 1
  - .args:
      - .address_space:  global
        .offset:         0
        .size:           8
        .value_kind:     global_buffer
      - .address_space:  global
        .offset:         8
        .size:           8
        .value_kind:     global_buffer
      - .offset:         16
        .size:           4
        .value_kind:     by_value
      - .offset:         20
        .size:           4
        .value_kind:     by_value
      - .offset:         24
        .size:           4
        .value_kind:     by_value
      - .address_space:  global
        .offset:         32
        .size:           8
        .value_kind:     global_buffer
      - .offset:         40
        .size:           4
        .value_kind:     by_value
      - .offset:         44
        .size:           1
        .value_kind:     by_value
      - .offset:         48
        .size:           4
        .value_kind:     hidden_block_count_x
      - .offset:         52
        .size:           4
        .value_kind:     hidden_block_count_y
      - .offset:         56
        .size:           4
        .value_kind:     hidden_block_count_z
      - .offset:         60
        .size:           2
        .value_kind:     hidden_group_size_x
      - .offset:         62
        .size:           2
        .value_kind:     hidden_group_size_y
      - .offset:         64
        .size:           2
        .value_kind:     hidden_group_size_z
      - .offset:         66
        .size:           2
        .value_kind:     hidden_remainder_x
      - .offset:         68
        .size:           2
        .value_kind:     hidden_remainder_y
      - .offset:         70
        .size:           2
        .value_kind:     hidden_remainder_z
      - .offset:         88
        .size:           8
        .value_kind:     hidden_global_offset_x
      - .offset:         96
        .size:           8
        .value_kind:     hidden_global_offset_y
      - .offset:         104
        .size:           8
        .value_kind:     hidden_global_offset_z
      - .offset:         112
        .size:           2
        .value_kind:     hidden_grid_dims
    .group_segment_fixed_size: 0
    .kernarg_segment_align: 8
    .kernarg_segment_size: 304
    .language:       OpenCL C
    .language_version:
      - 2
      - 0
    .max_flat_workgroup_size: 1024
    .name:           _ZN12_GLOBAL__N_120softmax_warp_forwardIdddLi4ELb0ELb1ELi32EEEvPT0_PKT_iiiPKbib
    .private_segment_fixed_size: 0
    .sgpr_count:     19
    .sgpr_spill_count: 0
    .symbol:         _ZN12_GLOBAL__N_120softmax_warp_forwardIdddLi4ELb0ELb1ELi32EEEvPT0_PKT_iiiPKbib.kd
    .uniform_work_group_size: 1
    .uses_dynamic_stack: false
    .vgpr_count:     29
    .vgpr_spill_count: 0
    .wavefront_size: 32
    .workgroup_processor_mode: 1
  - .args:
      - .address_space:  global
        .offset:         0
        .size:           8
        .value_kind:     global_buffer
      - .address_space:  global
        .offset:         8
        .size:           8
        .value_kind:     global_buffer
      - .offset:         16
        .size:           4
        .value_kind:     by_value
      - .offset:         20
        .size:           4
        .value_kind:     by_value
      - .offset:         24
        .size:           4
        .value_kind:     by_value
      - .address_space:  global
        .offset:         32
        .size:           8
        .value_kind:     global_buffer
      - .offset:         40
        .size:           4
        .value_kind:     by_value
      - .offset:         44
        .size:           1
        .value_kind:     by_value
      - .offset:         48
        .size:           4
        .value_kind:     hidden_block_count_x
      - .offset:         52
        .size:           4
        .value_kind:     hidden_block_count_y
      - .offset:         56
        .size:           4
        .value_kind:     hidden_block_count_z
      - .offset:         60
        .size:           2
        .value_kind:     hidden_group_size_x
      - .offset:         62
        .size:           2
        .value_kind:     hidden_group_size_y
      - .offset:         64
        .size:           2
        .value_kind:     hidden_group_size_z
      - .offset:         66
        .size:           2
        .value_kind:     hidden_remainder_x
      - .offset:         68
        .size:           2
        .value_kind:     hidden_remainder_y
      - .offset:         70
        .size:           2
        .value_kind:     hidden_remainder_z
      - .offset:         88
        .size:           8
        .value_kind:     hidden_global_offset_x
      - .offset:         96
        .size:           8
        .value_kind:     hidden_global_offset_y
      - .offset:         104
        .size:           8
        .value_kind:     hidden_global_offset_z
      - .offset:         112
        .size:           2
        .value_kind:     hidden_grid_dims
    .group_segment_fixed_size: 0
    .kernarg_segment_align: 8
    .kernarg_segment_size: 304
    .language:       OpenCL C
    .language_version:
      - 2
      - 0
    .max_flat_workgroup_size: 1024
    .name:           _ZN12_GLOBAL__N_120softmax_warp_forwardIdddLi5ELb0ELb1ELi64EEEvPT0_PKT_iiiPKbib
    .private_segment_fixed_size: 0
    .sgpr_count:     19
    .sgpr_spill_count: 0
    .symbol:         _ZN12_GLOBAL__N_120softmax_warp_forwardIdddLi5ELb0ELb1ELi64EEEvPT0_PKT_iiiPKbib.kd
    .uniform_work_group_size: 1
    .uses_dynamic_stack: false
    .vgpr_count:     30
    .vgpr_spill_count: 0
    .wavefront_size: 32
    .workgroup_processor_mode: 1
  - .args:
      - .address_space:  global
        .offset:         0
        .size:           8
        .value_kind:     global_buffer
      - .address_space:  global
        .offset:         8
        .size:           8
        .value_kind:     global_buffer
      - .offset:         16
        .size:           4
        .value_kind:     by_value
      - .offset:         20
        .size:           4
        .value_kind:     by_value
      - .offset:         24
        .size:           4
        .value_kind:     by_value
      - .address_space:  global
        .offset:         32
        .size:           8
        .value_kind:     global_buffer
      - .offset:         40
        .size:           4
        .value_kind:     by_value
      - .offset:         44
        .size:           1
        .value_kind:     by_value
      - .offset:         48
        .size:           4
        .value_kind:     hidden_block_count_x
      - .offset:         52
        .size:           4
        .value_kind:     hidden_block_count_y
      - .offset:         56
        .size:           4
        .value_kind:     hidden_block_count_z
      - .offset:         60
        .size:           2
        .value_kind:     hidden_group_size_x
      - .offset:         62
        .size:           2
        .value_kind:     hidden_group_size_y
      - .offset:         64
        .size:           2
        .value_kind:     hidden_group_size_z
      - .offset:         66
        .size:           2
        .value_kind:     hidden_remainder_x
      - .offset:         68
        .size:           2
        .value_kind:     hidden_remainder_y
      - .offset:         70
        .size:           2
        .value_kind:     hidden_remainder_z
      - .offset:         88
        .size:           8
        .value_kind:     hidden_global_offset_x
      - .offset:         96
        .size:           8
        .value_kind:     hidden_global_offset_y
      - .offset:         104
        .size:           8
        .value_kind:     hidden_global_offset_z
      - .offset:         112
        .size:           2
        .value_kind:     hidden_grid_dims
    .group_segment_fixed_size: 0
    .kernarg_segment_align: 8
    .kernarg_segment_size: 304
    .language:       OpenCL C
    .language_version:
      - 2
      - 0
    .max_flat_workgroup_size: 1024
    .name:           _ZN12_GLOBAL__N_120softmax_warp_forwardIdddLi5ELb0ELb1ELi32EEEvPT0_PKT_iiiPKbib
    .private_segment_fixed_size: 0
    .sgpr_count:     19
    .sgpr_spill_count: 0
    .symbol:         _ZN12_GLOBAL__N_120softmax_warp_forwardIdddLi5ELb0ELb1ELi32EEEvPT0_PKT_iiiPKbib.kd
    .uniform_work_group_size: 1
    .uses_dynamic_stack: false
    .vgpr_count:     30
    .vgpr_spill_count: 0
    .wavefront_size: 32
    .workgroup_processor_mode: 1
  - .args:
      - .address_space:  global
        .offset:         0
        .size:           8
        .value_kind:     global_buffer
      - .address_space:  global
        .offset:         8
        .size:           8
        .value_kind:     global_buffer
      - .offset:         16
        .size:           4
        .value_kind:     by_value
      - .offset:         20
        .size:           4
        .value_kind:     by_value
      - .offset:         24
        .size:           4
        .value_kind:     by_value
      - .address_space:  global
        .offset:         32
        .size:           8
        .value_kind:     global_buffer
      - .offset:         40
        .size:           4
        .value_kind:     by_value
      - .offset:         44
        .size:           1
        .value_kind:     by_value
      - .offset:         48
        .size:           4
        .value_kind:     hidden_block_count_x
      - .offset:         52
        .size:           4
        .value_kind:     hidden_block_count_y
      - .offset:         56
        .size:           4
        .value_kind:     hidden_block_count_z
      - .offset:         60
        .size:           2
        .value_kind:     hidden_group_size_x
      - .offset:         62
        .size:           2
        .value_kind:     hidden_group_size_y
      - .offset:         64
        .size:           2
        .value_kind:     hidden_group_size_z
      - .offset:         66
        .size:           2
        .value_kind:     hidden_remainder_x
      - .offset:         68
        .size:           2
        .value_kind:     hidden_remainder_y
      - .offset:         70
        .size:           2
        .value_kind:     hidden_remainder_z
      - .offset:         88
        .size:           8
        .value_kind:     hidden_global_offset_x
      - .offset:         96
        .size:           8
        .value_kind:     hidden_global_offset_y
      - .offset:         104
        .size:           8
        .value_kind:     hidden_global_offset_z
      - .offset:         112
        .size:           2
        .value_kind:     hidden_grid_dims
    .group_segment_fixed_size: 0
    .kernarg_segment_align: 8
    .kernarg_segment_size: 304
    .language:       OpenCL C
    .language_version:
      - 2
      - 0
    .max_flat_workgroup_size: 1024
    .name:           _ZN12_GLOBAL__N_120softmax_warp_forwardIdddLi6ELb0ELb1ELi64EEEvPT0_PKT_iiiPKbib
    .private_segment_fixed_size: 0
    .sgpr_count:     19
    .sgpr_spill_count: 0
    .symbol:         _ZN12_GLOBAL__N_120softmax_warp_forwardIdddLi6ELb0ELb1ELi64EEEvPT0_PKT_iiiPKbib.kd
    .uniform_work_group_size: 1
    .uses_dynamic_stack: false
    .vgpr_count:     31
    .vgpr_spill_count: 0
    .wavefront_size: 32
    .workgroup_processor_mode: 1
  - .args:
      - .address_space:  global
        .offset:         0
        .size:           8
        .value_kind:     global_buffer
      - .address_space:  global
        .offset:         8
        .size:           8
        .value_kind:     global_buffer
      - .offset:         16
        .size:           4
        .value_kind:     by_value
      - .offset:         20
        .size:           4
        .value_kind:     by_value
      - .offset:         24
        .size:           4
        .value_kind:     by_value
      - .address_space:  global
        .offset:         32
        .size:           8
        .value_kind:     global_buffer
      - .offset:         40
        .size:           4
        .value_kind:     by_value
      - .offset:         44
        .size:           1
        .value_kind:     by_value
      - .offset:         48
        .size:           4
        .value_kind:     hidden_block_count_x
      - .offset:         52
        .size:           4
        .value_kind:     hidden_block_count_y
      - .offset:         56
        .size:           4
        .value_kind:     hidden_block_count_z
      - .offset:         60
        .size:           2
        .value_kind:     hidden_group_size_x
      - .offset:         62
        .size:           2
        .value_kind:     hidden_group_size_y
      - .offset:         64
        .size:           2
        .value_kind:     hidden_group_size_z
      - .offset:         66
        .size:           2
        .value_kind:     hidden_remainder_x
      - .offset:         68
        .size:           2
        .value_kind:     hidden_remainder_y
      - .offset:         70
        .size:           2
        .value_kind:     hidden_remainder_z
      - .offset:         88
        .size:           8
        .value_kind:     hidden_global_offset_x
      - .offset:         96
        .size:           8
        .value_kind:     hidden_global_offset_y
      - .offset:         104
        .size:           8
        .value_kind:     hidden_global_offset_z
      - .offset:         112
        .size:           2
        .value_kind:     hidden_grid_dims
    .group_segment_fixed_size: 0
    .kernarg_segment_align: 8
    .kernarg_segment_size: 304
    .language:       OpenCL C
    .language_version:
      - 2
      - 0
    .max_flat_workgroup_size: 1024
    .name:           _ZN12_GLOBAL__N_120softmax_warp_forwardIdddLi6ELb0ELb1ELi32EEEvPT0_PKT_iiiPKbib
    .private_segment_fixed_size: 0
    .sgpr_count:     19
    .sgpr_spill_count: 0
    .symbol:         _ZN12_GLOBAL__N_120softmax_warp_forwardIdddLi6ELb0ELb1ELi32EEEvPT0_PKT_iiiPKbib.kd
    .uniform_work_group_size: 1
    .uses_dynamic_stack: false
    .vgpr_count:     34
    .vgpr_spill_count: 0
    .wavefront_size: 32
    .workgroup_processor_mode: 1
  - .args:
      - .address_space:  global
        .offset:         0
        .size:           8
        .value_kind:     global_buffer
      - .address_space:  global
        .offset:         8
        .size:           8
        .value_kind:     global_buffer
      - .offset:         16
        .size:           4
        .value_kind:     by_value
      - .offset:         20
        .size:           4
        .value_kind:     by_value
      - .offset:         24
        .size:           4
        .value_kind:     by_value
      - .address_space:  global
        .offset:         32
        .size:           8
        .value_kind:     global_buffer
      - .offset:         40
        .size:           4
        .value_kind:     by_value
      - .offset:         44
        .size:           1
        .value_kind:     by_value
      - .offset:         48
        .size:           4
        .value_kind:     hidden_block_count_x
      - .offset:         52
        .size:           4
        .value_kind:     hidden_block_count_y
      - .offset:         56
        .size:           4
        .value_kind:     hidden_block_count_z
      - .offset:         60
        .size:           2
        .value_kind:     hidden_group_size_x
      - .offset:         62
        .size:           2
        .value_kind:     hidden_group_size_y
      - .offset:         64
        .size:           2
        .value_kind:     hidden_group_size_z
      - .offset:         66
        .size:           2
        .value_kind:     hidden_remainder_x
      - .offset:         68
        .size:           2
        .value_kind:     hidden_remainder_y
      - .offset:         70
        .size:           2
        .value_kind:     hidden_remainder_z
      - .offset:         88
        .size:           8
        .value_kind:     hidden_global_offset_x
      - .offset:         96
        .size:           8
        .value_kind:     hidden_global_offset_y
      - .offset:         104
        .size:           8
        .value_kind:     hidden_global_offset_z
      - .offset:         112
        .size:           2
        .value_kind:     hidden_grid_dims
    .group_segment_fixed_size: 0
    .kernarg_segment_align: 8
    .kernarg_segment_size: 304
    .language:       OpenCL C
    .language_version:
      - 2
      - 0
    .max_flat_workgroup_size: 1024
    .name:           _ZN12_GLOBAL__N_120softmax_warp_forwardIdddLi7ELb0ELb1ELi64EEEvPT0_PKT_iiiPKbib
    .private_segment_fixed_size: 0
    .sgpr_count:     19
    .sgpr_spill_count: 0
    .symbol:         _ZN12_GLOBAL__N_120softmax_warp_forwardIdddLi7ELb0ELb1ELi64EEEvPT0_PKT_iiiPKbib.kd
    .uniform_work_group_size: 1
    .uses_dynamic_stack: false
    .vgpr_count:     35
    .vgpr_spill_count: 0
    .wavefront_size: 32
    .workgroup_processor_mode: 1
  - .args:
      - .address_space:  global
        .offset:         0
        .size:           8
        .value_kind:     global_buffer
      - .address_space:  global
        .offset:         8
        .size:           8
        .value_kind:     global_buffer
      - .offset:         16
        .size:           4
        .value_kind:     by_value
      - .offset:         20
        .size:           4
        .value_kind:     by_value
      - .offset:         24
        .size:           4
        .value_kind:     by_value
      - .address_space:  global
        .offset:         32
        .size:           8
        .value_kind:     global_buffer
      - .offset:         40
        .size:           4
        .value_kind:     by_value
      - .offset:         44
        .size:           1
        .value_kind:     by_value
      - .offset:         48
        .size:           4
        .value_kind:     hidden_block_count_x
      - .offset:         52
        .size:           4
        .value_kind:     hidden_block_count_y
      - .offset:         56
        .size:           4
        .value_kind:     hidden_block_count_z
      - .offset:         60
        .size:           2
        .value_kind:     hidden_group_size_x
      - .offset:         62
        .size:           2
        .value_kind:     hidden_group_size_y
      - .offset:         64
        .size:           2
        .value_kind:     hidden_group_size_z
      - .offset:         66
        .size:           2
        .value_kind:     hidden_remainder_x
      - .offset:         68
        .size:           2
        .value_kind:     hidden_remainder_y
      - .offset:         70
        .size:           2
        .value_kind:     hidden_remainder_z
      - .offset:         88
        .size:           8
        .value_kind:     hidden_global_offset_x
      - .offset:         96
        .size:           8
        .value_kind:     hidden_global_offset_y
      - .offset:         104
        .size:           8
        .value_kind:     hidden_global_offset_z
      - .offset:         112
        .size:           2
        .value_kind:     hidden_grid_dims
    .group_segment_fixed_size: 0
    .kernarg_segment_align: 8
    .kernarg_segment_size: 304
    .language:       OpenCL C
    .language_version:
      - 2
      - 0
    .max_flat_workgroup_size: 1024
    .name:           _ZN12_GLOBAL__N_120softmax_warp_forwardIdddLi7ELb0ELb1ELi32EEEvPT0_PKT_iiiPKbib
    .private_segment_fixed_size: 0
    .sgpr_count:     25
    .sgpr_spill_count: 0
    .symbol:         _ZN12_GLOBAL__N_120softmax_warp_forwardIdddLi7ELb0ELb1ELi32EEEvPT0_PKT_iiiPKbib.kd
    .uniform_work_group_size: 1
    .uses_dynamic_stack: false
    .vgpr_count:     45
    .vgpr_spill_count: 0
    .wavefront_size: 32
    .workgroup_processor_mode: 1
  - .args:
      - .address_space:  global
        .offset:         0
        .size:           8
        .value_kind:     global_buffer
      - .address_space:  global
        .offset:         8
        .size:           8
        .value_kind:     global_buffer
      - .offset:         16
        .size:           4
        .value_kind:     by_value
      - .offset:         20
        .size:           4
        .value_kind:     by_value
      - .offset:         24
        .size:           4
        .value_kind:     by_value
      - .address_space:  global
        .offset:         32
        .size:           8
        .value_kind:     global_buffer
      - .offset:         40
        .size:           4
        .value_kind:     by_value
      - .offset:         44
        .size:           1
        .value_kind:     by_value
      - .offset:         48
        .size:           4
        .value_kind:     hidden_block_count_x
      - .offset:         52
        .size:           4
        .value_kind:     hidden_block_count_y
      - .offset:         56
        .size:           4
        .value_kind:     hidden_block_count_z
      - .offset:         60
        .size:           2
        .value_kind:     hidden_group_size_x
      - .offset:         62
        .size:           2
        .value_kind:     hidden_group_size_y
      - .offset:         64
        .size:           2
        .value_kind:     hidden_group_size_z
      - .offset:         66
        .size:           2
        .value_kind:     hidden_remainder_x
      - .offset:         68
        .size:           2
        .value_kind:     hidden_remainder_y
      - .offset:         70
        .size:           2
        .value_kind:     hidden_remainder_z
      - .offset:         88
        .size:           8
        .value_kind:     hidden_global_offset_x
      - .offset:         96
        .size:           8
        .value_kind:     hidden_global_offset_y
      - .offset:         104
        .size:           8
        .value_kind:     hidden_global_offset_z
      - .offset:         112
        .size:           2
        .value_kind:     hidden_grid_dims
    .group_segment_fixed_size: 0
    .kernarg_segment_align: 8
    .kernarg_segment_size: 304
    .language:       OpenCL C
    .language_version:
      - 2
      - 0
    .max_flat_workgroup_size: 1024
    .name:           _ZN12_GLOBAL__N_120softmax_warp_forwardIdddLi8ELb0ELb1ELi64EEEvPT0_PKT_iiiPKbib
    .private_segment_fixed_size: 0
    .sgpr_count:     18
    .sgpr_spill_count: 0
    .symbol:         _ZN12_GLOBAL__N_120softmax_warp_forwardIdddLi8ELb0ELb1ELi64EEEvPT0_PKT_iiiPKbib.kd
    .uniform_work_group_size: 1
    .uses_dynamic_stack: false
    .vgpr_count:     32
    .vgpr_spill_count: 0
    .wavefront_size: 32
    .workgroup_processor_mode: 1
  - .args:
      - .address_space:  global
        .offset:         0
        .size:           8
        .value_kind:     global_buffer
      - .address_space:  global
        .offset:         8
        .size:           8
        .value_kind:     global_buffer
      - .offset:         16
        .size:           4
        .value_kind:     by_value
      - .offset:         20
        .size:           4
        .value_kind:     by_value
      - .offset:         24
        .size:           4
        .value_kind:     by_value
      - .address_space:  global
        .offset:         32
        .size:           8
        .value_kind:     global_buffer
      - .offset:         40
        .size:           4
        .value_kind:     by_value
      - .offset:         44
        .size:           1
        .value_kind:     by_value
      - .offset:         48
        .size:           4
        .value_kind:     hidden_block_count_x
      - .offset:         52
        .size:           4
        .value_kind:     hidden_block_count_y
      - .offset:         56
        .size:           4
        .value_kind:     hidden_block_count_z
      - .offset:         60
        .size:           2
        .value_kind:     hidden_group_size_x
      - .offset:         62
        .size:           2
        .value_kind:     hidden_group_size_y
      - .offset:         64
        .size:           2
        .value_kind:     hidden_group_size_z
      - .offset:         66
        .size:           2
        .value_kind:     hidden_remainder_x
      - .offset:         68
        .size:           2
        .value_kind:     hidden_remainder_y
      - .offset:         70
        .size:           2
        .value_kind:     hidden_remainder_z
      - .offset:         88
        .size:           8
        .value_kind:     hidden_global_offset_x
      - .offset:         96
        .size:           8
        .value_kind:     hidden_global_offset_y
      - .offset:         104
        .size:           8
        .value_kind:     hidden_global_offset_z
      - .offset:         112
        .size:           2
        .value_kind:     hidden_grid_dims
    .group_segment_fixed_size: 0
    .kernarg_segment_align: 8
    .kernarg_segment_size: 304
    .language:       OpenCL C
    .language_version:
      - 2
      - 0
    .max_flat_workgroup_size: 1024
    .name:           _ZN12_GLOBAL__N_120softmax_warp_forwardIdddLi8ELb0ELb1ELi32EEEvPT0_PKT_iiiPKbib
    .private_segment_fixed_size: 0
    .sgpr_count:     24
    .sgpr_spill_count: 0
    .symbol:         _ZN12_GLOBAL__N_120softmax_warp_forwardIdddLi8ELb0ELb1ELi32EEEvPT0_PKT_iiiPKbib.kd
    .uniform_work_group_size: 1
    .uses_dynamic_stack: false
    .vgpr_count:     39
    .vgpr_spill_count: 0
    .wavefront_size: 32
    .workgroup_processor_mode: 1
  - .args:
      - .address_space:  global
        .offset:         0
        .size:           8
        .value_kind:     global_buffer
      - .address_space:  global
        .offset:         8
        .size:           8
        .value_kind:     global_buffer
      - .offset:         16
        .size:           4
        .value_kind:     by_value
      - .offset:         20
        .size:           4
        .value_kind:     by_value
      - .offset:         24
        .size:           4
        .value_kind:     by_value
      - .address_space:  global
        .offset:         32
        .size:           8
        .value_kind:     global_buffer
      - .offset:         40
        .size:           4
        .value_kind:     by_value
      - .offset:         44
        .size:           1
        .value_kind:     by_value
      - .offset:         48
        .size:           4
        .value_kind:     hidden_block_count_x
      - .offset:         52
        .size:           4
        .value_kind:     hidden_block_count_y
      - .offset:         56
        .size:           4
        .value_kind:     hidden_block_count_z
      - .offset:         60
        .size:           2
        .value_kind:     hidden_group_size_x
      - .offset:         62
        .size:           2
        .value_kind:     hidden_group_size_y
      - .offset:         64
        .size:           2
        .value_kind:     hidden_group_size_z
      - .offset:         66
        .size:           2
        .value_kind:     hidden_remainder_x
      - .offset:         68
        .size:           2
        .value_kind:     hidden_remainder_y
      - .offset:         70
        .size:           2
        .value_kind:     hidden_remainder_z
      - .offset:         88
        .size:           8
        .value_kind:     hidden_global_offset_x
      - .offset:         96
        .size:           8
        .value_kind:     hidden_global_offset_y
      - .offset:         104
        .size:           8
        .value_kind:     hidden_global_offset_z
      - .offset:         112
        .size:           2
        .value_kind:     hidden_grid_dims
    .group_segment_fixed_size: 0
    .kernarg_segment_align: 8
    .kernarg_segment_size: 304
    .language:       OpenCL C
    .language_version:
      - 2
      - 0
    .max_flat_workgroup_size: 1024
    .name:           _ZN12_GLOBAL__N_120softmax_warp_forwardIdddLi9ELb0ELb1ELi64EEEvPT0_PKT_iiiPKbib
    .private_segment_fixed_size: 0
    .sgpr_count:     24
    .sgpr_spill_count: 0
    .symbol:         _ZN12_GLOBAL__N_120softmax_warp_forwardIdddLi9ELb0ELb1ELi64EEEvPT0_PKT_iiiPKbib.kd
    .uniform_work_group_size: 1
    .uses_dynamic_stack: false
    .vgpr_count:     40
    .vgpr_spill_count: 0
    .wavefront_size: 32
    .workgroup_processor_mode: 1
  - .args:
      - .address_space:  global
        .offset:         0
        .size:           8
        .value_kind:     global_buffer
      - .address_space:  global
        .offset:         8
        .size:           8
        .value_kind:     global_buffer
      - .offset:         16
        .size:           4
        .value_kind:     by_value
      - .offset:         20
        .size:           4
        .value_kind:     by_value
      - .offset:         24
        .size:           4
        .value_kind:     by_value
      - .address_space:  global
        .offset:         32
        .size:           8
        .value_kind:     global_buffer
      - .offset:         40
        .size:           4
        .value_kind:     by_value
      - .offset:         44
        .size:           1
        .value_kind:     by_value
      - .offset:         48
        .size:           4
        .value_kind:     hidden_block_count_x
      - .offset:         52
        .size:           4
        .value_kind:     hidden_block_count_y
      - .offset:         56
        .size:           4
        .value_kind:     hidden_block_count_z
      - .offset:         60
        .size:           2
        .value_kind:     hidden_group_size_x
      - .offset:         62
        .size:           2
        .value_kind:     hidden_group_size_y
      - .offset:         64
        .size:           2
        .value_kind:     hidden_group_size_z
      - .offset:         66
        .size:           2
        .value_kind:     hidden_remainder_x
      - .offset:         68
        .size:           2
        .value_kind:     hidden_remainder_y
      - .offset:         70
        .size:           2
        .value_kind:     hidden_remainder_z
      - .offset:         88
        .size:           8
        .value_kind:     hidden_global_offset_x
      - .offset:         96
        .size:           8
        .value_kind:     hidden_global_offset_y
      - .offset:         104
        .size:           8
        .value_kind:     hidden_global_offset_z
      - .offset:         112
        .size:           2
        .value_kind:     hidden_grid_dims
    .group_segment_fixed_size: 0
    .kernarg_segment_align: 8
    .kernarg_segment_size: 304
    .language:       OpenCL C
    .language_version:
      - 2
      - 0
    .max_flat_workgroup_size: 1024
    .name:           _ZN12_GLOBAL__N_120softmax_warp_forwardIdddLi9ELb0ELb1ELi32EEEvPT0_PKT_iiiPKbib
    .private_segment_fixed_size: 0
    .sgpr_count:     42
    .sgpr_spill_count: 0
    .symbol:         _ZN12_GLOBAL__N_120softmax_warp_forwardIdddLi9ELb0ELb1ELi32EEEvPT0_PKT_iiiPKbib.kd
    .uniform_work_group_size: 1
    .uses_dynamic_stack: false
    .vgpr_count:     55
    .vgpr_spill_count: 0
    .wavefront_size: 32
    .workgroup_processor_mode: 1
  - .args:
      - .address_space:  global
        .offset:         0
        .size:           8
        .value_kind:     global_buffer
      - .address_space:  global
        .offset:         8
        .size:           8
        .value_kind:     global_buffer
      - .offset:         16
        .size:           4
        .value_kind:     by_value
      - .offset:         20
        .size:           4
        .value_kind:     by_value
      - .offset:         24
        .size:           4
        .value_kind:     by_value
      - .address_space:  global
        .offset:         32
        .size:           8
        .value_kind:     global_buffer
      - .offset:         40
        .size:           4
        .value_kind:     by_value
      - .offset:         44
        .size:           1
        .value_kind:     by_value
      - .offset:         48
        .size:           4
        .value_kind:     hidden_block_count_x
      - .offset:         52
        .size:           4
        .value_kind:     hidden_block_count_y
      - .offset:         56
        .size:           4
        .value_kind:     hidden_block_count_z
      - .offset:         60
        .size:           2
        .value_kind:     hidden_group_size_x
      - .offset:         62
        .size:           2
        .value_kind:     hidden_group_size_y
      - .offset:         64
        .size:           2
        .value_kind:     hidden_group_size_z
      - .offset:         66
        .size:           2
        .value_kind:     hidden_remainder_x
      - .offset:         68
        .size:           2
        .value_kind:     hidden_remainder_y
      - .offset:         70
        .size:           2
        .value_kind:     hidden_remainder_z
      - .offset:         88
        .size:           8
        .value_kind:     hidden_global_offset_x
      - .offset:         96
        .size:           8
        .value_kind:     hidden_global_offset_y
      - .offset:         104
        .size:           8
        .value_kind:     hidden_global_offset_z
      - .offset:         112
        .size:           2
        .value_kind:     hidden_grid_dims
    .group_segment_fixed_size: 0
    .kernarg_segment_align: 8
    .kernarg_segment_size: 304
    .language:       OpenCL C
    .language_version:
      - 2
      - 0
    .max_flat_workgroup_size: 1024
    .name:           _ZN12_GLOBAL__N_120softmax_warp_forwardIdddLi10ELb0ELb1ELi64EEEvPT0_PKT_iiiPKbib
    .private_segment_fixed_size: 0
    .sgpr_count:     42
    .sgpr_spill_count: 0
    .symbol:         _ZN12_GLOBAL__N_120softmax_warp_forwardIdddLi10ELb0ELb1ELi64EEEvPT0_PKT_iiiPKbib.kd
    .uniform_work_group_size: 1
    .uses_dynamic_stack: false
    .vgpr_count:     56
    .vgpr_spill_count: 0
    .wavefront_size: 32
    .workgroup_processor_mode: 1
  - .args:
      - .address_space:  global
        .offset:         0
        .size:           8
        .value_kind:     global_buffer
      - .address_space:  global
        .offset:         8
        .size:           8
        .value_kind:     global_buffer
      - .offset:         16
        .size:           4
        .value_kind:     by_value
      - .offset:         20
        .size:           4
        .value_kind:     by_value
      - .offset:         24
        .size:           4
        .value_kind:     by_value
      - .address_space:  global
        .offset:         32
        .size:           8
        .value_kind:     global_buffer
      - .offset:         40
        .size:           4
        .value_kind:     by_value
      - .offset:         44
        .size:           1
        .value_kind:     by_value
      - .offset:         48
        .size:           4
        .value_kind:     hidden_block_count_x
      - .offset:         52
        .size:           4
        .value_kind:     hidden_block_count_y
      - .offset:         56
        .size:           4
        .value_kind:     hidden_block_count_z
      - .offset:         60
        .size:           2
        .value_kind:     hidden_group_size_x
      - .offset:         62
        .size:           2
        .value_kind:     hidden_group_size_y
      - .offset:         64
        .size:           2
        .value_kind:     hidden_group_size_z
      - .offset:         66
        .size:           2
        .value_kind:     hidden_remainder_x
      - .offset:         68
        .size:           2
        .value_kind:     hidden_remainder_y
      - .offset:         70
        .size:           2
        .value_kind:     hidden_remainder_z
      - .offset:         88
        .size:           8
        .value_kind:     hidden_global_offset_x
      - .offset:         96
        .size:           8
        .value_kind:     hidden_global_offset_y
      - .offset:         104
        .size:           8
        .value_kind:     hidden_global_offset_z
      - .offset:         112
        .size:           2
        .value_kind:     hidden_grid_dims
    .group_segment_fixed_size: 0
    .kernarg_segment_align: 8
    .kernarg_segment_size: 304
    .language:       OpenCL C
    .language_version:
      - 2
      - 0
    .max_flat_workgroup_size: 1024
    .name:           _ZN12_GLOBAL__N_120softmax_warp_forwardIdddLi10ELb0ELb1ELi32EEEvPT0_PKT_iiiPKbib
    .private_segment_fixed_size: 0
    .sgpr_count:     74
    .sgpr_spill_count: 0
    .symbol:         _ZN12_GLOBAL__N_120softmax_warp_forwardIdddLi10ELb0ELb1ELi32EEEvPT0_PKT_iiiPKbib.kd
    .uniform_work_group_size: 1
    .uses_dynamic_stack: false
    .vgpr_count:     87
    .vgpr_spill_count: 0
    .wavefront_size: 32
    .workgroup_processor_mode: 1
  - .args:
      - .address_space:  global
        .offset:         0
        .size:           8
        .value_kind:     global_buffer
      - .address_space:  global
        .offset:         8
        .size:           8
        .value_kind:     global_buffer
      - .offset:         16
        .size:           4
        .value_kind:     by_value
      - .offset:         20
        .size:           4
        .value_kind:     by_value
      - .offset:         24
        .size:           4
        .value_kind:     by_value
      - .address_space:  global
        .offset:         32
        .size:           8
        .value_kind:     global_buffer
      - .offset:         40
        .size:           4
        .value_kind:     by_value
      - .offset:         44
        .size:           1
        .value_kind:     by_value
      - .offset:         48
        .size:           4
        .value_kind:     hidden_block_count_x
      - .offset:         52
        .size:           4
        .value_kind:     hidden_block_count_y
      - .offset:         56
        .size:           4
        .value_kind:     hidden_block_count_z
      - .offset:         60
        .size:           2
        .value_kind:     hidden_group_size_x
      - .offset:         62
        .size:           2
        .value_kind:     hidden_group_size_y
      - .offset:         64
        .size:           2
        .value_kind:     hidden_group_size_z
      - .offset:         66
        .size:           2
        .value_kind:     hidden_remainder_x
      - .offset:         68
        .size:           2
        .value_kind:     hidden_remainder_y
      - .offset:         70
        .size:           2
        .value_kind:     hidden_remainder_z
      - .offset:         88
        .size:           8
        .value_kind:     hidden_global_offset_x
      - .offset:         96
        .size:           8
        .value_kind:     hidden_global_offset_y
      - .offset:         104
        .size:           8
        .value_kind:     hidden_global_offset_z
      - .offset:         112
        .size:           2
        .value_kind:     hidden_grid_dims
    .group_segment_fixed_size: 0
    .kernarg_segment_align: 8
    .kernarg_segment_size: 304
    .language:       OpenCL C
    .language_version:
      - 2
      - 0
    .max_flat_workgroup_size: 1024
    .name:           _ZN12_GLOBAL__N_120softmax_warp_forwardIdddLi11ELb0ELb1ELi64EEEvPT0_PKT_iiiPKbib
    .private_segment_fixed_size: 0
    .sgpr_count:     74
    .sgpr_spill_count: 0
    .symbol:         _ZN12_GLOBAL__N_120softmax_warp_forwardIdddLi11ELb0ELb1ELi64EEEvPT0_PKT_iiiPKbib.kd
    .uniform_work_group_size: 1
    .uses_dynamic_stack: false
    .vgpr_count:     88
    .vgpr_spill_count: 0
    .wavefront_size: 32
    .workgroup_processor_mode: 1
  - .args:
      - .address_space:  global
        .offset:         0
        .size:           8
        .value_kind:     global_buffer
      - .address_space:  global
        .offset:         8
        .size:           8
        .value_kind:     global_buffer
      - .offset:         16
        .size:           4
        .value_kind:     by_value
      - .offset:         20
        .size:           4
        .value_kind:     by_value
      - .offset:         24
        .size:           4
        .value_kind:     by_value
      - .address_space:  global
        .offset:         32
        .size:           8
        .value_kind:     global_buffer
      - .offset:         40
        .size:           4
        .value_kind:     by_value
      - .offset:         44
        .size:           1
        .value_kind:     by_value
      - .offset:         48
        .size:           4
        .value_kind:     hidden_block_count_x
      - .offset:         52
        .size:           4
        .value_kind:     hidden_block_count_y
      - .offset:         56
        .size:           4
        .value_kind:     hidden_block_count_z
      - .offset:         60
        .size:           2
        .value_kind:     hidden_group_size_x
      - .offset:         62
        .size:           2
        .value_kind:     hidden_group_size_y
      - .offset:         64
        .size:           2
        .value_kind:     hidden_group_size_z
      - .offset:         66
        .size:           2
        .value_kind:     hidden_remainder_x
      - .offset:         68
        .size:           2
        .value_kind:     hidden_remainder_y
      - .offset:         70
        .size:           2
        .value_kind:     hidden_remainder_z
      - .offset:         88
        .size:           8
        .value_kind:     hidden_global_offset_x
      - .offset:         96
        .size:           8
        .value_kind:     hidden_global_offset_y
      - .offset:         104
        .size:           8
        .value_kind:     hidden_global_offset_z
      - .offset:         112
        .size:           2
        .value_kind:     hidden_grid_dims
    .group_segment_fixed_size: 0
    .kernarg_segment_align: 8
    .kernarg_segment_size: 304
    .language:       OpenCL C
    .language_version:
      - 2
      - 0
    .max_flat_workgroup_size: 1024
    .name:           _ZN12_GLOBAL__N_120softmax_warp_forwardIdddLi11ELb0ELb1ELi32EEEvPT0_PKT_iiiPKbib
    .private_segment_fixed_size: 0
    .sgpr_count:     107
    .sgpr_spill_count: 32
    .symbol:         _ZN12_GLOBAL__N_120softmax_warp_forwardIdddLi11ELb0ELb1ELi32EEEvPT0_PKT_iiiPKbib.kd
    .uniform_work_group_size: 1
    .uses_dynamic_stack: false
    .vgpr_count:     152
    .vgpr_spill_count: 0
    .wavefront_size: 32
    .workgroup_processor_mode: 1
  - .args:
      - .address_space:  global
        .offset:         0
        .size:           8
        .value_kind:     global_buffer
      - .address_space:  global
        .offset:         8
        .size:           8
        .value_kind:     global_buffer
      - .offset:         16
        .size:           4
        .value_kind:     by_value
      - .offset:         20
        .size:           4
        .value_kind:     by_value
      - .offset:         24
        .size:           4
        .value_kind:     by_value
      - .address_space:  global
        .offset:         32
        .size:           8
        .value_kind:     global_buffer
      - .offset:         40
        .size:           4
        .value_kind:     by_value
      - .offset:         44
        .size:           1
        .value_kind:     by_value
      - .offset:         48
        .size:           4
        .value_kind:     hidden_block_count_x
      - .offset:         52
        .size:           4
        .value_kind:     hidden_block_count_y
      - .offset:         56
        .size:           4
        .value_kind:     hidden_block_count_z
      - .offset:         60
        .size:           2
        .value_kind:     hidden_group_size_x
      - .offset:         62
        .size:           2
        .value_kind:     hidden_group_size_y
      - .offset:         64
        .size:           2
        .value_kind:     hidden_group_size_z
      - .offset:         66
        .size:           2
        .value_kind:     hidden_remainder_x
      - .offset:         68
        .size:           2
        .value_kind:     hidden_remainder_y
      - .offset:         70
        .size:           2
        .value_kind:     hidden_remainder_z
      - .offset:         88
        .size:           8
        .value_kind:     hidden_global_offset_x
      - .offset:         96
        .size:           8
        .value_kind:     hidden_global_offset_y
      - .offset:         104
        .size:           8
        .value_kind:     hidden_global_offset_z
      - .offset:         112
        .size:           2
        .value_kind:     hidden_grid_dims
    .group_segment_fixed_size: 0
    .kernarg_segment_align: 8
    .kernarg_segment_size: 304
    .language:       OpenCL C
    .language_version:
      - 2
      - 0
    .max_flat_workgroup_size: 1024
    .name:           _ZN12_GLOBAL__N_120softmax_warp_forwardIfffLi0ELb0ELb1ELi64EEEvPT0_PKT_iiiPKbib
    .private_segment_fixed_size: 0
    .sgpr_count:     18
    .sgpr_spill_count: 0
    .symbol:         _ZN12_GLOBAL__N_120softmax_warp_forwardIfffLi0ELb0ELb1ELi64EEEvPT0_PKT_iiiPKbib.kd
    .uniform_work_group_size: 1
    .uses_dynamic_stack: false
    .vgpr_count:     13
    .vgpr_spill_count: 0
    .wavefront_size: 32
    .workgroup_processor_mode: 1
  - .args:
      - .address_space:  global
        .offset:         0
        .size:           8
        .value_kind:     global_buffer
      - .address_space:  global
        .offset:         8
        .size:           8
        .value_kind:     global_buffer
      - .offset:         16
        .size:           4
        .value_kind:     by_value
      - .offset:         20
        .size:           4
        .value_kind:     by_value
      - .offset:         24
        .size:           4
        .value_kind:     by_value
      - .address_space:  global
        .offset:         32
        .size:           8
        .value_kind:     global_buffer
      - .offset:         40
        .size:           4
        .value_kind:     by_value
      - .offset:         44
        .size:           1
        .value_kind:     by_value
      - .offset:         48
        .size:           4
        .value_kind:     hidden_block_count_x
      - .offset:         52
        .size:           4
        .value_kind:     hidden_block_count_y
      - .offset:         56
        .size:           4
        .value_kind:     hidden_block_count_z
      - .offset:         60
        .size:           2
        .value_kind:     hidden_group_size_x
      - .offset:         62
        .size:           2
        .value_kind:     hidden_group_size_y
      - .offset:         64
        .size:           2
        .value_kind:     hidden_group_size_z
      - .offset:         66
        .size:           2
        .value_kind:     hidden_remainder_x
      - .offset:         68
        .size:           2
        .value_kind:     hidden_remainder_y
      - .offset:         70
        .size:           2
        .value_kind:     hidden_remainder_z
      - .offset:         88
        .size:           8
        .value_kind:     hidden_global_offset_x
      - .offset:         96
        .size:           8
        .value_kind:     hidden_global_offset_y
      - .offset:         104
        .size:           8
        .value_kind:     hidden_global_offset_z
      - .offset:         112
        .size:           2
        .value_kind:     hidden_grid_dims
    .group_segment_fixed_size: 0
    .kernarg_segment_align: 8
    .kernarg_segment_size: 304
    .language:       OpenCL C
    .language_version:
      - 2
      - 0
    .max_flat_workgroup_size: 1024
    .name:           _ZN12_GLOBAL__N_120softmax_warp_forwardIfffLi0ELb0ELb1ELi32EEEvPT0_PKT_iiiPKbib
    .private_segment_fixed_size: 0
    .sgpr_count:     18
    .sgpr_spill_count: 0
    .symbol:         _ZN12_GLOBAL__N_120softmax_warp_forwardIfffLi0ELb0ELb1ELi32EEEvPT0_PKT_iiiPKbib.kd
    .uniform_work_group_size: 1
    .uses_dynamic_stack: false
    .vgpr_count:     13
    .vgpr_spill_count: 0
    .wavefront_size: 32
    .workgroup_processor_mode: 1
  - .args:
      - .address_space:  global
        .offset:         0
        .size:           8
        .value_kind:     global_buffer
      - .address_space:  global
        .offset:         8
        .size:           8
        .value_kind:     global_buffer
      - .offset:         16
        .size:           4
        .value_kind:     by_value
      - .offset:         20
        .size:           4
        .value_kind:     by_value
      - .offset:         24
        .size:           4
        .value_kind:     by_value
      - .address_space:  global
        .offset:         32
        .size:           8
        .value_kind:     global_buffer
      - .offset:         40
        .size:           4
        .value_kind:     by_value
      - .offset:         44
        .size:           1
        .value_kind:     by_value
      - .offset:         48
        .size:           4
        .value_kind:     hidden_block_count_x
      - .offset:         52
        .size:           4
        .value_kind:     hidden_block_count_y
      - .offset:         56
        .size:           4
        .value_kind:     hidden_block_count_z
      - .offset:         60
        .size:           2
        .value_kind:     hidden_group_size_x
      - .offset:         62
        .size:           2
        .value_kind:     hidden_group_size_y
      - .offset:         64
        .size:           2
        .value_kind:     hidden_group_size_z
      - .offset:         66
        .size:           2
        .value_kind:     hidden_remainder_x
      - .offset:         68
        .size:           2
        .value_kind:     hidden_remainder_y
      - .offset:         70
        .size:           2
        .value_kind:     hidden_remainder_z
      - .offset:         88
        .size:           8
        .value_kind:     hidden_global_offset_x
      - .offset:         96
        .size:           8
        .value_kind:     hidden_global_offset_y
      - .offset:         104
        .size:           8
        .value_kind:     hidden_global_offset_z
      - .offset:         112
        .size:           2
        .value_kind:     hidden_grid_dims
    .group_segment_fixed_size: 0
    .kernarg_segment_align: 8
    .kernarg_segment_size: 304
    .language:       OpenCL C
    .language_version:
      - 2
      - 0
    .max_flat_workgroup_size: 1024
    .name:           _ZN12_GLOBAL__N_120softmax_warp_forwardIfffLi1ELb0ELb1ELi64EEEvPT0_PKT_iiiPKbib
    .private_segment_fixed_size: 0
    .sgpr_count:     18
    .sgpr_spill_count: 0
    .symbol:         _ZN12_GLOBAL__N_120softmax_warp_forwardIfffLi1ELb0ELb1ELi64EEEvPT0_PKT_iiiPKbib.kd
    .uniform_work_group_size: 1
    .uses_dynamic_stack: false
    .vgpr_count:     16
    .vgpr_spill_count: 0
    .wavefront_size: 32
    .workgroup_processor_mode: 1
  - .args:
      - .address_space:  global
        .offset:         0
        .size:           8
        .value_kind:     global_buffer
      - .address_space:  global
        .offset:         8
        .size:           8
        .value_kind:     global_buffer
      - .offset:         16
        .size:           4
        .value_kind:     by_value
      - .offset:         20
        .size:           4
        .value_kind:     by_value
      - .offset:         24
        .size:           4
        .value_kind:     by_value
      - .address_space:  global
        .offset:         32
        .size:           8
        .value_kind:     global_buffer
      - .offset:         40
        .size:           4
        .value_kind:     by_value
      - .offset:         44
        .size:           1
        .value_kind:     by_value
      - .offset:         48
        .size:           4
        .value_kind:     hidden_block_count_x
      - .offset:         52
        .size:           4
        .value_kind:     hidden_block_count_y
      - .offset:         56
        .size:           4
        .value_kind:     hidden_block_count_z
      - .offset:         60
        .size:           2
        .value_kind:     hidden_group_size_x
      - .offset:         62
        .size:           2
        .value_kind:     hidden_group_size_y
      - .offset:         64
        .size:           2
        .value_kind:     hidden_group_size_z
      - .offset:         66
        .size:           2
        .value_kind:     hidden_remainder_x
      - .offset:         68
        .size:           2
        .value_kind:     hidden_remainder_y
      - .offset:         70
        .size:           2
        .value_kind:     hidden_remainder_z
      - .offset:         88
        .size:           8
        .value_kind:     hidden_global_offset_x
      - .offset:         96
        .size:           8
        .value_kind:     hidden_global_offset_y
      - .offset:         104
        .size:           8
        .value_kind:     hidden_global_offset_z
      - .offset:         112
        .size:           2
        .value_kind:     hidden_grid_dims
    .group_segment_fixed_size: 0
    .kernarg_segment_align: 8
    .kernarg_segment_size: 304
    .language:       OpenCL C
    .language_version:
      - 2
      - 0
    .max_flat_workgroup_size: 1024
    .name:           _ZN12_GLOBAL__N_120softmax_warp_forwardIfffLi1ELb0ELb1ELi32EEEvPT0_PKT_iiiPKbib
    .private_segment_fixed_size: 0
    .sgpr_count:     18
    .sgpr_spill_count: 0
    .symbol:         _ZN12_GLOBAL__N_120softmax_warp_forwardIfffLi1ELb0ELb1ELi32EEEvPT0_PKT_iiiPKbib.kd
    .uniform_work_group_size: 1
    .uses_dynamic_stack: false
    .vgpr_count:     16
    .vgpr_spill_count: 0
    .wavefront_size: 32
    .workgroup_processor_mode: 1
  - .args:
      - .address_space:  global
        .offset:         0
        .size:           8
        .value_kind:     global_buffer
      - .address_space:  global
        .offset:         8
        .size:           8
        .value_kind:     global_buffer
      - .offset:         16
        .size:           4
        .value_kind:     by_value
      - .offset:         20
        .size:           4
        .value_kind:     by_value
      - .offset:         24
        .size:           4
        .value_kind:     by_value
      - .address_space:  global
        .offset:         32
        .size:           8
        .value_kind:     global_buffer
      - .offset:         40
        .size:           4
        .value_kind:     by_value
      - .offset:         44
        .size:           1
        .value_kind:     by_value
      - .offset:         48
        .size:           4
        .value_kind:     hidden_block_count_x
      - .offset:         52
        .size:           4
        .value_kind:     hidden_block_count_y
      - .offset:         56
        .size:           4
        .value_kind:     hidden_block_count_z
      - .offset:         60
        .size:           2
        .value_kind:     hidden_group_size_x
      - .offset:         62
        .size:           2
        .value_kind:     hidden_group_size_y
      - .offset:         64
        .size:           2
        .value_kind:     hidden_group_size_z
      - .offset:         66
        .size:           2
        .value_kind:     hidden_remainder_x
      - .offset:         68
        .size:           2
        .value_kind:     hidden_remainder_y
      - .offset:         70
        .size:           2
        .value_kind:     hidden_remainder_z
      - .offset:         88
        .size:           8
        .value_kind:     hidden_global_offset_x
      - .offset:         96
        .size:           8
        .value_kind:     hidden_global_offset_y
      - .offset:         104
        .size:           8
        .value_kind:     hidden_global_offset_z
      - .offset:         112
        .size:           2
        .value_kind:     hidden_grid_dims
    .group_segment_fixed_size: 0
    .kernarg_segment_align: 8
    .kernarg_segment_size: 304
    .language:       OpenCL C
    .language_version:
      - 2
      - 0
    .max_flat_workgroup_size: 1024
    .name:           _ZN12_GLOBAL__N_120softmax_warp_forwardIfffLi2ELb0ELb1ELi64EEEvPT0_PKT_iiiPKbib
    .private_segment_fixed_size: 0
    .sgpr_count:     18
    .sgpr_spill_count: 0
    .symbol:         _ZN12_GLOBAL__N_120softmax_warp_forwardIfffLi2ELb0ELb1ELi64EEEvPT0_PKT_iiiPKbib.kd
    .uniform_work_group_size: 1
    .uses_dynamic_stack: false
    .vgpr_count:     17
    .vgpr_spill_count: 0
    .wavefront_size: 32
    .workgroup_processor_mode: 1
  - .args:
      - .address_space:  global
        .offset:         0
        .size:           8
        .value_kind:     global_buffer
      - .address_space:  global
        .offset:         8
        .size:           8
        .value_kind:     global_buffer
      - .offset:         16
        .size:           4
        .value_kind:     by_value
      - .offset:         20
        .size:           4
        .value_kind:     by_value
      - .offset:         24
        .size:           4
        .value_kind:     by_value
      - .address_space:  global
        .offset:         32
        .size:           8
        .value_kind:     global_buffer
      - .offset:         40
        .size:           4
        .value_kind:     by_value
      - .offset:         44
        .size:           1
        .value_kind:     by_value
      - .offset:         48
        .size:           4
        .value_kind:     hidden_block_count_x
      - .offset:         52
        .size:           4
        .value_kind:     hidden_block_count_y
      - .offset:         56
        .size:           4
        .value_kind:     hidden_block_count_z
      - .offset:         60
        .size:           2
        .value_kind:     hidden_group_size_x
      - .offset:         62
        .size:           2
        .value_kind:     hidden_group_size_y
      - .offset:         64
        .size:           2
        .value_kind:     hidden_group_size_z
      - .offset:         66
        .size:           2
        .value_kind:     hidden_remainder_x
      - .offset:         68
        .size:           2
        .value_kind:     hidden_remainder_y
      - .offset:         70
        .size:           2
        .value_kind:     hidden_remainder_z
      - .offset:         88
        .size:           8
        .value_kind:     hidden_global_offset_x
      - .offset:         96
        .size:           8
        .value_kind:     hidden_global_offset_y
      - .offset:         104
        .size:           8
        .value_kind:     hidden_global_offset_z
      - .offset:         112
        .size:           2
        .value_kind:     hidden_grid_dims
    .group_segment_fixed_size: 0
    .kernarg_segment_align: 8
    .kernarg_segment_size: 304
    .language:       OpenCL C
    .language_version:
      - 2
      - 0
    .max_flat_workgroup_size: 1024
    .name:           _ZN12_GLOBAL__N_120softmax_warp_forwardIfffLi2ELb0ELb1ELi32EEEvPT0_PKT_iiiPKbib
    .private_segment_fixed_size: 0
    .sgpr_count:     18
    .sgpr_spill_count: 0
    .symbol:         _ZN12_GLOBAL__N_120softmax_warp_forwardIfffLi2ELb0ELb1ELi32EEEvPT0_PKT_iiiPKbib.kd
    .uniform_work_group_size: 1
    .uses_dynamic_stack: false
    .vgpr_count:     17
    .vgpr_spill_count: 0
    .wavefront_size: 32
    .workgroup_processor_mode: 1
  - .args:
      - .address_space:  global
        .offset:         0
        .size:           8
        .value_kind:     global_buffer
      - .address_space:  global
        .offset:         8
        .size:           8
        .value_kind:     global_buffer
      - .offset:         16
        .size:           4
        .value_kind:     by_value
      - .offset:         20
        .size:           4
        .value_kind:     by_value
      - .offset:         24
        .size:           4
        .value_kind:     by_value
      - .address_space:  global
        .offset:         32
        .size:           8
        .value_kind:     global_buffer
      - .offset:         40
        .size:           4
        .value_kind:     by_value
      - .offset:         44
        .size:           1
        .value_kind:     by_value
      - .offset:         48
        .size:           4
        .value_kind:     hidden_block_count_x
      - .offset:         52
        .size:           4
        .value_kind:     hidden_block_count_y
      - .offset:         56
        .size:           4
        .value_kind:     hidden_block_count_z
      - .offset:         60
        .size:           2
        .value_kind:     hidden_group_size_x
      - .offset:         62
        .size:           2
        .value_kind:     hidden_group_size_y
      - .offset:         64
        .size:           2
        .value_kind:     hidden_group_size_z
      - .offset:         66
        .size:           2
        .value_kind:     hidden_remainder_x
      - .offset:         68
        .size:           2
        .value_kind:     hidden_remainder_y
      - .offset:         70
        .size:           2
        .value_kind:     hidden_remainder_z
      - .offset:         88
        .size:           8
        .value_kind:     hidden_global_offset_x
      - .offset:         96
        .size:           8
        .value_kind:     hidden_global_offset_y
      - .offset:         104
        .size:           8
        .value_kind:     hidden_global_offset_z
      - .offset:         112
        .size:           2
        .value_kind:     hidden_grid_dims
    .group_segment_fixed_size: 0
    .kernarg_segment_align: 8
    .kernarg_segment_size: 304
    .language:       OpenCL C
    .language_version:
      - 2
      - 0
    .max_flat_workgroup_size: 1024
    .name:           _ZN12_GLOBAL__N_120softmax_warp_forwardIfffLi3ELb0ELb1ELi64EEEvPT0_PKT_iiiPKbib
    .private_segment_fixed_size: 0
    .sgpr_count:     18
    .sgpr_spill_count: 0
    .symbol:         _ZN12_GLOBAL__N_120softmax_warp_forwardIfffLi3ELb0ELb1ELi64EEEvPT0_PKT_iiiPKbib.kd
    .uniform_work_group_size: 1
    .uses_dynamic_stack: false
    .vgpr_count:     18
    .vgpr_spill_count: 0
    .wavefront_size: 32
    .workgroup_processor_mode: 1
  - .args:
      - .address_space:  global
        .offset:         0
        .size:           8
        .value_kind:     global_buffer
      - .address_space:  global
        .offset:         8
        .size:           8
        .value_kind:     global_buffer
      - .offset:         16
        .size:           4
        .value_kind:     by_value
      - .offset:         20
        .size:           4
        .value_kind:     by_value
      - .offset:         24
        .size:           4
        .value_kind:     by_value
      - .address_space:  global
        .offset:         32
        .size:           8
        .value_kind:     global_buffer
      - .offset:         40
        .size:           4
        .value_kind:     by_value
      - .offset:         44
        .size:           1
        .value_kind:     by_value
      - .offset:         48
        .size:           4
        .value_kind:     hidden_block_count_x
      - .offset:         52
        .size:           4
        .value_kind:     hidden_block_count_y
      - .offset:         56
        .size:           4
        .value_kind:     hidden_block_count_z
      - .offset:         60
        .size:           2
        .value_kind:     hidden_group_size_x
      - .offset:         62
        .size:           2
        .value_kind:     hidden_group_size_y
      - .offset:         64
        .size:           2
        .value_kind:     hidden_group_size_z
      - .offset:         66
        .size:           2
        .value_kind:     hidden_remainder_x
      - .offset:         68
        .size:           2
        .value_kind:     hidden_remainder_y
      - .offset:         70
        .size:           2
        .value_kind:     hidden_remainder_z
      - .offset:         88
        .size:           8
        .value_kind:     hidden_global_offset_x
      - .offset:         96
        .size:           8
        .value_kind:     hidden_global_offset_y
      - .offset:         104
        .size:           8
        .value_kind:     hidden_global_offset_z
      - .offset:         112
        .size:           2
        .value_kind:     hidden_grid_dims
    .group_segment_fixed_size: 0
    .kernarg_segment_align: 8
    .kernarg_segment_size: 304
    .language:       OpenCL C
    .language_version:
      - 2
      - 0
    .max_flat_workgroup_size: 1024
    .name:           _ZN12_GLOBAL__N_120softmax_warp_forwardIfffLi3ELb0ELb1ELi32EEEvPT0_PKT_iiiPKbib
    .private_segment_fixed_size: 0
    .sgpr_count:     18
    .sgpr_spill_count: 0
    .symbol:         _ZN12_GLOBAL__N_120softmax_warp_forwardIfffLi3ELb0ELb1ELi32EEEvPT0_PKT_iiiPKbib.kd
    .uniform_work_group_size: 1
    .uses_dynamic_stack: false
    .vgpr_count:     18
    .vgpr_spill_count: 0
    .wavefront_size: 32
    .workgroup_processor_mode: 1
  - .args:
      - .address_space:  global
        .offset:         0
        .size:           8
        .value_kind:     global_buffer
      - .address_space:  global
        .offset:         8
        .size:           8
        .value_kind:     global_buffer
      - .offset:         16
        .size:           4
        .value_kind:     by_value
      - .offset:         20
        .size:           4
        .value_kind:     by_value
      - .offset:         24
        .size:           4
        .value_kind:     by_value
      - .address_space:  global
        .offset:         32
        .size:           8
        .value_kind:     global_buffer
      - .offset:         40
        .size:           4
        .value_kind:     by_value
      - .offset:         44
        .size:           1
        .value_kind:     by_value
      - .offset:         48
        .size:           4
        .value_kind:     hidden_block_count_x
      - .offset:         52
        .size:           4
        .value_kind:     hidden_block_count_y
      - .offset:         56
        .size:           4
        .value_kind:     hidden_block_count_z
      - .offset:         60
        .size:           2
        .value_kind:     hidden_group_size_x
      - .offset:         62
        .size:           2
        .value_kind:     hidden_group_size_y
      - .offset:         64
        .size:           2
        .value_kind:     hidden_group_size_z
      - .offset:         66
        .size:           2
        .value_kind:     hidden_remainder_x
      - .offset:         68
        .size:           2
        .value_kind:     hidden_remainder_y
      - .offset:         70
        .size:           2
        .value_kind:     hidden_remainder_z
      - .offset:         88
        .size:           8
        .value_kind:     hidden_global_offset_x
      - .offset:         96
        .size:           8
        .value_kind:     hidden_global_offset_y
      - .offset:         104
        .size:           8
        .value_kind:     hidden_global_offset_z
      - .offset:         112
        .size:           2
        .value_kind:     hidden_grid_dims
    .group_segment_fixed_size: 0
    .kernarg_segment_align: 8
    .kernarg_segment_size: 304
    .language:       OpenCL C
    .language_version:
      - 2
      - 0
    .max_flat_workgroup_size: 1024
    .name:           _ZN12_GLOBAL__N_120softmax_warp_forwardIfffLi4ELb0ELb1ELi64EEEvPT0_PKT_iiiPKbib
    .private_segment_fixed_size: 0
    .sgpr_count:     18
    .sgpr_spill_count: 0
    .symbol:         _ZN12_GLOBAL__N_120softmax_warp_forwardIfffLi4ELb0ELb1ELi64EEEvPT0_PKT_iiiPKbib.kd
    .uniform_work_group_size: 1
    .uses_dynamic_stack: false
    .vgpr_count:     19
    .vgpr_spill_count: 0
    .wavefront_size: 32
    .workgroup_processor_mode: 1
  - .args:
      - .address_space:  global
        .offset:         0
        .size:           8
        .value_kind:     global_buffer
      - .address_space:  global
        .offset:         8
        .size:           8
        .value_kind:     global_buffer
      - .offset:         16
        .size:           4
        .value_kind:     by_value
      - .offset:         20
        .size:           4
        .value_kind:     by_value
      - .offset:         24
        .size:           4
        .value_kind:     by_value
      - .address_space:  global
        .offset:         32
        .size:           8
        .value_kind:     global_buffer
      - .offset:         40
        .size:           4
        .value_kind:     by_value
      - .offset:         44
        .size:           1
        .value_kind:     by_value
      - .offset:         48
        .size:           4
        .value_kind:     hidden_block_count_x
      - .offset:         52
        .size:           4
        .value_kind:     hidden_block_count_y
      - .offset:         56
        .size:           4
        .value_kind:     hidden_block_count_z
      - .offset:         60
        .size:           2
        .value_kind:     hidden_group_size_x
      - .offset:         62
        .size:           2
        .value_kind:     hidden_group_size_y
      - .offset:         64
        .size:           2
        .value_kind:     hidden_group_size_z
      - .offset:         66
        .size:           2
        .value_kind:     hidden_remainder_x
      - .offset:         68
        .size:           2
        .value_kind:     hidden_remainder_y
      - .offset:         70
        .size:           2
        .value_kind:     hidden_remainder_z
      - .offset:         88
        .size:           8
        .value_kind:     hidden_global_offset_x
      - .offset:         96
        .size:           8
        .value_kind:     hidden_global_offset_y
      - .offset:         104
        .size:           8
        .value_kind:     hidden_global_offset_z
      - .offset:         112
        .size:           2
        .value_kind:     hidden_grid_dims
    .group_segment_fixed_size: 0
    .kernarg_segment_align: 8
    .kernarg_segment_size: 304
    .language:       OpenCL C
    .language_version:
      - 2
      - 0
    .max_flat_workgroup_size: 1024
    .name:           _ZN12_GLOBAL__N_120softmax_warp_forwardIfffLi4ELb0ELb1ELi32EEEvPT0_PKT_iiiPKbib
    .private_segment_fixed_size: 0
    .sgpr_count:     18
    .sgpr_spill_count: 0
    .symbol:         _ZN12_GLOBAL__N_120softmax_warp_forwardIfffLi4ELb0ELb1ELi32EEEvPT0_PKT_iiiPKbib.kd
    .uniform_work_group_size: 1
    .uses_dynamic_stack: false
    .vgpr_count:     19
    .vgpr_spill_count: 0
    .wavefront_size: 32
    .workgroup_processor_mode: 1
  - .args:
      - .address_space:  global
        .offset:         0
        .size:           8
        .value_kind:     global_buffer
      - .address_space:  global
        .offset:         8
        .size:           8
        .value_kind:     global_buffer
      - .offset:         16
        .size:           4
        .value_kind:     by_value
      - .offset:         20
        .size:           4
        .value_kind:     by_value
      - .offset:         24
        .size:           4
        .value_kind:     by_value
      - .address_space:  global
        .offset:         32
        .size:           8
        .value_kind:     global_buffer
      - .offset:         40
        .size:           4
        .value_kind:     by_value
      - .offset:         44
        .size:           1
        .value_kind:     by_value
      - .offset:         48
        .size:           4
        .value_kind:     hidden_block_count_x
      - .offset:         52
        .size:           4
        .value_kind:     hidden_block_count_y
      - .offset:         56
        .size:           4
        .value_kind:     hidden_block_count_z
      - .offset:         60
        .size:           2
        .value_kind:     hidden_group_size_x
      - .offset:         62
        .size:           2
        .value_kind:     hidden_group_size_y
      - .offset:         64
        .size:           2
        .value_kind:     hidden_group_size_z
      - .offset:         66
        .size:           2
        .value_kind:     hidden_remainder_x
      - .offset:         68
        .size:           2
        .value_kind:     hidden_remainder_y
      - .offset:         70
        .size:           2
        .value_kind:     hidden_remainder_z
      - .offset:         88
        .size:           8
        .value_kind:     hidden_global_offset_x
      - .offset:         96
        .size:           8
        .value_kind:     hidden_global_offset_y
      - .offset:         104
        .size:           8
        .value_kind:     hidden_global_offset_z
      - .offset:         112
        .size:           2
        .value_kind:     hidden_grid_dims
    .group_segment_fixed_size: 0
    .kernarg_segment_align: 8
    .kernarg_segment_size: 304
    .language:       OpenCL C
    .language_version:
      - 2
      - 0
    .max_flat_workgroup_size: 1024
    .name:           _ZN12_GLOBAL__N_120softmax_warp_forwardIfffLi5ELb0ELb1ELi64EEEvPT0_PKT_iiiPKbib
    .private_segment_fixed_size: 0
    .sgpr_count:     18
    .sgpr_spill_count: 0
    .symbol:         _ZN12_GLOBAL__N_120softmax_warp_forwardIfffLi5ELb0ELb1ELi64EEEvPT0_PKT_iiiPKbib.kd
    .uniform_work_group_size: 1
    .uses_dynamic_stack: false
    .vgpr_count:     20
    .vgpr_spill_count: 0
    .wavefront_size: 32
    .workgroup_processor_mode: 1
  - .args:
      - .address_space:  global
        .offset:         0
        .size:           8
        .value_kind:     global_buffer
      - .address_space:  global
        .offset:         8
        .size:           8
        .value_kind:     global_buffer
      - .offset:         16
        .size:           4
        .value_kind:     by_value
      - .offset:         20
        .size:           4
        .value_kind:     by_value
      - .offset:         24
        .size:           4
        .value_kind:     by_value
      - .address_space:  global
        .offset:         32
        .size:           8
        .value_kind:     global_buffer
      - .offset:         40
        .size:           4
        .value_kind:     by_value
      - .offset:         44
        .size:           1
        .value_kind:     by_value
      - .offset:         48
        .size:           4
        .value_kind:     hidden_block_count_x
      - .offset:         52
        .size:           4
        .value_kind:     hidden_block_count_y
      - .offset:         56
        .size:           4
        .value_kind:     hidden_block_count_z
      - .offset:         60
        .size:           2
        .value_kind:     hidden_group_size_x
      - .offset:         62
        .size:           2
        .value_kind:     hidden_group_size_y
      - .offset:         64
        .size:           2
        .value_kind:     hidden_group_size_z
      - .offset:         66
        .size:           2
        .value_kind:     hidden_remainder_x
      - .offset:         68
        .size:           2
        .value_kind:     hidden_remainder_y
      - .offset:         70
        .size:           2
        .value_kind:     hidden_remainder_z
      - .offset:         88
        .size:           8
        .value_kind:     hidden_global_offset_x
      - .offset:         96
        .size:           8
        .value_kind:     hidden_global_offset_y
      - .offset:         104
        .size:           8
        .value_kind:     hidden_global_offset_z
      - .offset:         112
        .size:           2
        .value_kind:     hidden_grid_dims
    .group_segment_fixed_size: 0
    .kernarg_segment_align: 8
    .kernarg_segment_size: 304
    .language:       OpenCL C
    .language_version:
      - 2
      - 0
    .max_flat_workgroup_size: 1024
    .name:           _ZN12_GLOBAL__N_120softmax_warp_forwardIfffLi5ELb0ELb1ELi32EEEvPT0_PKT_iiiPKbib
    .private_segment_fixed_size: 0
    .sgpr_count:     18
    .sgpr_spill_count: 0
    .symbol:         _ZN12_GLOBAL__N_120softmax_warp_forwardIfffLi5ELb0ELb1ELi32EEEvPT0_PKT_iiiPKbib.kd
    .uniform_work_group_size: 1
    .uses_dynamic_stack: false
    .vgpr_count:     20
    .vgpr_spill_count: 0
    .wavefront_size: 32
    .workgroup_processor_mode: 1
  - .args:
      - .address_space:  global
        .offset:         0
        .size:           8
        .value_kind:     global_buffer
      - .address_space:  global
        .offset:         8
        .size:           8
        .value_kind:     global_buffer
      - .offset:         16
        .size:           4
        .value_kind:     by_value
      - .offset:         20
        .size:           4
        .value_kind:     by_value
      - .offset:         24
        .size:           4
        .value_kind:     by_value
      - .address_space:  global
        .offset:         32
        .size:           8
        .value_kind:     global_buffer
      - .offset:         40
        .size:           4
        .value_kind:     by_value
      - .offset:         44
        .size:           1
        .value_kind:     by_value
      - .offset:         48
        .size:           4
        .value_kind:     hidden_block_count_x
      - .offset:         52
        .size:           4
        .value_kind:     hidden_block_count_y
      - .offset:         56
        .size:           4
        .value_kind:     hidden_block_count_z
      - .offset:         60
        .size:           2
        .value_kind:     hidden_group_size_x
      - .offset:         62
        .size:           2
        .value_kind:     hidden_group_size_y
      - .offset:         64
        .size:           2
        .value_kind:     hidden_group_size_z
      - .offset:         66
        .size:           2
        .value_kind:     hidden_remainder_x
      - .offset:         68
        .size:           2
        .value_kind:     hidden_remainder_y
      - .offset:         70
        .size:           2
        .value_kind:     hidden_remainder_z
      - .offset:         88
        .size:           8
        .value_kind:     hidden_global_offset_x
      - .offset:         96
        .size:           8
        .value_kind:     hidden_global_offset_y
      - .offset:         104
        .size:           8
        .value_kind:     hidden_global_offset_z
      - .offset:         112
        .size:           2
        .value_kind:     hidden_grid_dims
    .group_segment_fixed_size: 0
    .kernarg_segment_align: 8
    .kernarg_segment_size: 304
    .language:       OpenCL C
    .language_version:
      - 2
      - 0
    .max_flat_workgroup_size: 1024
    .name:           _ZN12_GLOBAL__N_120softmax_warp_forwardIfffLi6ELb0ELb1ELi64EEEvPT0_PKT_iiiPKbib
    .private_segment_fixed_size: 0
    .sgpr_count:     18
    .sgpr_spill_count: 0
    .symbol:         _ZN12_GLOBAL__N_120softmax_warp_forwardIfffLi6ELb0ELb1ELi64EEEvPT0_PKT_iiiPKbib.kd
    .uniform_work_group_size: 1
    .uses_dynamic_stack: false
    .vgpr_count:     21
    .vgpr_spill_count: 0
    .wavefront_size: 32
    .workgroup_processor_mode: 1
  - .args:
      - .address_space:  global
        .offset:         0
        .size:           8
        .value_kind:     global_buffer
      - .address_space:  global
        .offset:         8
        .size:           8
        .value_kind:     global_buffer
      - .offset:         16
        .size:           4
        .value_kind:     by_value
      - .offset:         20
        .size:           4
        .value_kind:     by_value
      - .offset:         24
        .size:           4
        .value_kind:     by_value
      - .address_space:  global
        .offset:         32
        .size:           8
        .value_kind:     global_buffer
      - .offset:         40
        .size:           4
        .value_kind:     by_value
      - .offset:         44
        .size:           1
        .value_kind:     by_value
      - .offset:         48
        .size:           4
        .value_kind:     hidden_block_count_x
      - .offset:         52
        .size:           4
        .value_kind:     hidden_block_count_y
      - .offset:         56
        .size:           4
        .value_kind:     hidden_block_count_z
      - .offset:         60
        .size:           2
        .value_kind:     hidden_group_size_x
      - .offset:         62
        .size:           2
        .value_kind:     hidden_group_size_y
      - .offset:         64
        .size:           2
        .value_kind:     hidden_group_size_z
      - .offset:         66
        .size:           2
        .value_kind:     hidden_remainder_x
      - .offset:         68
        .size:           2
        .value_kind:     hidden_remainder_y
      - .offset:         70
        .size:           2
        .value_kind:     hidden_remainder_z
      - .offset:         88
        .size:           8
        .value_kind:     hidden_global_offset_x
      - .offset:         96
        .size:           8
        .value_kind:     hidden_global_offset_y
      - .offset:         104
        .size:           8
        .value_kind:     hidden_global_offset_z
      - .offset:         112
        .size:           2
        .value_kind:     hidden_grid_dims
    .group_segment_fixed_size: 0
    .kernarg_segment_align: 8
    .kernarg_segment_size: 304
    .language:       OpenCL C
    .language_version:
      - 2
      - 0
    .max_flat_workgroup_size: 1024
    .name:           _ZN12_GLOBAL__N_120softmax_warp_forwardIfffLi6ELb0ELb1ELi32EEEvPT0_PKT_iiiPKbib
    .private_segment_fixed_size: 0
    .sgpr_count:     20
    .sgpr_spill_count: 0
    .symbol:         _ZN12_GLOBAL__N_120softmax_warp_forwardIfffLi6ELb0ELb1ELi32EEEvPT0_PKT_iiiPKbib.kd
    .uniform_work_group_size: 1
    .uses_dynamic_stack: false
    .vgpr_count:     22
    .vgpr_spill_count: 0
    .wavefront_size: 32
    .workgroup_processor_mode: 1
  - .args:
      - .address_space:  global
        .offset:         0
        .size:           8
        .value_kind:     global_buffer
      - .address_space:  global
        .offset:         8
        .size:           8
        .value_kind:     global_buffer
      - .offset:         16
        .size:           4
        .value_kind:     by_value
      - .offset:         20
        .size:           4
        .value_kind:     by_value
      - .offset:         24
        .size:           4
        .value_kind:     by_value
      - .address_space:  global
        .offset:         32
        .size:           8
        .value_kind:     global_buffer
      - .offset:         40
        .size:           4
        .value_kind:     by_value
      - .offset:         44
        .size:           1
        .value_kind:     by_value
      - .offset:         48
        .size:           4
        .value_kind:     hidden_block_count_x
      - .offset:         52
        .size:           4
        .value_kind:     hidden_block_count_y
      - .offset:         56
        .size:           4
        .value_kind:     hidden_block_count_z
      - .offset:         60
        .size:           2
        .value_kind:     hidden_group_size_x
      - .offset:         62
        .size:           2
        .value_kind:     hidden_group_size_y
      - .offset:         64
        .size:           2
        .value_kind:     hidden_group_size_z
      - .offset:         66
        .size:           2
        .value_kind:     hidden_remainder_x
      - .offset:         68
        .size:           2
        .value_kind:     hidden_remainder_y
      - .offset:         70
        .size:           2
        .value_kind:     hidden_remainder_z
      - .offset:         88
        .size:           8
        .value_kind:     hidden_global_offset_x
      - .offset:         96
        .size:           8
        .value_kind:     hidden_global_offset_y
      - .offset:         104
        .size:           8
        .value_kind:     hidden_global_offset_z
      - .offset:         112
        .size:           2
        .value_kind:     hidden_grid_dims
    .group_segment_fixed_size: 0
    .kernarg_segment_align: 8
    .kernarg_segment_size: 304
    .language:       OpenCL C
    .language_version:
      - 2
      - 0
    .max_flat_workgroup_size: 1024
    .name:           _ZN12_GLOBAL__N_120softmax_warp_forwardIfffLi7ELb0ELb1ELi64EEEvPT0_PKT_iiiPKbib
    .private_segment_fixed_size: 0
    .sgpr_count:     20
    .sgpr_spill_count: 0
    .symbol:         _ZN12_GLOBAL__N_120softmax_warp_forwardIfffLi7ELb0ELb1ELi64EEEvPT0_PKT_iiiPKbib.kd
    .uniform_work_group_size: 1
    .uses_dynamic_stack: false
    .vgpr_count:     23
    .vgpr_spill_count: 0
    .wavefront_size: 32
    .workgroup_processor_mode: 1
  - .args:
      - .address_space:  global
        .offset:         0
        .size:           8
        .value_kind:     global_buffer
      - .address_space:  global
        .offset:         8
        .size:           8
        .value_kind:     global_buffer
      - .offset:         16
        .size:           4
        .value_kind:     by_value
      - .offset:         20
        .size:           4
        .value_kind:     by_value
      - .offset:         24
        .size:           4
        .value_kind:     by_value
      - .address_space:  global
        .offset:         32
        .size:           8
        .value_kind:     global_buffer
      - .offset:         40
        .size:           4
        .value_kind:     by_value
      - .offset:         44
        .size:           1
        .value_kind:     by_value
      - .offset:         48
        .size:           4
        .value_kind:     hidden_block_count_x
      - .offset:         52
        .size:           4
        .value_kind:     hidden_block_count_y
      - .offset:         56
        .size:           4
        .value_kind:     hidden_block_count_z
      - .offset:         60
        .size:           2
        .value_kind:     hidden_group_size_x
      - .offset:         62
        .size:           2
        .value_kind:     hidden_group_size_y
      - .offset:         64
        .size:           2
        .value_kind:     hidden_group_size_z
      - .offset:         66
        .size:           2
        .value_kind:     hidden_remainder_x
      - .offset:         68
        .size:           2
        .value_kind:     hidden_remainder_y
      - .offset:         70
        .size:           2
        .value_kind:     hidden_remainder_z
      - .offset:         88
        .size:           8
        .value_kind:     hidden_global_offset_x
      - .offset:         96
        .size:           8
        .value_kind:     hidden_global_offset_y
      - .offset:         104
        .size:           8
        .value_kind:     hidden_global_offset_z
      - .offset:         112
        .size:           2
        .value_kind:     hidden_grid_dims
    .group_segment_fixed_size: 0
    .kernarg_segment_align: 8
    .kernarg_segment_size: 304
    .language:       OpenCL C
    .language_version:
      - 2
      - 0
    .max_flat_workgroup_size: 1024
    .name:           _ZN12_GLOBAL__N_120softmax_warp_forwardIfffLi7ELb0ELb1ELi32EEEvPT0_PKT_iiiPKbib
    .private_segment_fixed_size: 0
    .sgpr_count:     26
    .sgpr_spill_count: 0
    .symbol:         _ZN12_GLOBAL__N_120softmax_warp_forwardIfffLi7ELb0ELb1ELi32EEEvPT0_PKT_iiiPKbib.kd
    .uniform_work_group_size: 1
    .uses_dynamic_stack: false
    .vgpr_count:     27
    .vgpr_spill_count: 0
    .wavefront_size: 32
    .workgroup_processor_mode: 1
  - .args:
      - .address_space:  global
        .offset:         0
        .size:           8
        .value_kind:     global_buffer
      - .address_space:  global
        .offset:         8
        .size:           8
        .value_kind:     global_buffer
      - .offset:         16
        .size:           4
        .value_kind:     by_value
      - .offset:         20
        .size:           4
        .value_kind:     by_value
      - .offset:         24
        .size:           4
        .value_kind:     by_value
      - .address_space:  global
        .offset:         32
        .size:           8
        .value_kind:     global_buffer
      - .offset:         40
        .size:           4
        .value_kind:     by_value
      - .offset:         44
        .size:           1
        .value_kind:     by_value
      - .offset:         48
        .size:           4
        .value_kind:     hidden_block_count_x
      - .offset:         52
        .size:           4
        .value_kind:     hidden_block_count_y
      - .offset:         56
        .size:           4
        .value_kind:     hidden_block_count_z
      - .offset:         60
        .size:           2
        .value_kind:     hidden_group_size_x
      - .offset:         62
        .size:           2
        .value_kind:     hidden_group_size_y
      - .offset:         64
        .size:           2
        .value_kind:     hidden_group_size_z
      - .offset:         66
        .size:           2
        .value_kind:     hidden_remainder_x
      - .offset:         68
        .size:           2
        .value_kind:     hidden_remainder_y
      - .offset:         70
        .size:           2
        .value_kind:     hidden_remainder_z
      - .offset:         88
        .size:           8
        .value_kind:     hidden_global_offset_x
      - .offset:         96
        .size:           8
        .value_kind:     hidden_global_offset_y
      - .offset:         104
        .size:           8
        .value_kind:     hidden_global_offset_z
      - .offset:         112
        .size:           2
        .value_kind:     hidden_grid_dims
    .group_segment_fixed_size: 0
    .kernarg_segment_align: 8
    .kernarg_segment_size: 304
    .language:       OpenCL C
    .language_version:
      - 2
      - 0
    .max_flat_workgroup_size: 1024
    .name:           _ZN12_GLOBAL__N_120softmax_warp_forwardIfffLi8ELb0ELb1ELi64EEEvPT0_PKT_iiiPKbib
    .private_segment_fixed_size: 0
    .sgpr_count:     18
    .sgpr_spill_count: 0
    .symbol:         _ZN12_GLOBAL__N_120softmax_warp_forwardIfffLi8ELb0ELb1ELi64EEEvPT0_PKT_iiiPKbib.kd
    .uniform_work_group_size: 1
    .uses_dynamic_stack: false
    .vgpr_count:     21
    .vgpr_spill_count: 0
    .wavefront_size: 32
    .workgroup_processor_mode: 1
  - .args:
      - .address_space:  global
        .offset:         0
        .size:           8
        .value_kind:     global_buffer
      - .address_space:  global
        .offset:         8
        .size:           8
        .value_kind:     global_buffer
      - .offset:         16
        .size:           4
        .value_kind:     by_value
      - .offset:         20
        .size:           4
        .value_kind:     by_value
      - .offset:         24
        .size:           4
        .value_kind:     by_value
      - .address_space:  global
        .offset:         32
        .size:           8
        .value_kind:     global_buffer
      - .offset:         40
        .size:           4
        .value_kind:     by_value
      - .offset:         44
        .size:           1
        .value_kind:     by_value
      - .offset:         48
        .size:           4
        .value_kind:     hidden_block_count_x
      - .offset:         52
        .size:           4
        .value_kind:     hidden_block_count_y
      - .offset:         56
        .size:           4
        .value_kind:     hidden_block_count_z
      - .offset:         60
        .size:           2
        .value_kind:     hidden_group_size_x
      - .offset:         62
        .size:           2
        .value_kind:     hidden_group_size_y
      - .offset:         64
        .size:           2
        .value_kind:     hidden_group_size_z
      - .offset:         66
        .size:           2
        .value_kind:     hidden_remainder_x
      - .offset:         68
        .size:           2
        .value_kind:     hidden_remainder_y
      - .offset:         70
        .size:           2
        .value_kind:     hidden_remainder_z
      - .offset:         88
        .size:           8
        .value_kind:     hidden_global_offset_x
      - .offset:         96
        .size:           8
        .value_kind:     hidden_global_offset_y
      - .offset:         104
        .size:           8
        .value_kind:     hidden_global_offset_z
      - .offset:         112
        .size:           2
        .value_kind:     hidden_grid_dims
    .group_segment_fixed_size: 0
    .kernarg_segment_align: 8
    .kernarg_segment_size: 304
    .language:       OpenCL C
    .language_version:
      - 2
      - 0
    .max_flat_workgroup_size: 1024
    .name:           _ZN12_GLOBAL__N_120softmax_warp_forwardIfffLi8ELb0ELb1ELi32EEEvPT0_PKT_iiiPKbib
    .private_segment_fixed_size: 0
    .sgpr_count:     24
    .sgpr_spill_count: 0
    .symbol:         _ZN12_GLOBAL__N_120softmax_warp_forwardIfffLi8ELb0ELb1ELi32EEEvPT0_PKT_iiiPKbib.kd
    .uniform_work_group_size: 1
    .uses_dynamic_stack: false
    .vgpr_count:     24
    .vgpr_spill_count: 0
    .wavefront_size: 32
    .workgroup_processor_mode: 1
  - .args:
      - .address_space:  global
        .offset:         0
        .size:           8
        .value_kind:     global_buffer
      - .address_space:  global
        .offset:         8
        .size:           8
        .value_kind:     global_buffer
      - .offset:         16
        .size:           4
        .value_kind:     by_value
      - .offset:         20
        .size:           4
        .value_kind:     by_value
      - .offset:         24
        .size:           4
        .value_kind:     by_value
      - .address_space:  global
        .offset:         32
        .size:           8
        .value_kind:     global_buffer
      - .offset:         40
        .size:           4
        .value_kind:     by_value
      - .offset:         44
        .size:           1
        .value_kind:     by_value
      - .offset:         48
        .size:           4
        .value_kind:     hidden_block_count_x
      - .offset:         52
        .size:           4
        .value_kind:     hidden_block_count_y
      - .offset:         56
        .size:           4
        .value_kind:     hidden_block_count_z
      - .offset:         60
        .size:           2
        .value_kind:     hidden_group_size_x
      - .offset:         62
        .size:           2
        .value_kind:     hidden_group_size_y
      - .offset:         64
        .size:           2
        .value_kind:     hidden_group_size_z
      - .offset:         66
        .size:           2
        .value_kind:     hidden_remainder_x
      - .offset:         68
        .size:           2
        .value_kind:     hidden_remainder_y
      - .offset:         70
        .size:           2
        .value_kind:     hidden_remainder_z
      - .offset:         88
        .size:           8
        .value_kind:     hidden_global_offset_x
      - .offset:         96
        .size:           8
        .value_kind:     hidden_global_offset_y
      - .offset:         104
        .size:           8
        .value_kind:     hidden_global_offset_z
      - .offset:         112
        .size:           2
        .value_kind:     hidden_grid_dims
    .group_segment_fixed_size: 0
    .kernarg_segment_align: 8
    .kernarg_segment_size: 304
    .language:       OpenCL C
    .language_version:
      - 2
      - 0
    .max_flat_workgroup_size: 1024
    .name:           _ZN12_GLOBAL__N_120softmax_warp_forwardIfffLi9ELb0ELb1ELi64EEEvPT0_PKT_iiiPKbib
    .private_segment_fixed_size: 0
    .sgpr_count:     24
    .sgpr_spill_count: 0
    .symbol:         _ZN12_GLOBAL__N_120softmax_warp_forwardIfffLi9ELb0ELb1ELi64EEEvPT0_PKT_iiiPKbib.kd
    .uniform_work_group_size: 1
    .uses_dynamic_stack: false
    .vgpr_count:     25
    .vgpr_spill_count: 0
    .wavefront_size: 32
    .workgroup_processor_mode: 1
  - .args:
      - .address_space:  global
        .offset:         0
        .size:           8
        .value_kind:     global_buffer
      - .address_space:  global
        .offset:         8
        .size:           8
        .value_kind:     global_buffer
      - .offset:         16
        .size:           4
        .value_kind:     by_value
      - .offset:         20
        .size:           4
        .value_kind:     by_value
      - .offset:         24
        .size:           4
        .value_kind:     by_value
      - .address_space:  global
        .offset:         32
        .size:           8
        .value_kind:     global_buffer
      - .offset:         40
        .size:           4
        .value_kind:     by_value
      - .offset:         44
        .size:           1
        .value_kind:     by_value
      - .offset:         48
        .size:           4
        .value_kind:     hidden_block_count_x
      - .offset:         52
        .size:           4
        .value_kind:     hidden_block_count_y
      - .offset:         56
        .size:           4
        .value_kind:     hidden_block_count_z
      - .offset:         60
        .size:           2
        .value_kind:     hidden_group_size_x
      - .offset:         62
        .size:           2
        .value_kind:     hidden_group_size_y
      - .offset:         64
        .size:           2
        .value_kind:     hidden_group_size_z
      - .offset:         66
        .size:           2
        .value_kind:     hidden_remainder_x
      - .offset:         68
        .size:           2
        .value_kind:     hidden_remainder_y
      - .offset:         70
        .size:           2
        .value_kind:     hidden_remainder_z
      - .offset:         88
        .size:           8
        .value_kind:     hidden_global_offset_x
      - .offset:         96
        .size:           8
        .value_kind:     hidden_global_offset_y
      - .offset:         104
        .size:           8
        .value_kind:     hidden_global_offset_z
      - .offset:         112
        .size:           2
        .value_kind:     hidden_grid_dims
    .group_segment_fixed_size: 0
    .kernarg_segment_align: 8
    .kernarg_segment_size: 304
    .language:       OpenCL C
    .language_version:
      - 2
      - 0
    .max_flat_workgroup_size: 1024
    .name:           _ZN12_GLOBAL__N_120softmax_warp_forwardIfffLi9ELb0ELb1ELi32EEEvPT0_PKT_iiiPKbib
    .private_segment_fixed_size: 0
    .sgpr_count:     41
    .sgpr_spill_count: 0
    .symbol:         _ZN12_GLOBAL__N_120softmax_warp_forwardIfffLi9ELb0ELb1ELi32EEEvPT0_PKT_iiiPKbib.kd
    .uniform_work_group_size: 1
    .uses_dynamic_stack: false
    .vgpr_count:     32
    .vgpr_spill_count: 0
    .wavefront_size: 32
    .workgroup_processor_mode: 1
  - .args:
      - .address_space:  global
        .offset:         0
        .size:           8
        .value_kind:     global_buffer
      - .address_space:  global
        .offset:         8
        .size:           8
        .value_kind:     global_buffer
      - .offset:         16
        .size:           4
        .value_kind:     by_value
      - .offset:         20
        .size:           4
        .value_kind:     by_value
      - .offset:         24
        .size:           4
        .value_kind:     by_value
      - .address_space:  global
        .offset:         32
        .size:           8
        .value_kind:     global_buffer
      - .offset:         40
        .size:           4
        .value_kind:     by_value
      - .offset:         44
        .size:           1
        .value_kind:     by_value
      - .offset:         48
        .size:           4
        .value_kind:     hidden_block_count_x
      - .offset:         52
        .size:           4
        .value_kind:     hidden_block_count_y
      - .offset:         56
        .size:           4
        .value_kind:     hidden_block_count_z
      - .offset:         60
        .size:           2
        .value_kind:     hidden_group_size_x
      - .offset:         62
        .size:           2
        .value_kind:     hidden_group_size_y
      - .offset:         64
        .size:           2
        .value_kind:     hidden_group_size_z
      - .offset:         66
        .size:           2
        .value_kind:     hidden_remainder_x
      - .offset:         68
        .size:           2
        .value_kind:     hidden_remainder_y
      - .offset:         70
        .size:           2
        .value_kind:     hidden_remainder_z
      - .offset:         88
        .size:           8
        .value_kind:     hidden_global_offset_x
      - .offset:         96
        .size:           8
        .value_kind:     hidden_global_offset_y
      - .offset:         104
        .size:           8
        .value_kind:     hidden_global_offset_z
      - .offset:         112
        .size:           2
        .value_kind:     hidden_grid_dims
    .group_segment_fixed_size: 0
    .kernarg_segment_align: 8
    .kernarg_segment_size: 304
    .language:       OpenCL C
    .language_version:
      - 2
      - 0
    .max_flat_workgroup_size: 1024
    .name:           _ZN12_GLOBAL__N_120softmax_warp_forwardIfffLi10ELb0ELb1ELi64EEEvPT0_PKT_iiiPKbib
    .private_segment_fixed_size: 0
    .sgpr_count:     41
    .sgpr_spill_count: 0
    .symbol:         _ZN12_GLOBAL__N_120softmax_warp_forwardIfffLi10ELb0ELb1ELi64EEEvPT0_PKT_iiiPKbib.kd
    .uniform_work_group_size: 1
    .uses_dynamic_stack: false
    .vgpr_count:     33
    .vgpr_spill_count: 0
    .wavefront_size: 32
    .workgroup_processor_mode: 1
  - .args:
      - .address_space:  global
        .offset:         0
        .size:           8
        .value_kind:     global_buffer
      - .address_space:  global
        .offset:         8
        .size:           8
        .value_kind:     global_buffer
      - .offset:         16
        .size:           4
        .value_kind:     by_value
      - .offset:         20
        .size:           4
        .value_kind:     by_value
      - .offset:         24
        .size:           4
        .value_kind:     by_value
      - .address_space:  global
        .offset:         32
        .size:           8
        .value_kind:     global_buffer
      - .offset:         40
        .size:           4
        .value_kind:     by_value
      - .offset:         44
        .size:           1
        .value_kind:     by_value
      - .offset:         48
        .size:           4
        .value_kind:     hidden_block_count_x
      - .offset:         52
        .size:           4
        .value_kind:     hidden_block_count_y
      - .offset:         56
        .size:           4
        .value_kind:     hidden_block_count_z
      - .offset:         60
        .size:           2
        .value_kind:     hidden_group_size_x
      - .offset:         62
        .size:           2
        .value_kind:     hidden_group_size_y
      - .offset:         64
        .size:           2
        .value_kind:     hidden_group_size_z
      - .offset:         66
        .size:           2
        .value_kind:     hidden_remainder_x
      - .offset:         68
        .size:           2
        .value_kind:     hidden_remainder_y
      - .offset:         70
        .size:           2
        .value_kind:     hidden_remainder_z
      - .offset:         88
        .size:           8
        .value_kind:     hidden_global_offset_x
      - .offset:         96
        .size:           8
        .value_kind:     hidden_global_offset_y
      - .offset:         104
        .size:           8
        .value_kind:     hidden_global_offset_z
      - .offset:         112
        .size:           2
        .value_kind:     hidden_grid_dims
    .group_segment_fixed_size: 0
    .kernarg_segment_align: 8
    .kernarg_segment_size: 304
    .language:       OpenCL C
    .language_version:
      - 2
      - 0
    .max_flat_workgroup_size: 1024
    .name:           _ZN12_GLOBAL__N_120softmax_warp_forwardIfffLi10ELb0ELb1ELi32EEEvPT0_PKT_iiiPKbib
    .private_segment_fixed_size: 0
    .sgpr_count:     73
    .sgpr_spill_count: 0
    .symbol:         _ZN12_GLOBAL__N_120softmax_warp_forwardIfffLi10ELb0ELb1ELi32EEEvPT0_PKT_iiiPKbib.kd
    .uniform_work_group_size: 1
    .uses_dynamic_stack: false
    .vgpr_count:     48
    .vgpr_spill_count: 0
    .wavefront_size: 32
    .workgroup_processor_mode: 1
  - .args:
      - .address_space:  global
        .offset:         0
        .size:           8
        .value_kind:     global_buffer
      - .address_space:  global
        .offset:         8
        .size:           8
        .value_kind:     global_buffer
      - .offset:         16
        .size:           4
        .value_kind:     by_value
      - .offset:         20
        .size:           4
        .value_kind:     by_value
      - .offset:         24
        .size:           4
        .value_kind:     by_value
      - .address_space:  global
        .offset:         32
        .size:           8
        .value_kind:     global_buffer
      - .offset:         40
        .size:           4
        .value_kind:     by_value
      - .offset:         44
        .size:           1
        .value_kind:     by_value
      - .offset:         48
        .size:           4
        .value_kind:     hidden_block_count_x
      - .offset:         52
        .size:           4
        .value_kind:     hidden_block_count_y
      - .offset:         56
        .size:           4
        .value_kind:     hidden_block_count_z
      - .offset:         60
        .size:           2
        .value_kind:     hidden_group_size_x
      - .offset:         62
        .size:           2
        .value_kind:     hidden_group_size_y
      - .offset:         64
        .size:           2
        .value_kind:     hidden_group_size_z
      - .offset:         66
        .size:           2
        .value_kind:     hidden_remainder_x
      - .offset:         68
        .size:           2
        .value_kind:     hidden_remainder_y
      - .offset:         70
        .size:           2
        .value_kind:     hidden_remainder_z
      - .offset:         88
        .size:           8
        .value_kind:     hidden_global_offset_x
      - .offset:         96
        .size:           8
        .value_kind:     hidden_global_offset_y
      - .offset:         104
        .size:           8
        .value_kind:     hidden_global_offset_z
      - .offset:         112
        .size:           2
        .value_kind:     hidden_grid_dims
    .group_segment_fixed_size: 0
    .kernarg_segment_align: 8
    .kernarg_segment_size: 304
    .language:       OpenCL C
    .language_version:
      - 2
      - 0
    .max_flat_workgroup_size: 1024
    .name:           _ZN12_GLOBAL__N_120softmax_warp_forwardIfffLi11ELb0ELb1ELi64EEEvPT0_PKT_iiiPKbib
    .private_segment_fixed_size: 0
    .sgpr_count:     73
    .sgpr_spill_count: 0
    .symbol:         _ZN12_GLOBAL__N_120softmax_warp_forwardIfffLi11ELb0ELb1ELi64EEEvPT0_PKT_iiiPKbib.kd
    .uniform_work_group_size: 1
    .uses_dynamic_stack: false
    .vgpr_count:     49
    .vgpr_spill_count: 0
    .wavefront_size: 32
    .workgroup_processor_mode: 1
  - .args:
      - .address_space:  global
        .offset:         0
        .size:           8
        .value_kind:     global_buffer
      - .address_space:  global
        .offset:         8
        .size:           8
        .value_kind:     global_buffer
      - .offset:         16
        .size:           4
        .value_kind:     by_value
      - .offset:         20
        .size:           4
        .value_kind:     by_value
      - .offset:         24
        .size:           4
        .value_kind:     by_value
      - .address_space:  global
        .offset:         32
        .size:           8
        .value_kind:     global_buffer
      - .offset:         40
        .size:           4
        .value_kind:     by_value
      - .offset:         44
        .size:           1
        .value_kind:     by_value
      - .offset:         48
        .size:           4
        .value_kind:     hidden_block_count_x
      - .offset:         52
        .size:           4
        .value_kind:     hidden_block_count_y
      - .offset:         56
        .size:           4
        .value_kind:     hidden_block_count_z
      - .offset:         60
        .size:           2
        .value_kind:     hidden_group_size_x
      - .offset:         62
        .size:           2
        .value_kind:     hidden_group_size_y
      - .offset:         64
        .size:           2
        .value_kind:     hidden_group_size_z
      - .offset:         66
        .size:           2
        .value_kind:     hidden_remainder_x
      - .offset:         68
        .size:           2
        .value_kind:     hidden_remainder_y
      - .offset:         70
        .size:           2
        .value_kind:     hidden_remainder_z
      - .offset:         88
        .size:           8
        .value_kind:     hidden_global_offset_x
      - .offset:         96
        .size:           8
        .value_kind:     hidden_global_offset_y
      - .offset:         104
        .size:           8
        .value_kind:     hidden_global_offset_z
      - .offset:         112
        .size:           2
        .value_kind:     hidden_grid_dims
    .group_segment_fixed_size: 0
    .kernarg_segment_align: 8
    .kernarg_segment_size: 304
    .language:       OpenCL C
    .language_version:
      - 2
      - 0
    .max_flat_workgroup_size: 1024
    .name:           _ZN12_GLOBAL__N_120softmax_warp_forwardIfffLi11ELb0ELb1ELi32EEEvPT0_PKT_iiiPKbib
    .private_segment_fixed_size: 0
    .sgpr_count:     107
    .sgpr_spill_count: 31
    .symbol:         _ZN12_GLOBAL__N_120softmax_warp_forwardIfffLi11ELb0ELb1ELi32EEEvPT0_PKT_iiiPKbib.kd
    .uniform_work_group_size: 1
    .uses_dynamic_stack: false
    .vgpr_count:     81
    .vgpr_spill_count: 0
    .wavefront_size: 32
    .workgroup_processor_mode: 1
  - .args:
      - .address_space:  global
        .offset:         0
        .size:           8
        .value_kind:     global_buffer
      - .address_space:  global
        .offset:         8
        .size:           8
        .value_kind:     global_buffer
      - .offset:         16
        .size:           4
        .value_kind:     by_value
      - .offset:         20
        .size:           4
        .value_kind:     by_value
      - .offset:         24
        .size:           4
        .value_kind:     by_value
      - .address_space:  global
        .offset:         32
        .size:           8
        .value_kind:     global_buffer
      - .offset:         40
        .size:           4
        .value_kind:     by_value
      - .offset:         44
        .size:           1
        .value_kind:     by_value
      - .offset:         48
        .size:           4
        .value_kind:     hidden_block_count_x
      - .offset:         52
        .size:           4
        .value_kind:     hidden_block_count_y
      - .offset:         56
        .size:           4
        .value_kind:     hidden_block_count_z
      - .offset:         60
        .size:           2
        .value_kind:     hidden_group_size_x
      - .offset:         62
        .size:           2
        .value_kind:     hidden_group_size_y
      - .offset:         64
        .size:           2
        .value_kind:     hidden_group_size_z
      - .offset:         66
        .size:           2
        .value_kind:     hidden_remainder_x
      - .offset:         68
        .size:           2
        .value_kind:     hidden_remainder_y
      - .offset:         70
        .size:           2
        .value_kind:     hidden_remainder_z
      - .offset:         88
        .size:           8
        .value_kind:     hidden_global_offset_x
      - .offset:         96
        .size:           8
        .value_kind:     hidden_global_offset_y
      - .offset:         104
        .size:           8
        .value_kind:     hidden_global_offset_z
      - .offset:         112
        .size:           2
        .value_kind:     hidden_grid_dims
    .group_segment_fixed_size: 0
    .kernarg_segment_align: 8
    .kernarg_segment_size: 304
    .language:       OpenCL C
    .language_version:
      - 2
      - 0
    .max_flat_workgroup_size: 1024
    .name:           _ZN12_GLOBAL__N_120softmax_warp_forwardIN3c104HalfES2_fLi0ELb0ELb1ELi64EEEvPT0_PKT_iiiPKbib
    .private_segment_fixed_size: 0
    .sgpr_count:     18
    .sgpr_spill_count: 0
    .symbol:         _ZN12_GLOBAL__N_120softmax_warp_forwardIN3c104HalfES2_fLi0ELb0ELb1ELi64EEEvPT0_PKT_iiiPKbib.kd
    .uniform_work_group_size: 1
    .uses_dynamic_stack: false
    .vgpr_count:     13
    .vgpr_spill_count: 0
    .wavefront_size: 32
    .workgroup_processor_mode: 1
  - .args:
      - .address_space:  global
        .offset:         0
        .size:           8
        .value_kind:     global_buffer
      - .address_space:  global
        .offset:         8
        .size:           8
        .value_kind:     global_buffer
      - .offset:         16
        .size:           4
        .value_kind:     by_value
      - .offset:         20
        .size:           4
        .value_kind:     by_value
      - .offset:         24
        .size:           4
        .value_kind:     by_value
      - .address_space:  global
        .offset:         32
        .size:           8
        .value_kind:     global_buffer
      - .offset:         40
        .size:           4
        .value_kind:     by_value
      - .offset:         44
        .size:           1
        .value_kind:     by_value
      - .offset:         48
        .size:           4
        .value_kind:     hidden_block_count_x
      - .offset:         52
        .size:           4
        .value_kind:     hidden_block_count_y
      - .offset:         56
        .size:           4
        .value_kind:     hidden_block_count_z
      - .offset:         60
        .size:           2
        .value_kind:     hidden_group_size_x
      - .offset:         62
        .size:           2
        .value_kind:     hidden_group_size_y
      - .offset:         64
        .size:           2
        .value_kind:     hidden_group_size_z
      - .offset:         66
        .size:           2
        .value_kind:     hidden_remainder_x
      - .offset:         68
        .size:           2
        .value_kind:     hidden_remainder_y
      - .offset:         70
        .size:           2
        .value_kind:     hidden_remainder_z
      - .offset:         88
        .size:           8
        .value_kind:     hidden_global_offset_x
      - .offset:         96
        .size:           8
        .value_kind:     hidden_global_offset_y
      - .offset:         104
        .size:           8
        .value_kind:     hidden_global_offset_z
      - .offset:         112
        .size:           2
        .value_kind:     hidden_grid_dims
    .group_segment_fixed_size: 0
    .kernarg_segment_align: 8
    .kernarg_segment_size: 304
    .language:       OpenCL C
    .language_version:
      - 2
      - 0
    .max_flat_workgroup_size: 1024
    .name:           _ZN12_GLOBAL__N_120softmax_warp_forwardIN3c104HalfES2_fLi0ELb0ELb1ELi32EEEvPT0_PKT_iiiPKbib
    .private_segment_fixed_size: 0
    .sgpr_count:     18
    .sgpr_spill_count: 0
    .symbol:         _ZN12_GLOBAL__N_120softmax_warp_forwardIN3c104HalfES2_fLi0ELb0ELb1ELi32EEEvPT0_PKT_iiiPKbib.kd
    .uniform_work_group_size: 1
    .uses_dynamic_stack: false
    .vgpr_count:     13
    .vgpr_spill_count: 0
    .wavefront_size: 32
    .workgroup_processor_mode: 1
  - .args:
      - .address_space:  global
        .offset:         0
        .size:           8
        .value_kind:     global_buffer
      - .address_space:  global
        .offset:         8
        .size:           8
        .value_kind:     global_buffer
      - .offset:         16
        .size:           4
        .value_kind:     by_value
      - .offset:         20
        .size:           4
        .value_kind:     by_value
      - .offset:         24
        .size:           4
        .value_kind:     by_value
      - .address_space:  global
        .offset:         32
        .size:           8
        .value_kind:     global_buffer
      - .offset:         40
        .size:           4
        .value_kind:     by_value
      - .offset:         44
        .size:           1
        .value_kind:     by_value
      - .offset:         48
        .size:           4
        .value_kind:     hidden_block_count_x
      - .offset:         52
        .size:           4
        .value_kind:     hidden_block_count_y
      - .offset:         56
        .size:           4
        .value_kind:     hidden_block_count_z
      - .offset:         60
        .size:           2
        .value_kind:     hidden_group_size_x
      - .offset:         62
        .size:           2
        .value_kind:     hidden_group_size_y
      - .offset:         64
        .size:           2
        .value_kind:     hidden_group_size_z
      - .offset:         66
        .size:           2
        .value_kind:     hidden_remainder_x
      - .offset:         68
        .size:           2
        .value_kind:     hidden_remainder_y
      - .offset:         70
        .size:           2
        .value_kind:     hidden_remainder_z
      - .offset:         88
        .size:           8
        .value_kind:     hidden_global_offset_x
      - .offset:         96
        .size:           8
        .value_kind:     hidden_global_offset_y
      - .offset:         104
        .size:           8
        .value_kind:     hidden_global_offset_z
      - .offset:         112
        .size:           2
        .value_kind:     hidden_grid_dims
    .group_segment_fixed_size: 0
    .kernarg_segment_align: 8
    .kernarg_segment_size: 304
    .language:       OpenCL C
    .language_version:
      - 2
      - 0
    .max_flat_workgroup_size: 1024
    .name:           _ZN12_GLOBAL__N_120softmax_warp_forwardIN3c104HalfES2_fLi1ELb0ELb1ELi64EEEvPT0_PKT_iiiPKbib
    .private_segment_fixed_size: 0
    .sgpr_count:     18
    .sgpr_spill_count: 0
    .symbol:         _ZN12_GLOBAL__N_120softmax_warp_forwardIN3c104HalfES2_fLi1ELb0ELb1ELi64EEEvPT0_PKT_iiiPKbib.kd
    .uniform_work_group_size: 1
    .uses_dynamic_stack: false
    .vgpr_count:     16
    .vgpr_spill_count: 0
    .wavefront_size: 32
    .workgroup_processor_mode: 1
  - .args:
      - .address_space:  global
        .offset:         0
        .size:           8
        .value_kind:     global_buffer
      - .address_space:  global
        .offset:         8
        .size:           8
        .value_kind:     global_buffer
      - .offset:         16
        .size:           4
        .value_kind:     by_value
      - .offset:         20
        .size:           4
        .value_kind:     by_value
      - .offset:         24
        .size:           4
        .value_kind:     by_value
      - .address_space:  global
        .offset:         32
        .size:           8
        .value_kind:     global_buffer
      - .offset:         40
        .size:           4
        .value_kind:     by_value
      - .offset:         44
        .size:           1
        .value_kind:     by_value
      - .offset:         48
        .size:           4
        .value_kind:     hidden_block_count_x
      - .offset:         52
        .size:           4
        .value_kind:     hidden_block_count_y
      - .offset:         56
        .size:           4
        .value_kind:     hidden_block_count_z
      - .offset:         60
        .size:           2
        .value_kind:     hidden_group_size_x
      - .offset:         62
        .size:           2
        .value_kind:     hidden_group_size_y
      - .offset:         64
        .size:           2
        .value_kind:     hidden_group_size_z
      - .offset:         66
        .size:           2
        .value_kind:     hidden_remainder_x
      - .offset:         68
        .size:           2
        .value_kind:     hidden_remainder_y
      - .offset:         70
        .size:           2
        .value_kind:     hidden_remainder_z
      - .offset:         88
        .size:           8
        .value_kind:     hidden_global_offset_x
      - .offset:         96
        .size:           8
        .value_kind:     hidden_global_offset_y
      - .offset:         104
        .size:           8
        .value_kind:     hidden_global_offset_z
      - .offset:         112
        .size:           2
        .value_kind:     hidden_grid_dims
    .group_segment_fixed_size: 0
    .kernarg_segment_align: 8
    .kernarg_segment_size: 304
    .language:       OpenCL C
    .language_version:
      - 2
      - 0
    .max_flat_workgroup_size: 1024
    .name:           _ZN12_GLOBAL__N_120softmax_warp_forwardIN3c104HalfES2_fLi1ELb0ELb1ELi32EEEvPT0_PKT_iiiPKbib
    .private_segment_fixed_size: 0
    .sgpr_count:     18
    .sgpr_spill_count: 0
    .symbol:         _ZN12_GLOBAL__N_120softmax_warp_forwardIN3c104HalfES2_fLi1ELb0ELb1ELi32EEEvPT0_PKT_iiiPKbib.kd
    .uniform_work_group_size: 1
    .uses_dynamic_stack: false
    .vgpr_count:     16
    .vgpr_spill_count: 0
    .wavefront_size: 32
    .workgroup_processor_mode: 1
  - .args:
      - .address_space:  global
        .offset:         0
        .size:           8
        .value_kind:     global_buffer
      - .address_space:  global
        .offset:         8
        .size:           8
        .value_kind:     global_buffer
      - .offset:         16
        .size:           4
        .value_kind:     by_value
      - .offset:         20
        .size:           4
        .value_kind:     by_value
      - .offset:         24
        .size:           4
        .value_kind:     by_value
      - .address_space:  global
        .offset:         32
        .size:           8
        .value_kind:     global_buffer
      - .offset:         40
        .size:           4
        .value_kind:     by_value
      - .offset:         44
        .size:           1
        .value_kind:     by_value
      - .offset:         48
        .size:           4
        .value_kind:     hidden_block_count_x
      - .offset:         52
        .size:           4
        .value_kind:     hidden_block_count_y
      - .offset:         56
        .size:           4
        .value_kind:     hidden_block_count_z
      - .offset:         60
        .size:           2
        .value_kind:     hidden_group_size_x
      - .offset:         62
        .size:           2
        .value_kind:     hidden_group_size_y
      - .offset:         64
        .size:           2
        .value_kind:     hidden_group_size_z
      - .offset:         66
        .size:           2
        .value_kind:     hidden_remainder_x
      - .offset:         68
        .size:           2
        .value_kind:     hidden_remainder_y
      - .offset:         70
        .size:           2
        .value_kind:     hidden_remainder_z
      - .offset:         88
        .size:           8
        .value_kind:     hidden_global_offset_x
      - .offset:         96
        .size:           8
        .value_kind:     hidden_global_offset_y
      - .offset:         104
        .size:           8
        .value_kind:     hidden_global_offset_z
      - .offset:         112
        .size:           2
        .value_kind:     hidden_grid_dims
    .group_segment_fixed_size: 0
    .kernarg_segment_align: 8
    .kernarg_segment_size: 304
    .language:       OpenCL C
    .language_version:
      - 2
      - 0
    .max_flat_workgroup_size: 1024
    .name:           _ZN12_GLOBAL__N_120softmax_warp_forwardIN3c104HalfES2_fLi2ELb0ELb1ELi64EEEvPT0_PKT_iiiPKbib
    .private_segment_fixed_size: 0
    .sgpr_count:     18
    .sgpr_spill_count: 0
    .symbol:         _ZN12_GLOBAL__N_120softmax_warp_forwardIN3c104HalfES2_fLi2ELb0ELb1ELi64EEEvPT0_PKT_iiiPKbib.kd
    .uniform_work_group_size: 1
    .uses_dynamic_stack: false
    .vgpr_count:     17
    .vgpr_spill_count: 0
    .wavefront_size: 32
    .workgroup_processor_mode: 1
  - .args:
      - .address_space:  global
        .offset:         0
        .size:           8
        .value_kind:     global_buffer
      - .address_space:  global
        .offset:         8
        .size:           8
        .value_kind:     global_buffer
      - .offset:         16
        .size:           4
        .value_kind:     by_value
      - .offset:         20
        .size:           4
        .value_kind:     by_value
      - .offset:         24
        .size:           4
        .value_kind:     by_value
      - .address_space:  global
        .offset:         32
        .size:           8
        .value_kind:     global_buffer
      - .offset:         40
        .size:           4
        .value_kind:     by_value
      - .offset:         44
        .size:           1
        .value_kind:     by_value
      - .offset:         48
        .size:           4
        .value_kind:     hidden_block_count_x
      - .offset:         52
        .size:           4
        .value_kind:     hidden_block_count_y
      - .offset:         56
        .size:           4
        .value_kind:     hidden_block_count_z
      - .offset:         60
        .size:           2
        .value_kind:     hidden_group_size_x
      - .offset:         62
        .size:           2
        .value_kind:     hidden_group_size_y
      - .offset:         64
        .size:           2
        .value_kind:     hidden_group_size_z
      - .offset:         66
        .size:           2
        .value_kind:     hidden_remainder_x
      - .offset:         68
        .size:           2
        .value_kind:     hidden_remainder_y
      - .offset:         70
        .size:           2
        .value_kind:     hidden_remainder_z
      - .offset:         88
        .size:           8
        .value_kind:     hidden_global_offset_x
      - .offset:         96
        .size:           8
        .value_kind:     hidden_global_offset_y
      - .offset:         104
        .size:           8
        .value_kind:     hidden_global_offset_z
      - .offset:         112
        .size:           2
        .value_kind:     hidden_grid_dims
    .group_segment_fixed_size: 0
    .kernarg_segment_align: 8
    .kernarg_segment_size: 304
    .language:       OpenCL C
    .language_version:
      - 2
      - 0
    .max_flat_workgroup_size: 1024
    .name:           _ZN12_GLOBAL__N_120softmax_warp_forwardIN3c104HalfES2_fLi2ELb0ELb1ELi32EEEvPT0_PKT_iiiPKbib
    .private_segment_fixed_size: 0
    .sgpr_count:     18
    .sgpr_spill_count: 0
    .symbol:         _ZN12_GLOBAL__N_120softmax_warp_forwardIN3c104HalfES2_fLi2ELb0ELb1ELi32EEEvPT0_PKT_iiiPKbib.kd
    .uniform_work_group_size: 1
    .uses_dynamic_stack: false
    .vgpr_count:     17
    .vgpr_spill_count: 0
    .wavefront_size: 32
    .workgroup_processor_mode: 1
  - .args:
      - .address_space:  global
        .offset:         0
        .size:           8
        .value_kind:     global_buffer
      - .address_space:  global
        .offset:         8
        .size:           8
        .value_kind:     global_buffer
      - .offset:         16
        .size:           4
        .value_kind:     by_value
      - .offset:         20
        .size:           4
        .value_kind:     by_value
      - .offset:         24
        .size:           4
        .value_kind:     by_value
      - .address_space:  global
        .offset:         32
        .size:           8
        .value_kind:     global_buffer
      - .offset:         40
        .size:           4
        .value_kind:     by_value
      - .offset:         44
        .size:           1
        .value_kind:     by_value
      - .offset:         48
        .size:           4
        .value_kind:     hidden_block_count_x
      - .offset:         52
        .size:           4
        .value_kind:     hidden_block_count_y
      - .offset:         56
        .size:           4
        .value_kind:     hidden_block_count_z
      - .offset:         60
        .size:           2
        .value_kind:     hidden_group_size_x
      - .offset:         62
        .size:           2
        .value_kind:     hidden_group_size_y
      - .offset:         64
        .size:           2
        .value_kind:     hidden_group_size_z
      - .offset:         66
        .size:           2
        .value_kind:     hidden_remainder_x
      - .offset:         68
        .size:           2
        .value_kind:     hidden_remainder_y
      - .offset:         70
        .size:           2
        .value_kind:     hidden_remainder_z
      - .offset:         88
        .size:           8
        .value_kind:     hidden_global_offset_x
      - .offset:         96
        .size:           8
        .value_kind:     hidden_global_offset_y
      - .offset:         104
        .size:           8
        .value_kind:     hidden_global_offset_z
      - .offset:         112
        .size:           2
        .value_kind:     hidden_grid_dims
    .group_segment_fixed_size: 0
    .kernarg_segment_align: 8
    .kernarg_segment_size: 304
    .language:       OpenCL C
    .language_version:
      - 2
      - 0
    .max_flat_workgroup_size: 1024
    .name:           _ZN12_GLOBAL__N_120softmax_warp_forwardIN3c104HalfES2_fLi3ELb0ELb1ELi64EEEvPT0_PKT_iiiPKbib
    .private_segment_fixed_size: 0
    .sgpr_count:     18
    .sgpr_spill_count: 0
    .symbol:         _ZN12_GLOBAL__N_120softmax_warp_forwardIN3c104HalfES2_fLi3ELb0ELb1ELi64EEEvPT0_PKT_iiiPKbib.kd
    .uniform_work_group_size: 1
    .uses_dynamic_stack: false
    .vgpr_count:     18
    .vgpr_spill_count: 0
    .wavefront_size: 32
    .workgroup_processor_mode: 1
  - .args:
      - .address_space:  global
        .offset:         0
        .size:           8
        .value_kind:     global_buffer
      - .address_space:  global
        .offset:         8
        .size:           8
        .value_kind:     global_buffer
      - .offset:         16
        .size:           4
        .value_kind:     by_value
      - .offset:         20
        .size:           4
        .value_kind:     by_value
      - .offset:         24
        .size:           4
        .value_kind:     by_value
      - .address_space:  global
        .offset:         32
        .size:           8
        .value_kind:     global_buffer
      - .offset:         40
        .size:           4
        .value_kind:     by_value
      - .offset:         44
        .size:           1
        .value_kind:     by_value
      - .offset:         48
        .size:           4
        .value_kind:     hidden_block_count_x
      - .offset:         52
        .size:           4
        .value_kind:     hidden_block_count_y
      - .offset:         56
        .size:           4
        .value_kind:     hidden_block_count_z
      - .offset:         60
        .size:           2
        .value_kind:     hidden_group_size_x
      - .offset:         62
        .size:           2
        .value_kind:     hidden_group_size_y
      - .offset:         64
        .size:           2
        .value_kind:     hidden_group_size_z
      - .offset:         66
        .size:           2
        .value_kind:     hidden_remainder_x
      - .offset:         68
        .size:           2
        .value_kind:     hidden_remainder_y
      - .offset:         70
        .size:           2
        .value_kind:     hidden_remainder_z
      - .offset:         88
        .size:           8
        .value_kind:     hidden_global_offset_x
      - .offset:         96
        .size:           8
        .value_kind:     hidden_global_offset_y
      - .offset:         104
        .size:           8
        .value_kind:     hidden_global_offset_z
      - .offset:         112
        .size:           2
        .value_kind:     hidden_grid_dims
    .group_segment_fixed_size: 0
    .kernarg_segment_align: 8
    .kernarg_segment_size: 304
    .language:       OpenCL C
    .language_version:
      - 2
      - 0
    .max_flat_workgroup_size: 1024
    .name:           _ZN12_GLOBAL__N_120softmax_warp_forwardIN3c104HalfES2_fLi3ELb0ELb1ELi32EEEvPT0_PKT_iiiPKbib
    .private_segment_fixed_size: 0
    .sgpr_count:     18
    .sgpr_spill_count: 0
    .symbol:         _ZN12_GLOBAL__N_120softmax_warp_forwardIN3c104HalfES2_fLi3ELb0ELb1ELi32EEEvPT0_PKT_iiiPKbib.kd
    .uniform_work_group_size: 1
    .uses_dynamic_stack: false
    .vgpr_count:     18
    .vgpr_spill_count: 0
    .wavefront_size: 32
    .workgroup_processor_mode: 1
  - .args:
      - .address_space:  global
        .offset:         0
        .size:           8
        .value_kind:     global_buffer
      - .address_space:  global
        .offset:         8
        .size:           8
        .value_kind:     global_buffer
      - .offset:         16
        .size:           4
        .value_kind:     by_value
      - .offset:         20
        .size:           4
        .value_kind:     by_value
      - .offset:         24
        .size:           4
        .value_kind:     by_value
      - .address_space:  global
        .offset:         32
        .size:           8
        .value_kind:     global_buffer
      - .offset:         40
        .size:           4
        .value_kind:     by_value
      - .offset:         44
        .size:           1
        .value_kind:     by_value
      - .offset:         48
        .size:           4
        .value_kind:     hidden_block_count_x
      - .offset:         52
        .size:           4
        .value_kind:     hidden_block_count_y
      - .offset:         56
        .size:           4
        .value_kind:     hidden_block_count_z
      - .offset:         60
        .size:           2
        .value_kind:     hidden_group_size_x
      - .offset:         62
        .size:           2
        .value_kind:     hidden_group_size_y
      - .offset:         64
        .size:           2
        .value_kind:     hidden_group_size_z
      - .offset:         66
        .size:           2
        .value_kind:     hidden_remainder_x
      - .offset:         68
        .size:           2
        .value_kind:     hidden_remainder_y
      - .offset:         70
        .size:           2
        .value_kind:     hidden_remainder_z
      - .offset:         88
        .size:           8
        .value_kind:     hidden_global_offset_x
      - .offset:         96
        .size:           8
        .value_kind:     hidden_global_offset_y
      - .offset:         104
        .size:           8
        .value_kind:     hidden_global_offset_z
      - .offset:         112
        .size:           2
        .value_kind:     hidden_grid_dims
    .group_segment_fixed_size: 0
    .kernarg_segment_align: 8
    .kernarg_segment_size: 304
    .language:       OpenCL C
    .language_version:
      - 2
      - 0
    .max_flat_workgroup_size: 1024
    .name:           _ZN12_GLOBAL__N_120softmax_warp_forwardIN3c104HalfES2_fLi4ELb0ELb1ELi64EEEvPT0_PKT_iiiPKbib
    .private_segment_fixed_size: 0
    .sgpr_count:     18
    .sgpr_spill_count: 0
    .symbol:         _ZN12_GLOBAL__N_120softmax_warp_forwardIN3c104HalfES2_fLi4ELb0ELb1ELi64EEEvPT0_PKT_iiiPKbib.kd
    .uniform_work_group_size: 1
    .uses_dynamic_stack: false
    .vgpr_count:     19
    .vgpr_spill_count: 0
    .wavefront_size: 32
    .workgroup_processor_mode: 1
  - .args:
      - .address_space:  global
        .offset:         0
        .size:           8
        .value_kind:     global_buffer
      - .address_space:  global
        .offset:         8
        .size:           8
        .value_kind:     global_buffer
      - .offset:         16
        .size:           4
        .value_kind:     by_value
      - .offset:         20
        .size:           4
        .value_kind:     by_value
      - .offset:         24
        .size:           4
        .value_kind:     by_value
      - .address_space:  global
        .offset:         32
        .size:           8
        .value_kind:     global_buffer
      - .offset:         40
        .size:           4
        .value_kind:     by_value
      - .offset:         44
        .size:           1
        .value_kind:     by_value
      - .offset:         48
        .size:           4
        .value_kind:     hidden_block_count_x
      - .offset:         52
        .size:           4
        .value_kind:     hidden_block_count_y
      - .offset:         56
        .size:           4
        .value_kind:     hidden_block_count_z
      - .offset:         60
        .size:           2
        .value_kind:     hidden_group_size_x
      - .offset:         62
        .size:           2
        .value_kind:     hidden_group_size_y
      - .offset:         64
        .size:           2
        .value_kind:     hidden_group_size_z
      - .offset:         66
        .size:           2
        .value_kind:     hidden_remainder_x
      - .offset:         68
        .size:           2
        .value_kind:     hidden_remainder_y
      - .offset:         70
        .size:           2
        .value_kind:     hidden_remainder_z
      - .offset:         88
        .size:           8
        .value_kind:     hidden_global_offset_x
      - .offset:         96
        .size:           8
        .value_kind:     hidden_global_offset_y
      - .offset:         104
        .size:           8
        .value_kind:     hidden_global_offset_z
      - .offset:         112
        .size:           2
        .value_kind:     hidden_grid_dims
    .group_segment_fixed_size: 0
    .kernarg_segment_align: 8
    .kernarg_segment_size: 304
    .language:       OpenCL C
    .language_version:
      - 2
      - 0
    .max_flat_workgroup_size: 1024
    .name:           _ZN12_GLOBAL__N_120softmax_warp_forwardIN3c104HalfES2_fLi4ELb0ELb1ELi32EEEvPT0_PKT_iiiPKbib
    .private_segment_fixed_size: 0
    .sgpr_count:     18
    .sgpr_spill_count: 0
    .symbol:         _ZN12_GLOBAL__N_120softmax_warp_forwardIN3c104HalfES2_fLi4ELb0ELb1ELi32EEEvPT0_PKT_iiiPKbib.kd
    .uniform_work_group_size: 1
    .uses_dynamic_stack: false
    .vgpr_count:     19
    .vgpr_spill_count: 0
    .wavefront_size: 32
    .workgroup_processor_mode: 1
  - .args:
      - .address_space:  global
        .offset:         0
        .size:           8
        .value_kind:     global_buffer
      - .address_space:  global
        .offset:         8
        .size:           8
        .value_kind:     global_buffer
      - .offset:         16
        .size:           4
        .value_kind:     by_value
      - .offset:         20
        .size:           4
        .value_kind:     by_value
      - .offset:         24
        .size:           4
        .value_kind:     by_value
      - .address_space:  global
        .offset:         32
        .size:           8
        .value_kind:     global_buffer
      - .offset:         40
        .size:           4
        .value_kind:     by_value
      - .offset:         44
        .size:           1
        .value_kind:     by_value
      - .offset:         48
        .size:           4
        .value_kind:     hidden_block_count_x
      - .offset:         52
        .size:           4
        .value_kind:     hidden_block_count_y
      - .offset:         56
        .size:           4
        .value_kind:     hidden_block_count_z
      - .offset:         60
        .size:           2
        .value_kind:     hidden_group_size_x
      - .offset:         62
        .size:           2
        .value_kind:     hidden_group_size_y
      - .offset:         64
        .size:           2
        .value_kind:     hidden_group_size_z
      - .offset:         66
        .size:           2
        .value_kind:     hidden_remainder_x
      - .offset:         68
        .size:           2
        .value_kind:     hidden_remainder_y
      - .offset:         70
        .size:           2
        .value_kind:     hidden_remainder_z
      - .offset:         88
        .size:           8
        .value_kind:     hidden_global_offset_x
      - .offset:         96
        .size:           8
        .value_kind:     hidden_global_offset_y
      - .offset:         104
        .size:           8
        .value_kind:     hidden_global_offset_z
      - .offset:         112
        .size:           2
        .value_kind:     hidden_grid_dims
    .group_segment_fixed_size: 0
    .kernarg_segment_align: 8
    .kernarg_segment_size: 304
    .language:       OpenCL C
    .language_version:
      - 2
      - 0
    .max_flat_workgroup_size: 1024
    .name:           _ZN12_GLOBAL__N_120softmax_warp_forwardIN3c104HalfES2_fLi5ELb0ELb1ELi64EEEvPT0_PKT_iiiPKbib
    .private_segment_fixed_size: 0
    .sgpr_count:     18
    .sgpr_spill_count: 0
    .symbol:         _ZN12_GLOBAL__N_120softmax_warp_forwardIN3c104HalfES2_fLi5ELb0ELb1ELi64EEEvPT0_PKT_iiiPKbib.kd
    .uniform_work_group_size: 1
    .uses_dynamic_stack: false
    .vgpr_count:     20
    .vgpr_spill_count: 0
    .wavefront_size: 32
    .workgroup_processor_mode: 1
  - .args:
      - .address_space:  global
        .offset:         0
        .size:           8
        .value_kind:     global_buffer
      - .address_space:  global
        .offset:         8
        .size:           8
        .value_kind:     global_buffer
      - .offset:         16
        .size:           4
        .value_kind:     by_value
      - .offset:         20
        .size:           4
        .value_kind:     by_value
      - .offset:         24
        .size:           4
        .value_kind:     by_value
      - .address_space:  global
        .offset:         32
        .size:           8
        .value_kind:     global_buffer
      - .offset:         40
        .size:           4
        .value_kind:     by_value
      - .offset:         44
        .size:           1
        .value_kind:     by_value
      - .offset:         48
        .size:           4
        .value_kind:     hidden_block_count_x
      - .offset:         52
        .size:           4
        .value_kind:     hidden_block_count_y
      - .offset:         56
        .size:           4
        .value_kind:     hidden_block_count_z
      - .offset:         60
        .size:           2
        .value_kind:     hidden_group_size_x
      - .offset:         62
        .size:           2
        .value_kind:     hidden_group_size_y
      - .offset:         64
        .size:           2
        .value_kind:     hidden_group_size_z
      - .offset:         66
        .size:           2
        .value_kind:     hidden_remainder_x
      - .offset:         68
        .size:           2
        .value_kind:     hidden_remainder_y
      - .offset:         70
        .size:           2
        .value_kind:     hidden_remainder_z
      - .offset:         88
        .size:           8
        .value_kind:     hidden_global_offset_x
      - .offset:         96
        .size:           8
        .value_kind:     hidden_global_offset_y
      - .offset:         104
        .size:           8
        .value_kind:     hidden_global_offset_z
      - .offset:         112
        .size:           2
        .value_kind:     hidden_grid_dims
    .group_segment_fixed_size: 0
    .kernarg_segment_align: 8
    .kernarg_segment_size: 304
    .language:       OpenCL C
    .language_version:
      - 2
      - 0
    .max_flat_workgroup_size: 1024
    .name:           _ZN12_GLOBAL__N_120softmax_warp_forwardIN3c104HalfES2_fLi5ELb0ELb1ELi32EEEvPT0_PKT_iiiPKbib
    .private_segment_fixed_size: 0
    .sgpr_count:     18
    .sgpr_spill_count: 0
    .symbol:         _ZN12_GLOBAL__N_120softmax_warp_forwardIN3c104HalfES2_fLi5ELb0ELb1ELi32EEEvPT0_PKT_iiiPKbib.kd
    .uniform_work_group_size: 1
    .uses_dynamic_stack: false
    .vgpr_count:     20
    .vgpr_spill_count: 0
    .wavefront_size: 32
    .workgroup_processor_mode: 1
  - .args:
      - .address_space:  global
        .offset:         0
        .size:           8
        .value_kind:     global_buffer
      - .address_space:  global
        .offset:         8
        .size:           8
        .value_kind:     global_buffer
      - .offset:         16
        .size:           4
        .value_kind:     by_value
      - .offset:         20
        .size:           4
        .value_kind:     by_value
      - .offset:         24
        .size:           4
        .value_kind:     by_value
      - .address_space:  global
        .offset:         32
        .size:           8
        .value_kind:     global_buffer
      - .offset:         40
        .size:           4
        .value_kind:     by_value
      - .offset:         44
        .size:           1
        .value_kind:     by_value
      - .offset:         48
        .size:           4
        .value_kind:     hidden_block_count_x
      - .offset:         52
        .size:           4
        .value_kind:     hidden_block_count_y
      - .offset:         56
        .size:           4
        .value_kind:     hidden_block_count_z
      - .offset:         60
        .size:           2
        .value_kind:     hidden_group_size_x
      - .offset:         62
        .size:           2
        .value_kind:     hidden_group_size_y
      - .offset:         64
        .size:           2
        .value_kind:     hidden_group_size_z
      - .offset:         66
        .size:           2
        .value_kind:     hidden_remainder_x
      - .offset:         68
        .size:           2
        .value_kind:     hidden_remainder_y
      - .offset:         70
        .size:           2
        .value_kind:     hidden_remainder_z
      - .offset:         88
        .size:           8
        .value_kind:     hidden_global_offset_x
      - .offset:         96
        .size:           8
        .value_kind:     hidden_global_offset_y
      - .offset:         104
        .size:           8
        .value_kind:     hidden_global_offset_z
      - .offset:         112
        .size:           2
        .value_kind:     hidden_grid_dims
    .group_segment_fixed_size: 0
    .kernarg_segment_align: 8
    .kernarg_segment_size: 304
    .language:       OpenCL C
    .language_version:
      - 2
      - 0
    .max_flat_workgroup_size: 1024
    .name:           _ZN12_GLOBAL__N_120softmax_warp_forwardIN3c104HalfES2_fLi6ELb0ELb1ELi64EEEvPT0_PKT_iiiPKbib
    .private_segment_fixed_size: 0
    .sgpr_count:     18
    .sgpr_spill_count: 0
    .symbol:         _ZN12_GLOBAL__N_120softmax_warp_forwardIN3c104HalfES2_fLi6ELb0ELb1ELi64EEEvPT0_PKT_iiiPKbib.kd
    .uniform_work_group_size: 1
    .uses_dynamic_stack: false
    .vgpr_count:     21
    .vgpr_spill_count: 0
    .wavefront_size: 32
    .workgroup_processor_mode: 1
  - .args:
      - .address_space:  global
        .offset:         0
        .size:           8
        .value_kind:     global_buffer
      - .address_space:  global
        .offset:         8
        .size:           8
        .value_kind:     global_buffer
      - .offset:         16
        .size:           4
        .value_kind:     by_value
      - .offset:         20
        .size:           4
        .value_kind:     by_value
      - .offset:         24
        .size:           4
        .value_kind:     by_value
      - .address_space:  global
        .offset:         32
        .size:           8
        .value_kind:     global_buffer
      - .offset:         40
        .size:           4
        .value_kind:     by_value
      - .offset:         44
        .size:           1
        .value_kind:     by_value
      - .offset:         48
        .size:           4
        .value_kind:     hidden_block_count_x
      - .offset:         52
        .size:           4
        .value_kind:     hidden_block_count_y
      - .offset:         56
        .size:           4
        .value_kind:     hidden_block_count_z
      - .offset:         60
        .size:           2
        .value_kind:     hidden_group_size_x
      - .offset:         62
        .size:           2
        .value_kind:     hidden_group_size_y
      - .offset:         64
        .size:           2
        .value_kind:     hidden_group_size_z
      - .offset:         66
        .size:           2
        .value_kind:     hidden_remainder_x
      - .offset:         68
        .size:           2
        .value_kind:     hidden_remainder_y
      - .offset:         70
        .size:           2
        .value_kind:     hidden_remainder_z
      - .offset:         88
        .size:           8
        .value_kind:     hidden_global_offset_x
      - .offset:         96
        .size:           8
        .value_kind:     hidden_global_offset_y
      - .offset:         104
        .size:           8
        .value_kind:     hidden_global_offset_z
      - .offset:         112
        .size:           2
        .value_kind:     hidden_grid_dims
    .group_segment_fixed_size: 0
    .kernarg_segment_align: 8
    .kernarg_segment_size: 304
    .language:       OpenCL C
    .language_version:
      - 2
      - 0
    .max_flat_workgroup_size: 1024
    .name:           _ZN12_GLOBAL__N_120softmax_warp_forwardIN3c104HalfES2_fLi6ELb0ELb1ELi32EEEvPT0_PKT_iiiPKbib
    .private_segment_fixed_size: 0
    .sgpr_count:     20
    .sgpr_spill_count: 0
    .symbol:         _ZN12_GLOBAL__N_120softmax_warp_forwardIN3c104HalfES2_fLi6ELb0ELb1ELi32EEEvPT0_PKT_iiiPKbib.kd
    .uniform_work_group_size: 1
    .uses_dynamic_stack: false
    .vgpr_count:     22
    .vgpr_spill_count: 0
    .wavefront_size: 32
    .workgroup_processor_mode: 1
  - .args:
      - .address_space:  global
        .offset:         0
        .size:           8
        .value_kind:     global_buffer
      - .address_space:  global
        .offset:         8
        .size:           8
        .value_kind:     global_buffer
      - .offset:         16
        .size:           4
        .value_kind:     by_value
      - .offset:         20
        .size:           4
        .value_kind:     by_value
      - .offset:         24
        .size:           4
        .value_kind:     by_value
      - .address_space:  global
        .offset:         32
        .size:           8
        .value_kind:     global_buffer
      - .offset:         40
        .size:           4
        .value_kind:     by_value
      - .offset:         44
        .size:           1
        .value_kind:     by_value
      - .offset:         48
        .size:           4
        .value_kind:     hidden_block_count_x
      - .offset:         52
        .size:           4
        .value_kind:     hidden_block_count_y
      - .offset:         56
        .size:           4
        .value_kind:     hidden_block_count_z
      - .offset:         60
        .size:           2
        .value_kind:     hidden_group_size_x
      - .offset:         62
        .size:           2
        .value_kind:     hidden_group_size_y
      - .offset:         64
        .size:           2
        .value_kind:     hidden_group_size_z
      - .offset:         66
        .size:           2
        .value_kind:     hidden_remainder_x
      - .offset:         68
        .size:           2
        .value_kind:     hidden_remainder_y
      - .offset:         70
        .size:           2
        .value_kind:     hidden_remainder_z
      - .offset:         88
        .size:           8
        .value_kind:     hidden_global_offset_x
      - .offset:         96
        .size:           8
        .value_kind:     hidden_global_offset_y
      - .offset:         104
        .size:           8
        .value_kind:     hidden_global_offset_z
      - .offset:         112
        .size:           2
        .value_kind:     hidden_grid_dims
    .group_segment_fixed_size: 0
    .kernarg_segment_align: 8
    .kernarg_segment_size: 304
    .language:       OpenCL C
    .language_version:
      - 2
      - 0
    .max_flat_workgroup_size: 1024
    .name:           _ZN12_GLOBAL__N_120softmax_warp_forwardIN3c104HalfES2_fLi7ELb0ELb1ELi64EEEvPT0_PKT_iiiPKbib
    .private_segment_fixed_size: 0
    .sgpr_count:     20
    .sgpr_spill_count: 0
    .symbol:         _ZN12_GLOBAL__N_120softmax_warp_forwardIN3c104HalfES2_fLi7ELb0ELb1ELi64EEEvPT0_PKT_iiiPKbib.kd
    .uniform_work_group_size: 1
    .uses_dynamic_stack: false
    .vgpr_count:     23
    .vgpr_spill_count: 0
    .wavefront_size: 32
    .workgroup_processor_mode: 1
  - .args:
      - .address_space:  global
        .offset:         0
        .size:           8
        .value_kind:     global_buffer
      - .address_space:  global
        .offset:         8
        .size:           8
        .value_kind:     global_buffer
      - .offset:         16
        .size:           4
        .value_kind:     by_value
      - .offset:         20
        .size:           4
        .value_kind:     by_value
      - .offset:         24
        .size:           4
        .value_kind:     by_value
      - .address_space:  global
        .offset:         32
        .size:           8
        .value_kind:     global_buffer
      - .offset:         40
        .size:           4
        .value_kind:     by_value
      - .offset:         44
        .size:           1
        .value_kind:     by_value
      - .offset:         48
        .size:           4
        .value_kind:     hidden_block_count_x
      - .offset:         52
        .size:           4
        .value_kind:     hidden_block_count_y
      - .offset:         56
        .size:           4
        .value_kind:     hidden_block_count_z
      - .offset:         60
        .size:           2
        .value_kind:     hidden_group_size_x
      - .offset:         62
        .size:           2
        .value_kind:     hidden_group_size_y
      - .offset:         64
        .size:           2
        .value_kind:     hidden_group_size_z
      - .offset:         66
        .size:           2
        .value_kind:     hidden_remainder_x
      - .offset:         68
        .size:           2
        .value_kind:     hidden_remainder_y
      - .offset:         70
        .size:           2
        .value_kind:     hidden_remainder_z
      - .offset:         88
        .size:           8
        .value_kind:     hidden_global_offset_x
      - .offset:         96
        .size:           8
        .value_kind:     hidden_global_offset_y
      - .offset:         104
        .size:           8
        .value_kind:     hidden_global_offset_z
      - .offset:         112
        .size:           2
        .value_kind:     hidden_grid_dims
    .group_segment_fixed_size: 0
    .kernarg_segment_align: 8
    .kernarg_segment_size: 304
    .language:       OpenCL C
    .language_version:
      - 2
      - 0
    .max_flat_workgroup_size: 1024
    .name:           _ZN12_GLOBAL__N_120softmax_warp_forwardIN3c104HalfES2_fLi7ELb0ELb1ELi32EEEvPT0_PKT_iiiPKbib
    .private_segment_fixed_size: 0
    .sgpr_count:     26
    .sgpr_spill_count: 0
    .symbol:         _ZN12_GLOBAL__N_120softmax_warp_forwardIN3c104HalfES2_fLi7ELb0ELb1ELi32EEEvPT0_PKT_iiiPKbib.kd
    .uniform_work_group_size: 1
    .uses_dynamic_stack: false
    .vgpr_count:     27
    .vgpr_spill_count: 0
    .wavefront_size: 32
    .workgroup_processor_mode: 1
  - .args:
      - .address_space:  global
        .offset:         0
        .size:           8
        .value_kind:     global_buffer
      - .address_space:  global
        .offset:         8
        .size:           8
        .value_kind:     global_buffer
      - .offset:         16
        .size:           4
        .value_kind:     by_value
      - .offset:         20
        .size:           4
        .value_kind:     by_value
      - .offset:         24
        .size:           4
        .value_kind:     by_value
      - .address_space:  global
        .offset:         32
        .size:           8
        .value_kind:     global_buffer
      - .offset:         40
        .size:           4
        .value_kind:     by_value
      - .offset:         44
        .size:           1
        .value_kind:     by_value
      - .offset:         48
        .size:           4
        .value_kind:     hidden_block_count_x
      - .offset:         52
        .size:           4
        .value_kind:     hidden_block_count_y
      - .offset:         56
        .size:           4
        .value_kind:     hidden_block_count_z
      - .offset:         60
        .size:           2
        .value_kind:     hidden_group_size_x
      - .offset:         62
        .size:           2
        .value_kind:     hidden_group_size_y
      - .offset:         64
        .size:           2
        .value_kind:     hidden_group_size_z
      - .offset:         66
        .size:           2
        .value_kind:     hidden_remainder_x
      - .offset:         68
        .size:           2
        .value_kind:     hidden_remainder_y
      - .offset:         70
        .size:           2
        .value_kind:     hidden_remainder_z
      - .offset:         88
        .size:           8
        .value_kind:     hidden_global_offset_x
      - .offset:         96
        .size:           8
        .value_kind:     hidden_global_offset_y
      - .offset:         104
        .size:           8
        .value_kind:     hidden_global_offset_z
      - .offset:         112
        .size:           2
        .value_kind:     hidden_grid_dims
    .group_segment_fixed_size: 0
    .kernarg_segment_align: 8
    .kernarg_segment_size: 304
    .language:       OpenCL C
    .language_version:
      - 2
      - 0
    .max_flat_workgroup_size: 1024
    .name:           _ZN12_GLOBAL__N_120softmax_warp_forwardIN3c104HalfES2_fLi8ELb0ELb1ELi64EEEvPT0_PKT_iiiPKbib
    .private_segment_fixed_size: 0
    .sgpr_count:     18
    .sgpr_spill_count: 0
    .symbol:         _ZN12_GLOBAL__N_120softmax_warp_forwardIN3c104HalfES2_fLi8ELb0ELb1ELi64EEEvPT0_PKT_iiiPKbib.kd
    .uniform_work_group_size: 1
    .uses_dynamic_stack: false
    .vgpr_count:     21
    .vgpr_spill_count: 0
    .wavefront_size: 32
    .workgroup_processor_mode: 1
  - .args:
      - .address_space:  global
        .offset:         0
        .size:           8
        .value_kind:     global_buffer
      - .address_space:  global
        .offset:         8
        .size:           8
        .value_kind:     global_buffer
      - .offset:         16
        .size:           4
        .value_kind:     by_value
      - .offset:         20
        .size:           4
        .value_kind:     by_value
      - .offset:         24
        .size:           4
        .value_kind:     by_value
      - .address_space:  global
        .offset:         32
        .size:           8
        .value_kind:     global_buffer
      - .offset:         40
        .size:           4
        .value_kind:     by_value
      - .offset:         44
        .size:           1
        .value_kind:     by_value
      - .offset:         48
        .size:           4
        .value_kind:     hidden_block_count_x
      - .offset:         52
        .size:           4
        .value_kind:     hidden_block_count_y
      - .offset:         56
        .size:           4
        .value_kind:     hidden_block_count_z
      - .offset:         60
        .size:           2
        .value_kind:     hidden_group_size_x
      - .offset:         62
        .size:           2
        .value_kind:     hidden_group_size_y
      - .offset:         64
        .size:           2
        .value_kind:     hidden_group_size_z
      - .offset:         66
        .size:           2
        .value_kind:     hidden_remainder_x
      - .offset:         68
        .size:           2
        .value_kind:     hidden_remainder_y
      - .offset:         70
        .size:           2
        .value_kind:     hidden_remainder_z
      - .offset:         88
        .size:           8
        .value_kind:     hidden_global_offset_x
      - .offset:         96
        .size:           8
        .value_kind:     hidden_global_offset_y
      - .offset:         104
        .size:           8
        .value_kind:     hidden_global_offset_z
      - .offset:         112
        .size:           2
        .value_kind:     hidden_grid_dims
    .group_segment_fixed_size: 0
    .kernarg_segment_align: 8
    .kernarg_segment_size: 304
    .language:       OpenCL C
    .language_version:
      - 2
      - 0
    .max_flat_workgroup_size: 1024
    .name:           _ZN12_GLOBAL__N_120softmax_warp_forwardIN3c104HalfES2_fLi8ELb0ELb1ELi32EEEvPT0_PKT_iiiPKbib
    .private_segment_fixed_size: 0
    .sgpr_count:     24
    .sgpr_spill_count: 0
    .symbol:         _ZN12_GLOBAL__N_120softmax_warp_forwardIN3c104HalfES2_fLi8ELb0ELb1ELi32EEEvPT0_PKT_iiiPKbib.kd
    .uniform_work_group_size: 1
    .uses_dynamic_stack: false
    .vgpr_count:     24
    .vgpr_spill_count: 0
    .wavefront_size: 32
    .workgroup_processor_mode: 1
  - .args:
      - .address_space:  global
        .offset:         0
        .size:           8
        .value_kind:     global_buffer
      - .address_space:  global
        .offset:         8
        .size:           8
        .value_kind:     global_buffer
      - .offset:         16
        .size:           4
        .value_kind:     by_value
      - .offset:         20
        .size:           4
        .value_kind:     by_value
      - .offset:         24
        .size:           4
        .value_kind:     by_value
      - .address_space:  global
        .offset:         32
        .size:           8
        .value_kind:     global_buffer
      - .offset:         40
        .size:           4
        .value_kind:     by_value
      - .offset:         44
        .size:           1
        .value_kind:     by_value
      - .offset:         48
        .size:           4
        .value_kind:     hidden_block_count_x
      - .offset:         52
        .size:           4
        .value_kind:     hidden_block_count_y
      - .offset:         56
        .size:           4
        .value_kind:     hidden_block_count_z
      - .offset:         60
        .size:           2
        .value_kind:     hidden_group_size_x
      - .offset:         62
        .size:           2
        .value_kind:     hidden_group_size_y
      - .offset:         64
        .size:           2
        .value_kind:     hidden_group_size_z
      - .offset:         66
        .size:           2
        .value_kind:     hidden_remainder_x
      - .offset:         68
        .size:           2
        .value_kind:     hidden_remainder_y
      - .offset:         70
        .size:           2
        .value_kind:     hidden_remainder_z
      - .offset:         88
        .size:           8
        .value_kind:     hidden_global_offset_x
      - .offset:         96
        .size:           8
        .value_kind:     hidden_global_offset_y
      - .offset:         104
        .size:           8
        .value_kind:     hidden_global_offset_z
      - .offset:         112
        .size:           2
        .value_kind:     hidden_grid_dims
    .group_segment_fixed_size: 0
    .kernarg_segment_align: 8
    .kernarg_segment_size: 304
    .language:       OpenCL C
    .language_version:
      - 2
      - 0
    .max_flat_workgroup_size: 1024
    .name:           _ZN12_GLOBAL__N_120softmax_warp_forwardIN3c104HalfES2_fLi9ELb0ELb1ELi64EEEvPT0_PKT_iiiPKbib
    .private_segment_fixed_size: 0
    .sgpr_count:     24
    .sgpr_spill_count: 0
    .symbol:         _ZN12_GLOBAL__N_120softmax_warp_forwardIN3c104HalfES2_fLi9ELb0ELb1ELi64EEEvPT0_PKT_iiiPKbib.kd
    .uniform_work_group_size: 1
    .uses_dynamic_stack: false
    .vgpr_count:     25
    .vgpr_spill_count: 0
    .wavefront_size: 32
    .workgroup_processor_mode: 1
  - .args:
      - .address_space:  global
        .offset:         0
        .size:           8
        .value_kind:     global_buffer
      - .address_space:  global
        .offset:         8
        .size:           8
        .value_kind:     global_buffer
      - .offset:         16
        .size:           4
        .value_kind:     by_value
      - .offset:         20
        .size:           4
        .value_kind:     by_value
      - .offset:         24
        .size:           4
        .value_kind:     by_value
      - .address_space:  global
        .offset:         32
        .size:           8
        .value_kind:     global_buffer
      - .offset:         40
        .size:           4
        .value_kind:     by_value
      - .offset:         44
        .size:           1
        .value_kind:     by_value
      - .offset:         48
        .size:           4
        .value_kind:     hidden_block_count_x
      - .offset:         52
        .size:           4
        .value_kind:     hidden_block_count_y
      - .offset:         56
        .size:           4
        .value_kind:     hidden_block_count_z
      - .offset:         60
        .size:           2
        .value_kind:     hidden_group_size_x
      - .offset:         62
        .size:           2
        .value_kind:     hidden_group_size_y
      - .offset:         64
        .size:           2
        .value_kind:     hidden_group_size_z
      - .offset:         66
        .size:           2
        .value_kind:     hidden_remainder_x
      - .offset:         68
        .size:           2
        .value_kind:     hidden_remainder_y
      - .offset:         70
        .size:           2
        .value_kind:     hidden_remainder_z
      - .offset:         88
        .size:           8
        .value_kind:     hidden_global_offset_x
      - .offset:         96
        .size:           8
        .value_kind:     hidden_global_offset_y
      - .offset:         104
        .size:           8
        .value_kind:     hidden_global_offset_z
      - .offset:         112
        .size:           2
        .value_kind:     hidden_grid_dims
    .group_segment_fixed_size: 0
    .kernarg_segment_align: 8
    .kernarg_segment_size: 304
    .language:       OpenCL C
    .language_version:
      - 2
      - 0
    .max_flat_workgroup_size: 1024
    .name:           _ZN12_GLOBAL__N_120softmax_warp_forwardIN3c104HalfES2_fLi9ELb0ELb1ELi32EEEvPT0_PKT_iiiPKbib
    .private_segment_fixed_size: 0
    .sgpr_count:     41
    .sgpr_spill_count: 0
    .symbol:         _ZN12_GLOBAL__N_120softmax_warp_forwardIN3c104HalfES2_fLi9ELb0ELb1ELi32EEEvPT0_PKT_iiiPKbib.kd
    .uniform_work_group_size: 1
    .uses_dynamic_stack: false
    .vgpr_count:     32
    .vgpr_spill_count: 0
    .wavefront_size: 32
    .workgroup_processor_mode: 1
  - .args:
      - .address_space:  global
        .offset:         0
        .size:           8
        .value_kind:     global_buffer
      - .address_space:  global
        .offset:         8
        .size:           8
        .value_kind:     global_buffer
      - .offset:         16
        .size:           4
        .value_kind:     by_value
      - .offset:         20
        .size:           4
        .value_kind:     by_value
      - .offset:         24
        .size:           4
        .value_kind:     by_value
      - .address_space:  global
        .offset:         32
        .size:           8
        .value_kind:     global_buffer
      - .offset:         40
        .size:           4
        .value_kind:     by_value
      - .offset:         44
        .size:           1
        .value_kind:     by_value
      - .offset:         48
        .size:           4
        .value_kind:     hidden_block_count_x
      - .offset:         52
        .size:           4
        .value_kind:     hidden_block_count_y
      - .offset:         56
        .size:           4
        .value_kind:     hidden_block_count_z
      - .offset:         60
        .size:           2
        .value_kind:     hidden_group_size_x
      - .offset:         62
        .size:           2
        .value_kind:     hidden_group_size_y
      - .offset:         64
        .size:           2
        .value_kind:     hidden_group_size_z
      - .offset:         66
        .size:           2
        .value_kind:     hidden_remainder_x
      - .offset:         68
        .size:           2
        .value_kind:     hidden_remainder_y
      - .offset:         70
        .size:           2
        .value_kind:     hidden_remainder_z
      - .offset:         88
        .size:           8
        .value_kind:     hidden_global_offset_x
      - .offset:         96
        .size:           8
        .value_kind:     hidden_global_offset_y
      - .offset:         104
        .size:           8
        .value_kind:     hidden_global_offset_z
      - .offset:         112
        .size:           2
        .value_kind:     hidden_grid_dims
    .group_segment_fixed_size: 0
    .kernarg_segment_align: 8
    .kernarg_segment_size: 304
    .language:       OpenCL C
    .language_version:
      - 2
      - 0
    .max_flat_workgroup_size: 1024
    .name:           _ZN12_GLOBAL__N_120softmax_warp_forwardIN3c104HalfES2_fLi10ELb0ELb1ELi64EEEvPT0_PKT_iiiPKbib
    .private_segment_fixed_size: 0
    .sgpr_count:     41
    .sgpr_spill_count: 0
    .symbol:         _ZN12_GLOBAL__N_120softmax_warp_forwardIN3c104HalfES2_fLi10ELb0ELb1ELi64EEEvPT0_PKT_iiiPKbib.kd
    .uniform_work_group_size: 1
    .uses_dynamic_stack: false
    .vgpr_count:     33
    .vgpr_spill_count: 0
    .wavefront_size: 32
    .workgroup_processor_mode: 1
  - .args:
      - .address_space:  global
        .offset:         0
        .size:           8
        .value_kind:     global_buffer
      - .address_space:  global
        .offset:         8
        .size:           8
        .value_kind:     global_buffer
      - .offset:         16
        .size:           4
        .value_kind:     by_value
      - .offset:         20
        .size:           4
        .value_kind:     by_value
      - .offset:         24
        .size:           4
        .value_kind:     by_value
      - .address_space:  global
        .offset:         32
        .size:           8
        .value_kind:     global_buffer
      - .offset:         40
        .size:           4
        .value_kind:     by_value
      - .offset:         44
        .size:           1
        .value_kind:     by_value
      - .offset:         48
        .size:           4
        .value_kind:     hidden_block_count_x
      - .offset:         52
        .size:           4
        .value_kind:     hidden_block_count_y
      - .offset:         56
        .size:           4
        .value_kind:     hidden_block_count_z
      - .offset:         60
        .size:           2
        .value_kind:     hidden_group_size_x
      - .offset:         62
        .size:           2
        .value_kind:     hidden_group_size_y
      - .offset:         64
        .size:           2
        .value_kind:     hidden_group_size_z
      - .offset:         66
        .size:           2
        .value_kind:     hidden_remainder_x
      - .offset:         68
        .size:           2
        .value_kind:     hidden_remainder_y
      - .offset:         70
        .size:           2
        .value_kind:     hidden_remainder_z
      - .offset:         88
        .size:           8
        .value_kind:     hidden_global_offset_x
      - .offset:         96
        .size:           8
        .value_kind:     hidden_global_offset_y
      - .offset:         104
        .size:           8
        .value_kind:     hidden_global_offset_z
      - .offset:         112
        .size:           2
        .value_kind:     hidden_grid_dims
    .group_segment_fixed_size: 0
    .kernarg_segment_align: 8
    .kernarg_segment_size: 304
    .language:       OpenCL C
    .language_version:
      - 2
      - 0
    .max_flat_workgroup_size: 1024
    .name:           _ZN12_GLOBAL__N_120softmax_warp_forwardIN3c104HalfES2_fLi10ELb0ELb1ELi32EEEvPT0_PKT_iiiPKbib
    .private_segment_fixed_size: 0
    .sgpr_count:     73
    .sgpr_spill_count: 0
    .symbol:         _ZN12_GLOBAL__N_120softmax_warp_forwardIN3c104HalfES2_fLi10ELb0ELb1ELi32EEEvPT0_PKT_iiiPKbib.kd
    .uniform_work_group_size: 1
    .uses_dynamic_stack: false
    .vgpr_count:     48
    .vgpr_spill_count: 0
    .wavefront_size: 32
    .workgroup_processor_mode: 1
  - .args:
      - .address_space:  global
        .offset:         0
        .size:           8
        .value_kind:     global_buffer
      - .address_space:  global
        .offset:         8
        .size:           8
        .value_kind:     global_buffer
      - .offset:         16
        .size:           4
        .value_kind:     by_value
      - .offset:         20
        .size:           4
        .value_kind:     by_value
      - .offset:         24
        .size:           4
        .value_kind:     by_value
      - .address_space:  global
        .offset:         32
        .size:           8
        .value_kind:     global_buffer
      - .offset:         40
        .size:           4
        .value_kind:     by_value
      - .offset:         44
        .size:           1
        .value_kind:     by_value
      - .offset:         48
        .size:           4
        .value_kind:     hidden_block_count_x
      - .offset:         52
        .size:           4
        .value_kind:     hidden_block_count_y
      - .offset:         56
        .size:           4
        .value_kind:     hidden_block_count_z
      - .offset:         60
        .size:           2
        .value_kind:     hidden_group_size_x
      - .offset:         62
        .size:           2
        .value_kind:     hidden_group_size_y
      - .offset:         64
        .size:           2
        .value_kind:     hidden_group_size_z
      - .offset:         66
        .size:           2
        .value_kind:     hidden_remainder_x
      - .offset:         68
        .size:           2
        .value_kind:     hidden_remainder_y
      - .offset:         70
        .size:           2
        .value_kind:     hidden_remainder_z
      - .offset:         88
        .size:           8
        .value_kind:     hidden_global_offset_x
      - .offset:         96
        .size:           8
        .value_kind:     hidden_global_offset_y
      - .offset:         104
        .size:           8
        .value_kind:     hidden_global_offset_z
      - .offset:         112
        .size:           2
        .value_kind:     hidden_grid_dims
    .group_segment_fixed_size: 0
    .kernarg_segment_align: 8
    .kernarg_segment_size: 304
    .language:       OpenCL C
    .language_version:
      - 2
      - 0
    .max_flat_workgroup_size: 1024
    .name:           _ZN12_GLOBAL__N_120softmax_warp_forwardIN3c104HalfES2_fLi11ELb0ELb1ELi64EEEvPT0_PKT_iiiPKbib
    .private_segment_fixed_size: 0
    .sgpr_count:     73
    .sgpr_spill_count: 0
    .symbol:         _ZN12_GLOBAL__N_120softmax_warp_forwardIN3c104HalfES2_fLi11ELb0ELb1ELi64EEEvPT0_PKT_iiiPKbib.kd
    .uniform_work_group_size: 1
    .uses_dynamic_stack: false
    .vgpr_count:     49
    .vgpr_spill_count: 0
    .wavefront_size: 32
    .workgroup_processor_mode: 1
  - .args:
      - .address_space:  global
        .offset:         0
        .size:           8
        .value_kind:     global_buffer
      - .address_space:  global
        .offset:         8
        .size:           8
        .value_kind:     global_buffer
      - .offset:         16
        .size:           4
        .value_kind:     by_value
      - .offset:         20
        .size:           4
        .value_kind:     by_value
      - .offset:         24
        .size:           4
        .value_kind:     by_value
      - .address_space:  global
        .offset:         32
        .size:           8
        .value_kind:     global_buffer
      - .offset:         40
        .size:           4
        .value_kind:     by_value
      - .offset:         44
        .size:           1
        .value_kind:     by_value
      - .offset:         48
        .size:           4
        .value_kind:     hidden_block_count_x
      - .offset:         52
        .size:           4
        .value_kind:     hidden_block_count_y
      - .offset:         56
        .size:           4
        .value_kind:     hidden_block_count_z
      - .offset:         60
        .size:           2
        .value_kind:     hidden_group_size_x
      - .offset:         62
        .size:           2
        .value_kind:     hidden_group_size_y
      - .offset:         64
        .size:           2
        .value_kind:     hidden_group_size_z
      - .offset:         66
        .size:           2
        .value_kind:     hidden_remainder_x
      - .offset:         68
        .size:           2
        .value_kind:     hidden_remainder_y
      - .offset:         70
        .size:           2
        .value_kind:     hidden_remainder_z
      - .offset:         88
        .size:           8
        .value_kind:     hidden_global_offset_x
      - .offset:         96
        .size:           8
        .value_kind:     hidden_global_offset_y
      - .offset:         104
        .size:           8
        .value_kind:     hidden_global_offset_z
      - .offset:         112
        .size:           2
        .value_kind:     hidden_grid_dims
    .group_segment_fixed_size: 0
    .kernarg_segment_align: 8
    .kernarg_segment_size: 304
    .language:       OpenCL C
    .language_version:
      - 2
      - 0
    .max_flat_workgroup_size: 1024
    .name:           _ZN12_GLOBAL__N_120softmax_warp_forwardIN3c104HalfES2_fLi11ELb0ELb1ELi32EEEvPT0_PKT_iiiPKbib
    .private_segment_fixed_size: 0
    .sgpr_count:     107
    .sgpr_spill_count: 31
    .symbol:         _ZN12_GLOBAL__N_120softmax_warp_forwardIN3c104HalfES2_fLi11ELb0ELb1ELi32EEEvPT0_PKT_iiiPKbib.kd
    .uniform_work_group_size: 1
    .uses_dynamic_stack: false
    .vgpr_count:     81
    .vgpr_spill_count: 0
    .wavefront_size: 32
    .workgroup_processor_mode: 1
  - .args:
      - .address_space:  global
        .offset:         0
        .size:           8
        .value_kind:     global_buffer
      - .address_space:  global
        .offset:         8
        .size:           8
        .value_kind:     global_buffer
      - .offset:         16
        .size:           4
        .value_kind:     by_value
      - .offset:         20
        .size:           4
        .value_kind:     by_value
      - .offset:         24
        .size:           4
        .value_kind:     by_value
      - .address_space:  global
        .offset:         32
        .size:           8
        .value_kind:     global_buffer
      - .offset:         40
        .size:           4
        .value_kind:     by_value
      - .offset:         44
        .size:           1
        .value_kind:     by_value
      - .offset:         48
        .size:           4
        .value_kind:     hidden_block_count_x
      - .offset:         52
        .size:           4
        .value_kind:     hidden_block_count_y
      - .offset:         56
        .size:           4
        .value_kind:     hidden_block_count_z
      - .offset:         60
        .size:           2
        .value_kind:     hidden_group_size_x
      - .offset:         62
        .size:           2
        .value_kind:     hidden_group_size_y
      - .offset:         64
        .size:           2
        .value_kind:     hidden_group_size_z
      - .offset:         66
        .size:           2
        .value_kind:     hidden_remainder_x
      - .offset:         68
        .size:           2
        .value_kind:     hidden_remainder_y
      - .offset:         70
        .size:           2
        .value_kind:     hidden_remainder_z
      - .offset:         88
        .size:           8
        .value_kind:     hidden_global_offset_x
      - .offset:         96
        .size:           8
        .value_kind:     hidden_global_offset_y
      - .offset:         104
        .size:           8
        .value_kind:     hidden_global_offset_z
      - .offset:         112
        .size:           2
        .value_kind:     hidden_grid_dims
    .group_segment_fixed_size: 0
    .kernarg_segment_align: 8
    .kernarg_segment_size: 304
    .language:       OpenCL C
    .language_version:
      - 2
      - 0
    .max_flat_workgroup_size: 1024
    .name:           _ZN12_GLOBAL__N_120softmax_warp_forwardIN3c108BFloat16ES2_fLi0ELb0ELb1ELi64EEEvPT0_PKT_iiiPKbib
    .private_segment_fixed_size: 0
    .sgpr_count:     18
    .sgpr_spill_count: 0
    .symbol:         _ZN12_GLOBAL__N_120softmax_warp_forwardIN3c108BFloat16ES2_fLi0ELb0ELb1ELi64EEEvPT0_PKT_iiiPKbib.kd
    .uniform_work_group_size: 1
    .uses_dynamic_stack: false
    .vgpr_count:     13
    .vgpr_spill_count: 0
    .wavefront_size: 32
    .workgroup_processor_mode: 1
  - .args:
      - .address_space:  global
        .offset:         0
        .size:           8
        .value_kind:     global_buffer
      - .address_space:  global
        .offset:         8
        .size:           8
        .value_kind:     global_buffer
      - .offset:         16
        .size:           4
        .value_kind:     by_value
      - .offset:         20
        .size:           4
        .value_kind:     by_value
      - .offset:         24
        .size:           4
        .value_kind:     by_value
      - .address_space:  global
        .offset:         32
        .size:           8
        .value_kind:     global_buffer
      - .offset:         40
        .size:           4
        .value_kind:     by_value
      - .offset:         44
        .size:           1
        .value_kind:     by_value
      - .offset:         48
        .size:           4
        .value_kind:     hidden_block_count_x
      - .offset:         52
        .size:           4
        .value_kind:     hidden_block_count_y
      - .offset:         56
        .size:           4
        .value_kind:     hidden_block_count_z
      - .offset:         60
        .size:           2
        .value_kind:     hidden_group_size_x
      - .offset:         62
        .size:           2
        .value_kind:     hidden_group_size_y
      - .offset:         64
        .size:           2
        .value_kind:     hidden_group_size_z
      - .offset:         66
        .size:           2
        .value_kind:     hidden_remainder_x
      - .offset:         68
        .size:           2
        .value_kind:     hidden_remainder_y
      - .offset:         70
        .size:           2
        .value_kind:     hidden_remainder_z
      - .offset:         88
        .size:           8
        .value_kind:     hidden_global_offset_x
      - .offset:         96
        .size:           8
        .value_kind:     hidden_global_offset_y
      - .offset:         104
        .size:           8
        .value_kind:     hidden_global_offset_z
      - .offset:         112
        .size:           2
        .value_kind:     hidden_grid_dims
    .group_segment_fixed_size: 0
    .kernarg_segment_align: 8
    .kernarg_segment_size: 304
    .language:       OpenCL C
    .language_version:
      - 2
      - 0
    .max_flat_workgroup_size: 1024
    .name:           _ZN12_GLOBAL__N_120softmax_warp_forwardIN3c108BFloat16ES2_fLi0ELb0ELb1ELi32EEEvPT0_PKT_iiiPKbib
    .private_segment_fixed_size: 0
    .sgpr_count:     18
    .sgpr_spill_count: 0
    .symbol:         _ZN12_GLOBAL__N_120softmax_warp_forwardIN3c108BFloat16ES2_fLi0ELb0ELb1ELi32EEEvPT0_PKT_iiiPKbib.kd
    .uniform_work_group_size: 1
    .uses_dynamic_stack: false
    .vgpr_count:     13
    .vgpr_spill_count: 0
    .wavefront_size: 32
    .workgroup_processor_mode: 1
  - .args:
      - .address_space:  global
        .offset:         0
        .size:           8
        .value_kind:     global_buffer
      - .address_space:  global
        .offset:         8
        .size:           8
        .value_kind:     global_buffer
      - .offset:         16
        .size:           4
        .value_kind:     by_value
      - .offset:         20
        .size:           4
        .value_kind:     by_value
      - .offset:         24
        .size:           4
        .value_kind:     by_value
      - .address_space:  global
        .offset:         32
        .size:           8
        .value_kind:     global_buffer
      - .offset:         40
        .size:           4
        .value_kind:     by_value
      - .offset:         44
        .size:           1
        .value_kind:     by_value
      - .offset:         48
        .size:           4
        .value_kind:     hidden_block_count_x
      - .offset:         52
        .size:           4
        .value_kind:     hidden_block_count_y
      - .offset:         56
        .size:           4
        .value_kind:     hidden_block_count_z
      - .offset:         60
        .size:           2
        .value_kind:     hidden_group_size_x
      - .offset:         62
        .size:           2
        .value_kind:     hidden_group_size_y
      - .offset:         64
        .size:           2
        .value_kind:     hidden_group_size_z
      - .offset:         66
        .size:           2
        .value_kind:     hidden_remainder_x
      - .offset:         68
        .size:           2
        .value_kind:     hidden_remainder_y
      - .offset:         70
        .size:           2
        .value_kind:     hidden_remainder_z
      - .offset:         88
        .size:           8
        .value_kind:     hidden_global_offset_x
      - .offset:         96
        .size:           8
        .value_kind:     hidden_global_offset_y
      - .offset:         104
        .size:           8
        .value_kind:     hidden_global_offset_z
      - .offset:         112
        .size:           2
        .value_kind:     hidden_grid_dims
    .group_segment_fixed_size: 0
    .kernarg_segment_align: 8
    .kernarg_segment_size: 304
    .language:       OpenCL C
    .language_version:
      - 2
      - 0
    .max_flat_workgroup_size: 1024
    .name:           _ZN12_GLOBAL__N_120softmax_warp_forwardIN3c108BFloat16ES2_fLi1ELb0ELb1ELi64EEEvPT0_PKT_iiiPKbib
    .private_segment_fixed_size: 0
    .sgpr_count:     18
    .sgpr_spill_count: 0
    .symbol:         _ZN12_GLOBAL__N_120softmax_warp_forwardIN3c108BFloat16ES2_fLi1ELb0ELb1ELi64EEEvPT0_PKT_iiiPKbib.kd
    .uniform_work_group_size: 1
    .uses_dynamic_stack: false
    .vgpr_count:     16
    .vgpr_spill_count: 0
    .wavefront_size: 32
    .workgroup_processor_mode: 1
  - .args:
      - .address_space:  global
        .offset:         0
        .size:           8
        .value_kind:     global_buffer
      - .address_space:  global
        .offset:         8
        .size:           8
        .value_kind:     global_buffer
      - .offset:         16
        .size:           4
        .value_kind:     by_value
      - .offset:         20
        .size:           4
        .value_kind:     by_value
      - .offset:         24
        .size:           4
        .value_kind:     by_value
      - .address_space:  global
        .offset:         32
        .size:           8
        .value_kind:     global_buffer
      - .offset:         40
        .size:           4
        .value_kind:     by_value
      - .offset:         44
        .size:           1
        .value_kind:     by_value
      - .offset:         48
        .size:           4
        .value_kind:     hidden_block_count_x
      - .offset:         52
        .size:           4
        .value_kind:     hidden_block_count_y
      - .offset:         56
        .size:           4
        .value_kind:     hidden_block_count_z
      - .offset:         60
        .size:           2
        .value_kind:     hidden_group_size_x
      - .offset:         62
        .size:           2
        .value_kind:     hidden_group_size_y
      - .offset:         64
        .size:           2
        .value_kind:     hidden_group_size_z
      - .offset:         66
        .size:           2
        .value_kind:     hidden_remainder_x
      - .offset:         68
        .size:           2
        .value_kind:     hidden_remainder_y
      - .offset:         70
        .size:           2
        .value_kind:     hidden_remainder_z
      - .offset:         88
        .size:           8
        .value_kind:     hidden_global_offset_x
      - .offset:         96
        .size:           8
        .value_kind:     hidden_global_offset_y
      - .offset:         104
        .size:           8
        .value_kind:     hidden_global_offset_z
      - .offset:         112
        .size:           2
        .value_kind:     hidden_grid_dims
    .group_segment_fixed_size: 0
    .kernarg_segment_align: 8
    .kernarg_segment_size: 304
    .language:       OpenCL C
    .language_version:
      - 2
      - 0
    .max_flat_workgroup_size: 1024
    .name:           _ZN12_GLOBAL__N_120softmax_warp_forwardIN3c108BFloat16ES2_fLi1ELb0ELb1ELi32EEEvPT0_PKT_iiiPKbib
    .private_segment_fixed_size: 0
    .sgpr_count:     18
    .sgpr_spill_count: 0
    .symbol:         _ZN12_GLOBAL__N_120softmax_warp_forwardIN3c108BFloat16ES2_fLi1ELb0ELb1ELi32EEEvPT0_PKT_iiiPKbib.kd
    .uniform_work_group_size: 1
    .uses_dynamic_stack: false
    .vgpr_count:     16
    .vgpr_spill_count: 0
    .wavefront_size: 32
    .workgroup_processor_mode: 1
  - .args:
      - .address_space:  global
        .offset:         0
        .size:           8
        .value_kind:     global_buffer
      - .address_space:  global
        .offset:         8
        .size:           8
        .value_kind:     global_buffer
      - .offset:         16
        .size:           4
        .value_kind:     by_value
      - .offset:         20
        .size:           4
        .value_kind:     by_value
      - .offset:         24
        .size:           4
        .value_kind:     by_value
      - .address_space:  global
        .offset:         32
        .size:           8
        .value_kind:     global_buffer
      - .offset:         40
        .size:           4
        .value_kind:     by_value
      - .offset:         44
        .size:           1
        .value_kind:     by_value
      - .offset:         48
        .size:           4
        .value_kind:     hidden_block_count_x
      - .offset:         52
        .size:           4
        .value_kind:     hidden_block_count_y
      - .offset:         56
        .size:           4
        .value_kind:     hidden_block_count_z
      - .offset:         60
        .size:           2
        .value_kind:     hidden_group_size_x
      - .offset:         62
        .size:           2
        .value_kind:     hidden_group_size_y
      - .offset:         64
        .size:           2
        .value_kind:     hidden_group_size_z
      - .offset:         66
        .size:           2
        .value_kind:     hidden_remainder_x
      - .offset:         68
        .size:           2
        .value_kind:     hidden_remainder_y
      - .offset:         70
        .size:           2
        .value_kind:     hidden_remainder_z
      - .offset:         88
        .size:           8
        .value_kind:     hidden_global_offset_x
      - .offset:         96
        .size:           8
        .value_kind:     hidden_global_offset_y
      - .offset:         104
        .size:           8
        .value_kind:     hidden_global_offset_z
      - .offset:         112
        .size:           2
        .value_kind:     hidden_grid_dims
    .group_segment_fixed_size: 0
    .kernarg_segment_align: 8
    .kernarg_segment_size: 304
    .language:       OpenCL C
    .language_version:
      - 2
      - 0
    .max_flat_workgroup_size: 1024
    .name:           _ZN12_GLOBAL__N_120softmax_warp_forwardIN3c108BFloat16ES2_fLi2ELb0ELb1ELi64EEEvPT0_PKT_iiiPKbib
    .private_segment_fixed_size: 0
    .sgpr_count:     18
    .sgpr_spill_count: 0
    .symbol:         _ZN12_GLOBAL__N_120softmax_warp_forwardIN3c108BFloat16ES2_fLi2ELb0ELb1ELi64EEEvPT0_PKT_iiiPKbib.kd
    .uniform_work_group_size: 1
    .uses_dynamic_stack: false
    .vgpr_count:     17
    .vgpr_spill_count: 0
    .wavefront_size: 32
    .workgroup_processor_mode: 1
  - .args:
      - .address_space:  global
        .offset:         0
        .size:           8
        .value_kind:     global_buffer
      - .address_space:  global
        .offset:         8
        .size:           8
        .value_kind:     global_buffer
      - .offset:         16
        .size:           4
        .value_kind:     by_value
      - .offset:         20
        .size:           4
        .value_kind:     by_value
      - .offset:         24
        .size:           4
        .value_kind:     by_value
      - .address_space:  global
        .offset:         32
        .size:           8
        .value_kind:     global_buffer
      - .offset:         40
        .size:           4
        .value_kind:     by_value
      - .offset:         44
        .size:           1
        .value_kind:     by_value
      - .offset:         48
        .size:           4
        .value_kind:     hidden_block_count_x
      - .offset:         52
        .size:           4
        .value_kind:     hidden_block_count_y
      - .offset:         56
        .size:           4
        .value_kind:     hidden_block_count_z
      - .offset:         60
        .size:           2
        .value_kind:     hidden_group_size_x
      - .offset:         62
        .size:           2
        .value_kind:     hidden_group_size_y
      - .offset:         64
        .size:           2
        .value_kind:     hidden_group_size_z
      - .offset:         66
        .size:           2
        .value_kind:     hidden_remainder_x
      - .offset:         68
        .size:           2
        .value_kind:     hidden_remainder_y
      - .offset:         70
        .size:           2
        .value_kind:     hidden_remainder_z
      - .offset:         88
        .size:           8
        .value_kind:     hidden_global_offset_x
      - .offset:         96
        .size:           8
        .value_kind:     hidden_global_offset_y
      - .offset:         104
        .size:           8
        .value_kind:     hidden_global_offset_z
      - .offset:         112
        .size:           2
        .value_kind:     hidden_grid_dims
    .group_segment_fixed_size: 0
    .kernarg_segment_align: 8
    .kernarg_segment_size: 304
    .language:       OpenCL C
    .language_version:
      - 2
      - 0
    .max_flat_workgroup_size: 1024
    .name:           _ZN12_GLOBAL__N_120softmax_warp_forwardIN3c108BFloat16ES2_fLi2ELb0ELb1ELi32EEEvPT0_PKT_iiiPKbib
    .private_segment_fixed_size: 0
    .sgpr_count:     18
    .sgpr_spill_count: 0
    .symbol:         _ZN12_GLOBAL__N_120softmax_warp_forwardIN3c108BFloat16ES2_fLi2ELb0ELb1ELi32EEEvPT0_PKT_iiiPKbib.kd
    .uniform_work_group_size: 1
    .uses_dynamic_stack: false
    .vgpr_count:     17
    .vgpr_spill_count: 0
    .wavefront_size: 32
    .workgroup_processor_mode: 1
  - .args:
      - .address_space:  global
        .offset:         0
        .size:           8
        .value_kind:     global_buffer
      - .address_space:  global
        .offset:         8
        .size:           8
        .value_kind:     global_buffer
      - .offset:         16
        .size:           4
        .value_kind:     by_value
      - .offset:         20
        .size:           4
        .value_kind:     by_value
      - .offset:         24
        .size:           4
        .value_kind:     by_value
      - .address_space:  global
        .offset:         32
        .size:           8
        .value_kind:     global_buffer
      - .offset:         40
        .size:           4
        .value_kind:     by_value
      - .offset:         44
        .size:           1
        .value_kind:     by_value
      - .offset:         48
        .size:           4
        .value_kind:     hidden_block_count_x
      - .offset:         52
        .size:           4
        .value_kind:     hidden_block_count_y
      - .offset:         56
        .size:           4
        .value_kind:     hidden_block_count_z
      - .offset:         60
        .size:           2
        .value_kind:     hidden_group_size_x
      - .offset:         62
        .size:           2
        .value_kind:     hidden_group_size_y
      - .offset:         64
        .size:           2
        .value_kind:     hidden_group_size_z
      - .offset:         66
        .size:           2
        .value_kind:     hidden_remainder_x
      - .offset:         68
        .size:           2
        .value_kind:     hidden_remainder_y
      - .offset:         70
        .size:           2
        .value_kind:     hidden_remainder_z
      - .offset:         88
        .size:           8
        .value_kind:     hidden_global_offset_x
      - .offset:         96
        .size:           8
        .value_kind:     hidden_global_offset_y
      - .offset:         104
        .size:           8
        .value_kind:     hidden_global_offset_z
      - .offset:         112
        .size:           2
        .value_kind:     hidden_grid_dims
    .group_segment_fixed_size: 0
    .kernarg_segment_align: 8
    .kernarg_segment_size: 304
    .language:       OpenCL C
    .language_version:
      - 2
      - 0
    .max_flat_workgroup_size: 1024
    .name:           _ZN12_GLOBAL__N_120softmax_warp_forwardIN3c108BFloat16ES2_fLi3ELb0ELb1ELi64EEEvPT0_PKT_iiiPKbib
    .private_segment_fixed_size: 0
    .sgpr_count:     18
    .sgpr_spill_count: 0
    .symbol:         _ZN12_GLOBAL__N_120softmax_warp_forwardIN3c108BFloat16ES2_fLi3ELb0ELb1ELi64EEEvPT0_PKT_iiiPKbib.kd
    .uniform_work_group_size: 1
    .uses_dynamic_stack: false
    .vgpr_count:     18
    .vgpr_spill_count: 0
    .wavefront_size: 32
    .workgroup_processor_mode: 1
  - .args:
      - .address_space:  global
        .offset:         0
        .size:           8
        .value_kind:     global_buffer
      - .address_space:  global
        .offset:         8
        .size:           8
        .value_kind:     global_buffer
      - .offset:         16
        .size:           4
        .value_kind:     by_value
      - .offset:         20
        .size:           4
        .value_kind:     by_value
      - .offset:         24
        .size:           4
        .value_kind:     by_value
      - .address_space:  global
        .offset:         32
        .size:           8
        .value_kind:     global_buffer
      - .offset:         40
        .size:           4
        .value_kind:     by_value
      - .offset:         44
        .size:           1
        .value_kind:     by_value
      - .offset:         48
        .size:           4
        .value_kind:     hidden_block_count_x
      - .offset:         52
        .size:           4
        .value_kind:     hidden_block_count_y
      - .offset:         56
        .size:           4
        .value_kind:     hidden_block_count_z
      - .offset:         60
        .size:           2
        .value_kind:     hidden_group_size_x
      - .offset:         62
        .size:           2
        .value_kind:     hidden_group_size_y
      - .offset:         64
        .size:           2
        .value_kind:     hidden_group_size_z
      - .offset:         66
        .size:           2
        .value_kind:     hidden_remainder_x
      - .offset:         68
        .size:           2
        .value_kind:     hidden_remainder_y
      - .offset:         70
        .size:           2
        .value_kind:     hidden_remainder_z
      - .offset:         88
        .size:           8
        .value_kind:     hidden_global_offset_x
      - .offset:         96
        .size:           8
        .value_kind:     hidden_global_offset_y
      - .offset:         104
        .size:           8
        .value_kind:     hidden_global_offset_z
      - .offset:         112
        .size:           2
        .value_kind:     hidden_grid_dims
    .group_segment_fixed_size: 0
    .kernarg_segment_align: 8
    .kernarg_segment_size: 304
    .language:       OpenCL C
    .language_version:
      - 2
      - 0
    .max_flat_workgroup_size: 1024
    .name:           _ZN12_GLOBAL__N_120softmax_warp_forwardIN3c108BFloat16ES2_fLi3ELb0ELb1ELi32EEEvPT0_PKT_iiiPKbib
    .private_segment_fixed_size: 0
    .sgpr_count:     18
    .sgpr_spill_count: 0
    .symbol:         _ZN12_GLOBAL__N_120softmax_warp_forwardIN3c108BFloat16ES2_fLi3ELb0ELb1ELi32EEEvPT0_PKT_iiiPKbib.kd
    .uniform_work_group_size: 1
    .uses_dynamic_stack: false
    .vgpr_count:     18
    .vgpr_spill_count: 0
    .wavefront_size: 32
    .workgroup_processor_mode: 1
  - .args:
      - .address_space:  global
        .offset:         0
        .size:           8
        .value_kind:     global_buffer
      - .address_space:  global
        .offset:         8
        .size:           8
        .value_kind:     global_buffer
      - .offset:         16
        .size:           4
        .value_kind:     by_value
      - .offset:         20
        .size:           4
        .value_kind:     by_value
      - .offset:         24
        .size:           4
        .value_kind:     by_value
      - .address_space:  global
        .offset:         32
        .size:           8
        .value_kind:     global_buffer
      - .offset:         40
        .size:           4
        .value_kind:     by_value
      - .offset:         44
        .size:           1
        .value_kind:     by_value
      - .offset:         48
        .size:           4
        .value_kind:     hidden_block_count_x
      - .offset:         52
        .size:           4
        .value_kind:     hidden_block_count_y
      - .offset:         56
        .size:           4
        .value_kind:     hidden_block_count_z
      - .offset:         60
        .size:           2
        .value_kind:     hidden_group_size_x
      - .offset:         62
        .size:           2
        .value_kind:     hidden_group_size_y
      - .offset:         64
        .size:           2
        .value_kind:     hidden_group_size_z
      - .offset:         66
        .size:           2
        .value_kind:     hidden_remainder_x
      - .offset:         68
        .size:           2
        .value_kind:     hidden_remainder_y
      - .offset:         70
        .size:           2
        .value_kind:     hidden_remainder_z
      - .offset:         88
        .size:           8
        .value_kind:     hidden_global_offset_x
      - .offset:         96
        .size:           8
        .value_kind:     hidden_global_offset_y
      - .offset:         104
        .size:           8
        .value_kind:     hidden_global_offset_z
      - .offset:         112
        .size:           2
        .value_kind:     hidden_grid_dims
    .group_segment_fixed_size: 0
    .kernarg_segment_align: 8
    .kernarg_segment_size: 304
    .language:       OpenCL C
    .language_version:
      - 2
      - 0
    .max_flat_workgroup_size: 1024
    .name:           _ZN12_GLOBAL__N_120softmax_warp_forwardIN3c108BFloat16ES2_fLi4ELb0ELb1ELi64EEEvPT0_PKT_iiiPKbib
    .private_segment_fixed_size: 0
    .sgpr_count:     18
    .sgpr_spill_count: 0
    .symbol:         _ZN12_GLOBAL__N_120softmax_warp_forwardIN3c108BFloat16ES2_fLi4ELb0ELb1ELi64EEEvPT0_PKT_iiiPKbib.kd
    .uniform_work_group_size: 1
    .uses_dynamic_stack: false
    .vgpr_count:     19
    .vgpr_spill_count: 0
    .wavefront_size: 32
    .workgroup_processor_mode: 1
  - .args:
      - .address_space:  global
        .offset:         0
        .size:           8
        .value_kind:     global_buffer
      - .address_space:  global
        .offset:         8
        .size:           8
        .value_kind:     global_buffer
      - .offset:         16
        .size:           4
        .value_kind:     by_value
      - .offset:         20
        .size:           4
        .value_kind:     by_value
      - .offset:         24
        .size:           4
        .value_kind:     by_value
      - .address_space:  global
        .offset:         32
        .size:           8
        .value_kind:     global_buffer
      - .offset:         40
        .size:           4
        .value_kind:     by_value
      - .offset:         44
        .size:           1
        .value_kind:     by_value
      - .offset:         48
        .size:           4
        .value_kind:     hidden_block_count_x
      - .offset:         52
        .size:           4
        .value_kind:     hidden_block_count_y
      - .offset:         56
        .size:           4
        .value_kind:     hidden_block_count_z
      - .offset:         60
        .size:           2
        .value_kind:     hidden_group_size_x
      - .offset:         62
        .size:           2
        .value_kind:     hidden_group_size_y
      - .offset:         64
        .size:           2
        .value_kind:     hidden_group_size_z
      - .offset:         66
        .size:           2
        .value_kind:     hidden_remainder_x
      - .offset:         68
        .size:           2
        .value_kind:     hidden_remainder_y
      - .offset:         70
        .size:           2
        .value_kind:     hidden_remainder_z
      - .offset:         88
        .size:           8
        .value_kind:     hidden_global_offset_x
      - .offset:         96
        .size:           8
        .value_kind:     hidden_global_offset_y
      - .offset:         104
        .size:           8
        .value_kind:     hidden_global_offset_z
      - .offset:         112
        .size:           2
        .value_kind:     hidden_grid_dims
    .group_segment_fixed_size: 0
    .kernarg_segment_align: 8
    .kernarg_segment_size: 304
    .language:       OpenCL C
    .language_version:
      - 2
      - 0
    .max_flat_workgroup_size: 1024
    .name:           _ZN12_GLOBAL__N_120softmax_warp_forwardIN3c108BFloat16ES2_fLi4ELb0ELb1ELi32EEEvPT0_PKT_iiiPKbib
    .private_segment_fixed_size: 0
    .sgpr_count:     18
    .sgpr_spill_count: 0
    .symbol:         _ZN12_GLOBAL__N_120softmax_warp_forwardIN3c108BFloat16ES2_fLi4ELb0ELb1ELi32EEEvPT0_PKT_iiiPKbib.kd
    .uniform_work_group_size: 1
    .uses_dynamic_stack: false
    .vgpr_count:     19
    .vgpr_spill_count: 0
    .wavefront_size: 32
    .workgroup_processor_mode: 1
  - .args:
      - .address_space:  global
        .offset:         0
        .size:           8
        .value_kind:     global_buffer
      - .address_space:  global
        .offset:         8
        .size:           8
        .value_kind:     global_buffer
      - .offset:         16
        .size:           4
        .value_kind:     by_value
      - .offset:         20
        .size:           4
        .value_kind:     by_value
      - .offset:         24
        .size:           4
        .value_kind:     by_value
      - .address_space:  global
        .offset:         32
        .size:           8
        .value_kind:     global_buffer
      - .offset:         40
        .size:           4
        .value_kind:     by_value
      - .offset:         44
        .size:           1
        .value_kind:     by_value
      - .offset:         48
        .size:           4
        .value_kind:     hidden_block_count_x
      - .offset:         52
        .size:           4
        .value_kind:     hidden_block_count_y
      - .offset:         56
        .size:           4
        .value_kind:     hidden_block_count_z
      - .offset:         60
        .size:           2
        .value_kind:     hidden_group_size_x
      - .offset:         62
        .size:           2
        .value_kind:     hidden_group_size_y
      - .offset:         64
        .size:           2
        .value_kind:     hidden_group_size_z
      - .offset:         66
        .size:           2
        .value_kind:     hidden_remainder_x
      - .offset:         68
        .size:           2
        .value_kind:     hidden_remainder_y
      - .offset:         70
        .size:           2
        .value_kind:     hidden_remainder_z
      - .offset:         88
        .size:           8
        .value_kind:     hidden_global_offset_x
      - .offset:         96
        .size:           8
        .value_kind:     hidden_global_offset_y
      - .offset:         104
        .size:           8
        .value_kind:     hidden_global_offset_z
      - .offset:         112
        .size:           2
        .value_kind:     hidden_grid_dims
    .group_segment_fixed_size: 0
    .kernarg_segment_align: 8
    .kernarg_segment_size: 304
    .language:       OpenCL C
    .language_version:
      - 2
      - 0
    .max_flat_workgroup_size: 1024
    .name:           _ZN12_GLOBAL__N_120softmax_warp_forwardIN3c108BFloat16ES2_fLi5ELb0ELb1ELi64EEEvPT0_PKT_iiiPKbib
    .private_segment_fixed_size: 0
    .sgpr_count:     18
    .sgpr_spill_count: 0
    .symbol:         _ZN12_GLOBAL__N_120softmax_warp_forwardIN3c108BFloat16ES2_fLi5ELb0ELb1ELi64EEEvPT0_PKT_iiiPKbib.kd
    .uniform_work_group_size: 1
    .uses_dynamic_stack: false
    .vgpr_count:     20
    .vgpr_spill_count: 0
    .wavefront_size: 32
    .workgroup_processor_mode: 1
  - .args:
      - .address_space:  global
        .offset:         0
        .size:           8
        .value_kind:     global_buffer
      - .address_space:  global
        .offset:         8
        .size:           8
        .value_kind:     global_buffer
      - .offset:         16
        .size:           4
        .value_kind:     by_value
      - .offset:         20
        .size:           4
        .value_kind:     by_value
      - .offset:         24
        .size:           4
        .value_kind:     by_value
      - .address_space:  global
        .offset:         32
        .size:           8
        .value_kind:     global_buffer
      - .offset:         40
        .size:           4
        .value_kind:     by_value
      - .offset:         44
        .size:           1
        .value_kind:     by_value
      - .offset:         48
        .size:           4
        .value_kind:     hidden_block_count_x
      - .offset:         52
        .size:           4
        .value_kind:     hidden_block_count_y
      - .offset:         56
        .size:           4
        .value_kind:     hidden_block_count_z
      - .offset:         60
        .size:           2
        .value_kind:     hidden_group_size_x
      - .offset:         62
        .size:           2
        .value_kind:     hidden_group_size_y
      - .offset:         64
        .size:           2
        .value_kind:     hidden_group_size_z
      - .offset:         66
        .size:           2
        .value_kind:     hidden_remainder_x
      - .offset:         68
        .size:           2
        .value_kind:     hidden_remainder_y
      - .offset:         70
        .size:           2
        .value_kind:     hidden_remainder_z
      - .offset:         88
        .size:           8
        .value_kind:     hidden_global_offset_x
      - .offset:         96
        .size:           8
        .value_kind:     hidden_global_offset_y
      - .offset:         104
        .size:           8
        .value_kind:     hidden_global_offset_z
      - .offset:         112
        .size:           2
        .value_kind:     hidden_grid_dims
    .group_segment_fixed_size: 0
    .kernarg_segment_align: 8
    .kernarg_segment_size: 304
    .language:       OpenCL C
    .language_version:
      - 2
      - 0
    .max_flat_workgroup_size: 1024
    .name:           _ZN12_GLOBAL__N_120softmax_warp_forwardIN3c108BFloat16ES2_fLi5ELb0ELb1ELi32EEEvPT0_PKT_iiiPKbib
    .private_segment_fixed_size: 0
    .sgpr_count:     18
    .sgpr_spill_count: 0
    .symbol:         _ZN12_GLOBAL__N_120softmax_warp_forwardIN3c108BFloat16ES2_fLi5ELb0ELb1ELi32EEEvPT0_PKT_iiiPKbib.kd
    .uniform_work_group_size: 1
    .uses_dynamic_stack: false
    .vgpr_count:     20
    .vgpr_spill_count: 0
    .wavefront_size: 32
    .workgroup_processor_mode: 1
  - .args:
      - .address_space:  global
        .offset:         0
        .size:           8
        .value_kind:     global_buffer
      - .address_space:  global
        .offset:         8
        .size:           8
        .value_kind:     global_buffer
      - .offset:         16
        .size:           4
        .value_kind:     by_value
      - .offset:         20
        .size:           4
        .value_kind:     by_value
      - .offset:         24
        .size:           4
        .value_kind:     by_value
      - .address_space:  global
        .offset:         32
        .size:           8
        .value_kind:     global_buffer
      - .offset:         40
        .size:           4
        .value_kind:     by_value
      - .offset:         44
        .size:           1
        .value_kind:     by_value
      - .offset:         48
        .size:           4
        .value_kind:     hidden_block_count_x
      - .offset:         52
        .size:           4
        .value_kind:     hidden_block_count_y
      - .offset:         56
        .size:           4
        .value_kind:     hidden_block_count_z
      - .offset:         60
        .size:           2
        .value_kind:     hidden_group_size_x
      - .offset:         62
        .size:           2
        .value_kind:     hidden_group_size_y
      - .offset:         64
        .size:           2
        .value_kind:     hidden_group_size_z
      - .offset:         66
        .size:           2
        .value_kind:     hidden_remainder_x
      - .offset:         68
        .size:           2
        .value_kind:     hidden_remainder_y
      - .offset:         70
        .size:           2
        .value_kind:     hidden_remainder_z
      - .offset:         88
        .size:           8
        .value_kind:     hidden_global_offset_x
      - .offset:         96
        .size:           8
        .value_kind:     hidden_global_offset_y
      - .offset:         104
        .size:           8
        .value_kind:     hidden_global_offset_z
      - .offset:         112
        .size:           2
        .value_kind:     hidden_grid_dims
    .group_segment_fixed_size: 0
    .kernarg_segment_align: 8
    .kernarg_segment_size: 304
    .language:       OpenCL C
    .language_version:
      - 2
      - 0
    .max_flat_workgroup_size: 1024
    .name:           _ZN12_GLOBAL__N_120softmax_warp_forwardIN3c108BFloat16ES2_fLi6ELb0ELb1ELi64EEEvPT0_PKT_iiiPKbib
    .private_segment_fixed_size: 0
    .sgpr_count:     18
    .sgpr_spill_count: 0
    .symbol:         _ZN12_GLOBAL__N_120softmax_warp_forwardIN3c108BFloat16ES2_fLi6ELb0ELb1ELi64EEEvPT0_PKT_iiiPKbib.kd
    .uniform_work_group_size: 1
    .uses_dynamic_stack: false
    .vgpr_count:     21
    .vgpr_spill_count: 0
    .wavefront_size: 32
    .workgroup_processor_mode: 1
  - .args:
      - .address_space:  global
        .offset:         0
        .size:           8
        .value_kind:     global_buffer
      - .address_space:  global
        .offset:         8
        .size:           8
        .value_kind:     global_buffer
      - .offset:         16
        .size:           4
        .value_kind:     by_value
      - .offset:         20
        .size:           4
        .value_kind:     by_value
      - .offset:         24
        .size:           4
        .value_kind:     by_value
      - .address_space:  global
        .offset:         32
        .size:           8
        .value_kind:     global_buffer
      - .offset:         40
        .size:           4
        .value_kind:     by_value
      - .offset:         44
        .size:           1
        .value_kind:     by_value
      - .offset:         48
        .size:           4
        .value_kind:     hidden_block_count_x
      - .offset:         52
        .size:           4
        .value_kind:     hidden_block_count_y
      - .offset:         56
        .size:           4
        .value_kind:     hidden_block_count_z
      - .offset:         60
        .size:           2
        .value_kind:     hidden_group_size_x
      - .offset:         62
        .size:           2
        .value_kind:     hidden_group_size_y
      - .offset:         64
        .size:           2
        .value_kind:     hidden_group_size_z
      - .offset:         66
        .size:           2
        .value_kind:     hidden_remainder_x
      - .offset:         68
        .size:           2
        .value_kind:     hidden_remainder_y
      - .offset:         70
        .size:           2
        .value_kind:     hidden_remainder_z
      - .offset:         88
        .size:           8
        .value_kind:     hidden_global_offset_x
      - .offset:         96
        .size:           8
        .value_kind:     hidden_global_offset_y
      - .offset:         104
        .size:           8
        .value_kind:     hidden_global_offset_z
      - .offset:         112
        .size:           2
        .value_kind:     hidden_grid_dims
    .group_segment_fixed_size: 0
    .kernarg_segment_align: 8
    .kernarg_segment_size: 304
    .language:       OpenCL C
    .language_version:
      - 2
      - 0
    .max_flat_workgroup_size: 1024
    .name:           _ZN12_GLOBAL__N_120softmax_warp_forwardIN3c108BFloat16ES2_fLi6ELb0ELb1ELi32EEEvPT0_PKT_iiiPKbib
    .private_segment_fixed_size: 0
    .sgpr_count:     20
    .sgpr_spill_count: 0
    .symbol:         _ZN12_GLOBAL__N_120softmax_warp_forwardIN3c108BFloat16ES2_fLi6ELb0ELb1ELi32EEEvPT0_PKT_iiiPKbib.kd
    .uniform_work_group_size: 1
    .uses_dynamic_stack: false
    .vgpr_count:     22
    .vgpr_spill_count: 0
    .wavefront_size: 32
    .workgroup_processor_mode: 1
  - .args:
      - .address_space:  global
        .offset:         0
        .size:           8
        .value_kind:     global_buffer
      - .address_space:  global
        .offset:         8
        .size:           8
        .value_kind:     global_buffer
      - .offset:         16
        .size:           4
        .value_kind:     by_value
      - .offset:         20
        .size:           4
        .value_kind:     by_value
      - .offset:         24
        .size:           4
        .value_kind:     by_value
      - .address_space:  global
        .offset:         32
        .size:           8
        .value_kind:     global_buffer
      - .offset:         40
        .size:           4
        .value_kind:     by_value
      - .offset:         44
        .size:           1
        .value_kind:     by_value
      - .offset:         48
        .size:           4
        .value_kind:     hidden_block_count_x
      - .offset:         52
        .size:           4
        .value_kind:     hidden_block_count_y
      - .offset:         56
        .size:           4
        .value_kind:     hidden_block_count_z
      - .offset:         60
        .size:           2
        .value_kind:     hidden_group_size_x
      - .offset:         62
        .size:           2
        .value_kind:     hidden_group_size_y
      - .offset:         64
        .size:           2
        .value_kind:     hidden_group_size_z
      - .offset:         66
        .size:           2
        .value_kind:     hidden_remainder_x
      - .offset:         68
        .size:           2
        .value_kind:     hidden_remainder_y
      - .offset:         70
        .size:           2
        .value_kind:     hidden_remainder_z
      - .offset:         88
        .size:           8
        .value_kind:     hidden_global_offset_x
      - .offset:         96
        .size:           8
        .value_kind:     hidden_global_offset_y
      - .offset:         104
        .size:           8
        .value_kind:     hidden_global_offset_z
      - .offset:         112
        .size:           2
        .value_kind:     hidden_grid_dims
    .group_segment_fixed_size: 0
    .kernarg_segment_align: 8
    .kernarg_segment_size: 304
    .language:       OpenCL C
    .language_version:
      - 2
      - 0
    .max_flat_workgroup_size: 1024
    .name:           _ZN12_GLOBAL__N_120softmax_warp_forwardIN3c108BFloat16ES2_fLi7ELb0ELb1ELi64EEEvPT0_PKT_iiiPKbib
    .private_segment_fixed_size: 0
    .sgpr_count:     20
    .sgpr_spill_count: 0
    .symbol:         _ZN12_GLOBAL__N_120softmax_warp_forwardIN3c108BFloat16ES2_fLi7ELb0ELb1ELi64EEEvPT0_PKT_iiiPKbib.kd
    .uniform_work_group_size: 1
    .uses_dynamic_stack: false
    .vgpr_count:     23
    .vgpr_spill_count: 0
    .wavefront_size: 32
    .workgroup_processor_mode: 1
  - .args:
      - .address_space:  global
        .offset:         0
        .size:           8
        .value_kind:     global_buffer
      - .address_space:  global
        .offset:         8
        .size:           8
        .value_kind:     global_buffer
      - .offset:         16
        .size:           4
        .value_kind:     by_value
      - .offset:         20
        .size:           4
        .value_kind:     by_value
      - .offset:         24
        .size:           4
        .value_kind:     by_value
      - .address_space:  global
        .offset:         32
        .size:           8
        .value_kind:     global_buffer
      - .offset:         40
        .size:           4
        .value_kind:     by_value
      - .offset:         44
        .size:           1
        .value_kind:     by_value
      - .offset:         48
        .size:           4
        .value_kind:     hidden_block_count_x
      - .offset:         52
        .size:           4
        .value_kind:     hidden_block_count_y
      - .offset:         56
        .size:           4
        .value_kind:     hidden_block_count_z
      - .offset:         60
        .size:           2
        .value_kind:     hidden_group_size_x
      - .offset:         62
        .size:           2
        .value_kind:     hidden_group_size_y
      - .offset:         64
        .size:           2
        .value_kind:     hidden_group_size_z
      - .offset:         66
        .size:           2
        .value_kind:     hidden_remainder_x
      - .offset:         68
        .size:           2
        .value_kind:     hidden_remainder_y
      - .offset:         70
        .size:           2
        .value_kind:     hidden_remainder_z
      - .offset:         88
        .size:           8
        .value_kind:     hidden_global_offset_x
      - .offset:         96
        .size:           8
        .value_kind:     hidden_global_offset_y
      - .offset:         104
        .size:           8
        .value_kind:     hidden_global_offset_z
      - .offset:         112
        .size:           2
        .value_kind:     hidden_grid_dims
    .group_segment_fixed_size: 0
    .kernarg_segment_align: 8
    .kernarg_segment_size: 304
    .language:       OpenCL C
    .language_version:
      - 2
      - 0
    .max_flat_workgroup_size: 1024
    .name:           _ZN12_GLOBAL__N_120softmax_warp_forwardIN3c108BFloat16ES2_fLi7ELb0ELb1ELi32EEEvPT0_PKT_iiiPKbib
    .private_segment_fixed_size: 0
    .sgpr_count:     26
    .sgpr_spill_count: 0
    .symbol:         _ZN12_GLOBAL__N_120softmax_warp_forwardIN3c108BFloat16ES2_fLi7ELb0ELb1ELi32EEEvPT0_PKT_iiiPKbib.kd
    .uniform_work_group_size: 1
    .uses_dynamic_stack: false
    .vgpr_count:     27
    .vgpr_spill_count: 0
    .wavefront_size: 32
    .workgroup_processor_mode: 1
  - .args:
      - .address_space:  global
        .offset:         0
        .size:           8
        .value_kind:     global_buffer
      - .address_space:  global
        .offset:         8
        .size:           8
        .value_kind:     global_buffer
      - .offset:         16
        .size:           4
        .value_kind:     by_value
      - .offset:         20
        .size:           4
        .value_kind:     by_value
      - .offset:         24
        .size:           4
        .value_kind:     by_value
      - .address_space:  global
        .offset:         32
        .size:           8
        .value_kind:     global_buffer
      - .offset:         40
        .size:           4
        .value_kind:     by_value
      - .offset:         44
        .size:           1
        .value_kind:     by_value
      - .offset:         48
        .size:           4
        .value_kind:     hidden_block_count_x
      - .offset:         52
        .size:           4
        .value_kind:     hidden_block_count_y
      - .offset:         56
        .size:           4
        .value_kind:     hidden_block_count_z
      - .offset:         60
        .size:           2
        .value_kind:     hidden_group_size_x
      - .offset:         62
        .size:           2
        .value_kind:     hidden_group_size_y
      - .offset:         64
        .size:           2
        .value_kind:     hidden_group_size_z
      - .offset:         66
        .size:           2
        .value_kind:     hidden_remainder_x
      - .offset:         68
        .size:           2
        .value_kind:     hidden_remainder_y
      - .offset:         70
        .size:           2
        .value_kind:     hidden_remainder_z
      - .offset:         88
        .size:           8
        .value_kind:     hidden_global_offset_x
      - .offset:         96
        .size:           8
        .value_kind:     hidden_global_offset_y
      - .offset:         104
        .size:           8
        .value_kind:     hidden_global_offset_z
      - .offset:         112
        .size:           2
        .value_kind:     hidden_grid_dims
    .group_segment_fixed_size: 0
    .kernarg_segment_align: 8
    .kernarg_segment_size: 304
    .language:       OpenCL C
    .language_version:
      - 2
      - 0
    .max_flat_workgroup_size: 1024
    .name:           _ZN12_GLOBAL__N_120softmax_warp_forwardIN3c108BFloat16ES2_fLi8ELb0ELb1ELi64EEEvPT0_PKT_iiiPKbib
    .private_segment_fixed_size: 0
    .sgpr_count:     18
    .sgpr_spill_count: 0
    .symbol:         _ZN12_GLOBAL__N_120softmax_warp_forwardIN3c108BFloat16ES2_fLi8ELb0ELb1ELi64EEEvPT0_PKT_iiiPKbib.kd
    .uniform_work_group_size: 1
    .uses_dynamic_stack: false
    .vgpr_count:     21
    .vgpr_spill_count: 0
    .wavefront_size: 32
    .workgroup_processor_mode: 1
  - .args:
      - .address_space:  global
        .offset:         0
        .size:           8
        .value_kind:     global_buffer
      - .address_space:  global
        .offset:         8
        .size:           8
        .value_kind:     global_buffer
      - .offset:         16
        .size:           4
        .value_kind:     by_value
      - .offset:         20
        .size:           4
        .value_kind:     by_value
      - .offset:         24
        .size:           4
        .value_kind:     by_value
      - .address_space:  global
        .offset:         32
        .size:           8
        .value_kind:     global_buffer
      - .offset:         40
        .size:           4
        .value_kind:     by_value
      - .offset:         44
        .size:           1
        .value_kind:     by_value
      - .offset:         48
        .size:           4
        .value_kind:     hidden_block_count_x
      - .offset:         52
        .size:           4
        .value_kind:     hidden_block_count_y
      - .offset:         56
        .size:           4
        .value_kind:     hidden_block_count_z
      - .offset:         60
        .size:           2
        .value_kind:     hidden_group_size_x
      - .offset:         62
        .size:           2
        .value_kind:     hidden_group_size_y
      - .offset:         64
        .size:           2
        .value_kind:     hidden_group_size_z
      - .offset:         66
        .size:           2
        .value_kind:     hidden_remainder_x
      - .offset:         68
        .size:           2
        .value_kind:     hidden_remainder_y
      - .offset:         70
        .size:           2
        .value_kind:     hidden_remainder_z
      - .offset:         88
        .size:           8
        .value_kind:     hidden_global_offset_x
      - .offset:         96
        .size:           8
        .value_kind:     hidden_global_offset_y
      - .offset:         104
        .size:           8
        .value_kind:     hidden_global_offset_z
      - .offset:         112
        .size:           2
        .value_kind:     hidden_grid_dims
    .group_segment_fixed_size: 0
    .kernarg_segment_align: 8
    .kernarg_segment_size: 304
    .language:       OpenCL C
    .language_version:
      - 2
      - 0
    .max_flat_workgroup_size: 1024
    .name:           _ZN12_GLOBAL__N_120softmax_warp_forwardIN3c108BFloat16ES2_fLi8ELb0ELb1ELi32EEEvPT0_PKT_iiiPKbib
    .private_segment_fixed_size: 0
    .sgpr_count:     24
    .sgpr_spill_count: 0
    .symbol:         _ZN12_GLOBAL__N_120softmax_warp_forwardIN3c108BFloat16ES2_fLi8ELb0ELb1ELi32EEEvPT0_PKT_iiiPKbib.kd
    .uniform_work_group_size: 1
    .uses_dynamic_stack: false
    .vgpr_count:     24
    .vgpr_spill_count: 0
    .wavefront_size: 32
    .workgroup_processor_mode: 1
  - .args:
      - .address_space:  global
        .offset:         0
        .size:           8
        .value_kind:     global_buffer
      - .address_space:  global
        .offset:         8
        .size:           8
        .value_kind:     global_buffer
      - .offset:         16
        .size:           4
        .value_kind:     by_value
      - .offset:         20
        .size:           4
        .value_kind:     by_value
      - .offset:         24
        .size:           4
        .value_kind:     by_value
      - .address_space:  global
        .offset:         32
        .size:           8
        .value_kind:     global_buffer
      - .offset:         40
        .size:           4
        .value_kind:     by_value
      - .offset:         44
        .size:           1
        .value_kind:     by_value
      - .offset:         48
        .size:           4
        .value_kind:     hidden_block_count_x
      - .offset:         52
        .size:           4
        .value_kind:     hidden_block_count_y
      - .offset:         56
        .size:           4
        .value_kind:     hidden_block_count_z
      - .offset:         60
        .size:           2
        .value_kind:     hidden_group_size_x
      - .offset:         62
        .size:           2
        .value_kind:     hidden_group_size_y
      - .offset:         64
        .size:           2
        .value_kind:     hidden_group_size_z
      - .offset:         66
        .size:           2
        .value_kind:     hidden_remainder_x
      - .offset:         68
        .size:           2
        .value_kind:     hidden_remainder_y
      - .offset:         70
        .size:           2
        .value_kind:     hidden_remainder_z
      - .offset:         88
        .size:           8
        .value_kind:     hidden_global_offset_x
      - .offset:         96
        .size:           8
        .value_kind:     hidden_global_offset_y
      - .offset:         104
        .size:           8
        .value_kind:     hidden_global_offset_z
      - .offset:         112
        .size:           2
        .value_kind:     hidden_grid_dims
    .group_segment_fixed_size: 0
    .kernarg_segment_align: 8
    .kernarg_segment_size: 304
    .language:       OpenCL C
    .language_version:
      - 2
      - 0
    .max_flat_workgroup_size: 1024
    .name:           _ZN12_GLOBAL__N_120softmax_warp_forwardIN3c108BFloat16ES2_fLi9ELb0ELb1ELi64EEEvPT0_PKT_iiiPKbib
    .private_segment_fixed_size: 0
    .sgpr_count:     24
    .sgpr_spill_count: 0
    .symbol:         _ZN12_GLOBAL__N_120softmax_warp_forwardIN3c108BFloat16ES2_fLi9ELb0ELb1ELi64EEEvPT0_PKT_iiiPKbib.kd
    .uniform_work_group_size: 1
    .uses_dynamic_stack: false
    .vgpr_count:     25
    .vgpr_spill_count: 0
    .wavefront_size: 32
    .workgroup_processor_mode: 1
  - .args:
      - .address_space:  global
        .offset:         0
        .size:           8
        .value_kind:     global_buffer
      - .address_space:  global
        .offset:         8
        .size:           8
        .value_kind:     global_buffer
      - .offset:         16
        .size:           4
        .value_kind:     by_value
      - .offset:         20
        .size:           4
        .value_kind:     by_value
      - .offset:         24
        .size:           4
        .value_kind:     by_value
      - .address_space:  global
        .offset:         32
        .size:           8
        .value_kind:     global_buffer
      - .offset:         40
        .size:           4
        .value_kind:     by_value
      - .offset:         44
        .size:           1
        .value_kind:     by_value
      - .offset:         48
        .size:           4
        .value_kind:     hidden_block_count_x
      - .offset:         52
        .size:           4
        .value_kind:     hidden_block_count_y
      - .offset:         56
        .size:           4
        .value_kind:     hidden_block_count_z
      - .offset:         60
        .size:           2
        .value_kind:     hidden_group_size_x
      - .offset:         62
        .size:           2
        .value_kind:     hidden_group_size_y
      - .offset:         64
        .size:           2
        .value_kind:     hidden_group_size_z
      - .offset:         66
        .size:           2
        .value_kind:     hidden_remainder_x
      - .offset:         68
        .size:           2
        .value_kind:     hidden_remainder_y
      - .offset:         70
        .size:           2
        .value_kind:     hidden_remainder_z
      - .offset:         88
        .size:           8
        .value_kind:     hidden_global_offset_x
      - .offset:         96
        .size:           8
        .value_kind:     hidden_global_offset_y
      - .offset:         104
        .size:           8
        .value_kind:     hidden_global_offset_z
      - .offset:         112
        .size:           2
        .value_kind:     hidden_grid_dims
    .group_segment_fixed_size: 0
    .kernarg_segment_align: 8
    .kernarg_segment_size: 304
    .language:       OpenCL C
    .language_version:
      - 2
      - 0
    .max_flat_workgroup_size: 1024
    .name:           _ZN12_GLOBAL__N_120softmax_warp_forwardIN3c108BFloat16ES2_fLi9ELb0ELb1ELi32EEEvPT0_PKT_iiiPKbib
    .private_segment_fixed_size: 0
    .sgpr_count:     41
    .sgpr_spill_count: 0
    .symbol:         _ZN12_GLOBAL__N_120softmax_warp_forwardIN3c108BFloat16ES2_fLi9ELb0ELb1ELi32EEEvPT0_PKT_iiiPKbib.kd
    .uniform_work_group_size: 1
    .uses_dynamic_stack: false
    .vgpr_count:     32
    .vgpr_spill_count: 0
    .wavefront_size: 32
    .workgroup_processor_mode: 1
  - .args:
      - .address_space:  global
        .offset:         0
        .size:           8
        .value_kind:     global_buffer
      - .address_space:  global
        .offset:         8
        .size:           8
        .value_kind:     global_buffer
      - .offset:         16
        .size:           4
        .value_kind:     by_value
      - .offset:         20
        .size:           4
        .value_kind:     by_value
      - .offset:         24
        .size:           4
        .value_kind:     by_value
      - .address_space:  global
        .offset:         32
        .size:           8
        .value_kind:     global_buffer
      - .offset:         40
        .size:           4
        .value_kind:     by_value
      - .offset:         44
        .size:           1
        .value_kind:     by_value
      - .offset:         48
        .size:           4
        .value_kind:     hidden_block_count_x
      - .offset:         52
        .size:           4
        .value_kind:     hidden_block_count_y
      - .offset:         56
        .size:           4
        .value_kind:     hidden_block_count_z
      - .offset:         60
        .size:           2
        .value_kind:     hidden_group_size_x
      - .offset:         62
        .size:           2
        .value_kind:     hidden_group_size_y
      - .offset:         64
        .size:           2
        .value_kind:     hidden_group_size_z
      - .offset:         66
        .size:           2
        .value_kind:     hidden_remainder_x
      - .offset:         68
        .size:           2
        .value_kind:     hidden_remainder_y
      - .offset:         70
        .size:           2
        .value_kind:     hidden_remainder_z
      - .offset:         88
        .size:           8
        .value_kind:     hidden_global_offset_x
      - .offset:         96
        .size:           8
        .value_kind:     hidden_global_offset_y
      - .offset:         104
        .size:           8
        .value_kind:     hidden_global_offset_z
      - .offset:         112
        .size:           2
        .value_kind:     hidden_grid_dims
    .group_segment_fixed_size: 0
    .kernarg_segment_align: 8
    .kernarg_segment_size: 304
    .language:       OpenCL C
    .language_version:
      - 2
      - 0
    .max_flat_workgroup_size: 1024
    .name:           _ZN12_GLOBAL__N_120softmax_warp_forwardIN3c108BFloat16ES2_fLi10ELb0ELb1ELi64EEEvPT0_PKT_iiiPKbib
    .private_segment_fixed_size: 0
    .sgpr_count:     41
    .sgpr_spill_count: 0
    .symbol:         _ZN12_GLOBAL__N_120softmax_warp_forwardIN3c108BFloat16ES2_fLi10ELb0ELb1ELi64EEEvPT0_PKT_iiiPKbib.kd
    .uniform_work_group_size: 1
    .uses_dynamic_stack: false
    .vgpr_count:     33
    .vgpr_spill_count: 0
    .wavefront_size: 32
    .workgroup_processor_mode: 1
  - .args:
      - .address_space:  global
        .offset:         0
        .size:           8
        .value_kind:     global_buffer
      - .address_space:  global
        .offset:         8
        .size:           8
        .value_kind:     global_buffer
      - .offset:         16
        .size:           4
        .value_kind:     by_value
      - .offset:         20
        .size:           4
        .value_kind:     by_value
      - .offset:         24
        .size:           4
        .value_kind:     by_value
      - .address_space:  global
        .offset:         32
        .size:           8
        .value_kind:     global_buffer
      - .offset:         40
        .size:           4
        .value_kind:     by_value
      - .offset:         44
        .size:           1
        .value_kind:     by_value
      - .offset:         48
        .size:           4
        .value_kind:     hidden_block_count_x
      - .offset:         52
        .size:           4
        .value_kind:     hidden_block_count_y
      - .offset:         56
        .size:           4
        .value_kind:     hidden_block_count_z
      - .offset:         60
        .size:           2
        .value_kind:     hidden_group_size_x
      - .offset:         62
        .size:           2
        .value_kind:     hidden_group_size_y
      - .offset:         64
        .size:           2
        .value_kind:     hidden_group_size_z
      - .offset:         66
        .size:           2
        .value_kind:     hidden_remainder_x
      - .offset:         68
        .size:           2
        .value_kind:     hidden_remainder_y
      - .offset:         70
        .size:           2
        .value_kind:     hidden_remainder_z
      - .offset:         88
        .size:           8
        .value_kind:     hidden_global_offset_x
      - .offset:         96
        .size:           8
        .value_kind:     hidden_global_offset_y
      - .offset:         104
        .size:           8
        .value_kind:     hidden_global_offset_z
      - .offset:         112
        .size:           2
        .value_kind:     hidden_grid_dims
    .group_segment_fixed_size: 0
    .kernarg_segment_align: 8
    .kernarg_segment_size: 304
    .language:       OpenCL C
    .language_version:
      - 2
      - 0
    .max_flat_workgroup_size: 1024
    .name:           _ZN12_GLOBAL__N_120softmax_warp_forwardIN3c108BFloat16ES2_fLi10ELb0ELb1ELi32EEEvPT0_PKT_iiiPKbib
    .private_segment_fixed_size: 0
    .sgpr_count:     73
    .sgpr_spill_count: 0
    .symbol:         _ZN12_GLOBAL__N_120softmax_warp_forwardIN3c108BFloat16ES2_fLi10ELb0ELb1ELi32EEEvPT0_PKT_iiiPKbib.kd
    .uniform_work_group_size: 1
    .uses_dynamic_stack: false
    .vgpr_count:     48
    .vgpr_spill_count: 0
    .wavefront_size: 32
    .workgroup_processor_mode: 1
  - .args:
      - .address_space:  global
        .offset:         0
        .size:           8
        .value_kind:     global_buffer
      - .address_space:  global
        .offset:         8
        .size:           8
        .value_kind:     global_buffer
      - .offset:         16
        .size:           4
        .value_kind:     by_value
      - .offset:         20
        .size:           4
        .value_kind:     by_value
      - .offset:         24
        .size:           4
        .value_kind:     by_value
      - .address_space:  global
        .offset:         32
        .size:           8
        .value_kind:     global_buffer
      - .offset:         40
        .size:           4
        .value_kind:     by_value
      - .offset:         44
        .size:           1
        .value_kind:     by_value
      - .offset:         48
        .size:           4
        .value_kind:     hidden_block_count_x
      - .offset:         52
        .size:           4
        .value_kind:     hidden_block_count_y
      - .offset:         56
        .size:           4
        .value_kind:     hidden_block_count_z
      - .offset:         60
        .size:           2
        .value_kind:     hidden_group_size_x
      - .offset:         62
        .size:           2
        .value_kind:     hidden_group_size_y
      - .offset:         64
        .size:           2
        .value_kind:     hidden_group_size_z
      - .offset:         66
        .size:           2
        .value_kind:     hidden_remainder_x
      - .offset:         68
        .size:           2
        .value_kind:     hidden_remainder_y
      - .offset:         70
        .size:           2
        .value_kind:     hidden_remainder_z
      - .offset:         88
        .size:           8
        .value_kind:     hidden_global_offset_x
      - .offset:         96
        .size:           8
        .value_kind:     hidden_global_offset_y
      - .offset:         104
        .size:           8
        .value_kind:     hidden_global_offset_z
      - .offset:         112
        .size:           2
        .value_kind:     hidden_grid_dims
    .group_segment_fixed_size: 0
    .kernarg_segment_align: 8
    .kernarg_segment_size: 304
    .language:       OpenCL C
    .language_version:
      - 2
      - 0
    .max_flat_workgroup_size: 1024
    .name:           _ZN12_GLOBAL__N_120softmax_warp_forwardIN3c108BFloat16ES2_fLi11ELb0ELb1ELi64EEEvPT0_PKT_iiiPKbib
    .private_segment_fixed_size: 0
    .sgpr_count:     73
    .sgpr_spill_count: 0
    .symbol:         _ZN12_GLOBAL__N_120softmax_warp_forwardIN3c108BFloat16ES2_fLi11ELb0ELb1ELi64EEEvPT0_PKT_iiiPKbib.kd
    .uniform_work_group_size: 1
    .uses_dynamic_stack: false
    .vgpr_count:     49
    .vgpr_spill_count: 0
    .wavefront_size: 32
    .workgroup_processor_mode: 1
  - .args:
      - .address_space:  global
        .offset:         0
        .size:           8
        .value_kind:     global_buffer
      - .address_space:  global
        .offset:         8
        .size:           8
        .value_kind:     global_buffer
      - .offset:         16
        .size:           4
        .value_kind:     by_value
      - .offset:         20
        .size:           4
        .value_kind:     by_value
      - .offset:         24
        .size:           4
        .value_kind:     by_value
      - .address_space:  global
        .offset:         32
        .size:           8
        .value_kind:     global_buffer
      - .offset:         40
        .size:           4
        .value_kind:     by_value
      - .offset:         44
        .size:           1
        .value_kind:     by_value
      - .offset:         48
        .size:           4
        .value_kind:     hidden_block_count_x
      - .offset:         52
        .size:           4
        .value_kind:     hidden_block_count_y
      - .offset:         56
        .size:           4
        .value_kind:     hidden_block_count_z
      - .offset:         60
        .size:           2
        .value_kind:     hidden_group_size_x
      - .offset:         62
        .size:           2
        .value_kind:     hidden_group_size_y
      - .offset:         64
        .size:           2
        .value_kind:     hidden_group_size_z
      - .offset:         66
        .size:           2
        .value_kind:     hidden_remainder_x
      - .offset:         68
        .size:           2
        .value_kind:     hidden_remainder_y
      - .offset:         70
        .size:           2
        .value_kind:     hidden_remainder_z
      - .offset:         88
        .size:           8
        .value_kind:     hidden_global_offset_x
      - .offset:         96
        .size:           8
        .value_kind:     hidden_global_offset_y
      - .offset:         104
        .size:           8
        .value_kind:     hidden_global_offset_z
      - .offset:         112
        .size:           2
        .value_kind:     hidden_grid_dims
    .group_segment_fixed_size: 0
    .kernarg_segment_align: 8
    .kernarg_segment_size: 304
    .language:       OpenCL C
    .language_version:
      - 2
      - 0
    .max_flat_workgroup_size: 1024
    .name:           _ZN12_GLOBAL__N_120softmax_warp_forwardIN3c108BFloat16ES2_fLi11ELb0ELb1ELi32EEEvPT0_PKT_iiiPKbib
    .private_segment_fixed_size: 0
    .sgpr_count:     107
    .sgpr_spill_count: 31
    .symbol:         _ZN12_GLOBAL__N_120softmax_warp_forwardIN3c108BFloat16ES2_fLi11ELb0ELb1ELi32EEEvPT0_PKT_iiiPKbib.kd
    .uniform_work_group_size: 1
    .uses_dynamic_stack: false
    .vgpr_count:     81
    .vgpr_spill_count: 0
    .wavefront_size: 32
    .workgroup_processor_mode: 1
  - .args:
      - .address_space:  global
        .offset:         0
        .size:           8
        .value_kind:     global_buffer
      - .address_space:  global
        .offset:         8
        .size:           8
        .value_kind:     global_buffer
      - .address_space:  global
        .offset:         16
        .size:           8
        .value_kind:     global_buffer
      - .offset:         24
        .size:           4
        .value_kind:     by_value
      - .offset:         28
        .size:           4
        .value_kind:     by_value
      - .offset:         32
        .size:           4
        .value_kind:     by_value
      - .address_space:  global
        .offset:         40
        .size:           8
        .value_kind:     global_buffer
      - .offset:         48
        .size:           4
        .value_kind:     hidden_block_count_x
      - .offset:         52
        .size:           4
        .value_kind:     hidden_block_count_y
      - .offset:         56
        .size:           4
        .value_kind:     hidden_block_count_z
      - .offset:         60
        .size:           2
        .value_kind:     hidden_group_size_x
      - .offset:         62
        .size:           2
        .value_kind:     hidden_group_size_y
      - .offset:         64
        .size:           2
        .value_kind:     hidden_group_size_z
      - .offset:         66
        .size:           2
        .value_kind:     hidden_remainder_x
      - .offset:         68
        .size:           2
        .value_kind:     hidden_remainder_y
      - .offset:         70
        .size:           2
        .value_kind:     hidden_remainder_z
      - .offset:         88
        .size:           8
        .value_kind:     hidden_global_offset_x
      - .offset:         96
        .size:           8
        .value_kind:     hidden_global_offset_y
      - .offset:         104
        .size:           8
        .value_kind:     hidden_global_offset_z
      - .offset:         112
        .size:           2
        .value_kind:     hidden_grid_dims
    .group_segment_fixed_size: 0
    .kernarg_segment_align: 8
    .kernarg_segment_size: 304
    .language:       OpenCL C
    .language_version:
      - 2
      - 0
    .max_flat_workgroup_size: 1024
    .name:           _ZN12_GLOBAL__N_121softmax_warp_backwardIdddLi0ELb0ELb1ELi64EEEvPT0_PKT_S5_iiiPKb
    .private_segment_fixed_size: 0
    .sgpr_count:     18
    .sgpr_spill_count: 0
    .symbol:         _ZN12_GLOBAL__N_121softmax_warp_backwardIdddLi0ELb0ELb1ELi64EEEvPT0_PKT_S5_iiiPKb.kd
    .uniform_work_group_size: 1
    .uses_dynamic_stack: false
    .vgpr_count:     19
    .vgpr_spill_count: 0
    .wavefront_size: 32
    .workgroup_processor_mode: 1
  - .args:
      - .address_space:  global
        .offset:         0
        .size:           8
        .value_kind:     global_buffer
      - .address_space:  global
        .offset:         8
        .size:           8
        .value_kind:     global_buffer
      - .address_space:  global
        .offset:         16
        .size:           8
        .value_kind:     global_buffer
      - .offset:         24
        .size:           4
        .value_kind:     by_value
      - .offset:         28
        .size:           4
        .value_kind:     by_value
      - .offset:         32
        .size:           4
        .value_kind:     by_value
      - .address_space:  global
        .offset:         40
        .size:           8
        .value_kind:     global_buffer
      - .offset:         48
        .size:           4
        .value_kind:     hidden_block_count_x
      - .offset:         52
        .size:           4
        .value_kind:     hidden_block_count_y
      - .offset:         56
        .size:           4
        .value_kind:     hidden_block_count_z
      - .offset:         60
        .size:           2
        .value_kind:     hidden_group_size_x
      - .offset:         62
        .size:           2
        .value_kind:     hidden_group_size_y
      - .offset:         64
        .size:           2
        .value_kind:     hidden_group_size_z
      - .offset:         66
        .size:           2
        .value_kind:     hidden_remainder_x
      - .offset:         68
        .size:           2
        .value_kind:     hidden_remainder_y
      - .offset:         70
        .size:           2
        .value_kind:     hidden_remainder_z
      - .offset:         88
        .size:           8
        .value_kind:     hidden_global_offset_x
      - .offset:         96
        .size:           8
        .value_kind:     hidden_global_offset_y
      - .offset:         104
        .size:           8
        .value_kind:     hidden_global_offset_z
      - .offset:         112
        .size:           2
        .value_kind:     hidden_grid_dims
    .group_segment_fixed_size: 0
    .kernarg_segment_align: 8
    .kernarg_segment_size: 304
    .language:       OpenCL C
    .language_version:
      - 2
      - 0
    .max_flat_workgroup_size: 1024
    .name:           _ZN12_GLOBAL__N_121softmax_warp_backwardIdddLi0ELb0ELb1ELi32EEEvPT0_PKT_S5_iiiPKb
    .private_segment_fixed_size: 0
    .sgpr_count:     18
    .sgpr_spill_count: 0
    .symbol:         _ZN12_GLOBAL__N_121softmax_warp_backwardIdddLi0ELb0ELb1ELi32EEEvPT0_PKT_S5_iiiPKb.kd
    .uniform_work_group_size: 1
    .uses_dynamic_stack: false
    .vgpr_count:     19
    .vgpr_spill_count: 0
    .wavefront_size: 32
    .workgroup_processor_mode: 1
  - .args:
      - .address_space:  global
        .offset:         0
        .size:           8
        .value_kind:     global_buffer
      - .address_space:  global
        .offset:         8
        .size:           8
        .value_kind:     global_buffer
      - .address_space:  global
        .offset:         16
        .size:           8
        .value_kind:     global_buffer
      - .offset:         24
        .size:           4
        .value_kind:     by_value
      - .offset:         28
        .size:           4
        .value_kind:     by_value
      - .offset:         32
        .size:           4
        .value_kind:     by_value
      - .address_space:  global
        .offset:         40
        .size:           8
        .value_kind:     global_buffer
      - .offset:         48
        .size:           4
        .value_kind:     hidden_block_count_x
      - .offset:         52
        .size:           4
        .value_kind:     hidden_block_count_y
      - .offset:         56
        .size:           4
        .value_kind:     hidden_block_count_z
      - .offset:         60
        .size:           2
        .value_kind:     hidden_group_size_x
      - .offset:         62
        .size:           2
        .value_kind:     hidden_group_size_y
      - .offset:         64
        .size:           2
        .value_kind:     hidden_group_size_z
      - .offset:         66
        .size:           2
        .value_kind:     hidden_remainder_x
      - .offset:         68
        .size:           2
        .value_kind:     hidden_remainder_y
      - .offset:         70
        .size:           2
        .value_kind:     hidden_remainder_z
      - .offset:         88
        .size:           8
        .value_kind:     hidden_global_offset_x
      - .offset:         96
        .size:           8
        .value_kind:     hidden_global_offset_y
      - .offset:         104
        .size:           8
        .value_kind:     hidden_global_offset_z
      - .offset:         112
        .size:           2
        .value_kind:     hidden_grid_dims
    .group_segment_fixed_size: 0
    .kernarg_segment_align: 8
    .kernarg_segment_size: 304
    .language:       OpenCL C
    .language_version:
      - 2
      - 0
    .max_flat_workgroup_size: 1024
    .name:           _ZN12_GLOBAL__N_121softmax_warp_backwardIdddLi1ELb0ELb1ELi64EEEvPT0_PKT_S5_iiiPKb
    .private_segment_fixed_size: 0
    .sgpr_count:     18
    .sgpr_spill_count: 0
    .symbol:         _ZN12_GLOBAL__N_121softmax_warp_backwardIdddLi1ELb0ELb1ELi64EEEvPT0_PKT_S5_iiiPKb.kd
    .uniform_work_group_size: 1
    .uses_dynamic_stack: false
    .vgpr_count:     20
    .vgpr_spill_count: 0
    .wavefront_size: 32
    .workgroup_processor_mode: 1
  - .args:
      - .address_space:  global
        .offset:         0
        .size:           8
        .value_kind:     global_buffer
      - .address_space:  global
        .offset:         8
        .size:           8
        .value_kind:     global_buffer
      - .address_space:  global
        .offset:         16
        .size:           8
        .value_kind:     global_buffer
      - .offset:         24
        .size:           4
        .value_kind:     by_value
      - .offset:         28
        .size:           4
        .value_kind:     by_value
      - .offset:         32
        .size:           4
        .value_kind:     by_value
      - .address_space:  global
        .offset:         40
        .size:           8
        .value_kind:     global_buffer
      - .offset:         48
        .size:           4
        .value_kind:     hidden_block_count_x
      - .offset:         52
        .size:           4
        .value_kind:     hidden_block_count_y
      - .offset:         56
        .size:           4
        .value_kind:     hidden_block_count_z
      - .offset:         60
        .size:           2
        .value_kind:     hidden_group_size_x
      - .offset:         62
        .size:           2
        .value_kind:     hidden_group_size_y
      - .offset:         64
        .size:           2
        .value_kind:     hidden_group_size_z
      - .offset:         66
        .size:           2
        .value_kind:     hidden_remainder_x
      - .offset:         68
        .size:           2
        .value_kind:     hidden_remainder_y
      - .offset:         70
        .size:           2
        .value_kind:     hidden_remainder_z
      - .offset:         88
        .size:           8
        .value_kind:     hidden_global_offset_x
      - .offset:         96
        .size:           8
        .value_kind:     hidden_global_offset_y
      - .offset:         104
        .size:           8
        .value_kind:     hidden_global_offset_z
      - .offset:         112
        .size:           2
        .value_kind:     hidden_grid_dims
    .group_segment_fixed_size: 0
    .kernarg_segment_align: 8
    .kernarg_segment_size: 304
    .language:       OpenCL C
    .language_version:
      - 2
      - 0
    .max_flat_workgroup_size: 1024
    .name:           _ZN12_GLOBAL__N_121softmax_warp_backwardIdddLi1ELb0ELb1ELi32EEEvPT0_PKT_S5_iiiPKb
    .private_segment_fixed_size: 0
    .sgpr_count:     18
    .sgpr_spill_count: 0
    .symbol:         _ZN12_GLOBAL__N_121softmax_warp_backwardIdddLi1ELb0ELb1ELi32EEEvPT0_PKT_S5_iiiPKb.kd
    .uniform_work_group_size: 1
    .uses_dynamic_stack: false
    .vgpr_count:     20
    .vgpr_spill_count: 0
    .wavefront_size: 32
    .workgroup_processor_mode: 1
  - .args:
      - .address_space:  global
        .offset:         0
        .size:           8
        .value_kind:     global_buffer
      - .address_space:  global
        .offset:         8
        .size:           8
        .value_kind:     global_buffer
      - .address_space:  global
        .offset:         16
        .size:           8
        .value_kind:     global_buffer
      - .offset:         24
        .size:           4
        .value_kind:     by_value
      - .offset:         28
        .size:           4
        .value_kind:     by_value
      - .offset:         32
        .size:           4
        .value_kind:     by_value
      - .address_space:  global
        .offset:         40
        .size:           8
        .value_kind:     global_buffer
      - .offset:         48
        .size:           4
        .value_kind:     hidden_block_count_x
      - .offset:         52
        .size:           4
        .value_kind:     hidden_block_count_y
      - .offset:         56
        .size:           4
        .value_kind:     hidden_block_count_z
      - .offset:         60
        .size:           2
        .value_kind:     hidden_group_size_x
      - .offset:         62
        .size:           2
        .value_kind:     hidden_group_size_y
      - .offset:         64
        .size:           2
        .value_kind:     hidden_group_size_z
      - .offset:         66
        .size:           2
        .value_kind:     hidden_remainder_x
      - .offset:         68
        .size:           2
        .value_kind:     hidden_remainder_y
      - .offset:         70
        .size:           2
        .value_kind:     hidden_remainder_z
      - .offset:         88
        .size:           8
        .value_kind:     hidden_global_offset_x
      - .offset:         96
        .size:           8
        .value_kind:     hidden_global_offset_y
      - .offset:         104
        .size:           8
        .value_kind:     hidden_global_offset_z
      - .offset:         112
        .size:           2
        .value_kind:     hidden_grid_dims
    .group_segment_fixed_size: 0
    .kernarg_segment_align: 8
    .kernarg_segment_size: 304
    .language:       OpenCL C
    .language_version:
      - 2
      - 0
    .max_flat_workgroup_size: 1024
    .name:           _ZN12_GLOBAL__N_121softmax_warp_backwardIdddLi2ELb0ELb1ELi64EEEvPT0_PKT_S5_iiiPKb
    .private_segment_fixed_size: 0
    .sgpr_count:     18
    .sgpr_spill_count: 0
    .symbol:         _ZN12_GLOBAL__N_121softmax_warp_backwardIdddLi2ELb0ELb1ELi64EEEvPT0_PKT_S5_iiiPKb.kd
    .uniform_work_group_size: 1
    .uses_dynamic_stack: false
    .vgpr_count:     21
    .vgpr_spill_count: 0
    .wavefront_size: 32
    .workgroup_processor_mode: 1
  - .args:
      - .address_space:  global
        .offset:         0
        .size:           8
        .value_kind:     global_buffer
      - .address_space:  global
        .offset:         8
        .size:           8
        .value_kind:     global_buffer
      - .address_space:  global
        .offset:         16
        .size:           8
        .value_kind:     global_buffer
      - .offset:         24
        .size:           4
        .value_kind:     by_value
      - .offset:         28
        .size:           4
        .value_kind:     by_value
      - .offset:         32
        .size:           4
        .value_kind:     by_value
      - .address_space:  global
        .offset:         40
        .size:           8
        .value_kind:     global_buffer
      - .offset:         48
        .size:           4
        .value_kind:     hidden_block_count_x
      - .offset:         52
        .size:           4
        .value_kind:     hidden_block_count_y
      - .offset:         56
        .size:           4
        .value_kind:     hidden_block_count_z
      - .offset:         60
        .size:           2
        .value_kind:     hidden_group_size_x
      - .offset:         62
        .size:           2
        .value_kind:     hidden_group_size_y
      - .offset:         64
        .size:           2
        .value_kind:     hidden_group_size_z
      - .offset:         66
        .size:           2
        .value_kind:     hidden_remainder_x
      - .offset:         68
        .size:           2
        .value_kind:     hidden_remainder_y
      - .offset:         70
        .size:           2
        .value_kind:     hidden_remainder_z
      - .offset:         88
        .size:           8
        .value_kind:     hidden_global_offset_x
      - .offset:         96
        .size:           8
        .value_kind:     hidden_global_offset_y
      - .offset:         104
        .size:           8
        .value_kind:     hidden_global_offset_z
      - .offset:         112
        .size:           2
        .value_kind:     hidden_grid_dims
    .group_segment_fixed_size: 0
    .kernarg_segment_align: 8
    .kernarg_segment_size: 304
    .language:       OpenCL C
    .language_version:
      - 2
      - 0
    .max_flat_workgroup_size: 1024
    .name:           _ZN12_GLOBAL__N_121softmax_warp_backwardIdddLi2ELb0ELb1ELi32EEEvPT0_PKT_S5_iiiPKb
    .private_segment_fixed_size: 0
    .sgpr_count:     18
    .sgpr_spill_count: 0
    .symbol:         _ZN12_GLOBAL__N_121softmax_warp_backwardIdddLi2ELb0ELb1ELi32EEEvPT0_PKT_S5_iiiPKb.kd
    .uniform_work_group_size: 1
    .uses_dynamic_stack: false
    .vgpr_count:     21
    .vgpr_spill_count: 0
    .wavefront_size: 32
    .workgroup_processor_mode: 1
  - .args:
      - .address_space:  global
        .offset:         0
        .size:           8
        .value_kind:     global_buffer
      - .address_space:  global
        .offset:         8
        .size:           8
        .value_kind:     global_buffer
      - .address_space:  global
        .offset:         16
        .size:           8
        .value_kind:     global_buffer
      - .offset:         24
        .size:           4
        .value_kind:     by_value
      - .offset:         28
        .size:           4
        .value_kind:     by_value
      - .offset:         32
        .size:           4
        .value_kind:     by_value
      - .address_space:  global
        .offset:         40
        .size:           8
        .value_kind:     global_buffer
      - .offset:         48
        .size:           4
        .value_kind:     hidden_block_count_x
      - .offset:         52
        .size:           4
        .value_kind:     hidden_block_count_y
      - .offset:         56
        .size:           4
        .value_kind:     hidden_block_count_z
      - .offset:         60
        .size:           2
        .value_kind:     hidden_group_size_x
      - .offset:         62
        .size:           2
        .value_kind:     hidden_group_size_y
      - .offset:         64
        .size:           2
        .value_kind:     hidden_group_size_z
      - .offset:         66
        .size:           2
        .value_kind:     hidden_remainder_x
      - .offset:         68
        .size:           2
        .value_kind:     hidden_remainder_y
      - .offset:         70
        .size:           2
        .value_kind:     hidden_remainder_z
      - .offset:         88
        .size:           8
        .value_kind:     hidden_global_offset_x
      - .offset:         96
        .size:           8
        .value_kind:     hidden_global_offset_y
      - .offset:         104
        .size:           8
        .value_kind:     hidden_global_offset_z
      - .offset:         112
        .size:           2
        .value_kind:     hidden_grid_dims
    .group_segment_fixed_size: 0
    .kernarg_segment_align: 8
    .kernarg_segment_size: 304
    .language:       OpenCL C
    .language_version:
      - 2
      - 0
    .max_flat_workgroup_size: 1024
    .name:           _ZN12_GLOBAL__N_121softmax_warp_backwardIdddLi3ELb0ELb1ELi64EEEvPT0_PKT_S5_iiiPKb
    .private_segment_fixed_size: 0
    .sgpr_count:     18
    .sgpr_spill_count: 0
    .symbol:         _ZN12_GLOBAL__N_121softmax_warp_backwardIdddLi3ELb0ELb1ELi64EEEvPT0_PKT_S5_iiiPKb.kd
    .uniform_work_group_size: 1
    .uses_dynamic_stack: false
    .vgpr_count:     21
    .vgpr_spill_count: 0
    .wavefront_size: 32
    .workgroup_processor_mode: 1
  - .args:
      - .address_space:  global
        .offset:         0
        .size:           8
        .value_kind:     global_buffer
      - .address_space:  global
        .offset:         8
        .size:           8
        .value_kind:     global_buffer
      - .address_space:  global
        .offset:         16
        .size:           8
        .value_kind:     global_buffer
      - .offset:         24
        .size:           4
        .value_kind:     by_value
      - .offset:         28
        .size:           4
        .value_kind:     by_value
      - .offset:         32
        .size:           4
        .value_kind:     by_value
      - .address_space:  global
        .offset:         40
        .size:           8
        .value_kind:     global_buffer
      - .offset:         48
        .size:           4
        .value_kind:     hidden_block_count_x
      - .offset:         52
        .size:           4
        .value_kind:     hidden_block_count_y
      - .offset:         56
        .size:           4
        .value_kind:     hidden_block_count_z
      - .offset:         60
        .size:           2
        .value_kind:     hidden_group_size_x
      - .offset:         62
        .size:           2
        .value_kind:     hidden_group_size_y
      - .offset:         64
        .size:           2
        .value_kind:     hidden_group_size_z
      - .offset:         66
        .size:           2
        .value_kind:     hidden_remainder_x
      - .offset:         68
        .size:           2
        .value_kind:     hidden_remainder_y
      - .offset:         70
        .size:           2
        .value_kind:     hidden_remainder_z
      - .offset:         88
        .size:           8
        .value_kind:     hidden_global_offset_x
      - .offset:         96
        .size:           8
        .value_kind:     hidden_global_offset_y
      - .offset:         104
        .size:           8
        .value_kind:     hidden_global_offset_z
      - .offset:         112
        .size:           2
        .value_kind:     hidden_grid_dims
    .group_segment_fixed_size: 0
    .kernarg_segment_align: 8
    .kernarg_segment_size: 304
    .language:       OpenCL C
    .language_version:
      - 2
      - 0
    .max_flat_workgroup_size: 1024
    .name:           _ZN12_GLOBAL__N_121softmax_warp_backwardIdddLi3ELb0ELb1ELi32EEEvPT0_PKT_S5_iiiPKb
    .private_segment_fixed_size: 0
    .sgpr_count:     18
    .sgpr_spill_count: 0
    .symbol:         _ZN12_GLOBAL__N_121softmax_warp_backwardIdddLi3ELb0ELb1ELi32EEEvPT0_PKT_S5_iiiPKb.kd
    .uniform_work_group_size: 1
    .uses_dynamic_stack: false
    .vgpr_count:     21
    .vgpr_spill_count: 0
    .wavefront_size: 32
    .workgroup_processor_mode: 1
  - .args:
      - .address_space:  global
        .offset:         0
        .size:           8
        .value_kind:     global_buffer
      - .address_space:  global
        .offset:         8
        .size:           8
        .value_kind:     global_buffer
      - .address_space:  global
        .offset:         16
        .size:           8
        .value_kind:     global_buffer
      - .offset:         24
        .size:           4
        .value_kind:     by_value
      - .offset:         28
        .size:           4
        .value_kind:     by_value
      - .offset:         32
        .size:           4
        .value_kind:     by_value
      - .address_space:  global
        .offset:         40
        .size:           8
        .value_kind:     global_buffer
      - .offset:         48
        .size:           4
        .value_kind:     hidden_block_count_x
      - .offset:         52
        .size:           4
        .value_kind:     hidden_block_count_y
      - .offset:         56
        .size:           4
        .value_kind:     hidden_block_count_z
      - .offset:         60
        .size:           2
        .value_kind:     hidden_group_size_x
      - .offset:         62
        .size:           2
        .value_kind:     hidden_group_size_y
      - .offset:         64
        .size:           2
        .value_kind:     hidden_group_size_z
      - .offset:         66
        .size:           2
        .value_kind:     hidden_remainder_x
      - .offset:         68
        .size:           2
        .value_kind:     hidden_remainder_y
      - .offset:         70
        .size:           2
        .value_kind:     hidden_remainder_z
      - .offset:         88
        .size:           8
        .value_kind:     hidden_global_offset_x
      - .offset:         96
        .size:           8
        .value_kind:     hidden_global_offset_y
      - .offset:         104
        .size:           8
        .value_kind:     hidden_global_offset_z
      - .offset:         112
        .size:           2
        .value_kind:     hidden_grid_dims
    .group_segment_fixed_size: 0
    .kernarg_segment_align: 8
    .kernarg_segment_size: 304
    .language:       OpenCL C
    .language_version:
      - 2
      - 0
    .max_flat_workgroup_size: 1024
    .name:           _ZN12_GLOBAL__N_121softmax_warp_backwardIdddLi4ELb0ELb1ELi64EEEvPT0_PKT_S5_iiiPKb
    .private_segment_fixed_size: 0
    .sgpr_count:     18
    .sgpr_spill_count: 0
    .symbol:         _ZN12_GLOBAL__N_121softmax_warp_backwardIdddLi4ELb0ELb1ELi64EEEvPT0_PKT_S5_iiiPKb.kd
    .uniform_work_group_size: 1
    .uses_dynamic_stack: false
    .vgpr_count:     25
    .vgpr_spill_count: 0
    .wavefront_size: 32
    .workgroup_processor_mode: 1
  - .args:
      - .address_space:  global
        .offset:         0
        .size:           8
        .value_kind:     global_buffer
      - .address_space:  global
        .offset:         8
        .size:           8
        .value_kind:     global_buffer
      - .address_space:  global
        .offset:         16
        .size:           8
        .value_kind:     global_buffer
      - .offset:         24
        .size:           4
        .value_kind:     by_value
      - .offset:         28
        .size:           4
        .value_kind:     by_value
      - .offset:         32
        .size:           4
        .value_kind:     by_value
      - .address_space:  global
        .offset:         40
        .size:           8
        .value_kind:     global_buffer
      - .offset:         48
        .size:           4
        .value_kind:     hidden_block_count_x
      - .offset:         52
        .size:           4
        .value_kind:     hidden_block_count_y
      - .offset:         56
        .size:           4
        .value_kind:     hidden_block_count_z
      - .offset:         60
        .size:           2
        .value_kind:     hidden_group_size_x
      - .offset:         62
        .size:           2
        .value_kind:     hidden_group_size_y
      - .offset:         64
        .size:           2
        .value_kind:     hidden_group_size_z
      - .offset:         66
        .size:           2
        .value_kind:     hidden_remainder_x
      - .offset:         68
        .size:           2
        .value_kind:     hidden_remainder_y
      - .offset:         70
        .size:           2
        .value_kind:     hidden_remainder_z
      - .offset:         88
        .size:           8
        .value_kind:     hidden_global_offset_x
      - .offset:         96
        .size:           8
        .value_kind:     hidden_global_offset_y
      - .offset:         104
        .size:           8
        .value_kind:     hidden_global_offset_z
      - .offset:         112
        .size:           2
        .value_kind:     hidden_grid_dims
    .group_segment_fixed_size: 0
    .kernarg_segment_align: 8
    .kernarg_segment_size: 304
    .language:       OpenCL C
    .language_version:
      - 2
      - 0
    .max_flat_workgroup_size: 1024
    .name:           _ZN12_GLOBAL__N_121softmax_warp_backwardIdddLi4ELb0ELb1ELi32EEEvPT0_PKT_S5_iiiPKb
    .private_segment_fixed_size: 0
    .sgpr_count:     18
    .sgpr_spill_count: 0
    .symbol:         _ZN12_GLOBAL__N_121softmax_warp_backwardIdddLi4ELb0ELb1ELi32EEEvPT0_PKT_S5_iiiPKb.kd
    .uniform_work_group_size: 1
    .uses_dynamic_stack: false
    .vgpr_count:     25
    .vgpr_spill_count: 0
    .wavefront_size: 32
    .workgroup_processor_mode: 1
  - .args:
      - .address_space:  global
        .offset:         0
        .size:           8
        .value_kind:     global_buffer
      - .address_space:  global
        .offset:         8
        .size:           8
        .value_kind:     global_buffer
      - .address_space:  global
        .offset:         16
        .size:           8
        .value_kind:     global_buffer
      - .offset:         24
        .size:           4
        .value_kind:     by_value
      - .offset:         28
        .size:           4
        .value_kind:     by_value
      - .offset:         32
        .size:           4
        .value_kind:     by_value
      - .address_space:  global
        .offset:         40
        .size:           8
        .value_kind:     global_buffer
      - .offset:         48
        .size:           4
        .value_kind:     hidden_block_count_x
      - .offset:         52
        .size:           4
        .value_kind:     hidden_block_count_y
      - .offset:         56
        .size:           4
        .value_kind:     hidden_block_count_z
      - .offset:         60
        .size:           2
        .value_kind:     hidden_group_size_x
      - .offset:         62
        .size:           2
        .value_kind:     hidden_group_size_y
      - .offset:         64
        .size:           2
        .value_kind:     hidden_group_size_z
      - .offset:         66
        .size:           2
        .value_kind:     hidden_remainder_x
      - .offset:         68
        .size:           2
        .value_kind:     hidden_remainder_y
      - .offset:         70
        .size:           2
        .value_kind:     hidden_remainder_z
      - .offset:         88
        .size:           8
        .value_kind:     hidden_global_offset_x
      - .offset:         96
        .size:           8
        .value_kind:     hidden_global_offset_y
      - .offset:         104
        .size:           8
        .value_kind:     hidden_global_offset_z
      - .offset:         112
        .size:           2
        .value_kind:     hidden_grid_dims
    .group_segment_fixed_size: 0
    .kernarg_segment_align: 8
    .kernarg_segment_size: 304
    .language:       OpenCL C
    .language_version:
      - 2
      - 0
    .max_flat_workgroup_size: 1024
    .name:           _ZN12_GLOBAL__N_121softmax_warp_backwardIdddLi5ELb0ELb1ELi64EEEvPT0_PKT_S5_iiiPKb
    .private_segment_fixed_size: 0
    .sgpr_count:     18
    .sgpr_spill_count: 0
    .symbol:         _ZN12_GLOBAL__N_121softmax_warp_backwardIdddLi5ELb0ELb1ELi64EEEvPT0_PKT_S5_iiiPKb.kd
    .uniform_work_group_size: 1
    .uses_dynamic_stack: false
    .vgpr_count:     24
    .vgpr_spill_count: 0
    .wavefront_size: 32
    .workgroup_processor_mode: 1
  - .args:
      - .address_space:  global
        .offset:         0
        .size:           8
        .value_kind:     global_buffer
      - .address_space:  global
        .offset:         8
        .size:           8
        .value_kind:     global_buffer
      - .address_space:  global
        .offset:         16
        .size:           8
        .value_kind:     global_buffer
      - .offset:         24
        .size:           4
        .value_kind:     by_value
      - .offset:         28
        .size:           4
        .value_kind:     by_value
      - .offset:         32
        .size:           4
        .value_kind:     by_value
      - .address_space:  global
        .offset:         40
        .size:           8
        .value_kind:     global_buffer
      - .offset:         48
        .size:           4
        .value_kind:     hidden_block_count_x
      - .offset:         52
        .size:           4
        .value_kind:     hidden_block_count_y
      - .offset:         56
        .size:           4
        .value_kind:     hidden_block_count_z
      - .offset:         60
        .size:           2
        .value_kind:     hidden_group_size_x
      - .offset:         62
        .size:           2
        .value_kind:     hidden_group_size_y
      - .offset:         64
        .size:           2
        .value_kind:     hidden_group_size_z
      - .offset:         66
        .size:           2
        .value_kind:     hidden_remainder_x
      - .offset:         68
        .size:           2
        .value_kind:     hidden_remainder_y
      - .offset:         70
        .size:           2
        .value_kind:     hidden_remainder_z
      - .offset:         88
        .size:           8
        .value_kind:     hidden_global_offset_x
      - .offset:         96
        .size:           8
        .value_kind:     hidden_global_offset_y
      - .offset:         104
        .size:           8
        .value_kind:     hidden_global_offset_z
      - .offset:         112
        .size:           2
        .value_kind:     hidden_grid_dims
    .group_segment_fixed_size: 0
    .kernarg_segment_align: 8
    .kernarg_segment_size: 304
    .language:       OpenCL C
    .language_version:
      - 2
      - 0
    .max_flat_workgroup_size: 1024
    .name:           _ZN12_GLOBAL__N_121softmax_warp_backwardIdddLi5ELb0ELb1ELi32EEEvPT0_PKT_S5_iiiPKb
    .private_segment_fixed_size: 0
    .sgpr_count:     18
    .sgpr_spill_count: 0
    .symbol:         _ZN12_GLOBAL__N_121softmax_warp_backwardIdddLi5ELb0ELb1ELi32EEEvPT0_PKT_S5_iiiPKb.kd
    .uniform_work_group_size: 1
    .uses_dynamic_stack: false
    .vgpr_count:     24
    .vgpr_spill_count: 0
    .wavefront_size: 32
    .workgroup_processor_mode: 1
  - .args:
      - .address_space:  global
        .offset:         0
        .size:           8
        .value_kind:     global_buffer
      - .address_space:  global
        .offset:         8
        .size:           8
        .value_kind:     global_buffer
      - .address_space:  global
        .offset:         16
        .size:           8
        .value_kind:     global_buffer
      - .offset:         24
        .size:           4
        .value_kind:     by_value
      - .offset:         28
        .size:           4
        .value_kind:     by_value
      - .offset:         32
        .size:           4
        .value_kind:     by_value
      - .address_space:  global
        .offset:         40
        .size:           8
        .value_kind:     global_buffer
      - .offset:         48
        .size:           4
        .value_kind:     hidden_block_count_x
      - .offset:         52
        .size:           4
        .value_kind:     hidden_block_count_y
      - .offset:         56
        .size:           4
        .value_kind:     hidden_block_count_z
      - .offset:         60
        .size:           2
        .value_kind:     hidden_group_size_x
      - .offset:         62
        .size:           2
        .value_kind:     hidden_group_size_y
      - .offset:         64
        .size:           2
        .value_kind:     hidden_group_size_z
      - .offset:         66
        .size:           2
        .value_kind:     hidden_remainder_x
      - .offset:         68
        .size:           2
        .value_kind:     hidden_remainder_y
      - .offset:         70
        .size:           2
        .value_kind:     hidden_remainder_z
      - .offset:         88
        .size:           8
        .value_kind:     hidden_global_offset_x
      - .offset:         96
        .size:           8
        .value_kind:     hidden_global_offset_y
      - .offset:         104
        .size:           8
        .value_kind:     hidden_global_offset_z
      - .offset:         112
        .size:           2
        .value_kind:     hidden_grid_dims
    .group_segment_fixed_size: 0
    .kernarg_segment_align: 8
    .kernarg_segment_size: 304
    .language:       OpenCL C
    .language_version:
      - 2
      - 0
    .max_flat_workgroup_size: 1024
    .name:           _ZN12_GLOBAL__N_121softmax_warp_backwardIdddLi6ELb0ELb1ELi64EEEvPT0_PKT_S5_iiiPKb
    .private_segment_fixed_size: 0
    .sgpr_count:     18
    .sgpr_spill_count: 0
    .symbol:         _ZN12_GLOBAL__N_121softmax_warp_backwardIdddLi6ELb0ELb1ELi64EEEvPT0_PKT_S5_iiiPKb.kd
    .uniform_work_group_size: 1
    .uses_dynamic_stack: false
    .vgpr_count:     24
    .vgpr_spill_count: 0
    .wavefront_size: 32
    .workgroup_processor_mode: 1
  - .args:
      - .address_space:  global
        .offset:         0
        .size:           8
        .value_kind:     global_buffer
      - .address_space:  global
        .offset:         8
        .size:           8
        .value_kind:     global_buffer
      - .address_space:  global
        .offset:         16
        .size:           8
        .value_kind:     global_buffer
      - .offset:         24
        .size:           4
        .value_kind:     by_value
      - .offset:         28
        .size:           4
        .value_kind:     by_value
      - .offset:         32
        .size:           4
        .value_kind:     by_value
      - .address_space:  global
        .offset:         40
        .size:           8
        .value_kind:     global_buffer
      - .offset:         48
        .size:           4
        .value_kind:     hidden_block_count_x
      - .offset:         52
        .size:           4
        .value_kind:     hidden_block_count_y
      - .offset:         56
        .size:           4
        .value_kind:     hidden_block_count_z
      - .offset:         60
        .size:           2
        .value_kind:     hidden_group_size_x
      - .offset:         62
        .size:           2
        .value_kind:     hidden_group_size_y
      - .offset:         64
        .size:           2
        .value_kind:     hidden_group_size_z
      - .offset:         66
        .size:           2
        .value_kind:     hidden_remainder_x
      - .offset:         68
        .size:           2
        .value_kind:     hidden_remainder_y
      - .offset:         70
        .size:           2
        .value_kind:     hidden_remainder_z
      - .offset:         88
        .size:           8
        .value_kind:     hidden_global_offset_x
      - .offset:         96
        .size:           8
        .value_kind:     hidden_global_offset_y
      - .offset:         104
        .size:           8
        .value_kind:     hidden_global_offset_z
      - .offset:         112
        .size:           2
        .value_kind:     hidden_grid_dims
    .group_segment_fixed_size: 0
    .kernarg_segment_align: 8
    .kernarg_segment_size: 304
    .language:       OpenCL C
    .language_version:
      - 2
      - 0
    .max_flat_workgroup_size: 1024
    .name:           _ZN12_GLOBAL__N_121softmax_warp_backwardIdddLi6ELb0ELb1ELi32EEEvPT0_PKT_S5_iiiPKb
    .private_segment_fixed_size: 0
    .sgpr_count:     18
    .sgpr_spill_count: 0
    .symbol:         _ZN12_GLOBAL__N_121softmax_warp_backwardIdddLi6ELb0ELb1ELi32EEEvPT0_PKT_S5_iiiPKb.kd
    .uniform_work_group_size: 1
    .uses_dynamic_stack: false
    .vgpr_count:     34
    .vgpr_spill_count: 0
    .wavefront_size: 32
    .workgroup_processor_mode: 1
  - .args:
      - .address_space:  global
        .offset:         0
        .size:           8
        .value_kind:     global_buffer
      - .address_space:  global
        .offset:         8
        .size:           8
        .value_kind:     global_buffer
      - .address_space:  global
        .offset:         16
        .size:           8
        .value_kind:     global_buffer
      - .offset:         24
        .size:           4
        .value_kind:     by_value
      - .offset:         28
        .size:           4
        .value_kind:     by_value
      - .offset:         32
        .size:           4
        .value_kind:     by_value
      - .address_space:  global
        .offset:         40
        .size:           8
        .value_kind:     global_buffer
      - .offset:         48
        .size:           4
        .value_kind:     hidden_block_count_x
      - .offset:         52
        .size:           4
        .value_kind:     hidden_block_count_y
      - .offset:         56
        .size:           4
        .value_kind:     hidden_block_count_z
      - .offset:         60
        .size:           2
        .value_kind:     hidden_group_size_x
      - .offset:         62
        .size:           2
        .value_kind:     hidden_group_size_y
      - .offset:         64
        .size:           2
        .value_kind:     hidden_group_size_z
      - .offset:         66
        .size:           2
        .value_kind:     hidden_remainder_x
      - .offset:         68
        .size:           2
        .value_kind:     hidden_remainder_y
      - .offset:         70
        .size:           2
        .value_kind:     hidden_remainder_z
      - .offset:         88
        .size:           8
        .value_kind:     hidden_global_offset_x
      - .offset:         96
        .size:           8
        .value_kind:     hidden_global_offset_y
      - .offset:         104
        .size:           8
        .value_kind:     hidden_global_offset_z
      - .offset:         112
        .size:           2
        .value_kind:     hidden_grid_dims
    .group_segment_fixed_size: 0
    .kernarg_segment_align: 8
    .kernarg_segment_size: 304
    .language:       OpenCL C
    .language_version:
      - 2
      - 0
    .max_flat_workgroup_size: 1024
    .name:           _ZN12_GLOBAL__N_121softmax_warp_backwardIdddLi7ELb0ELb1ELi64EEEvPT0_PKT_S5_iiiPKb
    .private_segment_fixed_size: 0
    .sgpr_count:     18
    .sgpr_spill_count: 0
    .symbol:         _ZN12_GLOBAL__N_121softmax_warp_backwardIdddLi7ELb0ELb1ELi64EEEvPT0_PKT_S5_iiiPKb.kd
    .uniform_work_group_size: 1
    .uses_dynamic_stack: false
    .vgpr_count:     34
    .vgpr_spill_count: 0
    .wavefront_size: 32
    .workgroup_processor_mode: 1
  - .args:
      - .address_space:  global
        .offset:         0
        .size:           8
        .value_kind:     global_buffer
      - .address_space:  global
        .offset:         8
        .size:           8
        .value_kind:     global_buffer
      - .address_space:  global
        .offset:         16
        .size:           8
        .value_kind:     global_buffer
      - .offset:         24
        .size:           4
        .value_kind:     by_value
      - .offset:         28
        .size:           4
        .value_kind:     by_value
      - .offset:         32
        .size:           4
        .value_kind:     by_value
      - .address_space:  global
        .offset:         40
        .size:           8
        .value_kind:     global_buffer
      - .offset:         48
        .size:           4
        .value_kind:     hidden_block_count_x
      - .offset:         52
        .size:           4
        .value_kind:     hidden_block_count_y
      - .offset:         56
        .size:           4
        .value_kind:     hidden_block_count_z
      - .offset:         60
        .size:           2
        .value_kind:     hidden_group_size_x
      - .offset:         62
        .size:           2
        .value_kind:     hidden_group_size_y
      - .offset:         64
        .size:           2
        .value_kind:     hidden_group_size_z
      - .offset:         66
        .size:           2
        .value_kind:     hidden_remainder_x
      - .offset:         68
        .size:           2
        .value_kind:     hidden_remainder_y
      - .offset:         70
        .size:           2
        .value_kind:     hidden_remainder_z
      - .offset:         88
        .size:           8
        .value_kind:     hidden_global_offset_x
      - .offset:         96
        .size:           8
        .value_kind:     hidden_global_offset_y
      - .offset:         104
        .size:           8
        .value_kind:     hidden_global_offset_z
      - .offset:         112
        .size:           2
        .value_kind:     hidden_grid_dims
    .group_segment_fixed_size: 0
    .kernarg_segment_align: 8
    .kernarg_segment_size: 304
    .language:       OpenCL C
    .language_version:
      - 2
      - 0
    .max_flat_workgroup_size: 1024
    .name:           _ZN12_GLOBAL__N_121softmax_warp_backwardIdddLi7ELb0ELb1ELi32EEEvPT0_PKT_S5_iiiPKb
    .private_segment_fixed_size: 0
    .sgpr_count:     18
    .sgpr_spill_count: 0
    .symbol:         _ZN12_GLOBAL__N_121softmax_warp_backwardIdddLi7ELb0ELb1ELi32EEEvPT0_PKT_S5_iiiPKb.kd
    .uniform_work_group_size: 1
    .uses_dynamic_stack: false
    .vgpr_count:     53
    .vgpr_spill_count: 0
    .wavefront_size: 32
    .workgroup_processor_mode: 1
  - .args:
      - .address_space:  global
        .offset:         0
        .size:           8
        .value_kind:     global_buffer
      - .address_space:  global
        .offset:         8
        .size:           8
        .value_kind:     global_buffer
      - .address_space:  global
        .offset:         16
        .size:           8
        .value_kind:     global_buffer
      - .offset:         24
        .size:           4
        .value_kind:     by_value
      - .offset:         28
        .size:           4
        .value_kind:     by_value
      - .offset:         32
        .size:           4
        .value_kind:     by_value
      - .address_space:  global
        .offset:         40
        .size:           8
        .value_kind:     global_buffer
      - .offset:         48
        .size:           4
        .value_kind:     hidden_block_count_x
      - .offset:         52
        .size:           4
        .value_kind:     hidden_block_count_y
      - .offset:         56
        .size:           4
        .value_kind:     hidden_block_count_z
      - .offset:         60
        .size:           2
        .value_kind:     hidden_group_size_x
      - .offset:         62
        .size:           2
        .value_kind:     hidden_group_size_y
      - .offset:         64
        .size:           2
        .value_kind:     hidden_group_size_z
      - .offset:         66
        .size:           2
        .value_kind:     hidden_remainder_x
      - .offset:         68
        .size:           2
        .value_kind:     hidden_remainder_y
      - .offset:         70
        .size:           2
        .value_kind:     hidden_remainder_z
      - .offset:         88
        .size:           8
        .value_kind:     hidden_global_offset_x
      - .offset:         96
        .size:           8
        .value_kind:     hidden_global_offset_y
      - .offset:         104
        .size:           8
        .value_kind:     hidden_global_offset_z
      - .offset:         112
        .size:           2
        .value_kind:     hidden_grid_dims
    .group_segment_fixed_size: 0
    .kernarg_segment_align: 8
    .kernarg_segment_size: 304
    .language:       OpenCL C
    .language_version:
      - 2
      - 0
    .max_flat_workgroup_size: 1024
    .name:           _ZN12_GLOBAL__N_121softmax_warp_backwardIdddLi8ELb0ELb1ELi64EEEvPT0_PKT_S5_iiiPKb
    .private_segment_fixed_size: 0
    .sgpr_count:     18
    .sgpr_spill_count: 0
    .symbol:         _ZN12_GLOBAL__N_121softmax_warp_backwardIdddLi8ELb0ELb1ELi64EEEvPT0_PKT_S5_iiiPKb.kd
    .uniform_work_group_size: 1
    .uses_dynamic_stack: false
    .vgpr_count:     28
    .vgpr_spill_count: 0
    .wavefront_size: 32
    .workgroup_processor_mode: 1
  - .args:
      - .address_space:  global
        .offset:         0
        .size:           8
        .value_kind:     global_buffer
      - .address_space:  global
        .offset:         8
        .size:           8
        .value_kind:     global_buffer
      - .address_space:  global
        .offset:         16
        .size:           8
        .value_kind:     global_buffer
      - .offset:         24
        .size:           4
        .value_kind:     by_value
      - .offset:         28
        .size:           4
        .value_kind:     by_value
      - .offset:         32
        .size:           4
        .value_kind:     by_value
      - .address_space:  global
        .offset:         40
        .size:           8
        .value_kind:     global_buffer
      - .offset:         48
        .size:           4
        .value_kind:     hidden_block_count_x
      - .offset:         52
        .size:           4
        .value_kind:     hidden_block_count_y
      - .offset:         56
        .size:           4
        .value_kind:     hidden_block_count_z
      - .offset:         60
        .size:           2
        .value_kind:     hidden_group_size_x
      - .offset:         62
        .size:           2
        .value_kind:     hidden_group_size_y
      - .offset:         64
        .size:           2
        .value_kind:     hidden_group_size_z
      - .offset:         66
        .size:           2
        .value_kind:     hidden_remainder_x
      - .offset:         68
        .size:           2
        .value_kind:     hidden_remainder_y
      - .offset:         70
        .size:           2
        .value_kind:     hidden_remainder_z
      - .offset:         88
        .size:           8
        .value_kind:     hidden_global_offset_x
      - .offset:         96
        .size:           8
        .value_kind:     hidden_global_offset_y
      - .offset:         104
        .size:           8
        .value_kind:     hidden_global_offset_z
      - .offset:         112
        .size:           2
        .value_kind:     hidden_grid_dims
    .group_segment_fixed_size: 0
    .kernarg_segment_align: 8
    .kernarg_segment_size: 304
    .language:       OpenCL C
    .language_version:
      - 2
      - 0
    .max_flat_workgroup_size: 1024
    .name:           _ZN12_GLOBAL__N_121softmax_warp_backwardIdddLi8ELb0ELb1ELi32EEEvPT0_PKT_S5_iiiPKb
    .private_segment_fixed_size: 0
    .sgpr_count:     22
    .sgpr_spill_count: 0
    .symbol:         _ZN12_GLOBAL__N_121softmax_warp_backwardIdddLi8ELb0ELb1ELi32EEEvPT0_PKT_S5_iiiPKb.kd
    .uniform_work_group_size: 1
    .uses_dynamic_stack: false
    .vgpr_count:     47
    .vgpr_spill_count: 0
    .wavefront_size: 32
    .workgroup_processor_mode: 1
  - .args:
      - .address_space:  global
        .offset:         0
        .size:           8
        .value_kind:     global_buffer
      - .address_space:  global
        .offset:         8
        .size:           8
        .value_kind:     global_buffer
      - .address_space:  global
        .offset:         16
        .size:           8
        .value_kind:     global_buffer
      - .offset:         24
        .size:           4
        .value_kind:     by_value
      - .offset:         28
        .size:           4
        .value_kind:     by_value
      - .offset:         32
        .size:           4
        .value_kind:     by_value
      - .address_space:  global
        .offset:         40
        .size:           8
        .value_kind:     global_buffer
      - .offset:         48
        .size:           4
        .value_kind:     hidden_block_count_x
      - .offset:         52
        .size:           4
        .value_kind:     hidden_block_count_y
      - .offset:         56
        .size:           4
        .value_kind:     hidden_block_count_z
      - .offset:         60
        .size:           2
        .value_kind:     hidden_group_size_x
      - .offset:         62
        .size:           2
        .value_kind:     hidden_group_size_y
      - .offset:         64
        .size:           2
        .value_kind:     hidden_group_size_z
      - .offset:         66
        .size:           2
        .value_kind:     hidden_remainder_x
      - .offset:         68
        .size:           2
        .value_kind:     hidden_remainder_y
      - .offset:         70
        .size:           2
        .value_kind:     hidden_remainder_z
      - .offset:         88
        .size:           8
        .value_kind:     hidden_global_offset_x
      - .offset:         96
        .size:           8
        .value_kind:     hidden_global_offset_y
      - .offset:         104
        .size:           8
        .value_kind:     hidden_global_offset_z
      - .offset:         112
        .size:           2
        .value_kind:     hidden_grid_dims
    .group_segment_fixed_size: 0
    .kernarg_segment_align: 8
    .kernarg_segment_size: 304
    .language:       OpenCL C
    .language_version:
      - 2
      - 0
    .max_flat_workgroup_size: 1024
    .name:           _ZN12_GLOBAL__N_121softmax_warp_backwardIdddLi9ELb0ELb1ELi64EEEvPT0_PKT_S5_iiiPKb
    .private_segment_fixed_size: 0
    .sgpr_count:     18
    .sgpr_spill_count: 0
    .symbol:         _ZN12_GLOBAL__N_121softmax_warp_backwardIdddLi9ELb0ELb1ELi64EEEvPT0_PKT_S5_iiiPKb.kd
    .uniform_work_group_size: 1
    .uses_dynamic_stack: false
    .vgpr_count:     48
    .vgpr_spill_count: 0
    .wavefront_size: 32
    .workgroup_processor_mode: 1
  - .args:
      - .address_space:  global
        .offset:         0
        .size:           8
        .value_kind:     global_buffer
      - .address_space:  global
        .offset:         8
        .size:           8
        .value_kind:     global_buffer
      - .address_space:  global
        .offset:         16
        .size:           8
        .value_kind:     global_buffer
      - .offset:         24
        .size:           4
        .value_kind:     by_value
      - .offset:         28
        .size:           4
        .value_kind:     by_value
      - .offset:         32
        .size:           4
        .value_kind:     by_value
      - .address_space:  global
        .offset:         40
        .size:           8
        .value_kind:     global_buffer
      - .offset:         48
        .size:           4
        .value_kind:     hidden_block_count_x
      - .offset:         52
        .size:           4
        .value_kind:     hidden_block_count_y
      - .offset:         56
        .size:           4
        .value_kind:     hidden_block_count_z
      - .offset:         60
        .size:           2
        .value_kind:     hidden_group_size_x
      - .offset:         62
        .size:           2
        .value_kind:     hidden_group_size_y
      - .offset:         64
        .size:           2
        .value_kind:     hidden_group_size_z
      - .offset:         66
        .size:           2
        .value_kind:     hidden_remainder_x
      - .offset:         68
        .size:           2
        .value_kind:     hidden_remainder_y
      - .offset:         70
        .size:           2
        .value_kind:     hidden_remainder_z
      - .offset:         88
        .size:           8
        .value_kind:     hidden_global_offset_x
      - .offset:         96
        .size:           8
        .value_kind:     hidden_global_offset_y
      - .offset:         104
        .size:           8
        .value_kind:     hidden_global_offset_z
      - .offset:         112
        .size:           2
        .value_kind:     hidden_grid_dims
    .group_segment_fixed_size: 0
    .kernarg_segment_align: 8
    .kernarg_segment_size: 304
    .language:       OpenCL C
    .language_version:
      - 2
      - 0
    .max_flat_workgroup_size: 1024
    .name:           _ZN12_GLOBAL__N_121softmax_warp_backwardIdddLi9ELb0ELb1ELi32EEEvPT0_PKT_S5_iiiPKb
    .private_segment_fixed_size: 0
    .sgpr_count:     42
    .sgpr_spill_count: 0
    .symbol:         _ZN12_GLOBAL__N_121softmax_warp_backwardIdddLi9ELb0ELb1ELi32EEEvPT0_PKT_S5_iiiPKb.kd
    .uniform_work_group_size: 1
    .uses_dynamic_stack: false
    .vgpr_count:     81
    .vgpr_spill_count: 0
    .wavefront_size: 32
    .workgroup_processor_mode: 1
  - .args:
      - .address_space:  global
        .offset:         0
        .size:           8
        .value_kind:     global_buffer
      - .address_space:  global
        .offset:         8
        .size:           8
        .value_kind:     global_buffer
      - .address_space:  global
        .offset:         16
        .size:           8
        .value_kind:     global_buffer
      - .offset:         24
        .size:           4
        .value_kind:     by_value
      - .offset:         28
        .size:           4
        .value_kind:     by_value
      - .offset:         32
        .size:           4
        .value_kind:     by_value
      - .address_space:  global
        .offset:         40
        .size:           8
        .value_kind:     global_buffer
      - .offset:         48
        .size:           4
        .value_kind:     hidden_block_count_x
      - .offset:         52
        .size:           4
        .value_kind:     hidden_block_count_y
      - .offset:         56
        .size:           4
        .value_kind:     hidden_block_count_z
      - .offset:         60
        .size:           2
        .value_kind:     hidden_group_size_x
      - .offset:         62
        .size:           2
        .value_kind:     hidden_group_size_y
      - .offset:         64
        .size:           2
        .value_kind:     hidden_group_size_z
      - .offset:         66
        .size:           2
        .value_kind:     hidden_remainder_x
      - .offset:         68
        .size:           2
        .value_kind:     hidden_remainder_y
      - .offset:         70
        .size:           2
        .value_kind:     hidden_remainder_z
      - .offset:         88
        .size:           8
        .value_kind:     hidden_global_offset_x
      - .offset:         96
        .size:           8
        .value_kind:     hidden_global_offset_y
      - .offset:         104
        .size:           8
        .value_kind:     hidden_global_offset_z
      - .offset:         112
        .size:           2
        .value_kind:     hidden_grid_dims
    .group_segment_fixed_size: 0
    .kernarg_segment_align: 8
    .kernarg_segment_size: 304
    .language:       OpenCL C
    .language_version:
      - 2
      - 0
    .max_flat_workgroup_size: 1024
    .name:           _ZN12_GLOBAL__N_121softmax_warp_backwardIdddLi10ELb0ELb1ELi64EEEvPT0_PKT_S5_iiiPKb
    .private_segment_fixed_size: 0
    .sgpr_count:     26
    .sgpr_spill_count: 0
    .symbol:         _ZN12_GLOBAL__N_121softmax_warp_backwardIdddLi10ELb0ELb1ELi64EEEvPT0_PKT_S5_iiiPKb.kd
    .uniform_work_group_size: 1
    .uses_dynamic_stack: false
    .vgpr_count:     81
    .vgpr_spill_count: 0
    .wavefront_size: 32
    .workgroup_processor_mode: 1
  - .args:
      - .address_space:  global
        .offset:         0
        .size:           8
        .value_kind:     global_buffer
      - .address_space:  global
        .offset:         8
        .size:           8
        .value_kind:     global_buffer
      - .address_space:  global
        .offset:         16
        .size:           8
        .value_kind:     global_buffer
      - .offset:         24
        .size:           4
        .value_kind:     by_value
      - .offset:         28
        .size:           4
        .value_kind:     by_value
      - .offset:         32
        .size:           4
        .value_kind:     by_value
      - .address_space:  global
        .offset:         40
        .size:           8
        .value_kind:     global_buffer
      - .offset:         48
        .size:           4
        .value_kind:     hidden_block_count_x
      - .offset:         52
        .size:           4
        .value_kind:     hidden_block_count_y
      - .offset:         56
        .size:           4
        .value_kind:     hidden_block_count_z
      - .offset:         60
        .size:           2
        .value_kind:     hidden_group_size_x
      - .offset:         62
        .size:           2
        .value_kind:     hidden_group_size_y
      - .offset:         64
        .size:           2
        .value_kind:     hidden_group_size_z
      - .offset:         66
        .size:           2
        .value_kind:     hidden_remainder_x
      - .offset:         68
        .size:           2
        .value_kind:     hidden_remainder_y
      - .offset:         70
        .size:           2
        .value_kind:     hidden_remainder_z
      - .offset:         88
        .size:           8
        .value_kind:     hidden_global_offset_x
      - .offset:         96
        .size:           8
        .value_kind:     hidden_global_offset_y
      - .offset:         104
        .size:           8
        .value_kind:     hidden_global_offset_z
      - .offset:         112
        .size:           2
        .value_kind:     hidden_grid_dims
    .group_segment_fixed_size: 0
    .kernarg_segment_align: 8
    .kernarg_segment_size: 304
    .language:       OpenCL C
    .language_version:
      - 2
      - 0
    .max_flat_workgroup_size: 1024
    .name:           _ZN12_GLOBAL__N_121softmax_warp_backwardIdddLi10ELb0ELb1ELi32EEEvPT0_PKT_S5_iiiPKb
    .private_segment_fixed_size: 0
    .sgpr_count:     74
    .sgpr_spill_count: 0
    .symbol:         _ZN12_GLOBAL__N_121softmax_warp_backwardIdddLi10ELb0ELb1ELi32EEEvPT0_PKT_S5_iiiPKb.kd
    .uniform_work_group_size: 1
    .uses_dynamic_stack: false
    .vgpr_count:     137
    .vgpr_spill_count: 0
    .wavefront_size: 32
    .workgroup_processor_mode: 1
  - .args:
      - .address_space:  global
        .offset:         0
        .size:           8
        .value_kind:     global_buffer
      - .address_space:  global
        .offset:         8
        .size:           8
        .value_kind:     global_buffer
      - .address_space:  global
        .offset:         16
        .size:           8
        .value_kind:     global_buffer
      - .offset:         24
        .size:           4
        .value_kind:     by_value
      - .offset:         28
        .size:           4
        .value_kind:     by_value
      - .offset:         32
        .size:           4
        .value_kind:     by_value
      - .address_space:  global
        .offset:         40
        .size:           8
        .value_kind:     global_buffer
      - .offset:         48
        .size:           4
        .value_kind:     hidden_block_count_x
      - .offset:         52
        .size:           4
        .value_kind:     hidden_block_count_y
      - .offset:         56
        .size:           4
        .value_kind:     hidden_block_count_z
      - .offset:         60
        .size:           2
        .value_kind:     hidden_group_size_x
      - .offset:         62
        .size:           2
        .value_kind:     hidden_group_size_y
      - .offset:         64
        .size:           2
        .value_kind:     hidden_group_size_z
      - .offset:         66
        .size:           2
        .value_kind:     hidden_remainder_x
      - .offset:         68
        .size:           2
        .value_kind:     hidden_remainder_y
      - .offset:         70
        .size:           2
        .value_kind:     hidden_remainder_z
      - .offset:         88
        .size:           8
        .value_kind:     hidden_global_offset_x
      - .offset:         96
        .size:           8
        .value_kind:     hidden_global_offset_y
      - .offset:         104
        .size:           8
        .value_kind:     hidden_global_offset_z
      - .offset:         112
        .size:           2
        .value_kind:     hidden_grid_dims
    .group_segment_fixed_size: 0
    .kernarg_segment_align: 8
    .kernarg_segment_size: 304
    .language:       OpenCL C
    .language_version:
      - 2
      - 0
    .max_flat_workgroup_size: 1024
    .name:           _ZN12_GLOBAL__N_121softmax_warp_backwardIfffLi0ELb0ELb1ELi64EEEvPT0_PKT_S5_iiiPKb
    .private_segment_fixed_size: 0
    .sgpr_count:     18
    .sgpr_spill_count: 0
    .symbol:         _ZN12_GLOBAL__N_121softmax_warp_backwardIfffLi0ELb0ELb1ELi64EEEvPT0_PKT_S5_iiiPKb.kd
    .uniform_work_group_size: 1
    .uses_dynamic_stack: false
    .vgpr_count:     13
    .vgpr_spill_count: 0
    .wavefront_size: 32
    .workgroup_processor_mode: 1
  - .args:
      - .address_space:  global
        .offset:         0
        .size:           8
        .value_kind:     global_buffer
      - .address_space:  global
        .offset:         8
        .size:           8
        .value_kind:     global_buffer
      - .address_space:  global
        .offset:         16
        .size:           8
        .value_kind:     global_buffer
      - .offset:         24
        .size:           4
        .value_kind:     by_value
      - .offset:         28
        .size:           4
        .value_kind:     by_value
      - .offset:         32
        .size:           4
        .value_kind:     by_value
      - .address_space:  global
        .offset:         40
        .size:           8
        .value_kind:     global_buffer
      - .offset:         48
        .size:           4
        .value_kind:     hidden_block_count_x
      - .offset:         52
        .size:           4
        .value_kind:     hidden_block_count_y
      - .offset:         56
        .size:           4
        .value_kind:     hidden_block_count_z
      - .offset:         60
        .size:           2
        .value_kind:     hidden_group_size_x
      - .offset:         62
        .size:           2
        .value_kind:     hidden_group_size_y
      - .offset:         64
        .size:           2
        .value_kind:     hidden_group_size_z
      - .offset:         66
        .size:           2
        .value_kind:     hidden_remainder_x
      - .offset:         68
        .size:           2
        .value_kind:     hidden_remainder_y
      - .offset:         70
        .size:           2
        .value_kind:     hidden_remainder_z
      - .offset:         88
        .size:           8
        .value_kind:     hidden_global_offset_x
      - .offset:         96
        .size:           8
        .value_kind:     hidden_global_offset_y
      - .offset:         104
        .size:           8
        .value_kind:     hidden_global_offset_z
      - .offset:         112
        .size:           2
        .value_kind:     hidden_grid_dims
    .group_segment_fixed_size: 0
    .kernarg_segment_align: 8
    .kernarg_segment_size: 304
    .language:       OpenCL C
    .language_version:
      - 2
      - 0
    .max_flat_workgroup_size: 1024
    .name:           _ZN12_GLOBAL__N_121softmax_warp_backwardIfffLi0ELb0ELb1ELi32EEEvPT0_PKT_S5_iiiPKb
    .private_segment_fixed_size: 0
    .sgpr_count:     18
    .sgpr_spill_count: 0
    .symbol:         _ZN12_GLOBAL__N_121softmax_warp_backwardIfffLi0ELb0ELb1ELi32EEEvPT0_PKT_S5_iiiPKb.kd
    .uniform_work_group_size: 1
    .uses_dynamic_stack: false
    .vgpr_count:     13
    .vgpr_spill_count: 0
    .wavefront_size: 32
    .workgroup_processor_mode: 1
  - .args:
      - .address_space:  global
        .offset:         0
        .size:           8
        .value_kind:     global_buffer
      - .address_space:  global
        .offset:         8
        .size:           8
        .value_kind:     global_buffer
      - .address_space:  global
        .offset:         16
        .size:           8
        .value_kind:     global_buffer
      - .offset:         24
        .size:           4
        .value_kind:     by_value
      - .offset:         28
        .size:           4
        .value_kind:     by_value
      - .offset:         32
        .size:           4
        .value_kind:     by_value
      - .address_space:  global
        .offset:         40
        .size:           8
        .value_kind:     global_buffer
      - .offset:         48
        .size:           4
        .value_kind:     hidden_block_count_x
      - .offset:         52
        .size:           4
        .value_kind:     hidden_block_count_y
      - .offset:         56
        .size:           4
        .value_kind:     hidden_block_count_z
      - .offset:         60
        .size:           2
        .value_kind:     hidden_group_size_x
      - .offset:         62
        .size:           2
        .value_kind:     hidden_group_size_y
      - .offset:         64
        .size:           2
        .value_kind:     hidden_group_size_z
      - .offset:         66
        .size:           2
        .value_kind:     hidden_remainder_x
      - .offset:         68
        .size:           2
        .value_kind:     hidden_remainder_y
      - .offset:         70
        .size:           2
        .value_kind:     hidden_remainder_z
      - .offset:         88
        .size:           8
        .value_kind:     hidden_global_offset_x
      - .offset:         96
        .size:           8
        .value_kind:     hidden_global_offset_y
      - .offset:         104
        .size:           8
        .value_kind:     hidden_global_offset_z
      - .offset:         112
        .size:           2
        .value_kind:     hidden_grid_dims
    .group_segment_fixed_size: 0
    .kernarg_segment_align: 8
    .kernarg_segment_size: 304
    .language:       OpenCL C
    .language_version:
      - 2
      - 0
    .max_flat_workgroup_size: 1024
    .name:           _ZN12_GLOBAL__N_121softmax_warp_backwardIfffLi1ELb0ELb1ELi64EEEvPT0_PKT_S5_iiiPKb
    .private_segment_fixed_size: 0
    .sgpr_count:     18
    .sgpr_spill_count: 0
    .symbol:         _ZN12_GLOBAL__N_121softmax_warp_backwardIfffLi1ELb0ELb1ELi64EEEvPT0_PKT_S5_iiiPKb.kd
    .uniform_work_group_size: 1
    .uses_dynamic_stack: false
    .vgpr_count:     13
    .vgpr_spill_count: 0
    .wavefront_size: 32
    .workgroup_processor_mode: 1
  - .args:
      - .address_space:  global
        .offset:         0
        .size:           8
        .value_kind:     global_buffer
      - .address_space:  global
        .offset:         8
        .size:           8
        .value_kind:     global_buffer
      - .address_space:  global
        .offset:         16
        .size:           8
        .value_kind:     global_buffer
      - .offset:         24
        .size:           4
        .value_kind:     by_value
      - .offset:         28
        .size:           4
        .value_kind:     by_value
      - .offset:         32
        .size:           4
        .value_kind:     by_value
      - .address_space:  global
        .offset:         40
        .size:           8
        .value_kind:     global_buffer
      - .offset:         48
        .size:           4
        .value_kind:     hidden_block_count_x
      - .offset:         52
        .size:           4
        .value_kind:     hidden_block_count_y
      - .offset:         56
        .size:           4
        .value_kind:     hidden_block_count_z
      - .offset:         60
        .size:           2
        .value_kind:     hidden_group_size_x
      - .offset:         62
        .size:           2
        .value_kind:     hidden_group_size_y
      - .offset:         64
        .size:           2
        .value_kind:     hidden_group_size_z
      - .offset:         66
        .size:           2
        .value_kind:     hidden_remainder_x
      - .offset:         68
        .size:           2
        .value_kind:     hidden_remainder_y
      - .offset:         70
        .size:           2
        .value_kind:     hidden_remainder_z
      - .offset:         88
        .size:           8
        .value_kind:     hidden_global_offset_x
      - .offset:         96
        .size:           8
        .value_kind:     hidden_global_offset_y
      - .offset:         104
        .size:           8
        .value_kind:     hidden_global_offset_z
      - .offset:         112
        .size:           2
        .value_kind:     hidden_grid_dims
    .group_segment_fixed_size: 0
    .kernarg_segment_align: 8
    .kernarg_segment_size: 304
    .language:       OpenCL C
    .language_version:
      - 2
      - 0
    .max_flat_workgroup_size: 1024
    .name:           _ZN12_GLOBAL__N_121softmax_warp_backwardIfffLi1ELb0ELb1ELi32EEEvPT0_PKT_S5_iiiPKb
    .private_segment_fixed_size: 0
    .sgpr_count:     18
    .sgpr_spill_count: 0
    .symbol:         _ZN12_GLOBAL__N_121softmax_warp_backwardIfffLi1ELb0ELb1ELi32EEEvPT0_PKT_S5_iiiPKb.kd
    .uniform_work_group_size: 1
    .uses_dynamic_stack: false
    .vgpr_count:     13
    .vgpr_spill_count: 0
    .wavefront_size: 32
    .workgroup_processor_mode: 1
  - .args:
      - .address_space:  global
        .offset:         0
        .size:           8
        .value_kind:     global_buffer
      - .address_space:  global
        .offset:         8
        .size:           8
        .value_kind:     global_buffer
      - .address_space:  global
        .offset:         16
        .size:           8
        .value_kind:     global_buffer
      - .offset:         24
        .size:           4
        .value_kind:     by_value
      - .offset:         28
        .size:           4
        .value_kind:     by_value
      - .offset:         32
        .size:           4
        .value_kind:     by_value
      - .address_space:  global
        .offset:         40
        .size:           8
        .value_kind:     global_buffer
      - .offset:         48
        .size:           4
        .value_kind:     hidden_block_count_x
      - .offset:         52
        .size:           4
        .value_kind:     hidden_block_count_y
      - .offset:         56
        .size:           4
        .value_kind:     hidden_block_count_z
      - .offset:         60
        .size:           2
        .value_kind:     hidden_group_size_x
      - .offset:         62
        .size:           2
        .value_kind:     hidden_group_size_y
      - .offset:         64
        .size:           2
        .value_kind:     hidden_group_size_z
      - .offset:         66
        .size:           2
        .value_kind:     hidden_remainder_x
      - .offset:         68
        .size:           2
        .value_kind:     hidden_remainder_y
      - .offset:         70
        .size:           2
        .value_kind:     hidden_remainder_z
      - .offset:         88
        .size:           8
        .value_kind:     hidden_global_offset_x
      - .offset:         96
        .size:           8
        .value_kind:     hidden_global_offset_y
      - .offset:         104
        .size:           8
        .value_kind:     hidden_global_offset_z
      - .offset:         112
        .size:           2
        .value_kind:     hidden_grid_dims
    .group_segment_fixed_size: 0
    .kernarg_segment_align: 8
    .kernarg_segment_size: 304
    .language:       OpenCL C
    .language_version:
      - 2
      - 0
    .max_flat_workgroup_size: 1024
    .name:           _ZN12_GLOBAL__N_121softmax_warp_backwardIfffLi2ELb0ELb1ELi64EEEvPT0_PKT_S5_iiiPKb
    .private_segment_fixed_size: 0
    .sgpr_count:     18
    .sgpr_spill_count: 0
    .symbol:         _ZN12_GLOBAL__N_121softmax_warp_backwardIfffLi2ELb0ELb1ELi64EEEvPT0_PKT_S5_iiiPKb.kd
    .uniform_work_group_size: 1
    .uses_dynamic_stack: false
    .vgpr_count:     14
    .vgpr_spill_count: 0
    .wavefront_size: 32
    .workgroup_processor_mode: 1
  - .args:
      - .address_space:  global
        .offset:         0
        .size:           8
        .value_kind:     global_buffer
      - .address_space:  global
        .offset:         8
        .size:           8
        .value_kind:     global_buffer
      - .address_space:  global
        .offset:         16
        .size:           8
        .value_kind:     global_buffer
      - .offset:         24
        .size:           4
        .value_kind:     by_value
      - .offset:         28
        .size:           4
        .value_kind:     by_value
      - .offset:         32
        .size:           4
        .value_kind:     by_value
      - .address_space:  global
        .offset:         40
        .size:           8
        .value_kind:     global_buffer
      - .offset:         48
        .size:           4
        .value_kind:     hidden_block_count_x
      - .offset:         52
        .size:           4
        .value_kind:     hidden_block_count_y
      - .offset:         56
        .size:           4
        .value_kind:     hidden_block_count_z
      - .offset:         60
        .size:           2
        .value_kind:     hidden_group_size_x
      - .offset:         62
        .size:           2
        .value_kind:     hidden_group_size_y
      - .offset:         64
        .size:           2
        .value_kind:     hidden_group_size_z
      - .offset:         66
        .size:           2
        .value_kind:     hidden_remainder_x
      - .offset:         68
        .size:           2
        .value_kind:     hidden_remainder_y
      - .offset:         70
        .size:           2
        .value_kind:     hidden_remainder_z
      - .offset:         88
        .size:           8
        .value_kind:     hidden_global_offset_x
      - .offset:         96
        .size:           8
        .value_kind:     hidden_global_offset_y
      - .offset:         104
        .size:           8
        .value_kind:     hidden_global_offset_z
      - .offset:         112
        .size:           2
        .value_kind:     hidden_grid_dims
    .group_segment_fixed_size: 0
    .kernarg_segment_align: 8
    .kernarg_segment_size: 304
    .language:       OpenCL C
    .language_version:
      - 2
      - 0
    .max_flat_workgroup_size: 1024
    .name:           _ZN12_GLOBAL__N_121softmax_warp_backwardIfffLi2ELb0ELb1ELi32EEEvPT0_PKT_S5_iiiPKb
    .private_segment_fixed_size: 0
    .sgpr_count:     18
    .sgpr_spill_count: 0
    .symbol:         _ZN12_GLOBAL__N_121softmax_warp_backwardIfffLi2ELb0ELb1ELi32EEEvPT0_PKT_S5_iiiPKb.kd
    .uniform_work_group_size: 1
    .uses_dynamic_stack: false
    .vgpr_count:     14
    .vgpr_spill_count: 0
    .wavefront_size: 32
    .workgroup_processor_mode: 1
  - .args:
      - .address_space:  global
        .offset:         0
        .size:           8
        .value_kind:     global_buffer
      - .address_space:  global
        .offset:         8
        .size:           8
        .value_kind:     global_buffer
      - .address_space:  global
        .offset:         16
        .size:           8
        .value_kind:     global_buffer
      - .offset:         24
        .size:           4
        .value_kind:     by_value
      - .offset:         28
        .size:           4
        .value_kind:     by_value
      - .offset:         32
        .size:           4
        .value_kind:     by_value
      - .address_space:  global
        .offset:         40
        .size:           8
        .value_kind:     global_buffer
      - .offset:         48
        .size:           4
        .value_kind:     hidden_block_count_x
      - .offset:         52
        .size:           4
        .value_kind:     hidden_block_count_y
      - .offset:         56
        .size:           4
        .value_kind:     hidden_block_count_z
      - .offset:         60
        .size:           2
        .value_kind:     hidden_group_size_x
      - .offset:         62
        .size:           2
        .value_kind:     hidden_group_size_y
      - .offset:         64
        .size:           2
        .value_kind:     hidden_group_size_z
      - .offset:         66
        .size:           2
        .value_kind:     hidden_remainder_x
      - .offset:         68
        .size:           2
        .value_kind:     hidden_remainder_y
      - .offset:         70
        .size:           2
        .value_kind:     hidden_remainder_z
      - .offset:         88
        .size:           8
        .value_kind:     hidden_global_offset_x
      - .offset:         96
        .size:           8
        .value_kind:     hidden_global_offset_y
      - .offset:         104
        .size:           8
        .value_kind:     hidden_global_offset_z
      - .offset:         112
        .size:           2
        .value_kind:     hidden_grid_dims
    .group_segment_fixed_size: 0
    .kernarg_segment_align: 8
    .kernarg_segment_size: 304
    .language:       OpenCL C
    .language_version:
      - 2
      - 0
    .max_flat_workgroup_size: 1024
    .name:           _ZN12_GLOBAL__N_121softmax_warp_backwardIfffLi3ELb0ELb1ELi64EEEvPT0_PKT_S5_iiiPKb
    .private_segment_fixed_size: 0
    .sgpr_count:     18
    .sgpr_spill_count: 0
    .symbol:         _ZN12_GLOBAL__N_121softmax_warp_backwardIfffLi3ELb0ELb1ELi64EEEvPT0_PKT_S5_iiiPKb.kd
    .uniform_work_group_size: 1
    .uses_dynamic_stack: false
    .vgpr_count:     14
    .vgpr_spill_count: 0
    .wavefront_size: 32
    .workgroup_processor_mode: 1
  - .args:
      - .address_space:  global
        .offset:         0
        .size:           8
        .value_kind:     global_buffer
      - .address_space:  global
        .offset:         8
        .size:           8
        .value_kind:     global_buffer
      - .address_space:  global
        .offset:         16
        .size:           8
        .value_kind:     global_buffer
      - .offset:         24
        .size:           4
        .value_kind:     by_value
      - .offset:         28
        .size:           4
        .value_kind:     by_value
      - .offset:         32
        .size:           4
        .value_kind:     by_value
      - .address_space:  global
        .offset:         40
        .size:           8
        .value_kind:     global_buffer
      - .offset:         48
        .size:           4
        .value_kind:     hidden_block_count_x
      - .offset:         52
        .size:           4
        .value_kind:     hidden_block_count_y
      - .offset:         56
        .size:           4
        .value_kind:     hidden_block_count_z
      - .offset:         60
        .size:           2
        .value_kind:     hidden_group_size_x
      - .offset:         62
        .size:           2
        .value_kind:     hidden_group_size_y
      - .offset:         64
        .size:           2
        .value_kind:     hidden_group_size_z
      - .offset:         66
        .size:           2
        .value_kind:     hidden_remainder_x
      - .offset:         68
        .size:           2
        .value_kind:     hidden_remainder_y
      - .offset:         70
        .size:           2
        .value_kind:     hidden_remainder_z
      - .offset:         88
        .size:           8
        .value_kind:     hidden_global_offset_x
      - .offset:         96
        .size:           8
        .value_kind:     hidden_global_offset_y
      - .offset:         104
        .size:           8
        .value_kind:     hidden_global_offset_z
      - .offset:         112
        .size:           2
        .value_kind:     hidden_grid_dims
    .group_segment_fixed_size: 0
    .kernarg_segment_align: 8
    .kernarg_segment_size: 304
    .language:       OpenCL C
    .language_version:
      - 2
      - 0
    .max_flat_workgroup_size: 1024
    .name:           _ZN12_GLOBAL__N_121softmax_warp_backwardIfffLi3ELb0ELb1ELi32EEEvPT0_PKT_S5_iiiPKb
    .private_segment_fixed_size: 0
    .sgpr_count:     18
    .sgpr_spill_count: 0
    .symbol:         _ZN12_GLOBAL__N_121softmax_warp_backwardIfffLi3ELb0ELb1ELi32EEEvPT0_PKT_S5_iiiPKb.kd
    .uniform_work_group_size: 1
    .uses_dynamic_stack: false
    .vgpr_count:     14
    .vgpr_spill_count: 0
    .wavefront_size: 32
    .workgroup_processor_mode: 1
  - .args:
      - .address_space:  global
        .offset:         0
        .size:           8
        .value_kind:     global_buffer
      - .address_space:  global
        .offset:         8
        .size:           8
        .value_kind:     global_buffer
      - .address_space:  global
        .offset:         16
        .size:           8
        .value_kind:     global_buffer
      - .offset:         24
        .size:           4
        .value_kind:     by_value
      - .offset:         28
        .size:           4
        .value_kind:     by_value
      - .offset:         32
        .size:           4
        .value_kind:     by_value
      - .address_space:  global
        .offset:         40
        .size:           8
        .value_kind:     global_buffer
      - .offset:         48
        .size:           4
        .value_kind:     hidden_block_count_x
      - .offset:         52
        .size:           4
        .value_kind:     hidden_block_count_y
      - .offset:         56
        .size:           4
        .value_kind:     hidden_block_count_z
      - .offset:         60
        .size:           2
        .value_kind:     hidden_group_size_x
      - .offset:         62
        .size:           2
        .value_kind:     hidden_group_size_y
      - .offset:         64
        .size:           2
        .value_kind:     hidden_group_size_z
      - .offset:         66
        .size:           2
        .value_kind:     hidden_remainder_x
      - .offset:         68
        .size:           2
        .value_kind:     hidden_remainder_y
      - .offset:         70
        .size:           2
        .value_kind:     hidden_remainder_z
      - .offset:         88
        .size:           8
        .value_kind:     hidden_global_offset_x
      - .offset:         96
        .size:           8
        .value_kind:     hidden_global_offset_y
      - .offset:         104
        .size:           8
        .value_kind:     hidden_global_offset_z
      - .offset:         112
        .size:           2
        .value_kind:     hidden_grid_dims
    .group_segment_fixed_size: 0
    .kernarg_segment_align: 8
    .kernarg_segment_size: 304
    .language:       OpenCL C
    .language_version:
      - 2
      - 0
    .max_flat_workgroup_size: 1024
    .name:           _ZN12_GLOBAL__N_121softmax_warp_backwardIfffLi4ELb0ELb1ELi64EEEvPT0_PKT_S5_iiiPKb
    .private_segment_fixed_size: 0
    .sgpr_count:     18
    .sgpr_spill_count: 0
    .symbol:         _ZN12_GLOBAL__N_121softmax_warp_backwardIfffLi4ELb0ELb1ELi64EEEvPT0_PKT_S5_iiiPKb.kd
    .uniform_work_group_size: 1
    .uses_dynamic_stack: false
    .vgpr_count:     14
    .vgpr_spill_count: 0
    .wavefront_size: 32
    .workgroup_processor_mode: 1
  - .args:
      - .address_space:  global
        .offset:         0
        .size:           8
        .value_kind:     global_buffer
      - .address_space:  global
        .offset:         8
        .size:           8
        .value_kind:     global_buffer
      - .address_space:  global
        .offset:         16
        .size:           8
        .value_kind:     global_buffer
      - .offset:         24
        .size:           4
        .value_kind:     by_value
      - .offset:         28
        .size:           4
        .value_kind:     by_value
      - .offset:         32
        .size:           4
        .value_kind:     by_value
      - .address_space:  global
        .offset:         40
        .size:           8
        .value_kind:     global_buffer
      - .offset:         48
        .size:           4
        .value_kind:     hidden_block_count_x
      - .offset:         52
        .size:           4
        .value_kind:     hidden_block_count_y
      - .offset:         56
        .size:           4
        .value_kind:     hidden_block_count_z
      - .offset:         60
        .size:           2
        .value_kind:     hidden_group_size_x
      - .offset:         62
        .size:           2
        .value_kind:     hidden_group_size_y
      - .offset:         64
        .size:           2
        .value_kind:     hidden_group_size_z
      - .offset:         66
        .size:           2
        .value_kind:     hidden_remainder_x
      - .offset:         68
        .size:           2
        .value_kind:     hidden_remainder_y
      - .offset:         70
        .size:           2
        .value_kind:     hidden_remainder_z
      - .offset:         88
        .size:           8
        .value_kind:     hidden_global_offset_x
      - .offset:         96
        .size:           8
        .value_kind:     hidden_global_offset_y
      - .offset:         104
        .size:           8
        .value_kind:     hidden_global_offset_z
      - .offset:         112
        .size:           2
        .value_kind:     hidden_grid_dims
    .group_segment_fixed_size: 0
    .kernarg_segment_align: 8
    .kernarg_segment_size: 304
    .language:       OpenCL C
    .language_version:
      - 2
      - 0
    .max_flat_workgroup_size: 1024
    .name:           _ZN12_GLOBAL__N_121softmax_warp_backwardIfffLi4ELb0ELb1ELi32EEEvPT0_PKT_S5_iiiPKb
    .private_segment_fixed_size: 0
    .sgpr_count:     18
    .sgpr_spill_count: 0
    .symbol:         _ZN12_GLOBAL__N_121softmax_warp_backwardIfffLi4ELb0ELb1ELi32EEEvPT0_PKT_S5_iiiPKb.kd
    .uniform_work_group_size: 1
    .uses_dynamic_stack: false
    .vgpr_count:     14
    .vgpr_spill_count: 0
    .wavefront_size: 32
    .workgroup_processor_mode: 1
  - .args:
      - .address_space:  global
        .offset:         0
        .size:           8
        .value_kind:     global_buffer
      - .address_space:  global
        .offset:         8
        .size:           8
        .value_kind:     global_buffer
      - .address_space:  global
        .offset:         16
        .size:           8
        .value_kind:     global_buffer
      - .offset:         24
        .size:           4
        .value_kind:     by_value
      - .offset:         28
        .size:           4
        .value_kind:     by_value
      - .offset:         32
        .size:           4
        .value_kind:     by_value
      - .address_space:  global
        .offset:         40
        .size:           8
        .value_kind:     global_buffer
      - .offset:         48
        .size:           4
        .value_kind:     hidden_block_count_x
      - .offset:         52
        .size:           4
        .value_kind:     hidden_block_count_y
      - .offset:         56
        .size:           4
        .value_kind:     hidden_block_count_z
      - .offset:         60
        .size:           2
        .value_kind:     hidden_group_size_x
      - .offset:         62
        .size:           2
        .value_kind:     hidden_group_size_y
      - .offset:         64
        .size:           2
        .value_kind:     hidden_group_size_z
      - .offset:         66
        .size:           2
        .value_kind:     hidden_remainder_x
      - .offset:         68
        .size:           2
        .value_kind:     hidden_remainder_y
      - .offset:         70
        .size:           2
        .value_kind:     hidden_remainder_z
      - .offset:         88
        .size:           8
        .value_kind:     hidden_global_offset_x
      - .offset:         96
        .size:           8
        .value_kind:     hidden_global_offset_y
      - .offset:         104
        .size:           8
        .value_kind:     hidden_global_offset_z
      - .offset:         112
        .size:           2
        .value_kind:     hidden_grid_dims
    .group_segment_fixed_size: 0
    .kernarg_segment_align: 8
    .kernarg_segment_size: 304
    .language:       OpenCL C
    .language_version:
      - 2
      - 0
    .max_flat_workgroup_size: 1024
    .name:           _ZN12_GLOBAL__N_121softmax_warp_backwardIfffLi5ELb0ELb1ELi64EEEvPT0_PKT_S5_iiiPKb
    .private_segment_fixed_size: 0
    .sgpr_count:     18
    .sgpr_spill_count: 0
    .symbol:         _ZN12_GLOBAL__N_121softmax_warp_backwardIfffLi5ELb0ELb1ELi64EEEvPT0_PKT_S5_iiiPKb.kd
    .uniform_work_group_size: 1
    .uses_dynamic_stack: false
    .vgpr_count:     13
    .vgpr_spill_count: 0
    .wavefront_size: 32
    .workgroup_processor_mode: 1
  - .args:
      - .address_space:  global
        .offset:         0
        .size:           8
        .value_kind:     global_buffer
      - .address_space:  global
        .offset:         8
        .size:           8
        .value_kind:     global_buffer
      - .address_space:  global
        .offset:         16
        .size:           8
        .value_kind:     global_buffer
      - .offset:         24
        .size:           4
        .value_kind:     by_value
      - .offset:         28
        .size:           4
        .value_kind:     by_value
      - .offset:         32
        .size:           4
        .value_kind:     by_value
      - .address_space:  global
        .offset:         40
        .size:           8
        .value_kind:     global_buffer
      - .offset:         48
        .size:           4
        .value_kind:     hidden_block_count_x
      - .offset:         52
        .size:           4
        .value_kind:     hidden_block_count_y
      - .offset:         56
        .size:           4
        .value_kind:     hidden_block_count_z
      - .offset:         60
        .size:           2
        .value_kind:     hidden_group_size_x
      - .offset:         62
        .size:           2
        .value_kind:     hidden_group_size_y
      - .offset:         64
        .size:           2
        .value_kind:     hidden_group_size_z
      - .offset:         66
        .size:           2
        .value_kind:     hidden_remainder_x
      - .offset:         68
        .size:           2
        .value_kind:     hidden_remainder_y
      - .offset:         70
        .size:           2
        .value_kind:     hidden_remainder_z
      - .offset:         88
        .size:           8
        .value_kind:     hidden_global_offset_x
      - .offset:         96
        .size:           8
        .value_kind:     hidden_global_offset_y
      - .offset:         104
        .size:           8
        .value_kind:     hidden_global_offset_z
      - .offset:         112
        .size:           2
        .value_kind:     hidden_grid_dims
    .group_segment_fixed_size: 0
    .kernarg_segment_align: 8
    .kernarg_segment_size: 304
    .language:       OpenCL C
    .language_version:
      - 2
      - 0
    .max_flat_workgroup_size: 1024
    .name:           _ZN12_GLOBAL__N_121softmax_warp_backwardIfffLi5ELb0ELb1ELi32EEEvPT0_PKT_S5_iiiPKb
    .private_segment_fixed_size: 0
    .sgpr_count:     18
    .sgpr_spill_count: 0
    .symbol:         _ZN12_GLOBAL__N_121softmax_warp_backwardIfffLi5ELb0ELb1ELi32EEEvPT0_PKT_S5_iiiPKb.kd
    .uniform_work_group_size: 1
    .uses_dynamic_stack: false
    .vgpr_count:     13
    .vgpr_spill_count: 0
    .wavefront_size: 32
    .workgroup_processor_mode: 1
  - .args:
      - .address_space:  global
        .offset:         0
        .size:           8
        .value_kind:     global_buffer
      - .address_space:  global
        .offset:         8
        .size:           8
        .value_kind:     global_buffer
      - .address_space:  global
        .offset:         16
        .size:           8
        .value_kind:     global_buffer
      - .offset:         24
        .size:           4
        .value_kind:     by_value
      - .offset:         28
        .size:           4
        .value_kind:     by_value
      - .offset:         32
        .size:           4
        .value_kind:     by_value
      - .address_space:  global
        .offset:         40
        .size:           8
        .value_kind:     global_buffer
      - .offset:         48
        .size:           4
        .value_kind:     hidden_block_count_x
      - .offset:         52
        .size:           4
        .value_kind:     hidden_block_count_y
      - .offset:         56
        .size:           4
        .value_kind:     hidden_block_count_z
      - .offset:         60
        .size:           2
        .value_kind:     hidden_group_size_x
      - .offset:         62
        .size:           2
        .value_kind:     hidden_group_size_y
      - .offset:         64
        .size:           2
        .value_kind:     hidden_group_size_z
      - .offset:         66
        .size:           2
        .value_kind:     hidden_remainder_x
      - .offset:         68
        .size:           2
        .value_kind:     hidden_remainder_y
      - .offset:         70
        .size:           2
        .value_kind:     hidden_remainder_z
      - .offset:         88
        .size:           8
        .value_kind:     hidden_global_offset_x
      - .offset:         96
        .size:           8
        .value_kind:     hidden_global_offset_y
      - .offset:         104
        .size:           8
        .value_kind:     hidden_global_offset_z
      - .offset:         112
        .size:           2
        .value_kind:     hidden_grid_dims
    .group_segment_fixed_size: 0
    .kernarg_segment_align: 8
    .kernarg_segment_size: 304
    .language:       OpenCL C
    .language_version:
      - 2
      - 0
    .max_flat_workgroup_size: 1024
    .name:           _ZN12_GLOBAL__N_121softmax_warp_backwardIfffLi6ELb0ELb1ELi64EEEvPT0_PKT_S5_iiiPKb
    .private_segment_fixed_size: 0
    .sgpr_count:     18
    .sgpr_spill_count: 0
    .symbol:         _ZN12_GLOBAL__N_121softmax_warp_backwardIfffLi6ELb0ELb1ELi64EEEvPT0_PKT_S5_iiiPKb.kd
    .uniform_work_group_size: 1
    .uses_dynamic_stack: false
    .vgpr_count:     13
    .vgpr_spill_count: 0
    .wavefront_size: 32
    .workgroup_processor_mode: 1
  - .args:
      - .address_space:  global
        .offset:         0
        .size:           8
        .value_kind:     global_buffer
      - .address_space:  global
        .offset:         8
        .size:           8
        .value_kind:     global_buffer
      - .address_space:  global
        .offset:         16
        .size:           8
        .value_kind:     global_buffer
      - .offset:         24
        .size:           4
        .value_kind:     by_value
      - .offset:         28
        .size:           4
        .value_kind:     by_value
      - .offset:         32
        .size:           4
        .value_kind:     by_value
      - .address_space:  global
        .offset:         40
        .size:           8
        .value_kind:     global_buffer
      - .offset:         48
        .size:           4
        .value_kind:     hidden_block_count_x
      - .offset:         52
        .size:           4
        .value_kind:     hidden_block_count_y
      - .offset:         56
        .size:           4
        .value_kind:     hidden_block_count_z
      - .offset:         60
        .size:           2
        .value_kind:     hidden_group_size_x
      - .offset:         62
        .size:           2
        .value_kind:     hidden_group_size_y
      - .offset:         64
        .size:           2
        .value_kind:     hidden_group_size_z
      - .offset:         66
        .size:           2
        .value_kind:     hidden_remainder_x
      - .offset:         68
        .size:           2
        .value_kind:     hidden_remainder_y
      - .offset:         70
        .size:           2
        .value_kind:     hidden_remainder_z
      - .offset:         88
        .size:           8
        .value_kind:     hidden_global_offset_x
      - .offset:         96
        .size:           8
        .value_kind:     hidden_global_offset_y
      - .offset:         104
        .size:           8
        .value_kind:     hidden_global_offset_z
      - .offset:         112
        .size:           2
        .value_kind:     hidden_grid_dims
    .group_segment_fixed_size: 0
    .kernarg_segment_align: 8
    .kernarg_segment_size: 304
    .language:       OpenCL C
    .language_version:
      - 2
      - 0
    .max_flat_workgroup_size: 1024
    .name:           _ZN12_GLOBAL__N_121softmax_warp_backwardIfffLi6ELb0ELb1ELi32EEEvPT0_PKT_S5_iiiPKb
    .private_segment_fixed_size: 0
    .sgpr_count:     18
    .sgpr_spill_count: 0
    .symbol:         _ZN12_GLOBAL__N_121softmax_warp_backwardIfffLi6ELb0ELb1ELi32EEEvPT0_PKT_S5_iiiPKb.kd
    .uniform_work_group_size: 1
    .uses_dynamic_stack: false
    .vgpr_count:     19
    .vgpr_spill_count: 0
    .wavefront_size: 32
    .workgroup_processor_mode: 1
  - .args:
      - .address_space:  global
        .offset:         0
        .size:           8
        .value_kind:     global_buffer
      - .address_space:  global
        .offset:         8
        .size:           8
        .value_kind:     global_buffer
      - .address_space:  global
        .offset:         16
        .size:           8
        .value_kind:     global_buffer
      - .offset:         24
        .size:           4
        .value_kind:     by_value
      - .offset:         28
        .size:           4
        .value_kind:     by_value
      - .offset:         32
        .size:           4
        .value_kind:     by_value
      - .address_space:  global
        .offset:         40
        .size:           8
        .value_kind:     global_buffer
      - .offset:         48
        .size:           4
        .value_kind:     hidden_block_count_x
      - .offset:         52
        .size:           4
        .value_kind:     hidden_block_count_y
      - .offset:         56
        .size:           4
        .value_kind:     hidden_block_count_z
      - .offset:         60
        .size:           2
        .value_kind:     hidden_group_size_x
      - .offset:         62
        .size:           2
        .value_kind:     hidden_group_size_y
      - .offset:         64
        .size:           2
        .value_kind:     hidden_group_size_z
      - .offset:         66
        .size:           2
        .value_kind:     hidden_remainder_x
      - .offset:         68
        .size:           2
        .value_kind:     hidden_remainder_y
      - .offset:         70
        .size:           2
        .value_kind:     hidden_remainder_z
      - .offset:         88
        .size:           8
        .value_kind:     hidden_global_offset_x
      - .offset:         96
        .size:           8
        .value_kind:     hidden_global_offset_y
      - .offset:         104
        .size:           8
        .value_kind:     hidden_global_offset_z
      - .offset:         112
        .size:           2
        .value_kind:     hidden_grid_dims
    .group_segment_fixed_size: 0
    .kernarg_segment_align: 8
    .kernarg_segment_size: 304
    .language:       OpenCL C
    .language_version:
      - 2
      - 0
    .max_flat_workgroup_size: 1024
    .name:           _ZN12_GLOBAL__N_121softmax_warp_backwardIfffLi7ELb0ELb1ELi64EEEvPT0_PKT_S5_iiiPKb
    .private_segment_fixed_size: 0
    .sgpr_count:     18
    .sgpr_spill_count: 0
    .symbol:         _ZN12_GLOBAL__N_121softmax_warp_backwardIfffLi7ELb0ELb1ELi64EEEvPT0_PKT_S5_iiiPKb.kd
    .uniform_work_group_size: 1
    .uses_dynamic_stack: false
    .vgpr_count:     19
    .vgpr_spill_count: 0
    .wavefront_size: 32
    .workgroup_processor_mode: 1
  - .args:
      - .address_space:  global
        .offset:         0
        .size:           8
        .value_kind:     global_buffer
      - .address_space:  global
        .offset:         8
        .size:           8
        .value_kind:     global_buffer
      - .address_space:  global
        .offset:         16
        .size:           8
        .value_kind:     global_buffer
      - .offset:         24
        .size:           4
        .value_kind:     by_value
      - .offset:         28
        .size:           4
        .value_kind:     by_value
      - .offset:         32
        .size:           4
        .value_kind:     by_value
      - .address_space:  global
        .offset:         40
        .size:           8
        .value_kind:     global_buffer
      - .offset:         48
        .size:           4
        .value_kind:     hidden_block_count_x
      - .offset:         52
        .size:           4
        .value_kind:     hidden_block_count_y
      - .offset:         56
        .size:           4
        .value_kind:     hidden_block_count_z
      - .offset:         60
        .size:           2
        .value_kind:     hidden_group_size_x
      - .offset:         62
        .size:           2
        .value_kind:     hidden_group_size_y
      - .offset:         64
        .size:           2
        .value_kind:     hidden_group_size_z
      - .offset:         66
        .size:           2
        .value_kind:     hidden_remainder_x
      - .offset:         68
        .size:           2
        .value_kind:     hidden_remainder_y
      - .offset:         70
        .size:           2
        .value_kind:     hidden_remainder_z
      - .offset:         88
        .size:           8
        .value_kind:     hidden_global_offset_x
      - .offset:         96
        .size:           8
        .value_kind:     hidden_global_offset_y
      - .offset:         104
        .size:           8
        .value_kind:     hidden_global_offset_z
      - .offset:         112
        .size:           2
        .value_kind:     hidden_grid_dims
    .group_segment_fixed_size: 0
    .kernarg_segment_align: 8
    .kernarg_segment_size: 304
    .language:       OpenCL C
    .language_version:
      - 2
      - 0
    .max_flat_workgroup_size: 1024
    .name:           _ZN12_GLOBAL__N_121softmax_warp_backwardIfffLi7ELb0ELb1ELi32EEEvPT0_PKT_S5_iiiPKb
    .private_segment_fixed_size: 0
    .sgpr_count:     18
    .sgpr_spill_count: 0
    .symbol:         _ZN12_GLOBAL__N_121softmax_warp_backwardIfffLi7ELb0ELb1ELi32EEEvPT0_PKT_S5_iiiPKb.kd
    .uniform_work_group_size: 1
    .uses_dynamic_stack: false
    .vgpr_count:     31
    .vgpr_spill_count: 0
    .wavefront_size: 32
    .workgroup_processor_mode: 1
  - .args:
      - .address_space:  global
        .offset:         0
        .size:           8
        .value_kind:     global_buffer
      - .address_space:  global
        .offset:         8
        .size:           8
        .value_kind:     global_buffer
      - .address_space:  global
        .offset:         16
        .size:           8
        .value_kind:     global_buffer
      - .offset:         24
        .size:           4
        .value_kind:     by_value
      - .offset:         28
        .size:           4
        .value_kind:     by_value
      - .offset:         32
        .size:           4
        .value_kind:     by_value
      - .address_space:  global
        .offset:         40
        .size:           8
        .value_kind:     global_buffer
      - .offset:         48
        .size:           4
        .value_kind:     hidden_block_count_x
      - .offset:         52
        .size:           4
        .value_kind:     hidden_block_count_y
      - .offset:         56
        .size:           4
        .value_kind:     hidden_block_count_z
      - .offset:         60
        .size:           2
        .value_kind:     hidden_group_size_x
      - .offset:         62
        .size:           2
        .value_kind:     hidden_group_size_y
      - .offset:         64
        .size:           2
        .value_kind:     hidden_group_size_z
      - .offset:         66
        .size:           2
        .value_kind:     hidden_remainder_x
      - .offset:         68
        .size:           2
        .value_kind:     hidden_remainder_y
      - .offset:         70
        .size:           2
        .value_kind:     hidden_remainder_z
      - .offset:         88
        .size:           8
        .value_kind:     hidden_global_offset_x
      - .offset:         96
        .size:           8
        .value_kind:     hidden_global_offset_y
      - .offset:         104
        .size:           8
        .value_kind:     hidden_global_offset_z
      - .offset:         112
        .size:           2
        .value_kind:     hidden_grid_dims
    .group_segment_fixed_size: 0
    .kernarg_segment_align: 8
    .kernarg_segment_size: 304
    .language:       OpenCL C
    .language_version:
      - 2
      - 0
    .max_flat_workgroup_size: 1024
    .name:           _ZN12_GLOBAL__N_121softmax_warp_backwardIfffLi8ELb0ELb1ELi64EEEvPT0_PKT_S5_iiiPKb
    .private_segment_fixed_size: 0
    .sgpr_count:     18
    .sgpr_spill_count: 0
    .symbol:         _ZN12_GLOBAL__N_121softmax_warp_backwardIfffLi8ELb0ELb1ELi64EEEvPT0_PKT_S5_iiiPKb.kd
    .uniform_work_group_size: 1
    .uses_dynamic_stack: false
    .vgpr_count:     17
    .vgpr_spill_count: 0
    .wavefront_size: 32
    .workgroup_processor_mode: 1
  - .args:
      - .address_space:  global
        .offset:         0
        .size:           8
        .value_kind:     global_buffer
      - .address_space:  global
        .offset:         8
        .size:           8
        .value_kind:     global_buffer
      - .address_space:  global
        .offset:         16
        .size:           8
        .value_kind:     global_buffer
      - .offset:         24
        .size:           4
        .value_kind:     by_value
      - .offset:         28
        .size:           4
        .value_kind:     by_value
      - .offset:         32
        .size:           4
        .value_kind:     by_value
      - .address_space:  global
        .offset:         40
        .size:           8
        .value_kind:     global_buffer
      - .offset:         48
        .size:           4
        .value_kind:     hidden_block_count_x
      - .offset:         52
        .size:           4
        .value_kind:     hidden_block_count_y
      - .offset:         56
        .size:           4
        .value_kind:     hidden_block_count_z
      - .offset:         60
        .size:           2
        .value_kind:     hidden_group_size_x
      - .offset:         62
        .size:           2
        .value_kind:     hidden_group_size_y
      - .offset:         64
        .size:           2
        .value_kind:     hidden_group_size_z
      - .offset:         66
        .size:           2
        .value_kind:     hidden_remainder_x
      - .offset:         68
        .size:           2
        .value_kind:     hidden_remainder_y
      - .offset:         70
        .size:           2
        .value_kind:     hidden_remainder_z
      - .offset:         88
        .size:           8
        .value_kind:     hidden_global_offset_x
      - .offset:         96
        .size:           8
        .value_kind:     hidden_global_offset_y
      - .offset:         104
        .size:           8
        .value_kind:     hidden_global_offset_z
      - .offset:         112
        .size:           2
        .value_kind:     hidden_grid_dims
    .group_segment_fixed_size: 0
    .kernarg_segment_align: 8
    .kernarg_segment_size: 304
    .language:       OpenCL C
    .language_version:
      - 2
      - 0
    .max_flat_workgroup_size: 1024
    .name:           _ZN12_GLOBAL__N_121softmax_warp_backwardIfffLi8ELb0ELb1ELi32EEEvPT0_PKT_S5_iiiPKb
    .private_segment_fixed_size: 0
    .sgpr_count:     22
    .sgpr_spill_count: 0
    .symbol:         _ZN12_GLOBAL__N_121softmax_warp_backwardIfffLi8ELb0ELb1ELi32EEEvPT0_PKT_S5_iiiPKb.kd
    .uniform_work_group_size: 1
    .uses_dynamic_stack: false
    .vgpr_count:     28
    .vgpr_spill_count: 0
    .wavefront_size: 32
    .workgroup_processor_mode: 1
  - .args:
      - .address_space:  global
        .offset:         0
        .size:           8
        .value_kind:     global_buffer
      - .address_space:  global
        .offset:         8
        .size:           8
        .value_kind:     global_buffer
      - .address_space:  global
        .offset:         16
        .size:           8
        .value_kind:     global_buffer
      - .offset:         24
        .size:           4
        .value_kind:     by_value
      - .offset:         28
        .size:           4
        .value_kind:     by_value
      - .offset:         32
        .size:           4
        .value_kind:     by_value
      - .address_space:  global
        .offset:         40
        .size:           8
        .value_kind:     global_buffer
      - .offset:         48
        .size:           4
        .value_kind:     hidden_block_count_x
      - .offset:         52
        .size:           4
        .value_kind:     hidden_block_count_y
      - .offset:         56
        .size:           4
        .value_kind:     hidden_block_count_z
      - .offset:         60
        .size:           2
        .value_kind:     hidden_group_size_x
      - .offset:         62
        .size:           2
        .value_kind:     hidden_group_size_y
      - .offset:         64
        .size:           2
        .value_kind:     hidden_group_size_z
      - .offset:         66
        .size:           2
        .value_kind:     hidden_remainder_x
      - .offset:         68
        .size:           2
        .value_kind:     hidden_remainder_y
      - .offset:         70
        .size:           2
        .value_kind:     hidden_remainder_z
      - .offset:         88
        .size:           8
        .value_kind:     hidden_global_offset_x
      - .offset:         96
        .size:           8
        .value_kind:     hidden_global_offset_y
      - .offset:         104
        .size:           8
        .value_kind:     hidden_global_offset_z
      - .offset:         112
        .size:           2
        .value_kind:     hidden_grid_dims
    .group_segment_fixed_size: 0
    .kernarg_segment_align: 8
    .kernarg_segment_size: 304
    .language:       OpenCL C
    .language_version:
      - 2
      - 0
    .max_flat_workgroup_size: 1024
    .name:           _ZN12_GLOBAL__N_121softmax_warp_backwardIfffLi9ELb0ELb1ELi64EEEvPT0_PKT_S5_iiiPKb
    .private_segment_fixed_size: 0
    .sgpr_count:     22
    .sgpr_spill_count: 0
    .symbol:         _ZN12_GLOBAL__N_121softmax_warp_backwardIfffLi9ELb0ELb1ELi64EEEvPT0_PKT_S5_iiiPKb.kd
    .uniform_work_group_size: 1
    .uses_dynamic_stack: false
    .vgpr_count:     28
    .vgpr_spill_count: 0
    .wavefront_size: 32
    .workgroup_processor_mode: 1
  - .args:
      - .address_space:  global
        .offset:         0
        .size:           8
        .value_kind:     global_buffer
      - .address_space:  global
        .offset:         8
        .size:           8
        .value_kind:     global_buffer
      - .address_space:  global
        .offset:         16
        .size:           8
        .value_kind:     global_buffer
      - .offset:         24
        .size:           4
        .value_kind:     by_value
      - .offset:         28
        .size:           4
        .value_kind:     by_value
      - .offset:         32
        .size:           4
        .value_kind:     by_value
      - .address_space:  global
        .offset:         40
        .size:           8
        .value_kind:     global_buffer
      - .offset:         48
        .size:           4
        .value_kind:     hidden_block_count_x
      - .offset:         52
        .size:           4
        .value_kind:     hidden_block_count_y
      - .offset:         56
        .size:           4
        .value_kind:     hidden_block_count_z
      - .offset:         60
        .size:           2
        .value_kind:     hidden_group_size_x
      - .offset:         62
        .size:           2
        .value_kind:     hidden_group_size_y
      - .offset:         64
        .size:           2
        .value_kind:     hidden_group_size_z
      - .offset:         66
        .size:           2
        .value_kind:     hidden_remainder_x
      - .offset:         68
        .size:           2
        .value_kind:     hidden_remainder_y
      - .offset:         70
        .size:           2
        .value_kind:     hidden_remainder_z
      - .offset:         88
        .size:           8
        .value_kind:     hidden_global_offset_x
      - .offset:         96
        .size:           8
        .value_kind:     hidden_global_offset_y
      - .offset:         104
        .size:           8
        .value_kind:     hidden_global_offset_z
      - .offset:         112
        .size:           2
        .value_kind:     hidden_grid_dims
    .group_segment_fixed_size: 0
    .kernarg_segment_align: 8
    .kernarg_segment_size: 304
    .language:       OpenCL C
    .language_version:
      - 2
      - 0
    .max_flat_workgroup_size: 1024
    .name:           _ZN12_GLOBAL__N_121softmax_warp_backwardIfffLi9ELb0ELb1ELi32EEEvPT0_PKT_S5_iiiPKb
    .private_segment_fixed_size: 0
    .sgpr_count:     42
    .sgpr_spill_count: 0
    .symbol:         _ZN12_GLOBAL__N_121softmax_warp_backwardIfffLi9ELb0ELb1ELi32EEEvPT0_PKT_S5_iiiPKb.kd
    .uniform_work_group_size: 1
    .uses_dynamic_stack: false
    .vgpr_count:     52
    .vgpr_spill_count: 0
    .wavefront_size: 32
    .workgroup_processor_mode: 1
  - .args:
      - .address_space:  global
        .offset:         0
        .size:           8
        .value_kind:     global_buffer
      - .address_space:  global
        .offset:         8
        .size:           8
        .value_kind:     global_buffer
      - .address_space:  global
        .offset:         16
        .size:           8
        .value_kind:     global_buffer
      - .offset:         24
        .size:           4
        .value_kind:     by_value
      - .offset:         28
        .size:           4
        .value_kind:     by_value
      - .offset:         32
        .size:           4
        .value_kind:     by_value
      - .address_space:  global
        .offset:         40
        .size:           8
        .value_kind:     global_buffer
      - .offset:         48
        .size:           4
        .value_kind:     hidden_block_count_x
      - .offset:         52
        .size:           4
        .value_kind:     hidden_block_count_y
      - .offset:         56
        .size:           4
        .value_kind:     hidden_block_count_z
      - .offset:         60
        .size:           2
        .value_kind:     hidden_group_size_x
      - .offset:         62
        .size:           2
        .value_kind:     hidden_group_size_y
      - .offset:         64
        .size:           2
        .value_kind:     hidden_group_size_z
      - .offset:         66
        .size:           2
        .value_kind:     hidden_remainder_x
      - .offset:         68
        .size:           2
        .value_kind:     hidden_remainder_y
      - .offset:         70
        .size:           2
        .value_kind:     hidden_remainder_z
      - .offset:         88
        .size:           8
        .value_kind:     hidden_global_offset_x
      - .offset:         96
        .size:           8
        .value_kind:     hidden_global_offset_y
      - .offset:         104
        .size:           8
        .value_kind:     hidden_global_offset_z
      - .offset:         112
        .size:           2
        .value_kind:     hidden_grid_dims
    .group_segment_fixed_size: 0
    .kernarg_segment_align: 8
    .kernarg_segment_size: 304
    .language:       OpenCL C
    .language_version:
      - 2
      - 0
    .max_flat_workgroup_size: 1024
    .name:           _ZN12_GLOBAL__N_121softmax_warp_backwardIfffLi10ELb0ELb1ELi64EEEvPT0_PKT_S5_iiiPKb
    .private_segment_fixed_size: 0
    .sgpr_count:     42
    .sgpr_spill_count: 0
    .symbol:         _ZN12_GLOBAL__N_121softmax_warp_backwardIfffLi10ELb0ELb1ELi64EEEvPT0_PKT_S5_iiiPKb.kd
    .uniform_work_group_size: 1
    .uses_dynamic_stack: false
    .vgpr_count:     52
    .vgpr_spill_count: 0
    .wavefront_size: 32
    .workgroup_processor_mode: 1
  - .args:
      - .address_space:  global
        .offset:         0
        .size:           8
        .value_kind:     global_buffer
      - .address_space:  global
        .offset:         8
        .size:           8
        .value_kind:     global_buffer
      - .address_space:  global
        .offset:         16
        .size:           8
        .value_kind:     global_buffer
      - .offset:         24
        .size:           4
        .value_kind:     by_value
      - .offset:         28
        .size:           4
        .value_kind:     by_value
      - .offset:         32
        .size:           4
        .value_kind:     by_value
      - .address_space:  global
        .offset:         40
        .size:           8
        .value_kind:     global_buffer
      - .offset:         48
        .size:           4
        .value_kind:     hidden_block_count_x
      - .offset:         52
        .size:           4
        .value_kind:     hidden_block_count_y
      - .offset:         56
        .size:           4
        .value_kind:     hidden_block_count_z
      - .offset:         60
        .size:           2
        .value_kind:     hidden_group_size_x
      - .offset:         62
        .size:           2
        .value_kind:     hidden_group_size_y
      - .offset:         64
        .size:           2
        .value_kind:     hidden_group_size_z
      - .offset:         66
        .size:           2
        .value_kind:     hidden_remainder_x
      - .offset:         68
        .size:           2
        .value_kind:     hidden_remainder_y
      - .offset:         70
        .size:           2
        .value_kind:     hidden_remainder_z
      - .offset:         88
        .size:           8
        .value_kind:     hidden_global_offset_x
      - .offset:         96
        .size:           8
        .value_kind:     hidden_global_offset_y
      - .offset:         104
        .size:           8
        .value_kind:     hidden_global_offset_z
      - .offset:         112
        .size:           2
        .value_kind:     hidden_grid_dims
    .group_segment_fixed_size: 0
    .kernarg_segment_align: 8
    .kernarg_segment_size: 304
    .language:       OpenCL C
    .language_version:
      - 2
      - 0
    .max_flat_workgroup_size: 1024
    .name:           _ZN12_GLOBAL__N_121softmax_warp_backwardIfffLi10ELb0ELb1ELi32EEEvPT0_PKT_S5_iiiPKb
    .private_segment_fixed_size: 0
    .sgpr_count:     74
    .sgpr_spill_count: 0
    .symbol:         _ZN12_GLOBAL__N_121softmax_warp_backwardIfffLi10ELb0ELb1ELi32EEEvPT0_PKT_S5_iiiPKb.kd
    .uniform_work_group_size: 1
    .uses_dynamic_stack: false
    .vgpr_count:     73
    .vgpr_spill_count: 0
    .wavefront_size: 32
    .workgroup_processor_mode: 1
  - .args:
      - .address_space:  global
        .offset:         0
        .size:           8
        .value_kind:     global_buffer
      - .address_space:  global
        .offset:         8
        .size:           8
        .value_kind:     global_buffer
      - .address_space:  global
        .offset:         16
        .size:           8
        .value_kind:     global_buffer
      - .offset:         24
        .size:           4
        .value_kind:     by_value
      - .offset:         28
        .size:           4
        .value_kind:     by_value
      - .offset:         32
        .size:           4
        .value_kind:     by_value
      - .address_space:  global
        .offset:         40
        .size:           8
        .value_kind:     global_buffer
      - .offset:         48
        .size:           4
        .value_kind:     hidden_block_count_x
      - .offset:         52
        .size:           4
        .value_kind:     hidden_block_count_y
      - .offset:         56
        .size:           4
        .value_kind:     hidden_block_count_z
      - .offset:         60
        .size:           2
        .value_kind:     hidden_group_size_x
      - .offset:         62
        .size:           2
        .value_kind:     hidden_group_size_y
      - .offset:         64
        .size:           2
        .value_kind:     hidden_group_size_z
      - .offset:         66
        .size:           2
        .value_kind:     hidden_remainder_x
      - .offset:         68
        .size:           2
        .value_kind:     hidden_remainder_y
      - .offset:         70
        .size:           2
        .value_kind:     hidden_remainder_z
      - .offset:         88
        .size:           8
        .value_kind:     hidden_global_offset_x
      - .offset:         96
        .size:           8
        .value_kind:     hidden_global_offset_y
      - .offset:         104
        .size:           8
        .value_kind:     hidden_global_offset_z
      - .offset:         112
        .size:           2
        .value_kind:     hidden_grid_dims
    .group_segment_fixed_size: 0
    .kernarg_segment_align: 8
    .kernarg_segment_size: 304
    .language:       OpenCL C
    .language_version:
      - 2
      - 0
    .max_flat_workgroup_size: 1024
    .name:           _ZN12_GLOBAL__N_121softmax_warp_backwardIN3c104HalfES2_fLi0ELb0ELb1ELi64EEEvPT0_PKT_S7_iiiPKb
    .private_segment_fixed_size: 0
    .sgpr_count:     18
    .sgpr_spill_count: 0
    .symbol:         _ZN12_GLOBAL__N_121softmax_warp_backwardIN3c104HalfES2_fLi0ELb0ELb1ELi64EEEvPT0_PKT_S7_iiiPKb.kd
    .uniform_work_group_size: 1
    .uses_dynamic_stack: false
    .vgpr_count:     13
    .vgpr_spill_count: 0
    .wavefront_size: 32
    .workgroup_processor_mode: 1
  - .args:
      - .address_space:  global
        .offset:         0
        .size:           8
        .value_kind:     global_buffer
      - .address_space:  global
        .offset:         8
        .size:           8
        .value_kind:     global_buffer
      - .address_space:  global
        .offset:         16
        .size:           8
        .value_kind:     global_buffer
      - .offset:         24
        .size:           4
        .value_kind:     by_value
      - .offset:         28
        .size:           4
        .value_kind:     by_value
      - .offset:         32
        .size:           4
        .value_kind:     by_value
      - .address_space:  global
        .offset:         40
        .size:           8
        .value_kind:     global_buffer
      - .offset:         48
        .size:           4
        .value_kind:     hidden_block_count_x
      - .offset:         52
        .size:           4
        .value_kind:     hidden_block_count_y
      - .offset:         56
        .size:           4
        .value_kind:     hidden_block_count_z
      - .offset:         60
        .size:           2
        .value_kind:     hidden_group_size_x
      - .offset:         62
        .size:           2
        .value_kind:     hidden_group_size_y
      - .offset:         64
        .size:           2
        .value_kind:     hidden_group_size_z
      - .offset:         66
        .size:           2
        .value_kind:     hidden_remainder_x
      - .offset:         68
        .size:           2
        .value_kind:     hidden_remainder_y
      - .offset:         70
        .size:           2
        .value_kind:     hidden_remainder_z
      - .offset:         88
        .size:           8
        .value_kind:     hidden_global_offset_x
      - .offset:         96
        .size:           8
        .value_kind:     hidden_global_offset_y
      - .offset:         104
        .size:           8
        .value_kind:     hidden_global_offset_z
      - .offset:         112
        .size:           2
        .value_kind:     hidden_grid_dims
    .group_segment_fixed_size: 0
    .kernarg_segment_align: 8
    .kernarg_segment_size: 304
    .language:       OpenCL C
    .language_version:
      - 2
      - 0
    .max_flat_workgroup_size: 1024
    .name:           _ZN12_GLOBAL__N_121softmax_warp_backwardIN3c104HalfES2_fLi0ELb0ELb1ELi32EEEvPT0_PKT_S7_iiiPKb
    .private_segment_fixed_size: 0
    .sgpr_count:     18
    .sgpr_spill_count: 0
    .symbol:         _ZN12_GLOBAL__N_121softmax_warp_backwardIN3c104HalfES2_fLi0ELb0ELb1ELi32EEEvPT0_PKT_S7_iiiPKb.kd
    .uniform_work_group_size: 1
    .uses_dynamic_stack: false
    .vgpr_count:     13
    .vgpr_spill_count: 0
    .wavefront_size: 32
    .workgroup_processor_mode: 1
  - .args:
      - .address_space:  global
        .offset:         0
        .size:           8
        .value_kind:     global_buffer
      - .address_space:  global
        .offset:         8
        .size:           8
        .value_kind:     global_buffer
      - .address_space:  global
        .offset:         16
        .size:           8
        .value_kind:     global_buffer
      - .offset:         24
        .size:           4
        .value_kind:     by_value
      - .offset:         28
        .size:           4
        .value_kind:     by_value
      - .offset:         32
        .size:           4
        .value_kind:     by_value
      - .address_space:  global
        .offset:         40
        .size:           8
        .value_kind:     global_buffer
      - .offset:         48
        .size:           4
        .value_kind:     hidden_block_count_x
      - .offset:         52
        .size:           4
        .value_kind:     hidden_block_count_y
      - .offset:         56
        .size:           4
        .value_kind:     hidden_block_count_z
      - .offset:         60
        .size:           2
        .value_kind:     hidden_group_size_x
      - .offset:         62
        .size:           2
        .value_kind:     hidden_group_size_y
      - .offset:         64
        .size:           2
        .value_kind:     hidden_group_size_z
      - .offset:         66
        .size:           2
        .value_kind:     hidden_remainder_x
      - .offset:         68
        .size:           2
        .value_kind:     hidden_remainder_y
      - .offset:         70
        .size:           2
        .value_kind:     hidden_remainder_z
      - .offset:         88
        .size:           8
        .value_kind:     hidden_global_offset_x
      - .offset:         96
        .size:           8
        .value_kind:     hidden_global_offset_y
      - .offset:         104
        .size:           8
        .value_kind:     hidden_global_offset_z
      - .offset:         112
        .size:           2
        .value_kind:     hidden_grid_dims
    .group_segment_fixed_size: 0
    .kernarg_segment_align: 8
    .kernarg_segment_size: 304
    .language:       OpenCL C
    .language_version:
      - 2
      - 0
    .max_flat_workgroup_size: 1024
    .name:           _ZN12_GLOBAL__N_121softmax_warp_backwardIN3c104HalfES2_fLi1ELb0ELb1ELi64EEEvPT0_PKT_S7_iiiPKb
    .private_segment_fixed_size: 0
    .sgpr_count:     18
    .sgpr_spill_count: 0
    .symbol:         _ZN12_GLOBAL__N_121softmax_warp_backwardIN3c104HalfES2_fLi1ELb0ELb1ELi64EEEvPT0_PKT_S7_iiiPKb.kd
    .uniform_work_group_size: 1
    .uses_dynamic_stack: false
    .vgpr_count:     13
    .vgpr_spill_count: 0
    .wavefront_size: 32
    .workgroup_processor_mode: 1
  - .args:
      - .address_space:  global
        .offset:         0
        .size:           8
        .value_kind:     global_buffer
      - .address_space:  global
        .offset:         8
        .size:           8
        .value_kind:     global_buffer
      - .address_space:  global
        .offset:         16
        .size:           8
        .value_kind:     global_buffer
      - .offset:         24
        .size:           4
        .value_kind:     by_value
      - .offset:         28
        .size:           4
        .value_kind:     by_value
      - .offset:         32
        .size:           4
        .value_kind:     by_value
      - .address_space:  global
        .offset:         40
        .size:           8
        .value_kind:     global_buffer
      - .offset:         48
        .size:           4
        .value_kind:     hidden_block_count_x
      - .offset:         52
        .size:           4
        .value_kind:     hidden_block_count_y
      - .offset:         56
        .size:           4
        .value_kind:     hidden_block_count_z
      - .offset:         60
        .size:           2
        .value_kind:     hidden_group_size_x
      - .offset:         62
        .size:           2
        .value_kind:     hidden_group_size_y
      - .offset:         64
        .size:           2
        .value_kind:     hidden_group_size_z
      - .offset:         66
        .size:           2
        .value_kind:     hidden_remainder_x
      - .offset:         68
        .size:           2
        .value_kind:     hidden_remainder_y
      - .offset:         70
        .size:           2
        .value_kind:     hidden_remainder_z
      - .offset:         88
        .size:           8
        .value_kind:     hidden_global_offset_x
      - .offset:         96
        .size:           8
        .value_kind:     hidden_global_offset_y
      - .offset:         104
        .size:           8
        .value_kind:     hidden_global_offset_z
      - .offset:         112
        .size:           2
        .value_kind:     hidden_grid_dims
    .group_segment_fixed_size: 0
    .kernarg_segment_align: 8
    .kernarg_segment_size: 304
    .language:       OpenCL C
    .language_version:
      - 2
      - 0
    .max_flat_workgroup_size: 1024
    .name:           _ZN12_GLOBAL__N_121softmax_warp_backwardIN3c104HalfES2_fLi1ELb0ELb1ELi32EEEvPT0_PKT_S7_iiiPKb
    .private_segment_fixed_size: 0
    .sgpr_count:     18
    .sgpr_spill_count: 0
    .symbol:         _ZN12_GLOBAL__N_121softmax_warp_backwardIN3c104HalfES2_fLi1ELb0ELb1ELi32EEEvPT0_PKT_S7_iiiPKb.kd
    .uniform_work_group_size: 1
    .uses_dynamic_stack: false
    .vgpr_count:     13
    .vgpr_spill_count: 0
    .wavefront_size: 32
    .workgroup_processor_mode: 1
  - .args:
      - .address_space:  global
        .offset:         0
        .size:           8
        .value_kind:     global_buffer
      - .address_space:  global
        .offset:         8
        .size:           8
        .value_kind:     global_buffer
      - .address_space:  global
        .offset:         16
        .size:           8
        .value_kind:     global_buffer
      - .offset:         24
        .size:           4
        .value_kind:     by_value
      - .offset:         28
        .size:           4
        .value_kind:     by_value
      - .offset:         32
        .size:           4
        .value_kind:     by_value
      - .address_space:  global
        .offset:         40
        .size:           8
        .value_kind:     global_buffer
      - .offset:         48
        .size:           4
        .value_kind:     hidden_block_count_x
      - .offset:         52
        .size:           4
        .value_kind:     hidden_block_count_y
      - .offset:         56
        .size:           4
        .value_kind:     hidden_block_count_z
      - .offset:         60
        .size:           2
        .value_kind:     hidden_group_size_x
      - .offset:         62
        .size:           2
        .value_kind:     hidden_group_size_y
      - .offset:         64
        .size:           2
        .value_kind:     hidden_group_size_z
      - .offset:         66
        .size:           2
        .value_kind:     hidden_remainder_x
      - .offset:         68
        .size:           2
        .value_kind:     hidden_remainder_y
      - .offset:         70
        .size:           2
        .value_kind:     hidden_remainder_z
      - .offset:         88
        .size:           8
        .value_kind:     hidden_global_offset_x
      - .offset:         96
        .size:           8
        .value_kind:     hidden_global_offset_y
      - .offset:         104
        .size:           8
        .value_kind:     hidden_global_offset_z
      - .offset:         112
        .size:           2
        .value_kind:     hidden_grid_dims
    .group_segment_fixed_size: 0
    .kernarg_segment_align: 8
    .kernarg_segment_size: 304
    .language:       OpenCL C
    .language_version:
      - 2
      - 0
    .max_flat_workgroup_size: 1024
    .name:           _ZN12_GLOBAL__N_121softmax_warp_backwardIN3c104HalfES2_fLi2ELb0ELb1ELi64EEEvPT0_PKT_S7_iiiPKb
    .private_segment_fixed_size: 0
    .sgpr_count:     18
    .sgpr_spill_count: 0
    .symbol:         _ZN12_GLOBAL__N_121softmax_warp_backwardIN3c104HalfES2_fLi2ELb0ELb1ELi64EEEvPT0_PKT_S7_iiiPKb.kd
    .uniform_work_group_size: 1
    .uses_dynamic_stack: false
    .vgpr_count:     14
    .vgpr_spill_count: 0
    .wavefront_size: 32
    .workgroup_processor_mode: 1
  - .args:
      - .address_space:  global
        .offset:         0
        .size:           8
        .value_kind:     global_buffer
      - .address_space:  global
        .offset:         8
        .size:           8
        .value_kind:     global_buffer
      - .address_space:  global
        .offset:         16
        .size:           8
        .value_kind:     global_buffer
      - .offset:         24
        .size:           4
        .value_kind:     by_value
      - .offset:         28
        .size:           4
        .value_kind:     by_value
      - .offset:         32
        .size:           4
        .value_kind:     by_value
      - .address_space:  global
        .offset:         40
        .size:           8
        .value_kind:     global_buffer
      - .offset:         48
        .size:           4
        .value_kind:     hidden_block_count_x
      - .offset:         52
        .size:           4
        .value_kind:     hidden_block_count_y
      - .offset:         56
        .size:           4
        .value_kind:     hidden_block_count_z
      - .offset:         60
        .size:           2
        .value_kind:     hidden_group_size_x
      - .offset:         62
        .size:           2
        .value_kind:     hidden_group_size_y
      - .offset:         64
        .size:           2
        .value_kind:     hidden_group_size_z
      - .offset:         66
        .size:           2
        .value_kind:     hidden_remainder_x
      - .offset:         68
        .size:           2
        .value_kind:     hidden_remainder_y
      - .offset:         70
        .size:           2
        .value_kind:     hidden_remainder_z
      - .offset:         88
        .size:           8
        .value_kind:     hidden_global_offset_x
      - .offset:         96
        .size:           8
        .value_kind:     hidden_global_offset_y
      - .offset:         104
        .size:           8
        .value_kind:     hidden_global_offset_z
      - .offset:         112
        .size:           2
        .value_kind:     hidden_grid_dims
    .group_segment_fixed_size: 0
    .kernarg_segment_align: 8
    .kernarg_segment_size: 304
    .language:       OpenCL C
    .language_version:
      - 2
      - 0
    .max_flat_workgroup_size: 1024
    .name:           _ZN12_GLOBAL__N_121softmax_warp_backwardIN3c104HalfES2_fLi2ELb0ELb1ELi32EEEvPT0_PKT_S7_iiiPKb
    .private_segment_fixed_size: 0
    .sgpr_count:     18
    .sgpr_spill_count: 0
    .symbol:         _ZN12_GLOBAL__N_121softmax_warp_backwardIN3c104HalfES2_fLi2ELb0ELb1ELi32EEEvPT0_PKT_S7_iiiPKb.kd
    .uniform_work_group_size: 1
    .uses_dynamic_stack: false
    .vgpr_count:     14
    .vgpr_spill_count: 0
    .wavefront_size: 32
    .workgroup_processor_mode: 1
  - .args:
      - .address_space:  global
        .offset:         0
        .size:           8
        .value_kind:     global_buffer
      - .address_space:  global
        .offset:         8
        .size:           8
        .value_kind:     global_buffer
      - .address_space:  global
        .offset:         16
        .size:           8
        .value_kind:     global_buffer
      - .offset:         24
        .size:           4
        .value_kind:     by_value
      - .offset:         28
        .size:           4
        .value_kind:     by_value
      - .offset:         32
        .size:           4
        .value_kind:     by_value
      - .address_space:  global
        .offset:         40
        .size:           8
        .value_kind:     global_buffer
      - .offset:         48
        .size:           4
        .value_kind:     hidden_block_count_x
      - .offset:         52
        .size:           4
        .value_kind:     hidden_block_count_y
      - .offset:         56
        .size:           4
        .value_kind:     hidden_block_count_z
      - .offset:         60
        .size:           2
        .value_kind:     hidden_group_size_x
      - .offset:         62
        .size:           2
        .value_kind:     hidden_group_size_y
      - .offset:         64
        .size:           2
        .value_kind:     hidden_group_size_z
      - .offset:         66
        .size:           2
        .value_kind:     hidden_remainder_x
      - .offset:         68
        .size:           2
        .value_kind:     hidden_remainder_y
      - .offset:         70
        .size:           2
        .value_kind:     hidden_remainder_z
      - .offset:         88
        .size:           8
        .value_kind:     hidden_global_offset_x
      - .offset:         96
        .size:           8
        .value_kind:     hidden_global_offset_y
      - .offset:         104
        .size:           8
        .value_kind:     hidden_global_offset_z
      - .offset:         112
        .size:           2
        .value_kind:     hidden_grid_dims
    .group_segment_fixed_size: 0
    .kernarg_segment_align: 8
    .kernarg_segment_size: 304
    .language:       OpenCL C
    .language_version:
      - 2
      - 0
    .max_flat_workgroup_size: 1024
    .name:           _ZN12_GLOBAL__N_121softmax_warp_backwardIN3c104HalfES2_fLi3ELb0ELb1ELi64EEEvPT0_PKT_S7_iiiPKb
    .private_segment_fixed_size: 0
    .sgpr_count:     18
    .sgpr_spill_count: 0
    .symbol:         _ZN12_GLOBAL__N_121softmax_warp_backwardIN3c104HalfES2_fLi3ELb0ELb1ELi64EEEvPT0_PKT_S7_iiiPKb.kd
    .uniform_work_group_size: 1
    .uses_dynamic_stack: false
    .vgpr_count:     14
    .vgpr_spill_count: 0
    .wavefront_size: 32
    .workgroup_processor_mode: 1
  - .args:
      - .address_space:  global
        .offset:         0
        .size:           8
        .value_kind:     global_buffer
      - .address_space:  global
        .offset:         8
        .size:           8
        .value_kind:     global_buffer
      - .address_space:  global
        .offset:         16
        .size:           8
        .value_kind:     global_buffer
      - .offset:         24
        .size:           4
        .value_kind:     by_value
      - .offset:         28
        .size:           4
        .value_kind:     by_value
      - .offset:         32
        .size:           4
        .value_kind:     by_value
      - .address_space:  global
        .offset:         40
        .size:           8
        .value_kind:     global_buffer
      - .offset:         48
        .size:           4
        .value_kind:     hidden_block_count_x
      - .offset:         52
        .size:           4
        .value_kind:     hidden_block_count_y
      - .offset:         56
        .size:           4
        .value_kind:     hidden_block_count_z
      - .offset:         60
        .size:           2
        .value_kind:     hidden_group_size_x
      - .offset:         62
        .size:           2
        .value_kind:     hidden_group_size_y
      - .offset:         64
        .size:           2
        .value_kind:     hidden_group_size_z
      - .offset:         66
        .size:           2
        .value_kind:     hidden_remainder_x
      - .offset:         68
        .size:           2
        .value_kind:     hidden_remainder_y
      - .offset:         70
        .size:           2
        .value_kind:     hidden_remainder_z
      - .offset:         88
        .size:           8
        .value_kind:     hidden_global_offset_x
      - .offset:         96
        .size:           8
        .value_kind:     hidden_global_offset_y
      - .offset:         104
        .size:           8
        .value_kind:     hidden_global_offset_z
      - .offset:         112
        .size:           2
        .value_kind:     hidden_grid_dims
    .group_segment_fixed_size: 0
    .kernarg_segment_align: 8
    .kernarg_segment_size: 304
    .language:       OpenCL C
    .language_version:
      - 2
      - 0
    .max_flat_workgroup_size: 1024
    .name:           _ZN12_GLOBAL__N_121softmax_warp_backwardIN3c104HalfES2_fLi3ELb0ELb1ELi32EEEvPT0_PKT_S7_iiiPKb
    .private_segment_fixed_size: 0
    .sgpr_count:     18
    .sgpr_spill_count: 0
    .symbol:         _ZN12_GLOBAL__N_121softmax_warp_backwardIN3c104HalfES2_fLi3ELb0ELb1ELi32EEEvPT0_PKT_S7_iiiPKb.kd
    .uniform_work_group_size: 1
    .uses_dynamic_stack: false
    .vgpr_count:     14
    .vgpr_spill_count: 0
    .wavefront_size: 32
    .workgroup_processor_mode: 1
  - .args:
      - .address_space:  global
        .offset:         0
        .size:           8
        .value_kind:     global_buffer
      - .address_space:  global
        .offset:         8
        .size:           8
        .value_kind:     global_buffer
      - .address_space:  global
        .offset:         16
        .size:           8
        .value_kind:     global_buffer
      - .offset:         24
        .size:           4
        .value_kind:     by_value
      - .offset:         28
        .size:           4
        .value_kind:     by_value
      - .offset:         32
        .size:           4
        .value_kind:     by_value
      - .address_space:  global
        .offset:         40
        .size:           8
        .value_kind:     global_buffer
      - .offset:         48
        .size:           4
        .value_kind:     hidden_block_count_x
      - .offset:         52
        .size:           4
        .value_kind:     hidden_block_count_y
      - .offset:         56
        .size:           4
        .value_kind:     hidden_block_count_z
      - .offset:         60
        .size:           2
        .value_kind:     hidden_group_size_x
      - .offset:         62
        .size:           2
        .value_kind:     hidden_group_size_y
      - .offset:         64
        .size:           2
        .value_kind:     hidden_group_size_z
      - .offset:         66
        .size:           2
        .value_kind:     hidden_remainder_x
      - .offset:         68
        .size:           2
        .value_kind:     hidden_remainder_y
      - .offset:         70
        .size:           2
        .value_kind:     hidden_remainder_z
      - .offset:         88
        .size:           8
        .value_kind:     hidden_global_offset_x
      - .offset:         96
        .size:           8
        .value_kind:     hidden_global_offset_y
      - .offset:         104
        .size:           8
        .value_kind:     hidden_global_offset_z
      - .offset:         112
        .size:           2
        .value_kind:     hidden_grid_dims
    .group_segment_fixed_size: 0
    .kernarg_segment_align: 8
    .kernarg_segment_size: 304
    .language:       OpenCL C
    .language_version:
      - 2
      - 0
    .max_flat_workgroup_size: 1024
    .name:           _ZN12_GLOBAL__N_121softmax_warp_backwardIN3c104HalfES2_fLi4ELb0ELb1ELi64EEEvPT0_PKT_S7_iiiPKb
    .private_segment_fixed_size: 0
    .sgpr_count:     18
    .sgpr_spill_count: 0
    .symbol:         _ZN12_GLOBAL__N_121softmax_warp_backwardIN3c104HalfES2_fLi4ELb0ELb1ELi64EEEvPT0_PKT_S7_iiiPKb.kd
    .uniform_work_group_size: 1
    .uses_dynamic_stack: false
    .vgpr_count:     14
    .vgpr_spill_count: 0
    .wavefront_size: 32
    .workgroup_processor_mode: 1
  - .args:
      - .address_space:  global
        .offset:         0
        .size:           8
        .value_kind:     global_buffer
      - .address_space:  global
        .offset:         8
        .size:           8
        .value_kind:     global_buffer
      - .address_space:  global
        .offset:         16
        .size:           8
        .value_kind:     global_buffer
      - .offset:         24
        .size:           4
        .value_kind:     by_value
      - .offset:         28
        .size:           4
        .value_kind:     by_value
      - .offset:         32
        .size:           4
        .value_kind:     by_value
      - .address_space:  global
        .offset:         40
        .size:           8
        .value_kind:     global_buffer
      - .offset:         48
        .size:           4
        .value_kind:     hidden_block_count_x
      - .offset:         52
        .size:           4
        .value_kind:     hidden_block_count_y
      - .offset:         56
        .size:           4
        .value_kind:     hidden_block_count_z
      - .offset:         60
        .size:           2
        .value_kind:     hidden_group_size_x
      - .offset:         62
        .size:           2
        .value_kind:     hidden_group_size_y
      - .offset:         64
        .size:           2
        .value_kind:     hidden_group_size_z
      - .offset:         66
        .size:           2
        .value_kind:     hidden_remainder_x
      - .offset:         68
        .size:           2
        .value_kind:     hidden_remainder_y
      - .offset:         70
        .size:           2
        .value_kind:     hidden_remainder_z
      - .offset:         88
        .size:           8
        .value_kind:     hidden_global_offset_x
      - .offset:         96
        .size:           8
        .value_kind:     hidden_global_offset_y
      - .offset:         104
        .size:           8
        .value_kind:     hidden_global_offset_z
      - .offset:         112
        .size:           2
        .value_kind:     hidden_grid_dims
    .group_segment_fixed_size: 0
    .kernarg_segment_align: 8
    .kernarg_segment_size: 304
    .language:       OpenCL C
    .language_version:
      - 2
      - 0
    .max_flat_workgroup_size: 1024
    .name:           _ZN12_GLOBAL__N_121softmax_warp_backwardIN3c104HalfES2_fLi4ELb0ELb1ELi32EEEvPT0_PKT_S7_iiiPKb
    .private_segment_fixed_size: 0
    .sgpr_count:     18
    .sgpr_spill_count: 0
    .symbol:         _ZN12_GLOBAL__N_121softmax_warp_backwardIN3c104HalfES2_fLi4ELb0ELb1ELi32EEEvPT0_PKT_S7_iiiPKb.kd
    .uniform_work_group_size: 1
    .uses_dynamic_stack: false
    .vgpr_count:     14
    .vgpr_spill_count: 0
    .wavefront_size: 32
    .workgroup_processor_mode: 1
  - .args:
      - .address_space:  global
        .offset:         0
        .size:           8
        .value_kind:     global_buffer
      - .address_space:  global
        .offset:         8
        .size:           8
        .value_kind:     global_buffer
      - .address_space:  global
        .offset:         16
        .size:           8
        .value_kind:     global_buffer
      - .offset:         24
        .size:           4
        .value_kind:     by_value
      - .offset:         28
        .size:           4
        .value_kind:     by_value
      - .offset:         32
        .size:           4
        .value_kind:     by_value
      - .address_space:  global
        .offset:         40
        .size:           8
        .value_kind:     global_buffer
      - .offset:         48
        .size:           4
        .value_kind:     hidden_block_count_x
      - .offset:         52
        .size:           4
        .value_kind:     hidden_block_count_y
      - .offset:         56
        .size:           4
        .value_kind:     hidden_block_count_z
      - .offset:         60
        .size:           2
        .value_kind:     hidden_group_size_x
      - .offset:         62
        .size:           2
        .value_kind:     hidden_group_size_y
      - .offset:         64
        .size:           2
        .value_kind:     hidden_group_size_z
      - .offset:         66
        .size:           2
        .value_kind:     hidden_remainder_x
      - .offset:         68
        .size:           2
        .value_kind:     hidden_remainder_y
      - .offset:         70
        .size:           2
        .value_kind:     hidden_remainder_z
      - .offset:         88
        .size:           8
        .value_kind:     hidden_global_offset_x
      - .offset:         96
        .size:           8
        .value_kind:     hidden_global_offset_y
      - .offset:         104
        .size:           8
        .value_kind:     hidden_global_offset_z
      - .offset:         112
        .size:           2
        .value_kind:     hidden_grid_dims
    .group_segment_fixed_size: 0
    .kernarg_segment_align: 8
    .kernarg_segment_size: 304
    .language:       OpenCL C
    .language_version:
      - 2
      - 0
    .max_flat_workgroup_size: 1024
    .name:           _ZN12_GLOBAL__N_121softmax_warp_backwardIN3c104HalfES2_fLi5ELb0ELb1ELi64EEEvPT0_PKT_S7_iiiPKb
    .private_segment_fixed_size: 0
    .sgpr_count:     18
    .sgpr_spill_count: 0
    .symbol:         _ZN12_GLOBAL__N_121softmax_warp_backwardIN3c104HalfES2_fLi5ELb0ELb1ELi64EEEvPT0_PKT_S7_iiiPKb.kd
    .uniform_work_group_size: 1
    .uses_dynamic_stack: false
    .vgpr_count:     13
    .vgpr_spill_count: 0
    .wavefront_size: 32
    .workgroup_processor_mode: 1
  - .args:
      - .address_space:  global
        .offset:         0
        .size:           8
        .value_kind:     global_buffer
      - .address_space:  global
        .offset:         8
        .size:           8
        .value_kind:     global_buffer
      - .address_space:  global
        .offset:         16
        .size:           8
        .value_kind:     global_buffer
      - .offset:         24
        .size:           4
        .value_kind:     by_value
      - .offset:         28
        .size:           4
        .value_kind:     by_value
      - .offset:         32
        .size:           4
        .value_kind:     by_value
      - .address_space:  global
        .offset:         40
        .size:           8
        .value_kind:     global_buffer
      - .offset:         48
        .size:           4
        .value_kind:     hidden_block_count_x
      - .offset:         52
        .size:           4
        .value_kind:     hidden_block_count_y
      - .offset:         56
        .size:           4
        .value_kind:     hidden_block_count_z
      - .offset:         60
        .size:           2
        .value_kind:     hidden_group_size_x
      - .offset:         62
        .size:           2
        .value_kind:     hidden_group_size_y
      - .offset:         64
        .size:           2
        .value_kind:     hidden_group_size_z
      - .offset:         66
        .size:           2
        .value_kind:     hidden_remainder_x
      - .offset:         68
        .size:           2
        .value_kind:     hidden_remainder_y
      - .offset:         70
        .size:           2
        .value_kind:     hidden_remainder_z
      - .offset:         88
        .size:           8
        .value_kind:     hidden_global_offset_x
      - .offset:         96
        .size:           8
        .value_kind:     hidden_global_offset_y
      - .offset:         104
        .size:           8
        .value_kind:     hidden_global_offset_z
      - .offset:         112
        .size:           2
        .value_kind:     hidden_grid_dims
    .group_segment_fixed_size: 0
    .kernarg_segment_align: 8
    .kernarg_segment_size: 304
    .language:       OpenCL C
    .language_version:
      - 2
      - 0
    .max_flat_workgroup_size: 1024
    .name:           _ZN12_GLOBAL__N_121softmax_warp_backwardIN3c104HalfES2_fLi5ELb0ELb1ELi32EEEvPT0_PKT_S7_iiiPKb
    .private_segment_fixed_size: 0
    .sgpr_count:     18
    .sgpr_spill_count: 0
    .symbol:         _ZN12_GLOBAL__N_121softmax_warp_backwardIN3c104HalfES2_fLi5ELb0ELb1ELi32EEEvPT0_PKT_S7_iiiPKb.kd
    .uniform_work_group_size: 1
    .uses_dynamic_stack: false
    .vgpr_count:     13
    .vgpr_spill_count: 0
    .wavefront_size: 32
    .workgroup_processor_mode: 1
  - .args:
      - .address_space:  global
        .offset:         0
        .size:           8
        .value_kind:     global_buffer
      - .address_space:  global
        .offset:         8
        .size:           8
        .value_kind:     global_buffer
      - .address_space:  global
        .offset:         16
        .size:           8
        .value_kind:     global_buffer
      - .offset:         24
        .size:           4
        .value_kind:     by_value
      - .offset:         28
        .size:           4
        .value_kind:     by_value
      - .offset:         32
        .size:           4
        .value_kind:     by_value
      - .address_space:  global
        .offset:         40
        .size:           8
        .value_kind:     global_buffer
      - .offset:         48
        .size:           4
        .value_kind:     hidden_block_count_x
      - .offset:         52
        .size:           4
        .value_kind:     hidden_block_count_y
      - .offset:         56
        .size:           4
        .value_kind:     hidden_block_count_z
      - .offset:         60
        .size:           2
        .value_kind:     hidden_group_size_x
      - .offset:         62
        .size:           2
        .value_kind:     hidden_group_size_y
      - .offset:         64
        .size:           2
        .value_kind:     hidden_group_size_z
      - .offset:         66
        .size:           2
        .value_kind:     hidden_remainder_x
      - .offset:         68
        .size:           2
        .value_kind:     hidden_remainder_y
      - .offset:         70
        .size:           2
        .value_kind:     hidden_remainder_z
      - .offset:         88
        .size:           8
        .value_kind:     hidden_global_offset_x
      - .offset:         96
        .size:           8
        .value_kind:     hidden_global_offset_y
      - .offset:         104
        .size:           8
        .value_kind:     hidden_global_offset_z
      - .offset:         112
        .size:           2
        .value_kind:     hidden_grid_dims
    .group_segment_fixed_size: 0
    .kernarg_segment_align: 8
    .kernarg_segment_size: 304
    .language:       OpenCL C
    .language_version:
      - 2
      - 0
    .max_flat_workgroup_size: 1024
    .name:           _ZN12_GLOBAL__N_121softmax_warp_backwardIN3c104HalfES2_fLi6ELb0ELb1ELi64EEEvPT0_PKT_S7_iiiPKb
    .private_segment_fixed_size: 0
    .sgpr_count:     18
    .sgpr_spill_count: 0
    .symbol:         _ZN12_GLOBAL__N_121softmax_warp_backwardIN3c104HalfES2_fLi6ELb0ELb1ELi64EEEvPT0_PKT_S7_iiiPKb.kd
    .uniform_work_group_size: 1
    .uses_dynamic_stack: false
    .vgpr_count:     13
    .vgpr_spill_count: 0
    .wavefront_size: 32
    .workgroup_processor_mode: 1
  - .args:
      - .address_space:  global
        .offset:         0
        .size:           8
        .value_kind:     global_buffer
      - .address_space:  global
        .offset:         8
        .size:           8
        .value_kind:     global_buffer
      - .address_space:  global
        .offset:         16
        .size:           8
        .value_kind:     global_buffer
      - .offset:         24
        .size:           4
        .value_kind:     by_value
      - .offset:         28
        .size:           4
        .value_kind:     by_value
      - .offset:         32
        .size:           4
        .value_kind:     by_value
      - .address_space:  global
        .offset:         40
        .size:           8
        .value_kind:     global_buffer
      - .offset:         48
        .size:           4
        .value_kind:     hidden_block_count_x
      - .offset:         52
        .size:           4
        .value_kind:     hidden_block_count_y
      - .offset:         56
        .size:           4
        .value_kind:     hidden_block_count_z
      - .offset:         60
        .size:           2
        .value_kind:     hidden_group_size_x
      - .offset:         62
        .size:           2
        .value_kind:     hidden_group_size_y
      - .offset:         64
        .size:           2
        .value_kind:     hidden_group_size_z
      - .offset:         66
        .size:           2
        .value_kind:     hidden_remainder_x
      - .offset:         68
        .size:           2
        .value_kind:     hidden_remainder_y
      - .offset:         70
        .size:           2
        .value_kind:     hidden_remainder_z
      - .offset:         88
        .size:           8
        .value_kind:     hidden_global_offset_x
      - .offset:         96
        .size:           8
        .value_kind:     hidden_global_offset_y
      - .offset:         104
        .size:           8
        .value_kind:     hidden_global_offset_z
      - .offset:         112
        .size:           2
        .value_kind:     hidden_grid_dims
    .group_segment_fixed_size: 0
    .kernarg_segment_align: 8
    .kernarg_segment_size: 304
    .language:       OpenCL C
    .language_version:
      - 2
      - 0
    .max_flat_workgroup_size: 1024
    .name:           _ZN12_GLOBAL__N_121softmax_warp_backwardIN3c104HalfES2_fLi6ELb0ELb1ELi32EEEvPT0_PKT_S7_iiiPKb
    .private_segment_fixed_size: 0
    .sgpr_count:     18
    .sgpr_spill_count: 0
    .symbol:         _ZN12_GLOBAL__N_121softmax_warp_backwardIN3c104HalfES2_fLi6ELb0ELb1ELi32EEEvPT0_PKT_S7_iiiPKb.kd
    .uniform_work_group_size: 1
    .uses_dynamic_stack: false
    .vgpr_count:     19
    .vgpr_spill_count: 0
    .wavefront_size: 32
    .workgroup_processor_mode: 1
  - .args:
      - .address_space:  global
        .offset:         0
        .size:           8
        .value_kind:     global_buffer
      - .address_space:  global
        .offset:         8
        .size:           8
        .value_kind:     global_buffer
      - .address_space:  global
        .offset:         16
        .size:           8
        .value_kind:     global_buffer
      - .offset:         24
        .size:           4
        .value_kind:     by_value
      - .offset:         28
        .size:           4
        .value_kind:     by_value
      - .offset:         32
        .size:           4
        .value_kind:     by_value
      - .address_space:  global
        .offset:         40
        .size:           8
        .value_kind:     global_buffer
      - .offset:         48
        .size:           4
        .value_kind:     hidden_block_count_x
      - .offset:         52
        .size:           4
        .value_kind:     hidden_block_count_y
      - .offset:         56
        .size:           4
        .value_kind:     hidden_block_count_z
      - .offset:         60
        .size:           2
        .value_kind:     hidden_group_size_x
      - .offset:         62
        .size:           2
        .value_kind:     hidden_group_size_y
      - .offset:         64
        .size:           2
        .value_kind:     hidden_group_size_z
      - .offset:         66
        .size:           2
        .value_kind:     hidden_remainder_x
      - .offset:         68
        .size:           2
        .value_kind:     hidden_remainder_y
      - .offset:         70
        .size:           2
        .value_kind:     hidden_remainder_z
      - .offset:         88
        .size:           8
        .value_kind:     hidden_global_offset_x
      - .offset:         96
        .size:           8
        .value_kind:     hidden_global_offset_y
      - .offset:         104
        .size:           8
        .value_kind:     hidden_global_offset_z
      - .offset:         112
        .size:           2
        .value_kind:     hidden_grid_dims
    .group_segment_fixed_size: 0
    .kernarg_segment_align: 8
    .kernarg_segment_size: 304
    .language:       OpenCL C
    .language_version:
      - 2
      - 0
    .max_flat_workgroup_size: 1024
    .name:           _ZN12_GLOBAL__N_121softmax_warp_backwardIN3c104HalfES2_fLi7ELb0ELb1ELi64EEEvPT0_PKT_S7_iiiPKb
    .private_segment_fixed_size: 0
    .sgpr_count:     18
    .sgpr_spill_count: 0
    .symbol:         _ZN12_GLOBAL__N_121softmax_warp_backwardIN3c104HalfES2_fLi7ELb0ELb1ELi64EEEvPT0_PKT_S7_iiiPKb.kd
    .uniform_work_group_size: 1
    .uses_dynamic_stack: false
    .vgpr_count:     19
    .vgpr_spill_count: 0
    .wavefront_size: 32
    .workgroup_processor_mode: 1
  - .args:
      - .address_space:  global
        .offset:         0
        .size:           8
        .value_kind:     global_buffer
      - .address_space:  global
        .offset:         8
        .size:           8
        .value_kind:     global_buffer
      - .address_space:  global
        .offset:         16
        .size:           8
        .value_kind:     global_buffer
      - .offset:         24
        .size:           4
        .value_kind:     by_value
      - .offset:         28
        .size:           4
        .value_kind:     by_value
      - .offset:         32
        .size:           4
        .value_kind:     by_value
      - .address_space:  global
        .offset:         40
        .size:           8
        .value_kind:     global_buffer
      - .offset:         48
        .size:           4
        .value_kind:     hidden_block_count_x
      - .offset:         52
        .size:           4
        .value_kind:     hidden_block_count_y
      - .offset:         56
        .size:           4
        .value_kind:     hidden_block_count_z
      - .offset:         60
        .size:           2
        .value_kind:     hidden_group_size_x
      - .offset:         62
        .size:           2
        .value_kind:     hidden_group_size_y
      - .offset:         64
        .size:           2
        .value_kind:     hidden_group_size_z
      - .offset:         66
        .size:           2
        .value_kind:     hidden_remainder_x
      - .offset:         68
        .size:           2
        .value_kind:     hidden_remainder_y
      - .offset:         70
        .size:           2
        .value_kind:     hidden_remainder_z
      - .offset:         88
        .size:           8
        .value_kind:     hidden_global_offset_x
      - .offset:         96
        .size:           8
        .value_kind:     hidden_global_offset_y
      - .offset:         104
        .size:           8
        .value_kind:     hidden_global_offset_z
      - .offset:         112
        .size:           2
        .value_kind:     hidden_grid_dims
    .group_segment_fixed_size: 0
    .kernarg_segment_align: 8
    .kernarg_segment_size: 304
    .language:       OpenCL C
    .language_version:
      - 2
      - 0
    .max_flat_workgroup_size: 1024
    .name:           _ZN12_GLOBAL__N_121softmax_warp_backwardIN3c104HalfES2_fLi7ELb0ELb1ELi32EEEvPT0_PKT_S7_iiiPKb
    .private_segment_fixed_size: 0
    .sgpr_count:     18
    .sgpr_spill_count: 0
    .symbol:         _ZN12_GLOBAL__N_121softmax_warp_backwardIN3c104HalfES2_fLi7ELb0ELb1ELi32EEEvPT0_PKT_S7_iiiPKb.kd
    .uniform_work_group_size: 1
    .uses_dynamic_stack: false
    .vgpr_count:     31
    .vgpr_spill_count: 0
    .wavefront_size: 32
    .workgroup_processor_mode: 1
  - .args:
      - .address_space:  global
        .offset:         0
        .size:           8
        .value_kind:     global_buffer
      - .address_space:  global
        .offset:         8
        .size:           8
        .value_kind:     global_buffer
      - .address_space:  global
        .offset:         16
        .size:           8
        .value_kind:     global_buffer
      - .offset:         24
        .size:           4
        .value_kind:     by_value
      - .offset:         28
        .size:           4
        .value_kind:     by_value
      - .offset:         32
        .size:           4
        .value_kind:     by_value
      - .address_space:  global
        .offset:         40
        .size:           8
        .value_kind:     global_buffer
      - .offset:         48
        .size:           4
        .value_kind:     hidden_block_count_x
      - .offset:         52
        .size:           4
        .value_kind:     hidden_block_count_y
      - .offset:         56
        .size:           4
        .value_kind:     hidden_block_count_z
      - .offset:         60
        .size:           2
        .value_kind:     hidden_group_size_x
      - .offset:         62
        .size:           2
        .value_kind:     hidden_group_size_y
      - .offset:         64
        .size:           2
        .value_kind:     hidden_group_size_z
      - .offset:         66
        .size:           2
        .value_kind:     hidden_remainder_x
      - .offset:         68
        .size:           2
        .value_kind:     hidden_remainder_y
      - .offset:         70
        .size:           2
        .value_kind:     hidden_remainder_z
      - .offset:         88
        .size:           8
        .value_kind:     hidden_global_offset_x
      - .offset:         96
        .size:           8
        .value_kind:     hidden_global_offset_y
      - .offset:         104
        .size:           8
        .value_kind:     hidden_global_offset_z
      - .offset:         112
        .size:           2
        .value_kind:     hidden_grid_dims
    .group_segment_fixed_size: 0
    .kernarg_segment_align: 8
    .kernarg_segment_size: 304
    .language:       OpenCL C
    .language_version:
      - 2
      - 0
    .max_flat_workgroup_size: 1024
    .name:           _ZN12_GLOBAL__N_121softmax_warp_backwardIN3c104HalfES2_fLi8ELb0ELb1ELi64EEEvPT0_PKT_S7_iiiPKb
    .private_segment_fixed_size: 0
    .sgpr_count:     18
    .sgpr_spill_count: 0
    .symbol:         _ZN12_GLOBAL__N_121softmax_warp_backwardIN3c104HalfES2_fLi8ELb0ELb1ELi64EEEvPT0_PKT_S7_iiiPKb.kd
    .uniform_work_group_size: 1
    .uses_dynamic_stack: false
    .vgpr_count:     17
    .vgpr_spill_count: 0
    .wavefront_size: 32
    .workgroup_processor_mode: 1
  - .args:
      - .address_space:  global
        .offset:         0
        .size:           8
        .value_kind:     global_buffer
      - .address_space:  global
        .offset:         8
        .size:           8
        .value_kind:     global_buffer
      - .address_space:  global
        .offset:         16
        .size:           8
        .value_kind:     global_buffer
      - .offset:         24
        .size:           4
        .value_kind:     by_value
      - .offset:         28
        .size:           4
        .value_kind:     by_value
      - .offset:         32
        .size:           4
        .value_kind:     by_value
      - .address_space:  global
        .offset:         40
        .size:           8
        .value_kind:     global_buffer
      - .offset:         48
        .size:           4
        .value_kind:     hidden_block_count_x
      - .offset:         52
        .size:           4
        .value_kind:     hidden_block_count_y
      - .offset:         56
        .size:           4
        .value_kind:     hidden_block_count_z
      - .offset:         60
        .size:           2
        .value_kind:     hidden_group_size_x
      - .offset:         62
        .size:           2
        .value_kind:     hidden_group_size_y
      - .offset:         64
        .size:           2
        .value_kind:     hidden_group_size_z
      - .offset:         66
        .size:           2
        .value_kind:     hidden_remainder_x
      - .offset:         68
        .size:           2
        .value_kind:     hidden_remainder_y
      - .offset:         70
        .size:           2
        .value_kind:     hidden_remainder_z
      - .offset:         88
        .size:           8
        .value_kind:     hidden_global_offset_x
      - .offset:         96
        .size:           8
        .value_kind:     hidden_global_offset_y
      - .offset:         104
        .size:           8
        .value_kind:     hidden_global_offset_z
      - .offset:         112
        .size:           2
        .value_kind:     hidden_grid_dims
    .group_segment_fixed_size: 0
    .kernarg_segment_align: 8
    .kernarg_segment_size: 304
    .language:       OpenCL C
    .language_version:
      - 2
      - 0
    .max_flat_workgroup_size: 1024
    .name:           _ZN12_GLOBAL__N_121softmax_warp_backwardIN3c104HalfES2_fLi8ELb0ELb1ELi32EEEvPT0_PKT_S7_iiiPKb
    .private_segment_fixed_size: 0
    .sgpr_count:     22
    .sgpr_spill_count: 0
    .symbol:         _ZN12_GLOBAL__N_121softmax_warp_backwardIN3c104HalfES2_fLi8ELb0ELb1ELi32EEEvPT0_PKT_S7_iiiPKb.kd
    .uniform_work_group_size: 1
    .uses_dynamic_stack: false
    .vgpr_count:     28
    .vgpr_spill_count: 0
    .wavefront_size: 32
    .workgroup_processor_mode: 1
  - .args:
      - .address_space:  global
        .offset:         0
        .size:           8
        .value_kind:     global_buffer
      - .address_space:  global
        .offset:         8
        .size:           8
        .value_kind:     global_buffer
      - .address_space:  global
        .offset:         16
        .size:           8
        .value_kind:     global_buffer
      - .offset:         24
        .size:           4
        .value_kind:     by_value
      - .offset:         28
        .size:           4
        .value_kind:     by_value
      - .offset:         32
        .size:           4
        .value_kind:     by_value
      - .address_space:  global
        .offset:         40
        .size:           8
        .value_kind:     global_buffer
      - .offset:         48
        .size:           4
        .value_kind:     hidden_block_count_x
      - .offset:         52
        .size:           4
        .value_kind:     hidden_block_count_y
      - .offset:         56
        .size:           4
        .value_kind:     hidden_block_count_z
      - .offset:         60
        .size:           2
        .value_kind:     hidden_group_size_x
      - .offset:         62
        .size:           2
        .value_kind:     hidden_group_size_y
      - .offset:         64
        .size:           2
        .value_kind:     hidden_group_size_z
      - .offset:         66
        .size:           2
        .value_kind:     hidden_remainder_x
      - .offset:         68
        .size:           2
        .value_kind:     hidden_remainder_y
      - .offset:         70
        .size:           2
        .value_kind:     hidden_remainder_z
      - .offset:         88
        .size:           8
        .value_kind:     hidden_global_offset_x
      - .offset:         96
        .size:           8
        .value_kind:     hidden_global_offset_y
      - .offset:         104
        .size:           8
        .value_kind:     hidden_global_offset_z
      - .offset:         112
        .size:           2
        .value_kind:     hidden_grid_dims
    .group_segment_fixed_size: 0
    .kernarg_segment_align: 8
    .kernarg_segment_size: 304
    .language:       OpenCL C
    .language_version:
      - 2
      - 0
    .max_flat_workgroup_size: 1024
    .name:           _ZN12_GLOBAL__N_121softmax_warp_backwardIN3c104HalfES2_fLi9ELb0ELb1ELi64EEEvPT0_PKT_S7_iiiPKb
    .private_segment_fixed_size: 0
    .sgpr_count:     22
    .sgpr_spill_count: 0
    .symbol:         _ZN12_GLOBAL__N_121softmax_warp_backwardIN3c104HalfES2_fLi9ELb0ELb1ELi64EEEvPT0_PKT_S7_iiiPKb.kd
    .uniform_work_group_size: 1
    .uses_dynamic_stack: false
    .vgpr_count:     28
    .vgpr_spill_count: 0
    .wavefront_size: 32
    .workgroup_processor_mode: 1
  - .args:
      - .address_space:  global
        .offset:         0
        .size:           8
        .value_kind:     global_buffer
      - .address_space:  global
        .offset:         8
        .size:           8
        .value_kind:     global_buffer
      - .address_space:  global
        .offset:         16
        .size:           8
        .value_kind:     global_buffer
      - .offset:         24
        .size:           4
        .value_kind:     by_value
      - .offset:         28
        .size:           4
        .value_kind:     by_value
      - .offset:         32
        .size:           4
        .value_kind:     by_value
      - .address_space:  global
        .offset:         40
        .size:           8
        .value_kind:     global_buffer
      - .offset:         48
        .size:           4
        .value_kind:     hidden_block_count_x
      - .offset:         52
        .size:           4
        .value_kind:     hidden_block_count_y
      - .offset:         56
        .size:           4
        .value_kind:     hidden_block_count_z
      - .offset:         60
        .size:           2
        .value_kind:     hidden_group_size_x
      - .offset:         62
        .size:           2
        .value_kind:     hidden_group_size_y
      - .offset:         64
        .size:           2
        .value_kind:     hidden_group_size_z
      - .offset:         66
        .size:           2
        .value_kind:     hidden_remainder_x
      - .offset:         68
        .size:           2
        .value_kind:     hidden_remainder_y
      - .offset:         70
        .size:           2
        .value_kind:     hidden_remainder_z
      - .offset:         88
        .size:           8
        .value_kind:     hidden_global_offset_x
      - .offset:         96
        .size:           8
        .value_kind:     hidden_global_offset_y
      - .offset:         104
        .size:           8
        .value_kind:     hidden_global_offset_z
      - .offset:         112
        .size:           2
        .value_kind:     hidden_grid_dims
    .group_segment_fixed_size: 0
    .kernarg_segment_align: 8
    .kernarg_segment_size: 304
    .language:       OpenCL C
    .language_version:
      - 2
      - 0
    .max_flat_workgroup_size: 1024
    .name:           _ZN12_GLOBAL__N_121softmax_warp_backwardIN3c104HalfES2_fLi9ELb0ELb1ELi32EEEvPT0_PKT_S7_iiiPKb
    .private_segment_fixed_size: 0
    .sgpr_count:     42
    .sgpr_spill_count: 0
    .symbol:         _ZN12_GLOBAL__N_121softmax_warp_backwardIN3c104HalfES2_fLi9ELb0ELb1ELi32EEEvPT0_PKT_S7_iiiPKb.kd
    .uniform_work_group_size: 1
    .uses_dynamic_stack: false
    .vgpr_count:     52
    .vgpr_spill_count: 0
    .wavefront_size: 32
    .workgroup_processor_mode: 1
  - .args:
      - .address_space:  global
        .offset:         0
        .size:           8
        .value_kind:     global_buffer
      - .address_space:  global
        .offset:         8
        .size:           8
        .value_kind:     global_buffer
      - .address_space:  global
        .offset:         16
        .size:           8
        .value_kind:     global_buffer
      - .offset:         24
        .size:           4
        .value_kind:     by_value
      - .offset:         28
        .size:           4
        .value_kind:     by_value
      - .offset:         32
        .size:           4
        .value_kind:     by_value
      - .address_space:  global
        .offset:         40
        .size:           8
        .value_kind:     global_buffer
      - .offset:         48
        .size:           4
        .value_kind:     hidden_block_count_x
      - .offset:         52
        .size:           4
        .value_kind:     hidden_block_count_y
      - .offset:         56
        .size:           4
        .value_kind:     hidden_block_count_z
      - .offset:         60
        .size:           2
        .value_kind:     hidden_group_size_x
      - .offset:         62
        .size:           2
        .value_kind:     hidden_group_size_y
      - .offset:         64
        .size:           2
        .value_kind:     hidden_group_size_z
      - .offset:         66
        .size:           2
        .value_kind:     hidden_remainder_x
      - .offset:         68
        .size:           2
        .value_kind:     hidden_remainder_y
      - .offset:         70
        .size:           2
        .value_kind:     hidden_remainder_z
      - .offset:         88
        .size:           8
        .value_kind:     hidden_global_offset_x
      - .offset:         96
        .size:           8
        .value_kind:     hidden_global_offset_y
      - .offset:         104
        .size:           8
        .value_kind:     hidden_global_offset_z
      - .offset:         112
        .size:           2
        .value_kind:     hidden_grid_dims
    .group_segment_fixed_size: 0
    .kernarg_segment_align: 8
    .kernarg_segment_size: 304
    .language:       OpenCL C
    .language_version:
      - 2
      - 0
    .max_flat_workgroup_size: 1024
    .name:           _ZN12_GLOBAL__N_121softmax_warp_backwardIN3c104HalfES2_fLi10ELb0ELb1ELi64EEEvPT0_PKT_S7_iiiPKb
    .private_segment_fixed_size: 0
    .sgpr_count:     42
    .sgpr_spill_count: 0
    .symbol:         _ZN12_GLOBAL__N_121softmax_warp_backwardIN3c104HalfES2_fLi10ELb0ELb1ELi64EEEvPT0_PKT_S7_iiiPKb.kd
    .uniform_work_group_size: 1
    .uses_dynamic_stack: false
    .vgpr_count:     52
    .vgpr_spill_count: 0
    .wavefront_size: 32
    .workgroup_processor_mode: 1
  - .args:
      - .address_space:  global
        .offset:         0
        .size:           8
        .value_kind:     global_buffer
      - .address_space:  global
        .offset:         8
        .size:           8
        .value_kind:     global_buffer
      - .address_space:  global
        .offset:         16
        .size:           8
        .value_kind:     global_buffer
      - .offset:         24
        .size:           4
        .value_kind:     by_value
      - .offset:         28
        .size:           4
        .value_kind:     by_value
      - .offset:         32
        .size:           4
        .value_kind:     by_value
      - .address_space:  global
        .offset:         40
        .size:           8
        .value_kind:     global_buffer
      - .offset:         48
        .size:           4
        .value_kind:     hidden_block_count_x
      - .offset:         52
        .size:           4
        .value_kind:     hidden_block_count_y
      - .offset:         56
        .size:           4
        .value_kind:     hidden_block_count_z
      - .offset:         60
        .size:           2
        .value_kind:     hidden_group_size_x
      - .offset:         62
        .size:           2
        .value_kind:     hidden_group_size_y
      - .offset:         64
        .size:           2
        .value_kind:     hidden_group_size_z
      - .offset:         66
        .size:           2
        .value_kind:     hidden_remainder_x
      - .offset:         68
        .size:           2
        .value_kind:     hidden_remainder_y
      - .offset:         70
        .size:           2
        .value_kind:     hidden_remainder_z
      - .offset:         88
        .size:           8
        .value_kind:     hidden_global_offset_x
      - .offset:         96
        .size:           8
        .value_kind:     hidden_global_offset_y
      - .offset:         104
        .size:           8
        .value_kind:     hidden_global_offset_z
      - .offset:         112
        .size:           2
        .value_kind:     hidden_grid_dims
    .group_segment_fixed_size: 0
    .kernarg_segment_align: 8
    .kernarg_segment_size: 304
    .language:       OpenCL C
    .language_version:
      - 2
      - 0
    .max_flat_workgroup_size: 1024
    .name:           _ZN12_GLOBAL__N_121softmax_warp_backwardIN3c104HalfES2_fLi10ELb0ELb1ELi32EEEvPT0_PKT_S7_iiiPKb
    .private_segment_fixed_size: 0
    .sgpr_count:     74
    .sgpr_spill_count: 0
    .symbol:         _ZN12_GLOBAL__N_121softmax_warp_backwardIN3c104HalfES2_fLi10ELb0ELb1ELi32EEEvPT0_PKT_S7_iiiPKb.kd
    .uniform_work_group_size: 1
    .uses_dynamic_stack: false
    .vgpr_count:     73
    .vgpr_spill_count: 0
    .wavefront_size: 32
    .workgroup_processor_mode: 1
  - .args:
      - .address_space:  global
        .offset:         0
        .size:           8
        .value_kind:     global_buffer
      - .address_space:  global
        .offset:         8
        .size:           8
        .value_kind:     global_buffer
      - .address_space:  global
        .offset:         16
        .size:           8
        .value_kind:     global_buffer
      - .offset:         24
        .size:           4
        .value_kind:     by_value
      - .offset:         28
        .size:           4
        .value_kind:     by_value
      - .offset:         32
        .size:           4
        .value_kind:     by_value
      - .address_space:  global
        .offset:         40
        .size:           8
        .value_kind:     global_buffer
      - .offset:         48
        .size:           4
        .value_kind:     hidden_block_count_x
      - .offset:         52
        .size:           4
        .value_kind:     hidden_block_count_y
      - .offset:         56
        .size:           4
        .value_kind:     hidden_block_count_z
      - .offset:         60
        .size:           2
        .value_kind:     hidden_group_size_x
      - .offset:         62
        .size:           2
        .value_kind:     hidden_group_size_y
      - .offset:         64
        .size:           2
        .value_kind:     hidden_group_size_z
      - .offset:         66
        .size:           2
        .value_kind:     hidden_remainder_x
      - .offset:         68
        .size:           2
        .value_kind:     hidden_remainder_y
      - .offset:         70
        .size:           2
        .value_kind:     hidden_remainder_z
      - .offset:         88
        .size:           8
        .value_kind:     hidden_global_offset_x
      - .offset:         96
        .size:           8
        .value_kind:     hidden_global_offset_y
      - .offset:         104
        .size:           8
        .value_kind:     hidden_global_offset_z
      - .offset:         112
        .size:           2
        .value_kind:     hidden_grid_dims
    .group_segment_fixed_size: 0
    .kernarg_segment_align: 8
    .kernarg_segment_size: 304
    .language:       OpenCL C
    .language_version:
      - 2
      - 0
    .max_flat_workgroup_size: 1024
    .name:           _ZN12_GLOBAL__N_121softmax_warp_backwardIN3c108BFloat16ES2_fLi0ELb0ELb1ELi64EEEvPT0_PKT_S7_iiiPKb
    .private_segment_fixed_size: 0
    .sgpr_count:     18
    .sgpr_spill_count: 0
    .symbol:         _ZN12_GLOBAL__N_121softmax_warp_backwardIN3c108BFloat16ES2_fLi0ELb0ELb1ELi64EEEvPT0_PKT_S7_iiiPKb.kd
    .uniform_work_group_size: 1
    .uses_dynamic_stack: false
    .vgpr_count:     13
    .vgpr_spill_count: 0
    .wavefront_size: 32
    .workgroup_processor_mode: 1
  - .args:
      - .address_space:  global
        .offset:         0
        .size:           8
        .value_kind:     global_buffer
      - .address_space:  global
        .offset:         8
        .size:           8
        .value_kind:     global_buffer
      - .address_space:  global
        .offset:         16
        .size:           8
        .value_kind:     global_buffer
      - .offset:         24
        .size:           4
        .value_kind:     by_value
      - .offset:         28
        .size:           4
        .value_kind:     by_value
      - .offset:         32
        .size:           4
        .value_kind:     by_value
      - .address_space:  global
        .offset:         40
        .size:           8
        .value_kind:     global_buffer
      - .offset:         48
        .size:           4
        .value_kind:     hidden_block_count_x
      - .offset:         52
        .size:           4
        .value_kind:     hidden_block_count_y
      - .offset:         56
        .size:           4
        .value_kind:     hidden_block_count_z
      - .offset:         60
        .size:           2
        .value_kind:     hidden_group_size_x
      - .offset:         62
        .size:           2
        .value_kind:     hidden_group_size_y
      - .offset:         64
        .size:           2
        .value_kind:     hidden_group_size_z
      - .offset:         66
        .size:           2
        .value_kind:     hidden_remainder_x
      - .offset:         68
        .size:           2
        .value_kind:     hidden_remainder_y
      - .offset:         70
        .size:           2
        .value_kind:     hidden_remainder_z
      - .offset:         88
        .size:           8
        .value_kind:     hidden_global_offset_x
      - .offset:         96
        .size:           8
        .value_kind:     hidden_global_offset_y
      - .offset:         104
        .size:           8
        .value_kind:     hidden_global_offset_z
      - .offset:         112
        .size:           2
        .value_kind:     hidden_grid_dims
    .group_segment_fixed_size: 0
    .kernarg_segment_align: 8
    .kernarg_segment_size: 304
    .language:       OpenCL C
    .language_version:
      - 2
      - 0
    .max_flat_workgroup_size: 1024
    .name:           _ZN12_GLOBAL__N_121softmax_warp_backwardIN3c108BFloat16ES2_fLi0ELb0ELb1ELi32EEEvPT0_PKT_S7_iiiPKb
    .private_segment_fixed_size: 0
    .sgpr_count:     18
    .sgpr_spill_count: 0
    .symbol:         _ZN12_GLOBAL__N_121softmax_warp_backwardIN3c108BFloat16ES2_fLi0ELb0ELb1ELi32EEEvPT0_PKT_S7_iiiPKb.kd
    .uniform_work_group_size: 1
    .uses_dynamic_stack: false
    .vgpr_count:     13
    .vgpr_spill_count: 0
    .wavefront_size: 32
    .workgroup_processor_mode: 1
  - .args:
      - .address_space:  global
        .offset:         0
        .size:           8
        .value_kind:     global_buffer
      - .address_space:  global
        .offset:         8
        .size:           8
        .value_kind:     global_buffer
      - .address_space:  global
        .offset:         16
        .size:           8
        .value_kind:     global_buffer
      - .offset:         24
        .size:           4
        .value_kind:     by_value
      - .offset:         28
        .size:           4
        .value_kind:     by_value
      - .offset:         32
        .size:           4
        .value_kind:     by_value
      - .address_space:  global
        .offset:         40
        .size:           8
        .value_kind:     global_buffer
      - .offset:         48
        .size:           4
        .value_kind:     hidden_block_count_x
      - .offset:         52
        .size:           4
        .value_kind:     hidden_block_count_y
      - .offset:         56
        .size:           4
        .value_kind:     hidden_block_count_z
      - .offset:         60
        .size:           2
        .value_kind:     hidden_group_size_x
      - .offset:         62
        .size:           2
        .value_kind:     hidden_group_size_y
      - .offset:         64
        .size:           2
        .value_kind:     hidden_group_size_z
      - .offset:         66
        .size:           2
        .value_kind:     hidden_remainder_x
      - .offset:         68
        .size:           2
        .value_kind:     hidden_remainder_y
      - .offset:         70
        .size:           2
        .value_kind:     hidden_remainder_z
      - .offset:         88
        .size:           8
        .value_kind:     hidden_global_offset_x
      - .offset:         96
        .size:           8
        .value_kind:     hidden_global_offset_y
      - .offset:         104
        .size:           8
        .value_kind:     hidden_global_offset_z
      - .offset:         112
        .size:           2
        .value_kind:     hidden_grid_dims
    .group_segment_fixed_size: 0
    .kernarg_segment_align: 8
    .kernarg_segment_size: 304
    .language:       OpenCL C
    .language_version:
      - 2
      - 0
    .max_flat_workgroup_size: 1024
    .name:           _ZN12_GLOBAL__N_121softmax_warp_backwardIN3c108BFloat16ES2_fLi1ELb0ELb1ELi64EEEvPT0_PKT_S7_iiiPKb
    .private_segment_fixed_size: 0
    .sgpr_count:     18
    .sgpr_spill_count: 0
    .symbol:         _ZN12_GLOBAL__N_121softmax_warp_backwardIN3c108BFloat16ES2_fLi1ELb0ELb1ELi64EEEvPT0_PKT_S7_iiiPKb.kd
    .uniform_work_group_size: 1
    .uses_dynamic_stack: false
    .vgpr_count:     13
    .vgpr_spill_count: 0
    .wavefront_size: 32
    .workgroup_processor_mode: 1
  - .args:
      - .address_space:  global
        .offset:         0
        .size:           8
        .value_kind:     global_buffer
      - .address_space:  global
        .offset:         8
        .size:           8
        .value_kind:     global_buffer
      - .address_space:  global
        .offset:         16
        .size:           8
        .value_kind:     global_buffer
      - .offset:         24
        .size:           4
        .value_kind:     by_value
      - .offset:         28
        .size:           4
        .value_kind:     by_value
      - .offset:         32
        .size:           4
        .value_kind:     by_value
      - .address_space:  global
        .offset:         40
        .size:           8
        .value_kind:     global_buffer
      - .offset:         48
        .size:           4
        .value_kind:     hidden_block_count_x
      - .offset:         52
        .size:           4
        .value_kind:     hidden_block_count_y
      - .offset:         56
        .size:           4
        .value_kind:     hidden_block_count_z
      - .offset:         60
        .size:           2
        .value_kind:     hidden_group_size_x
      - .offset:         62
        .size:           2
        .value_kind:     hidden_group_size_y
      - .offset:         64
        .size:           2
        .value_kind:     hidden_group_size_z
      - .offset:         66
        .size:           2
        .value_kind:     hidden_remainder_x
      - .offset:         68
        .size:           2
        .value_kind:     hidden_remainder_y
      - .offset:         70
        .size:           2
        .value_kind:     hidden_remainder_z
      - .offset:         88
        .size:           8
        .value_kind:     hidden_global_offset_x
      - .offset:         96
        .size:           8
        .value_kind:     hidden_global_offset_y
      - .offset:         104
        .size:           8
        .value_kind:     hidden_global_offset_z
      - .offset:         112
        .size:           2
        .value_kind:     hidden_grid_dims
    .group_segment_fixed_size: 0
    .kernarg_segment_align: 8
    .kernarg_segment_size: 304
    .language:       OpenCL C
    .language_version:
      - 2
      - 0
    .max_flat_workgroup_size: 1024
    .name:           _ZN12_GLOBAL__N_121softmax_warp_backwardIN3c108BFloat16ES2_fLi1ELb0ELb1ELi32EEEvPT0_PKT_S7_iiiPKb
    .private_segment_fixed_size: 0
    .sgpr_count:     18
    .sgpr_spill_count: 0
    .symbol:         _ZN12_GLOBAL__N_121softmax_warp_backwardIN3c108BFloat16ES2_fLi1ELb0ELb1ELi32EEEvPT0_PKT_S7_iiiPKb.kd
    .uniform_work_group_size: 1
    .uses_dynamic_stack: false
    .vgpr_count:     13
    .vgpr_spill_count: 0
    .wavefront_size: 32
    .workgroup_processor_mode: 1
  - .args:
      - .address_space:  global
        .offset:         0
        .size:           8
        .value_kind:     global_buffer
      - .address_space:  global
        .offset:         8
        .size:           8
        .value_kind:     global_buffer
      - .address_space:  global
        .offset:         16
        .size:           8
        .value_kind:     global_buffer
      - .offset:         24
        .size:           4
        .value_kind:     by_value
      - .offset:         28
        .size:           4
        .value_kind:     by_value
      - .offset:         32
        .size:           4
        .value_kind:     by_value
      - .address_space:  global
        .offset:         40
        .size:           8
        .value_kind:     global_buffer
      - .offset:         48
        .size:           4
        .value_kind:     hidden_block_count_x
      - .offset:         52
        .size:           4
        .value_kind:     hidden_block_count_y
      - .offset:         56
        .size:           4
        .value_kind:     hidden_block_count_z
      - .offset:         60
        .size:           2
        .value_kind:     hidden_group_size_x
      - .offset:         62
        .size:           2
        .value_kind:     hidden_group_size_y
      - .offset:         64
        .size:           2
        .value_kind:     hidden_group_size_z
      - .offset:         66
        .size:           2
        .value_kind:     hidden_remainder_x
      - .offset:         68
        .size:           2
        .value_kind:     hidden_remainder_y
      - .offset:         70
        .size:           2
        .value_kind:     hidden_remainder_z
      - .offset:         88
        .size:           8
        .value_kind:     hidden_global_offset_x
      - .offset:         96
        .size:           8
        .value_kind:     hidden_global_offset_y
      - .offset:         104
        .size:           8
        .value_kind:     hidden_global_offset_z
      - .offset:         112
        .size:           2
        .value_kind:     hidden_grid_dims
    .group_segment_fixed_size: 0
    .kernarg_segment_align: 8
    .kernarg_segment_size: 304
    .language:       OpenCL C
    .language_version:
      - 2
      - 0
    .max_flat_workgroup_size: 1024
    .name:           _ZN12_GLOBAL__N_121softmax_warp_backwardIN3c108BFloat16ES2_fLi2ELb0ELb1ELi64EEEvPT0_PKT_S7_iiiPKb
    .private_segment_fixed_size: 0
    .sgpr_count:     18
    .sgpr_spill_count: 0
    .symbol:         _ZN12_GLOBAL__N_121softmax_warp_backwardIN3c108BFloat16ES2_fLi2ELb0ELb1ELi64EEEvPT0_PKT_S7_iiiPKb.kd
    .uniform_work_group_size: 1
    .uses_dynamic_stack: false
    .vgpr_count:     14
    .vgpr_spill_count: 0
    .wavefront_size: 32
    .workgroup_processor_mode: 1
  - .args:
      - .address_space:  global
        .offset:         0
        .size:           8
        .value_kind:     global_buffer
      - .address_space:  global
        .offset:         8
        .size:           8
        .value_kind:     global_buffer
      - .address_space:  global
        .offset:         16
        .size:           8
        .value_kind:     global_buffer
      - .offset:         24
        .size:           4
        .value_kind:     by_value
      - .offset:         28
        .size:           4
        .value_kind:     by_value
      - .offset:         32
        .size:           4
        .value_kind:     by_value
      - .address_space:  global
        .offset:         40
        .size:           8
        .value_kind:     global_buffer
      - .offset:         48
        .size:           4
        .value_kind:     hidden_block_count_x
      - .offset:         52
        .size:           4
        .value_kind:     hidden_block_count_y
      - .offset:         56
        .size:           4
        .value_kind:     hidden_block_count_z
      - .offset:         60
        .size:           2
        .value_kind:     hidden_group_size_x
      - .offset:         62
        .size:           2
        .value_kind:     hidden_group_size_y
      - .offset:         64
        .size:           2
        .value_kind:     hidden_group_size_z
      - .offset:         66
        .size:           2
        .value_kind:     hidden_remainder_x
      - .offset:         68
        .size:           2
        .value_kind:     hidden_remainder_y
      - .offset:         70
        .size:           2
        .value_kind:     hidden_remainder_z
      - .offset:         88
        .size:           8
        .value_kind:     hidden_global_offset_x
      - .offset:         96
        .size:           8
        .value_kind:     hidden_global_offset_y
      - .offset:         104
        .size:           8
        .value_kind:     hidden_global_offset_z
      - .offset:         112
        .size:           2
        .value_kind:     hidden_grid_dims
    .group_segment_fixed_size: 0
    .kernarg_segment_align: 8
    .kernarg_segment_size: 304
    .language:       OpenCL C
    .language_version:
      - 2
      - 0
    .max_flat_workgroup_size: 1024
    .name:           _ZN12_GLOBAL__N_121softmax_warp_backwardIN3c108BFloat16ES2_fLi2ELb0ELb1ELi32EEEvPT0_PKT_S7_iiiPKb
    .private_segment_fixed_size: 0
    .sgpr_count:     18
    .sgpr_spill_count: 0
    .symbol:         _ZN12_GLOBAL__N_121softmax_warp_backwardIN3c108BFloat16ES2_fLi2ELb0ELb1ELi32EEEvPT0_PKT_S7_iiiPKb.kd
    .uniform_work_group_size: 1
    .uses_dynamic_stack: false
    .vgpr_count:     14
    .vgpr_spill_count: 0
    .wavefront_size: 32
    .workgroup_processor_mode: 1
  - .args:
      - .address_space:  global
        .offset:         0
        .size:           8
        .value_kind:     global_buffer
      - .address_space:  global
        .offset:         8
        .size:           8
        .value_kind:     global_buffer
      - .address_space:  global
        .offset:         16
        .size:           8
        .value_kind:     global_buffer
      - .offset:         24
        .size:           4
        .value_kind:     by_value
      - .offset:         28
        .size:           4
        .value_kind:     by_value
      - .offset:         32
        .size:           4
        .value_kind:     by_value
      - .address_space:  global
        .offset:         40
        .size:           8
        .value_kind:     global_buffer
      - .offset:         48
        .size:           4
        .value_kind:     hidden_block_count_x
      - .offset:         52
        .size:           4
        .value_kind:     hidden_block_count_y
      - .offset:         56
        .size:           4
        .value_kind:     hidden_block_count_z
      - .offset:         60
        .size:           2
        .value_kind:     hidden_group_size_x
      - .offset:         62
        .size:           2
        .value_kind:     hidden_group_size_y
      - .offset:         64
        .size:           2
        .value_kind:     hidden_group_size_z
      - .offset:         66
        .size:           2
        .value_kind:     hidden_remainder_x
      - .offset:         68
        .size:           2
        .value_kind:     hidden_remainder_y
      - .offset:         70
        .size:           2
        .value_kind:     hidden_remainder_z
      - .offset:         88
        .size:           8
        .value_kind:     hidden_global_offset_x
      - .offset:         96
        .size:           8
        .value_kind:     hidden_global_offset_y
      - .offset:         104
        .size:           8
        .value_kind:     hidden_global_offset_z
      - .offset:         112
        .size:           2
        .value_kind:     hidden_grid_dims
    .group_segment_fixed_size: 0
    .kernarg_segment_align: 8
    .kernarg_segment_size: 304
    .language:       OpenCL C
    .language_version:
      - 2
      - 0
    .max_flat_workgroup_size: 1024
    .name:           _ZN12_GLOBAL__N_121softmax_warp_backwardIN3c108BFloat16ES2_fLi3ELb0ELb1ELi64EEEvPT0_PKT_S7_iiiPKb
    .private_segment_fixed_size: 0
    .sgpr_count:     18
    .sgpr_spill_count: 0
    .symbol:         _ZN12_GLOBAL__N_121softmax_warp_backwardIN3c108BFloat16ES2_fLi3ELb0ELb1ELi64EEEvPT0_PKT_S7_iiiPKb.kd
    .uniform_work_group_size: 1
    .uses_dynamic_stack: false
    .vgpr_count:     14
    .vgpr_spill_count: 0
    .wavefront_size: 32
    .workgroup_processor_mode: 1
  - .args:
      - .address_space:  global
        .offset:         0
        .size:           8
        .value_kind:     global_buffer
      - .address_space:  global
        .offset:         8
        .size:           8
        .value_kind:     global_buffer
      - .address_space:  global
        .offset:         16
        .size:           8
        .value_kind:     global_buffer
      - .offset:         24
        .size:           4
        .value_kind:     by_value
      - .offset:         28
        .size:           4
        .value_kind:     by_value
      - .offset:         32
        .size:           4
        .value_kind:     by_value
      - .address_space:  global
        .offset:         40
        .size:           8
        .value_kind:     global_buffer
      - .offset:         48
        .size:           4
        .value_kind:     hidden_block_count_x
      - .offset:         52
        .size:           4
        .value_kind:     hidden_block_count_y
      - .offset:         56
        .size:           4
        .value_kind:     hidden_block_count_z
      - .offset:         60
        .size:           2
        .value_kind:     hidden_group_size_x
      - .offset:         62
        .size:           2
        .value_kind:     hidden_group_size_y
      - .offset:         64
        .size:           2
        .value_kind:     hidden_group_size_z
      - .offset:         66
        .size:           2
        .value_kind:     hidden_remainder_x
      - .offset:         68
        .size:           2
        .value_kind:     hidden_remainder_y
      - .offset:         70
        .size:           2
        .value_kind:     hidden_remainder_z
      - .offset:         88
        .size:           8
        .value_kind:     hidden_global_offset_x
      - .offset:         96
        .size:           8
        .value_kind:     hidden_global_offset_y
      - .offset:         104
        .size:           8
        .value_kind:     hidden_global_offset_z
      - .offset:         112
        .size:           2
        .value_kind:     hidden_grid_dims
    .group_segment_fixed_size: 0
    .kernarg_segment_align: 8
    .kernarg_segment_size: 304
    .language:       OpenCL C
    .language_version:
      - 2
      - 0
    .max_flat_workgroup_size: 1024
    .name:           _ZN12_GLOBAL__N_121softmax_warp_backwardIN3c108BFloat16ES2_fLi3ELb0ELb1ELi32EEEvPT0_PKT_S7_iiiPKb
    .private_segment_fixed_size: 0
    .sgpr_count:     18
    .sgpr_spill_count: 0
    .symbol:         _ZN12_GLOBAL__N_121softmax_warp_backwardIN3c108BFloat16ES2_fLi3ELb0ELb1ELi32EEEvPT0_PKT_S7_iiiPKb.kd
    .uniform_work_group_size: 1
    .uses_dynamic_stack: false
    .vgpr_count:     14
    .vgpr_spill_count: 0
    .wavefront_size: 32
    .workgroup_processor_mode: 1
  - .args:
      - .address_space:  global
        .offset:         0
        .size:           8
        .value_kind:     global_buffer
      - .address_space:  global
        .offset:         8
        .size:           8
        .value_kind:     global_buffer
      - .address_space:  global
        .offset:         16
        .size:           8
        .value_kind:     global_buffer
      - .offset:         24
        .size:           4
        .value_kind:     by_value
      - .offset:         28
        .size:           4
        .value_kind:     by_value
      - .offset:         32
        .size:           4
        .value_kind:     by_value
      - .address_space:  global
        .offset:         40
        .size:           8
        .value_kind:     global_buffer
      - .offset:         48
        .size:           4
        .value_kind:     hidden_block_count_x
      - .offset:         52
        .size:           4
        .value_kind:     hidden_block_count_y
      - .offset:         56
        .size:           4
        .value_kind:     hidden_block_count_z
      - .offset:         60
        .size:           2
        .value_kind:     hidden_group_size_x
      - .offset:         62
        .size:           2
        .value_kind:     hidden_group_size_y
      - .offset:         64
        .size:           2
        .value_kind:     hidden_group_size_z
      - .offset:         66
        .size:           2
        .value_kind:     hidden_remainder_x
      - .offset:         68
        .size:           2
        .value_kind:     hidden_remainder_y
      - .offset:         70
        .size:           2
        .value_kind:     hidden_remainder_z
      - .offset:         88
        .size:           8
        .value_kind:     hidden_global_offset_x
      - .offset:         96
        .size:           8
        .value_kind:     hidden_global_offset_y
      - .offset:         104
        .size:           8
        .value_kind:     hidden_global_offset_z
      - .offset:         112
        .size:           2
        .value_kind:     hidden_grid_dims
    .group_segment_fixed_size: 0
    .kernarg_segment_align: 8
    .kernarg_segment_size: 304
    .language:       OpenCL C
    .language_version:
      - 2
      - 0
    .max_flat_workgroup_size: 1024
    .name:           _ZN12_GLOBAL__N_121softmax_warp_backwardIN3c108BFloat16ES2_fLi4ELb0ELb1ELi64EEEvPT0_PKT_S7_iiiPKb
    .private_segment_fixed_size: 0
    .sgpr_count:     18
    .sgpr_spill_count: 0
    .symbol:         _ZN12_GLOBAL__N_121softmax_warp_backwardIN3c108BFloat16ES2_fLi4ELb0ELb1ELi64EEEvPT0_PKT_S7_iiiPKb.kd
    .uniform_work_group_size: 1
    .uses_dynamic_stack: false
    .vgpr_count:     14
    .vgpr_spill_count: 0
    .wavefront_size: 32
    .workgroup_processor_mode: 1
  - .args:
      - .address_space:  global
        .offset:         0
        .size:           8
        .value_kind:     global_buffer
      - .address_space:  global
        .offset:         8
        .size:           8
        .value_kind:     global_buffer
      - .address_space:  global
        .offset:         16
        .size:           8
        .value_kind:     global_buffer
      - .offset:         24
        .size:           4
        .value_kind:     by_value
      - .offset:         28
        .size:           4
        .value_kind:     by_value
      - .offset:         32
        .size:           4
        .value_kind:     by_value
      - .address_space:  global
        .offset:         40
        .size:           8
        .value_kind:     global_buffer
      - .offset:         48
        .size:           4
        .value_kind:     hidden_block_count_x
      - .offset:         52
        .size:           4
        .value_kind:     hidden_block_count_y
      - .offset:         56
        .size:           4
        .value_kind:     hidden_block_count_z
      - .offset:         60
        .size:           2
        .value_kind:     hidden_group_size_x
      - .offset:         62
        .size:           2
        .value_kind:     hidden_group_size_y
      - .offset:         64
        .size:           2
        .value_kind:     hidden_group_size_z
      - .offset:         66
        .size:           2
        .value_kind:     hidden_remainder_x
      - .offset:         68
        .size:           2
        .value_kind:     hidden_remainder_y
      - .offset:         70
        .size:           2
        .value_kind:     hidden_remainder_z
      - .offset:         88
        .size:           8
        .value_kind:     hidden_global_offset_x
      - .offset:         96
        .size:           8
        .value_kind:     hidden_global_offset_y
      - .offset:         104
        .size:           8
        .value_kind:     hidden_global_offset_z
      - .offset:         112
        .size:           2
        .value_kind:     hidden_grid_dims
    .group_segment_fixed_size: 0
    .kernarg_segment_align: 8
    .kernarg_segment_size: 304
    .language:       OpenCL C
    .language_version:
      - 2
      - 0
    .max_flat_workgroup_size: 1024
    .name:           _ZN12_GLOBAL__N_121softmax_warp_backwardIN3c108BFloat16ES2_fLi4ELb0ELb1ELi32EEEvPT0_PKT_S7_iiiPKb
    .private_segment_fixed_size: 0
    .sgpr_count:     18
    .sgpr_spill_count: 0
    .symbol:         _ZN12_GLOBAL__N_121softmax_warp_backwardIN3c108BFloat16ES2_fLi4ELb0ELb1ELi32EEEvPT0_PKT_S7_iiiPKb.kd
    .uniform_work_group_size: 1
    .uses_dynamic_stack: false
    .vgpr_count:     14
    .vgpr_spill_count: 0
    .wavefront_size: 32
    .workgroup_processor_mode: 1
  - .args:
      - .address_space:  global
        .offset:         0
        .size:           8
        .value_kind:     global_buffer
      - .address_space:  global
        .offset:         8
        .size:           8
        .value_kind:     global_buffer
      - .address_space:  global
        .offset:         16
        .size:           8
        .value_kind:     global_buffer
      - .offset:         24
        .size:           4
        .value_kind:     by_value
      - .offset:         28
        .size:           4
        .value_kind:     by_value
      - .offset:         32
        .size:           4
        .value_kind:     by_value
      - .address_space:  global
        .offset:         40
        .size:           8
        .value_kind:     global_buffer
      - .offset:         48
        .size:           4
        .value_kind:     hidden_block_count_x
      - .offset:         52
        .size:           4
        .value_kind:     hidden_block_count_y
      - .offset:         56
        .size:           4
        .value_kind:     hidden_block_count_z
      - .offset:         60
        .size:           2
        .value_kind:     hidden_group_size_x
      - .offset:         62
        .size:           2
        .value_kind:     hidden_group_size_y
      - .offset:         64
        .size:           2
        .value_kind:     hidden_group_size_z
      - .offset:         66
        .size:           2
        .value_kind:     hidden_remainder_x
      - .offset:         68
        .size:           2
        .value_kind:     hidden_remainder_y
      - .offset:         70
        .size:           2
        .value_kind:     hidden_remainder_z
      - .offset:         88
        .size:           8
        .value_kind:     hidden_global_offset_x
      - .offset:         96
        .size:           8
        .value_kind:     hidden_global_offset_y
      - .offset:         104
        .size:           8
        .value_kind:     hidden_global_offset_z
      - .offset:         112
        .size:           2
        .value_kind:     hidden_grid_dims
    .group_segment_fixed_size: 0
    .kernarg_segment_align: 8
    .kernarg_segment_size: 304
    .language:       OpenCL C
    .language_version:
      - 2
      - 0
    .max_flat_workgroup_size: 1024
    .name:           _ZN12_GLOBAL__N_121softmax_warp_backwardIN3c108BFloat16ES2_fLi5ELb0ELb1ELi64EEEvPT0_PKT_S7_iiiPKb
    .private_segment_fixed_size: 0
    .sgpr_count:     18
    .sgpr_spill_count: 0
    .symbol:         _ZN12_GLOBAL__N_121softmax_warp_backwardIN3c108BFloat16ES2_fLi5ELb0ELb1ELi64EEEvPT0_PKT_S7_iiiPKb.kd
    .uniform_work_group_size: 1
    .uses_dynamic_stack: false
    .vgpr_count:     13
    .vgpr_spill_count: 0
    .wavefront_size: 32
    .workgroup_processor_mode: 1
  - .args:
      - .address_space:  global
        .offset:         0
        .size:           8
        .value_kind:     global_buffer
      - .address_space:  global
        .offset:         8
        .size:           8
        .value_kind:     global_buffer
      - .address_space:  global
        .offset:         16
        .size:           8
        .value_kind:     global_buffer
      - .offset:         24
        .size:           4
        .value_kind:     by_value
      - .offset:         28
        .size:           4
        .value_kind:     by_value
      - .offset:         32
        .size:           4
        .value_kind:     by_value
      - .address_space:  global
        .offset:         40
        .size:           8
        .value_kind:     global_buffer
      - .offset:         48
        .size:           4
        .value_kind:     hidden_block_count_x
      - .offset:         52
        .size:           4
        .value_kind:     hidden_block_count_y
      - .offset:         56
        .size:           4
        .value_kind:     hidden_block_count_z
      - .offset:         60
        .size:           2
        .value_kind:     hidden_group_size_x
      - .offset:         62
        .size:           2
        .value_kind:     hidden_group_size_y
      - .offset:         64
        .size:           2
        .value_kind:     hidden_group_size_z
      - .offset:         66
        .size:           2
        .value_kind:     hidden_remainder_x
      - .offset:         68
        .size:           2
        .value_kind:     hidden_remainder_y
      - .offset:         70
        .size:           2
        .value_kind:     hidden_remainder_z
      - .offset:         88
        .size:           8
        .value_kind:     hidden_global_offset_x
      - .offset:         96
        .size:           8
        .value_kind:     hidden_global_offset_y
      - .offset:         104
        .size:           8
        .value_kind:     hidden_global_offset_z
      - .offset:         112
        .size:           2
        .value_kind:     hidden_grid_dims
    .group_segment_fixed_size: 0
    .kernarg_segment_align: 8
    .kernarg_segment_size: 304
    .language:       OpenCL C
    .language_version:
      - 2
      - 0
    .max_flat_workgroup_size: 1024
    .name:           _ZN12_GLOBAL__N_121softmax_warp_backwardIN3c108BFloat16ES2_fLi5ELb0ELb1ELi32EEEvPT0_PKT_S7_iiiPKb
    .private_segment_fixed_size: 0
    .sgpr_count:     18
    .sgpr_spill_count: 0
    .symbol:         _ZN12_GLOBAL__N_121softmax_warp_backwardIN3c108BFloat16ES2_fLi5ELb0ELb1ELi32EEEvPT0_PKT_S7_iiiPKb.kd
    .uniform_work_group_size: 1
    .uses_dynamic_stack: false
    .vgpr_count:     13
    .vgpr_spill_count: 0
    .wavefront_size: 32
    .workgroup_processor_mode: 1
  - .args:
      - .address_space:  global
        .offset:         0
        .size:           8
        .value_kind:     global_buffer
      - .address_space:  global
        .offset:         8
        .size:           8
        .value_kind:     global_buffer
      - .address_space:  global
        .offset:         16
        .size:           8
        .value_kind:     global_buffer
      - .offset:         24
        .size:           4
        .value_kind:     by_value
      - .offset:         28
        .size:           4
        .value_kind:     by_value
      - .offset:         32
        .size:           4
        .value_kind:     by_value
      - .address_space:  global
        .offset:         40
        .size:           8
        .value_kind:     global_buffer
      - .offset:         48
        .size:           4
        .value_kind:     hidden_block_count_x
      - .offset:         52
        .size:           4
        .value_kind:     hidden_block_count_y
      - .offset:         56
        .size:           4
        .value_kind:     hidden_block_count_z
      - .offset:         60
        .size:           2
        .value_kind:     hidden_group_size_x
      - .offset:         62
        .size:           2
        .value_kind:     hidden_group_size_y
      - .offset:         64
        .size:           2
        .value_kind:     hidden_group_size_z
      - .offset:         66
        .size:           2
        .value_kind:     hidden_remainder_x
      - .offset:         68
        .size:           2
        .value_kind:     hidden_remainder_y
      - .offset:         70
        .size:           2
        .value_kind:     hidden_remainder_z
      - .offset:         88
        .size:           8
        .value_kind:     hidden_global_offset_x
      - .offset:         96
        .size:           8
        .value_kind:     hidden_global_offset_y
      - .offset:         104
        .size:           8
        .value_kind:     hidden_global_offset_z
      - .offset:         112
        .size:           2
        .value_kind:     hidden_grid_dims
    .group_segment_fixed_size: 0
    .kernarg_segment_align: 8
    .kernarg_segment_size: 304
    .language:       OpenCL C
    .language_version:
      - 2
      - 0
    .max_flat_workgroup_size: 1024
    .name:           _ZN12_GLOBAL__N_121softmax_warp_backwardIN3c108BFloat16ES2_fLi6ELb0ELb1ELi64EEEvPT0_PKT_S7_iiiPKb
    .private_segment_fixed_size: 0
    .sgpr_count:     18
    .sgpr_spill_count: 0
    .symbol:         _ZN12_GLOBAL__N_121softmax_warp_backwardIN3c108BFloat16ES2_fLi6ELb0ELb1ELi64EEEvPT0_PKT_S7_iiiPKb.kd
    .uniform_work_group_size: 1
    .uses_dynamic_stack: false
    .vgpr_count:     13
    .vgpr_spill_count: 0
    .wavefront_size: 32
    .workgroup_processor_mode: 1
  - .args:
      - .address_space:  global
        .offset:         0
        .size:           8
        .value_kind:     global_buffer
      - .address_space:  global
        .offset:         8
        .size:           8
        .value_kind:     global_buffer
      - .address_space:  global
        .offset:         16
        .size:           8
        .value_kind:     global_buffer
      - .offset:         24
        .size:           4
        .value_kind:     by_value
      - .offset:         28
        .size:           4
        .value_kind:     by_value
      - .offset:         32
        .size:           4
        .value_kind:     by_value
      - .address_space:  global
        .offset:         40
        .size:           8
        .value_kind:     global_buffer
      - .offset:         48
        .size:           4
        .value_kind:     hidden_block_count_x
      - .offset:         52
        .size:           4
        .value_kind:     hidden_block_count_y
      - .offset:         56
        .size:           4
        .value_kind:     hidden_block_count_z
      - .offset:         60
        .size:           2
        .value_kind:     hidden_group_size_x
      - .offset:         62
        .size:           2
        .value_kind:     hidden_group_size_y
      - .offset:         64
        .size:           2
        .value_kind:     hidden_group_size_z
      - .offset:         66
        .size:           2
        .value_kind:     hidden_remainder_x
      - .offset:         68
        .size:           2
        .value_kind:     hidden_remainder_y
      - .offset:         70
        .size:           2
        .value_kind:     hidden_remainder_z
      - .offset:         88
        .size:           8
        .value_kind:     hidden_global_offset_x
      - .offset:         96
        .size:           8
        .value_kind:     hidden_global_offset_y
      - .offset:         104
        .size:           8
        .value_kind:     hidden_global_offset_z
      - .offset:         112
        .size:           2
        .value_kind:     hidden_grid_dims
    .group_segment_fixed_size: 0
    .kernarg_segment_align: 8
    .kernarg_segment_size: 304
    .language:       OpenCL C
    .language_version:
      - 2
      - 0
    .max_flat_workgroup_size: 1024
    .name:           _ZN12_GLOBAL__N_121softmax_warp_backwardIN3c108BFloat16ES2_fLi6ELb0ELb1ELi32EEEvPT0_PKT_S7_iiiPKb
    .private_segment_fixed_size: 0
    .sgpr_count:     18
    .sgpr_spill_count: 0
    .symbol:         _ZN12_GLOBAL__N_121softmax_warp_backwardIN3c108BFloat16ES2_fLi6ELb0ELb1ELi32EEEvPT0_PKT_S7_iiiPKb.kd
    .uniform_work_group_size: 1
    .uses_dynamic_stack: false
    .vgpr_count:     19
    .vgpr_spill_count: 0
    .wavefront_size: 32
    .workgroup_processor_mode: 1
  - .args:
      - .address_space:  global
        .offset:         0
        .size:           8
        .value_kind:     global_buffer
      - .address_space:  global
        .offset:         8
        .size:           8
        .value_kind:     global_buffer
      - .address_space:  global
        .offset:         16
        .size:           8
        .value_kind:     global_buffer
      - .offset:         24
        .size:           4
        .value_kind:     by_value
      - .offset:         28
        .size:           4
        .value_kind:     by_value
      - .offset:         32
        .size:           4
        .value_kind:     by_value
      - .address_space:  global
        .offset:         40
        .size:           8
        .value_kind:     global_buffer
      - .offset:         48
        .size:           4
        .value_kind:     hidden_block_count_x
      - .offset:         52
        .size:           4
        .value_kind:     hidden_block_count_y
      - .offset:         56
        .size:           4
        .value_kind:     hidden_block_count_z
      - .offset:         60
        .size:           2
        .value_kind:     hidden_group_size_x
      - .offset:         62
        .size:           2
        .value_kind:     hidden_group_size_y
      - .offset:         64
        .size:           2
        .value_kind:     hidden_group_size_z
      - .offset:         66
        .size:           2
        .value_kind:     hidden_remainder_x
      - .offset:         68
        .size:           2
        .value_kind:     hidden_remainder_y
      - .offset:         70
        .size:           2
        .value_kind:     hidden_remainder_z
      - .offset:         88
        .size:           8
        .value_kind:     hidden_global_offset_x
      - .offset:         96
        .size:           8
        .value_kind:     hidden_global_offset_y
      - .offset:         104
        .size:           8
        .value_kind:     hidden_global_offset_z
      - .offset:         112
        .size:           2
        .value_kind:     hidden_grid_dims
    .group_segment_fixed_size: 0
    .kernarg_segment_align: 8
    .kernarg_segment_size: 304
    .language:       OpenCL C
    .language_version:
      - 2
      - 0
    .max_flat_workgroup_size: 1024
    .name:           _ZN12_GLOBAL__N_121softmax_warp_backwardIN3c108BFloat16ES2_fLi7ELb0ELb1ELi64EEEvPT0_PKT_S7_iiiPKb
    .private_segment_fixed_size: 0
    .sgpr_count:     18
    .sgpr_spill_count: 0
    .symbol:         _ZN12_GLOBAL__N_121softmax_warp_backwardIN3c108BFloat16ES2_fLi7ELb0ELb1ELi64EEEvPT0_PKT_S7_iiiPKb.kd
    .uniform_work_group_size: 1
    .uses_dynamic_stack: false
    .vgpr_count:     19
    .vgpr_spill_count: 0
    .wavefront_size: 32
    .workgroup_processor_mode: 1
  - .args:
      - .address_space:  global
        .offset:         0
        .size:           8
        .value_kind:     global_buffer
      - .address_space:  global
        .offset:         8
        .size:           8
        .value_kind:     global_buffer
      - .address_space:  global
        .offset:         16
        .size:           8
        .value_kind:     global_buffer
      - .offset:         24
        .size:           4
        .value_kind:     by_value
      - .offset:         28
        .size:           4
        .value_kind:     by_value
      - .offset:         32
        .size:           4
        .value_kind:     by_value
      - .address_space:  global
        .offset:         40
        .size:           8
        .value_kind:     global_buffer
      - .offset:         48
        .size:           4
        .value_kind:     hidden_block_count_x
      - .offset:         52
        .size:           4
        .value_kind:     hidden_block_count_y
      - .offset:         56
        .size:           4
        .value_kind:     hidden_block_count_z
      - .offset:         60
        .size:           2
        .value_kind:     hidden_group_size_x
      - .offset:         62
        .size:           2
        .value_kind:     hidden_group_size_y
      - .offset:         64
        .size:           2
        .value_kind:     hidden_group_size_z
      - .offset:         66
        .size:           2
        .value_kind:     hidden_remainder_x
      - .offset:         68
        .size:           2
        .value_kind:     hidden_remainder_y
      - .offset:         70
        .size:           2
        .value_kind:     hidden_remainder_z
      - .offset:         88
        .size:           8
        .value_kind:     hidden_global_offset_x
      - .offset:         96
        .size:           8
        .value_kind:     hidden_global_offset_y
      - .offset:         104
        .size:           8
        .value_kind:     hidden_global_offset_z
      - .offset:         112
        .size:           2
        .value_kind:     hidden_grid_dims
    .group_segment_fixed_size: 0
    .kernarg_segment_align: 8
    .kernarg_segment_size: 304
    .language:       OpenCL C
    .language_version:
      - 2
      - 0
    .max_flat_workgroup_size: 1024
    .name:           _ZN12_GLOBAL__N_121softmax_warp_backwardIN3c108BFloat16ES2_fLi7ELb0ELb1ELi32EEEvPT0_PKT_S7_iiiPKb
    .private_segment_fixed_size: 0
    .sgpr_count:     18
    .sgpr_spill_count: 0
    .symbol:         _ZN12_GLOBAL__N_121softmax_warp_backwardIN3c108BFloat16ES2_fLi7ELb0ELb1ELi32EEEvPT0_PKT_S7_iiiPKb.kd
    .uniform_work_group_size: 1
    .uses_dynamic_stack: false
    .vgpr_count:     31
    .vgpr_spill_count: 0
    .wavefront_size: 32
    .workgroup_processor_mode: 1
  - .args:
      - .address_space:  global
        .offset:         0
        .size:           8
        .value_kind:     global_buffer
      - .address_space:  global
        .offset:         8
        .size:           8
        .value_kind:     global_buffer
      - .address_space:  global
        .offset:         16
        .size:           8
        .value_kind:     global_buffer
      - .offset:         24
        .size:           4
        .value_kind:     by_value
      - .offset:         28
        .size:           4
        .value_kind:     by_value
      - .offset:         32
        .size:           4
        .value_kind:     by_value
      - .address_space:  global
        .offset:         40
        .size:           8
        .value_kind:     global_buffer
      - .offset:         48
        .size:           4
        .value_kind:     hidden_block_count_x
      - .offset:         52
        .size:           4
        .value_kind:     hidden_block_count_y
      - .offset:         56
        .size:           4
        .value_kind:     hidden_block_count_z
      - .offset:         60
        .size:           2
        .value_kind:     hidden_group_size_x
      - .offset:         62
        .size:           2
        .value_kind:     hidden_group_size_y
      - .offset:         64
        .size:           2
        .value_kind:     hidden_group_size_z
      - .offset:         66
        .size:           2
        .value_kind:     hidden_remainder_x
      - .offset:         68
        .size:           2
        .value_kind:     hidden_remainder_y
      - .offset:         70
        .size:           2
        .value_kind:     hidden_remainder_z
      - .offset:         88
        .size:           8
        .value_kind:     hidden_global_offset_x
      - .offset:         96
        .size:           8
        .value_kind:     hidden_global_offset_y
      - .offset:         104
        .size:           8
        .value_kind:     hidden_global_offset_z
      - .offset:         112
        .size:           2
        .value_kind:     hidden_grid_dims
    .group_segment_fixed_size: 0
    .kernarg_segment_align: 8
    .kernarg_segment_size: 304
    .language:       OpenCL C
    .language_version:
      - 2
      - 0
    .max_flat_workgroup_size: 1024
    .name:           _ZN12_GLOBAL__N_121softmax_warp_backwardIN3c108BFloat16ES2_fLi8ELb0ELb1ELi64EEEvPT0_PKT_S7_iiiPKb
    .private_segment_fixed_size: 0
    .sgpr_count:     18
    .sgpr_spill_count: 0
    .symbol:         _ZN12_GLOBAL__N_121softmax_warp_backwardIN3c108BFloat16ES2_fLi8ELb0ELb1ELi64EEEvPT0_PKT_S7_iiiPKb.kd
    .uniform_work_group_size: 1
    .uses_dynamic_stack: false
    .vgpr_count:     17
    .vgpr_spill_count: 0
    .wavefront_size: 32
    .workgroup_processor_mode: 1
  - .args:
      - .address_space:  global
        .offset:         0
        .size:           8
        .value_kind:     global_buffer
      - .address_space:  global
        .offset:         8
        .size:           8
        .value_kind:     global_buffer
      - .address_space:  global
        .offset:         16
        .size:           8
        .value_kind:     global_buffer
      - .offset:         24
        .size:           4
        .value_kind:     by_value
      - .offset:         28
        .size:           4
        .value_kind:     by_value
      - .offset:         32
        .size:           4
        .value_kind:     by_value
      - .address_space:  global
        .offset:         40
        .size:           8
        .value_kind:     global_buffer
      - .offset:         48
        .size:           4
        .value_kind:     hidden_block_count_x
      - .offset:         52
        .size:           4
        .value_kind:     hidden_block_count_y
      - .offset:         56
        .size:           4
        .value_kind:     hidden_block_count_z
      - .offset:         60
        .size:           2
        .value_kind:     hidden_group_size_x
      - .offset:         62
        .size:           2
        .value_kind:     hidden_group_size_y
      - .offset:         64
        .size:           2
        .value_kind:     hidden_group_size_z
      - .offset:         66
        .size:           2
        .value_kind:     hidden_remainder_x
      - .offset:         68
        .size:           2
        .value_kind:     hidden_remainder_y
      - .offset:         70
        .size:           2
        .value_kind:     hidden_remainder_z
      - .offset:         88
        .size:           8
        .value_kind:     hidden_global_offset_x
      - .offset:         96
        .size:           8
        .value_kind:     hidden_global_offset_y
      - .offset:         104
        .size:           8
        .value_kind:     hidden_global_offset_z
      - .offset:         112
        .size:           2
        .value_kind:     hidden_grid_dims
    .group_segment_fixed_size: 0
    .kernarg_segment_align: 8
    .kernarg_segment_size: 304
    .language:       OpenCL C
    .language_version:
      - 2
      - 0
    .max_flat_workgroup_size: 1024
    .name:           _ZN12_GLOBAL__N_121softmax_warp_backwardIN3c108BFloat16ES2_fLi8ELb0ELb1ELi32EEEvPT0_PKT_S7_iiiPKb
    .private_segment_fixed_size: 0
    .sgpr_count:     22
    .sgpr_spill_count: 0
    .symbol:         _ZN12_GLOBAL__N_121softmax_warp_backwardIN3c108BFloat16ES2_fLi8ELb0ELb1ELi32EEEvPT0_PKT_S7_iiiPKb.kd
    .uniform_work_group_size: 1
    .uses_dynamic_stack: false
    .vgpr_count:     28
    .vgpr_spill_count: 0
    .wavefront_size: 32
    .workgroup_processor_mode: 1
  - .args:
      - .address_space:  global
        .offset:         0
        .size:           8
        .value_kind:     global_buffer
      - .address_space:  global
        .offset:         8
        .size:           8
        .value_kind:     global_buffer
      - .address_space:  global
        .offset:         16
        .size:           8
        .value_kind:     global_buffer
      - .offset:         24
        .size:           4
        .value_kind:     by_value
      - .offset:         28
        .size:           4
        .value_kind:     by_value
      - .offset:         32
        .size:           4
        .value_kind:     by_value
      - .address_space:  global
        .offset:         40
        .size:           8
        .value_kind:     global_buffer
      - .offset:         48
        .size:           4
        .value_kind:     hidden_block_count_x
      - .offset:         52
        .size:           4
        .value_kind:     hidden_block_count_y
      - .offset:         56
        .size:           4
        .value_kind:     hidden_block_count_z
      - .offset:         60
        .size:           2
        .value_kind:     hidden_group_size_x
      - .offset:         62
        .size:           2
        .value_kind:     hidden_group_size_y
      - .offset:         64
        .size:           2
        .value_kind:     hidden_group_size_z
      - .offset:         66
        .size:           2
        .value_kind:     hidden_remainder_x
      - .offset:         68
        .size:           2
        .value_kind:     hidden_remainder_y
      - .offset:         70
        .size:           2
        .value_kind:     hidden_remainder_z
      - .offset:         88
        .size:           8
        .value_kind:     hidden_global_offset_x
      - .offset:         96
        .size:           8
        .value_kind:     hidden_global_offset_y
      - .offset:         104
        .size:           8
        .value_kind:     hidden_global_offset_z
      - .offset:         112
        .size:           2
        .value_kind:     hidden_grid_dims
    .group_segment_fixed_size: 0
    .kernarg_segment_align: 8
    .kernarg_segment_size: 304
    .language:       OpenCL C
    .language_version:
      - 2
      - 0
    .max_flat_workgroup_size: 1024
    .name:           _ZN12_GLOBAL__N_121softmax_warp_backwardIN3c108BFloat16ES2_fLi9ELb0ELb1ELi64EEEvPT0_PKT_S7_iiiPKb
    .private_segment_fixed_size: 0
    .sgpr_count:     22
    .sgpr_spill_count: 0
    .symbol:         _ZN12_GLOBAL__N_121softmax_warp_backwardIN3c108BFloat16ES2_fLi9ELb0ELb1ELi64EEEvPT0_PKT_S7_iiiPKb.kd
    .uniform_work_group_size: 1
    .uses_dynamic_stack: false
    .vgpr_count:     28
    .vgpr_spill_count: 0
    .wavefront_size: 32
    .workgroup_processor_mode: 1
  - .args:
      - .address_space:  global
        .offset:         0
        .size:           8
        .value_kind:     global_buffer
      - .address_space:  global
        .offset:         8
        .size:           8
        .value_kind:     global_buffer
      - .address_space:  global
        .offset:         16
        .size:           8
        .value_kind:     global_buffer
      - .offset:         24
        .size:           4
        .value_kind:     by_value
      - .offset:         28
        .size:           4
        .value_kind:     by_value
      - .offset:         32
        .size:           4
        .value_kind:     by_value
      - .address_space:  global
        .offset:         40
        .size:           8
        .value_kind:     global_buffer
      - .offset:         48
        .size:           4
        .value_kind:     hidden_block_count_x
      - .offset:         52
        .size:           4
        .value_kind:     hidden_block_count_y
      - .offset:         56
        .size:           4
        .value_kind:     hidden_block_count_z
      - .offset:         60
        .size:           2
        .value_kind:     hidden_group_size_x
      - .offset:         62
        .size:           2
        .value_kind:     hidden_group_size_y
      - .offset:         64
        .size:           2
        .value_kind:     hidden_group_size_z
      - .offset:         66
        .size:           2
        .value_kind:     hidden_remainder_x
      - .offset:         68
        .size:           2
        .value_kind:     hidden_remainder_y
      - .offset:         70
        .size:           2
        .value_kind:     hidden_remainder_z
      - .offset:         88
        .size:           8
        .value_kind:     hidden_global_offset_x
      - .offset:         96
        .size:           8
        .value_kind:     hidden_global_offset_y
      - .offset:         104
        .size:           8
        .value_kind:     hidden_global_offset_z
      - .offset:         112
        .size:           2
        .value_kind:     hidden_grid_dims
    .group_segment_fixed_size: 0
    .kernarg_segment_align: 8
    .kernarg_segment_size: 304
    .language:       OpenCL C
    .language_version:
      - 2
      - 0
    .max_flat_workgroup_size: 1024
    .name:           _ZN12_GLOBAL__N_121softmax_warp_backwardIN3c108BFloat16ES2_fLi9ELb0ELb1ELi32EEEvPT0_PKT_S7_iiiPKb
    .private_segment_fixed_size: 0
    .sgpr_count:     42
    .sgpr_spill_count: 0
    .symbol:         _ZN12_GLOBAL__N_121softmax_warp_backwardIN3c108BFloat16ES2_fLi9ELb0ELb1ELi32EEEvPT0_PKT_S7_iiiPKb.kd
    .uniform_work_group_size: 1
    .uses_dynamic_stack: false
    .vgpr_count:     52
    .vgpr_spill_count: 0
    .wavefront_size: 32
    .workgroup_processor_mode: 1
  - .args:
      - .address_space:  global
        .offset:         0
        .size:           8
        .value_kind:     global_buffer
      - .address_space:  global
        .offset:         8
        .size:           8
        .value_kind:     global_buffer
      - .address_space:  global
        .offset:         16
        .size:           8
        .value_kind:     global_buffer
      - .offset:         24
        .size:           4
        .value_kind:     by_value
      - .offset:         28
        .size:           4
        .value_kind:     by_value
      - .offset:         32
        .size:           4
        .value_kind:     by_value
      - .address_space:  global
        .offset:         40
        .size:           8
        .value_kind:     global_buffer
      - .offset:         48
        .size:           4
        .value_kind:     hidden_block_count_x
      - .offset:         52
        .size:           4
        .value_kind:     hidden_block_count_y
      - .offset:         56
        .size:           4
        .value_kind:     hidden_block_count_z
      - .offset:         60
        .size:           2
        .value_kind:     hidden_group_size_x
      - .offset:         62
        .size:           2
        .value_kind:     hidden_group_size_y
      - .offset:         64
        .size:           2
        .value_kind:     hidden_group_size_z
      - .offset:         66
        .size:           2
        .value_kind:     hidden_remainder_x
      - .offset:         68
        .size:           2
        .value_kind:     hidden_remainder_y
      - .offset:         70
        .size:           2
        .value_kind:     hidden_remainder_z
      - .offset:         88
        .size:           8
        .value_kind:     hidden_global_offset_x
      - .offset:         96
        .size:           8
        .value_kind:     hidden_global_offset_y
      - .offset:         104
        .size:           8
        .value_kind:     hidden_global_offset_z
      - .offset:         112
        .size:           2
        .value_kind:     hidden_grid_dims
    .group_segment_fixed_size: 0
    .kernarg_segment_align: 8
    .kernarg_segment_size: 304
    .language:       OpenCL C
    .language_version:
      - 2
      - 0
    .max_flat_workgroup_size: 1024
    .name:           _ZN12_GLOBAL__N_121softmax_warp_backwardIN3c108BFloat16ES2_fLi10ELb0ELb1ELi64EEEvPT0_PKT_S7_iiiPKb
    .private_segment_fixed_size: 0
    .sgpr_count:     42
    .sgpr_spill_count: 0
    .symbol:         _ZN12_GLOBAL__N_121softmax_warp_backwardIN3c108BFloat16ES2_fLi10ELb0ELb1ELi64EEEvPT0_PKT_S7_iiiPKb.kd
    .uniform_work_group_size: 1
    .uses_dynamic_stack: false
    .vgpr_count:     52
    .vgpr_spill_count: 0
    .wavefront_size: 32
    .workgroup_processor_mode: 1
  - .args:
      - .address_space:  global
        .offset:         0
        .size:           8
        .value_kind:     global_buffer
      - .address_space:  global
        .offset:         8
        .size:           8
        .value_kind:     global_buffer
      - .address_space:  global
        .offset:         16
        .size:           8
        .value_kind:     global_buffer
      - .offset:         24
        .size:           4
        .value_kind:     by_value
      - .offset:         28
        .size:           4
        .value_kind:     by_value
      - .offset:         32
        .size:           4
        .value_kind:     by_value
      - .address_space:  global
        .offset:         40
        .size:           8
        .value_kind:     global_buffer
      - .offset:         48
        .size:           4
        .value_kind:     hidden_block_count_x
      - .offset:         52
        .size:           4
        .value_kind:     hidden_block_count_y
      - .offset:         56
        .size:           4
        .value_kind:     hidden_block_count_z
      - .offset:         60
        .size:           2
        .value_kind:     hidden_group_size_x
      - .offset:         62
        .size:           2
        .value_kind:     hidden_group_size_y
      - .offset:         64
        .size:           2
        .value_kind:     hidden_group_size_z
      - .offset:         66
        .size:           2
        .value_kind:     hidden_remainder_x
      - .offset:         68
        .size:           2
        .value_kind:     hidden_remainder_y
      - .offset:         70
        .size:           2
        .value_kind:     hidden_remainder_z
      - .offset:         88
        .size:           8
        .value_kind:     hidden_global_offset_x
      - .offset:         96
        .size:           8
        .value_kind:     hidden_global_offset_y
      - .offset:         104
        .size:           8
        .value_kind:     hidden_global_offset_z
      - .offset:         112
        .size:           2
        .value_kind:     hidden_grid_dims
    .group_segment_fixed_size: 0
    .kernarg_segment_align: 8
    .kernarg_segment_size: 304
    .language:       OpenCL C
    .language_version:
      - 2
      - 0
    .max_flat_workgroup_size: 1024
    .name:           _ZN12_GLOBAL__N_121softmax_warp_backwardIN3c108BFloat16ES2_fLi10ELb0ELb1ELi32EEEvPT0_PKT_S7_iiiPKb
    .private_segment_fixed_size: 0
    .sgpr_count:     80
    .sgpr_spill_count: 0
    .symbol:         _ZN12_GLOBAL__N_121softmax_warp_backwardIN3c108BFloat16ES2_fLi10ELb0ELb1ELi32EEEvPT0_PKT_S7_iiiPKb.kd
    .uniform_work_group_size: 1
    .uses_dynamic_stack: false
    .vgpr_count:     73
    .vgpr_spill_count: 0
    .wavefront_size: 32
    .workgroup_processor_mode: 1
amdhsa.target:   amdgcn-amd-amdhsa--gfx1100
amdhsa.version:
  - 1
  - 2
...

	.end_amdgpu_metadata
